;; amdgpu-corpus repo=vllm-project/vllm kind=compiled arch=gfx1100 opt=O3
	.text
	.amdgcn_target "amdgcn-amd-amdhsa--gfx1100"
	.amdhsa_code_object_version 6
	.section	.text._Z14LLGemm1_kernelIN3c104HalfELi2EEvPKT_S4_PS2_i,"axG",@progbits,_Z14LLGemm1_kernelIN3c104HalfELi2EEvPKT_S4_PS2_i,comdat
	.protected	_Z14LLGemm1_kernelIN3c104HalfELi2EEvPKT_S4_PS2_i ; -- Begin function _Z14LLGemm1_kernelIN3c104HalfELi2EEvPKT_S4_PS2_i
	.globl	_Z14LLGemm1_kernelIN3c104HalfELi2EEvPKT_S4_PS2_i
	.p2align	8
	.type	_Z14LLGemm1_kernelIN3c104HalfELi2EEvPKT_S4_PS2_i,@function
_Z14LLGemm1_kernelIN3c104HalfELi2EEvPKT_S4_PS2_i: ; @_Z14LLGemm1_kernelIN3c104HalfELi2EEvPKT_S4_PS2_i
; %bb.0:
	s_clause 0x2
	s_load_b32 s2, s[0:1], 0x18
	s_load_b128 s[4:7], s[0:1], 0x0
	s_load_b64 s[8:9], s[0:1], 0x10
	v_lshlrev_b32_e32 v13, 3, v0
                                        ; implicit-def: $vgpr4
                                        ; implicit-def: $vgpr5
                                        ; implicit-def: $vgpr9
	s_waitcnt lgkmcnt(0)
	s_delay_alu instid0(VALU_DEP_1)
	v_cmp_gt_i32_e32 vcc_lo, s2, v13
	s_and_saveexec_b32 s3, vcc_lo
	s_cbranch_execz .LBB0_2
; %bb.1:
	s_mul_i32 s10, s15, s2
	s_mov_b32 s11, 0
	s_bfe_u32 s10, s10, 0x1d0002
	s_delay_alu instid0(SALU_CYCLE_1) | instskip(SKIP_2) | instid1(VALU_DEP_2)
	v_dual_mov_b32 v2, 0 :: v_dual_add_nc_u32 v1, s10, v0
	s_lshr_b32 s10, s2, 3
	v_lshlrev_b32_e32 v14, 4, v0
	v_lshlrev_b64 v[1:2], 4, v[1:2]
	s_delay_alu instid0(VALU_DEP_1) | instskip(NEXT) | instid1(VALU_DEP_1)
	v_add_co_u32 v1, s2, s4, v1
	v_add_co_ci_u32_e64 v2, s2, s5, v2, s2
	s_lshl_b64 s[4:5], s[10:11], 4
	s_delay_alu instid0(VALU_DEP_2) | instid1(SALU_CYCLE_1)
	v_add_co_u32 v3, s2, v1, s4
	s_delay_alu instid0(VALU_DEP_1)
	v_add_co_ci_u32_e64 v4, s2, s5, v2, s2
	s_clause 0x1
	global_load_b128 v[9:12], v[1:2], off slc dlc
	global_load_b128 v[5:8], v[3:4], off slc dlc
	global_load_b128 v[1:4], v14, s[6:7]
.LBB0_2:
	s_or_b32 exec_lo, exec_lo, s3
	s_waitcnt vmcnt(0)
	v_pk_mul_f16 v9, v1, v9
	v_pk_mul_f16 v1, v1, v5
	s_delay_alu instid0(VALU_DEP_2) | instskip(NEXT) | instid1(VALU_DEP_2)
	v_pk_fma_f16 v5, v10, v2, v9
	v_pk_fma_f16 v1, v6, v2, v1
	s_delay_alu instid0(VALU_DEP_2) | instskip(NEXT) | instid1(VALU_DEP_2)
	v_pk_fma_f16 v2, v11, v3, v5
	v_pk_fma_f16 v1, v7, v3, v1
	v_mbcnt_lo_u32_b32 v5, -1, 0
	s_delay_alu instid0(VALU_DEP_3) | instskip(NEXT) | instid1(VALU_DEP_3)
	v_pk_fma_f16 v2, v12, v4, v2
	v_pk_fma_f16 v1, v8, v4, v1
	s_delay_alu instid0(VALU_DEP_3) | instskip(SKIP_1) | instid1(VALU_DEP_4)
	v_xor_b32_e32 v6, 16, v5
	v_xor_b32_e32 v10, 1, v5
	v_lshrrev_b32_e32 v3, 16, v2
	s_delay_alu instid0(VALU_DEP_4)
	v_lshrrev_b32_e32 v4, 16, v1
	v_cvt_f32_f16_e32 v2, v2
	v_cvt_f32_f16_e32 v1, v1
	v_cmp_gt_i32_e64 s2, 32, v6
	v_cvt_f32_f16_e32 v3, v3
	v_cvt_f32_f16_e32 v4, v4
	s_delay_alu instid0(VALU_DEP_3) | instskip(NEXT) | instid1(VALU_DEP_2)
	v_cndmask_b32_e64 v6, v5, v6, s2
	v_dual_add_f32 v2, v2, v3 :: v_dual_add_f32 v3, v1, v4
	s_mov_b32 s2, exec_lo
	s_delay_alu instid0(VALU_DEP_1) | instskip(NEXT) | instid1(VALU_DEP_3)
	v_dual_cndmask_b32 v4, 0, v2 :: v_dual_cndmask_b32 v3, 0, v3
	v_lshlrev_b32_e32 v1, 2, v6
	v_xor_b32_e32 v2, 8, v5
	ds_bpermute_b32 v6, v1, v4
	ds_bpermute_b32 v7, v1, v3
	v_cmp_gt_i32_e32 vcc_lo, 32, v2
	v_cndmask_b32_e32 v2, v5, v2, vcc_lo
	s_waitcnt lgkmcnt(1)
	v_add_f32_e32 v4, v4, v6
	s_waitcnt lgkmcnt(0)
	v_add_f32_e32 v6, v3, v7
	v_xor_b32_e32 v3, 4, v5
	s_delay_alu instid0(VALU_DEP_1) | instskip(SKIP_1) | instid1(VALU_DEP_1)
	v_cmp_gt_i32_e32 vcc_lo, 32, v3
	v_cndmask_b32_e32 v3, v5, v3, vcc_lo
	v_lshlrev_b32_e32 v3, 2, v3
	v_lshlrev_b32_e32 v2, 2, v2
	ds_bpermute_b32 v7, v2, v4
	s_waitcnt lgkmcnt(0)
	v_add_f32_e32 v7, v4, v7
	ds_bpermute_b32 v8, v2, v6
	v_xor_b32_e32 v4, 2, v5
	s_delay_alu instid0(VALU_DEP_1)
	v_cmp_gt_i32_e32 vcc_lo, 32, v4
	v_cndmask_b32_e32 v4, v5, v4, vcc_lo
	v_cmp_gt_i32_e32 vcc_lo, 32, v10
	s_waitcnt lgkmcnt(0)
	v_dual_cndmask_b32 v5, v5, v10 :: v_dual_add_f32 v6, v6, v8
	ds_bpermute_b32 v8, v3, v7
	v_lshlrev_b32_e32 v5, 2, v5
	v_lshlrev_b32_e32 v4, 2, v4
	ds_bpermute_b32 v9, v3, v6
	s_waitcnt lgkmcnt(0)
	v_dual_add_f32 v7, v7, v8 :: v_dual_add_f32 v6, v6, v9
	ds_bpermute_b32 v8, v4, v7
	ds_bpermute_b32 v9, v4, v6
	s_waitcnt lgkmcnt(0)
	v_dual_add_f32 v7, v7, v8 :: v_dual_add_f32 v8, v6, v9
	ds_bpermute_b32 v9, v5, v7
	v_and_b32_e32 v6, 31, v0
	ds_bpermute_b32 v10, v5, v8
	v_cmpx_gt_u32_e32 2, v6
	s_cbranch_execz .LBB0_4
; %bb.3:
	v_lshrrev_b32_e32 v11, 3, v0
	s_waitcnt lgkmcnt(1)
	v_add_f32_e32 v7, v7, v9
	v_cmp_eq_u32_e32 vcc_lo, 1, v6
	s_waitcnt lgkmcnt(0)
	v_dual_add_f32 v8, v8, v10 :: v_dual_and_b32 v11, 0x7c, v11
	s_delay_alu instid0(VALU_DEP_1) | instskip(NEXT) | instid1(VALU_DEP_2)
	v_cndmask_b32_e32 v7, v7, v8, vcc_lo
	v_lshl_or_b32 v9, v6, 7, v11
	ds_store_b32 v9, v7
.LBB0_4:
	s_or_b32 exec_lo, exec_lo, s2
	s_waitcnt lgkmcnt(0)
	s_barrier
	buffer_gl0_inv
	s_mov_b32 s2, exec_lo
	v_cmpx_gt_u32_e32 32, v0
	s_cbranch_execz .LBB0_9
; %bb.5:
	s_load_b32 s0, s[0:1], 0x2c
	v_dual_mov_b32 v0, 0 :: v_dual_and_b32 v7, 15, v0
	s_waitcnt lgkmcnt(0)
	s_and_b32 s0, 0xffff, s0
	s_delay_alu instid0(SALU_CYCLE_1)
	s_lshr_b32 s0, s0, 5
	s_delay_alu instid0(VALU_DEP_1) | instid1(SALU_CYCLE_1)
	v_cmp_gt_u32_e32 vcc_lo, s0, v7
	s_and_saveexec_b32 s0, vcc_lo
	s_cbranch_execz .LBB0_7
; %bb.6:
	v_lshlrev_b32_e32 v0, 2, v7
	s_delay_alu instid0(VALU_DEP_1)
	v_and_or_b32 v0, 0x1f80, v13, v0
	ds_load_b32 v0, v0
.LBB0_7:
	s_or_b32 exec_lo, exec_lo, s0
	s_waitcnt lgkmcnt(0)
	ds_bpermute_b32 v2, v2, v0
	v_cmp_eq_u32_e32 vcc_lo, 0, v6
	s_mov_b32 s1, 0
	s_waitcnt lgkmcnt(0)
	v_add_f32_e32 v0, v0, v2
	ds_bpermute_b32 v2, v3, v0
	s_waitcnt lgkmcnt(0)
	v_add_f32_e32 v0, v0, v2
	ds_bpermute_b32 v2, v4, v0
	;; [unrolled: 3-line block ×4, first 2 shown]
	s_and_b32 exec_lo, exec_lo, vcc_lo
	s_cbranch_execz .LBB0_9
; %bb.8:
	v_cvt_f16_f32_e32 v0, v0
	s_waitcnt lgkmcnt(0)
	v_cvt_f16_f32_e32 v1, v1
	s_and_b32 s0, s15, 0x7fffffff
	s_delay_alu instid0(SALU_CYCLE_1) | instskip(NEXT) | instid1(VALU_DEP_1)
	s_lshl_b64 s[0:1], s[0:1], 2
	v_pack_b32_f16 v0, v0, v1
	v_mov_b32_e32 v1, 0
	s_add_u32 s0, s8, s0
	s_addc_u32 s1, s9, s1
	global_store_b32 v1, v0, s[0:1]
.LBB0_9:
	s_nop 0
	s_sendmsg sendmsg(MSG_DEALLOC_VGPRS)
	s_endpgm
	.section	.rodata,"a",@progbits
	.p2align	6, 0x0
	.amdhsa_kernel _Z14LLGemm1_kernelIN3c104HalfELi2EEvPKT_S4_PS2_i
		.amdhsa_group_segment_fixed_size 256
		.amdhsa_private_segment_fixed_size 0
		.amdhsa_kernarg_size 288
		.amdhsa_user_sgpr_count 15
		.amdhsa_user_sgpr_dispatch_ptr 0
		.amdhsa_user_sgpr_queue_ptr 0
		.amdhsa_user_sgpr_kernarg_segment_ptr 1
		.amdhsa_user_sgpr_dispatch_id 0
		.amdhsa_user_sgpr_private_segment_size 0
		.amdhsa_wavefront_size32 1
		.amdhsa_uses_dynamic_stack 0
		.amdhsa_enable_private_segment 0
		.amdhsa_system_sgpr_workgroup_id_x 1
		.amdhsa_system_sgpr_workgroup_id_y 0
		.amdhsa_system_sgpr_workgroup_id_z 0
		.amdhsa_system_sgpr_workgroup_info 0
		.amdhsa_system_vgpr_workitem_id 0
		.amdhsa_next_free_vgpr 15
		.amdhsa_next_free_sgpr 16
		.amdhsa_reserve_vcc 1
		.amdhsa_float_round_mode_32 0
		.amdhsa_float_round_mode_16_64 0
		.amdhsa_float_denorm_mode_32 3
		.amdhsa_float_denorm_mode_16_64 3
		.amdhsa_dx10_clamp 1
		.amdhsa_ieee_mode 1
		.amdhsa_fp16_overflow 0
		.amdhsa_workgroup_processor_mode 1
		.amdhsa_memory_ordered 1
		.amdhsa_forward_progress 0
		.amdhsa_shared_vgpr_count 0
		.amdhsa_exception_fp_ieee_invalid_op 0
		.amdhsa_exception_fp_denorm_src 0
		.amdhsa_exception_fp_ieee_div_zero 0
		.amdhsa_exception_fp_ieee_overflow 0
		.amdhsa_exception_fp_ieee_underflow 0
		.amdhsa_exception_fp_ieee_inexact 0
		.amdhsa_exception_int_div_zero 0
	.end_amdhsa_kernel
	.section	.text._Z14LLGemm1_kernelIN3c104HalfELi2EEvPKT_S4_PS2_i,"axG",@progbits,_Z14LLGemm1_kernelIN3c104HalfELi2EEvPKT_S4_PS2_i,comdat
.Lfunc_end0:
	.size	_Z14LLGemm1_kernelIN3c104HalfELi2EEvPKT_S4_PS2_i, .Lfunc_end0-_Z14LLGemm1_kernelIN3c104HalfELi2EEvPKT_S4_PS2_i
                                        ; -- End function
	.section	.AMDGPU.csdata,"",@progbits
; Kernel info:
; codeLenInByte = 900
; NumSgprs: 18
; NumVgprs: 15
; ScratchSize: 0
; MemoryBound: 0
; FloatMode: 240
; IeeeMode: 1
; LDSByteSize: 256 bytes/workgroup (compile time only)
; SGPRBlocks: 2
; VGPRBlocks: 1
; NumSGPRsForWavesPerEU: 18
; NumVGPRsForWavesPerEU: 15
; Occupancy: 16
; WaveLimiterHint : 0
; COMPUTE_PGM_RSRC2:SCRATCH_EN: 0
; COMPUTE_PGM_RSRC2:USER_SGPR: 15
; COMPUTE_PGM_RSRC2:TRAP_HANDLER: 0
; COMPUTE_PGM_RSRC2:TGID_X_EN: 1
; COMPUTE_PGM_RSRC2:TGID_Y_EN: 0
; COMPUTE_PGM_RSRC2:TGID_Z_EN: 0
; COMPUTE_PGM_RSRC2:TIDIG_COMP_CNT: 0
	.section	.text._Z14LLGemm1_kernelIN3c104HalfELi4EEvPKT_S4_PS2_i,"axG",@progbits,_Z14LLGemm1_kernelIN3c104HalfELi4EEvPKT_S4_PS2_i,comdat
	.protected	_Z14LLGemm1_kernelIN3c104HalfELi4EEvPKT_S4_PS2_i ; -- Begin function _Z14LLGemm1_kernelIN3c104HalfELi4EEvPKT_S4_PS2_i
	.globl	_Z14LLGemm1_kernelIN3c104HalfELi4EEvPKT_S4_PS2_i
	.p2align	8
	.type	_Z14LLGemm1_kernelIN3c104HalfELi4EEvPKT_S4_PS2_i,@function
_Z14LLGemm1_kernelIN3c104HalfELi4EEvPKT_S4_PS2_i: ; @_Z14LLGemm1_kernelIN3c104HalfELi4EEvPKT_S4_PS2_i
; %bb.0:
	s_clause 0x2
	s_load_b32 s2, s[0:1], 0x18
	s_load_b128 s[4:7], s[0:1], 0x0
	s_load_b64 s[8:9], s[0:1], 0x10
	v_lshlrev_b32_e32 v21, 3, v0
                                        ; implicit-def: $vgpr4
                                        ; implicit-def: $vgpr5
                                        ; implicit-def: $vgpr9
                                        ; implicit-def: $vgpr13
                                        ; implicit-def: $vgpr17
	s_waitcnt lgkmcnt(0)
	s_delay_alu instid0(VALU_DEP_1)
	v_cmp_gt_i32_e32 vcc_lo, s2, v21
	s_and_saveexec_b32 s3, vcc_lo
	s_cbranch_execz .LBB1_2
; %bb.1:
	s_mul_i32 s10, s15, s2
	s_mov_b32 s11, 0
	s_bfe_u32 s10, s10, 0x1d0001
	s_delay_alu instid0(SALU_CYCLE_1) | instskip(SKIP_3) | instid1(VALU_DEP_2)
	v_dual_mov_b32 v2, 0 :: v_dual_add_nc_u32 v1, s10, v0
	s_lshr_b32 s10, s2, 3
	v_lshlrev_b32_e32 v22, 4, v0
	s_lshl_b64 s[12:13], s[10:11], 4
	v_lshlrev_b64 v[3:4], 4, v[1:2]
	v_add3_u32 v1, s10, s10, v1
	s_delay_alu instid0(VALU_DEP_1) | instskip(SKIP_1) | instid1(VALU_DEP_4)
	v_lshlrev_b64 v[5:6], 4, v[1:2]
	v_add_nc_u32_e32 v1, s10, v1
	v_add_co_u32 v3, s2, s4, v3
	s_delay_alu instid0(VALU_DEP_1) | instskip(NEXT) | instid1(VALU_DEP_3)
	v_add_co_ci_u32_e64 v4, s2, s5, v4, s2
	v_lshlrev_b64 v[1:2], 4, v[1:2]
	s_delay_alu instid0(VALU_DEP_3) | instskip(NEXT) | instid1(VALU_DEP_1)
	v_add_co_u32 v7, s2, v3, s12
	v_add_co_ci_u32_e64 v8, s2, s13, v4, s2
	v_add_co_u32 v5, s2, s4, v5
	s_delay_alu instid0(VALU_DEP_1) | instskip(SKIP_1) | instid1(VALU_DEP_1)
	v_add_co_ci_u32_e64 v6, s2, s5, v6, s2
	v_add_co_u32 v1, s2, s4, v1
	v_add_co_ci_u32_e64 v2, s2, s5, v2, s2
	s_clause 0x3
	global_load_b128 v[17:20], v[3:4], off slc dlc
	global_load_b128 v[13:16], v[7:8], off slc dlc
	;; [unrolled: 1-line block ×4, first 2 shown]
	global_load_b128 v[1:4], v22, s[6:7]
.LBB1_2:
	s_or_b32 exec_lo, exec_lo, s3
	s_waitcnt vmcnt(0)
	v_pk_mul_f16 v17, v1, v17
	v_pk_mul_f16 v13, v1, v13
	;; [unrolled: 1-line block ×4, first 2 shown]
	s_delay_alu instid0(VALU_DEP_4) | instskip(NEXT) | instid1(VALU_DEP_4)
	v_pk_fma_f16 v5, v18, v2, v17
	v_pk_fma_f16 v13, v14, v2, v13
	s_delay_alu instid0(VALU_DEP_4) | instskip(NEXT) | instid1(VALU_DEP_4)
	v_pk_fma_f16 v9, v10, v2, v9
	v_pk_fma_f16 v1, v6, v2, v1
	s_delay_alu instid0(VALU_DEP_4)
	v_pk_fma_f16 v2, v19, v3, v5
	v_mbcnt_lo_u32_b32 v5, -1, 0
	v_pk_fma_f16 v6, v15, v3, v13
	v_pk_fma_f16 v9, v11, v3, v9
	;; [unrolled: 1-line block ×4, first 2 shown]
	v_xor_b32_e32 v3, 16, v5
	v_pk_fma_f16 v6, v16, v4, v6
	v_pk_fma_f16 v7, v12, v4, v9
	;; [unrolled: 1-line block ×3, first 2 shown]
	v_cvt_f32_f16_e32 v4, v2
	v_lshrrev_b32_e32 v2, 16, v2
	v_cvt_f32_f16_e32 v8, v6
	v_lshrrev_b32_e32 v6, 16, v6
	;; [unrolled: 2-line block ×3, first 2 shown]
	v_lshrrev_b32_e32 v10, 16, v1
	v_cvt_f32_f16_e32 v2, v2
	v_cmp_gt_i32_e64 s2, 32, v3
	v_cvt_f32_f16_e32 v1, v1
	v_cvt_f32_f16_e32 v6, v6
	v_cvt_f32_f16_e32 v7, v7
	v_cvt_f32_f16_e32 v10, v10
	v_cndmask_b32_e64 v3, v5, v3, s2
	v_add_f32_e32 v2, v4, v2
	v_add_f32_e32 v4, v8, v6
	;; [unrolled: 1-line block ×4, first 2 shown]
	s_delay_alu instid0(VALU_DEP_4) | instskip(NEXT) | instid1(VALU_DEP_3)
	v_dual_cndmask_b32 v8, 0, v2 :: v_dual_lshlrev_b32 v1, 2, v3
	v_dual_cndmask_b32 v3, 0, v4 :: v_dual_cndmask_b32 v4, 0, v6
	s_delay_alu instid0(VALU_DEP_3)
	v_cndmask_b32_e32 v6, 0, v7, vcc_lo
	v_xor_b32_e32 v2, 8, v5
	ds_bpermute_b32 v7, v1, v8
	ds_bpermute_b32 v9, v1, v3
	s_mov_b32 s2, exec_lo
	v_cmp_gt_i32_e32 vcc_lo, 32, v2
	s_waitcnt lgkmcnt(1)
	v_add_f32_e32 v7, v8, v7
	ds_bpermute_b32 v10, v1, v4
	s_waitcnt lgkmcnt(1)
	v_add_f32_e32 v8, v3, v9
	v_xor_b32_e32 v3, 4, v5
	s_waitcnt lgkmcnt(0)
	v_add_f32_e32 v4, v4, v10
	v_cndmask_b32_e32 v2, v5, v2, vcc_lo
	s_delay_alu instid0(VALU_DEP_3) | instskip(NEXT) | instid1(VALU_DEP_2)
	v_cmp_gt_i32_e32 vcc_lo, 32, v3
	v_dual_cndmask_b32 v3, v5, v3 :: v_dual_lshlrev_b32 v2, 2, v2
	ds_bpermute_b32 v9, v2, v7
	ds_bpermute_b32 v10, v2, v8
	v_lshlrev_b32_e32 v3, 2, v3
	s_waitcnt lgkmcnt(1)
	v_add_f32_e32 v7, v7, v9
	ds_bpermute_b32 v11, v1, v6
	s_waitcnt lgkmcnt(1)
	v_add_f32_e32 v8, v8, v10
	ds_bpermute_b32 v10, v3, v7
	;; [unrolled: 3-line block ×5, first 2 shown]
	v_xor_b32_e32 v4, 2, v5
	s_waitcnt lgkmcnt(1)
	v_add_f32_e32 v6, v6, v12
	ds_bpermute_b32 v12, v3, v9
	v_cmp_gt_i32_e32 vcc_lo, 32, v4
	ds_bpermute_b32 v13, v3, v6
	v_cndmask_b32_e32 v4, v5, v4, vcc_lo
	s_waitcnt lgkmcnt(1)
	v_dual_add_f32 v8, v8, v11 :: v_dual_add_f32 v11, v9, v12
	s_waitcnt lgkmcnt(0)
	v_add_f32_e32 v12, v6, v13
	v_xor_b32_e32 v6, 1, v5
	s_delay_alu instid0(VALU_DEP_1)
	v_cmp_gt_i32_e32 vcc_lo, 32, v6
	v_dual_cndmask_b32 v5, v5, v6 :: v_dual_lshlrev_b32 v4, 2, v4
	ds_bpermute_b32 v9, v4, v7
	ds_bpermute_b32 v13, v4, v11
	;; [unrolled: 1-line block ×3, first 2 shown]
	v_lshlrev_b32_e32 v6, 2, v5
	v_lshrrev_b32_e32 v5, 5, v0
	s_waitcnt lgkmcnt(2)
	v_add_f32_e32 v9, v7, v9
	v_and_b32_e32 v7, 31, v0
	ds_bpermute_b32 v10, v4, v8
	s_waitcnt lgkmcnt(2)
	v_add_f32_e32 v11, v11, v13
	ds_bpermute_b32 v13, v6, v9
	ds_bpermute_b32 v15, v6, v11
	s_waitcnt lgkmcnt(2)
	v_add_f32_e32 v10, v8, v10
	v_add_f32_e32 v8, v12, v14
	ds_bpermute_b32 v14, v6, v10
	ds_bpermute_b32 v12, v6, v8
	v_cmpx_gt_u32_e32 4, v7
	s_cbranch_execz .LBB1_4
; %bb.3:
	s_waitcnt lgkmcnt(1)
	v_dual_add_f32 v9, v9, v13 :: v_dual_add_f32 v10, v10, v14
	v_cmp_eq_u32_e32 vcc_lo, 1, v7
	s_waitcnt lgkmcnt(0)
	v_dual_add_f32 v11, v11, v15 :: v_dual_add_f32 v8, v8, v12
	s_delay_alu instid0(VALU_DEP_3) | instskip(SKIP_1) | instid1(VALU_DEP_2)
	v_dual_cndmask_b32 v9, v9, v10 :: v_dual_lshlrev_b32 v10, 2, v5
	v_cmp_eq_u32_e32 vcc_lo, 2, v7
	v_lshl_or_b32 v10, v7, 7, v10
	s_delay_alu instid0(VALU_DEP_3) | instskip(SKIP_1) | instid1(VALU_DEP_2)
	v_cndmask_b32_e32 v9, v9, v11, vcc_lo
	v_cmp_eq_u32_e32 vcc_lo, 3, v7
	v_cndmask_b32_e32 v8, v9, v8, vcc_lo
	ds_store_b32 v10, v8
.LBB1_4:
	s_or_b32 exec_lo, exec_lo, s2
	s_waitcnt lgkmcnt(0)
	s_barrier
	buffer_gl0_inv
	s_mov_b32 s2, exec_lo
	v_cmpx_gt_u32_e32 64, v0
	s_cbranch_execz .LBB1_9
; %bb.5:
	s_load_b32 s0, s[0:1], 0x2c
	v_and_b32_e32 v8, 15, v0
	v_mov_b32_e32 v0, 0
	s_waitcnt lgkmcnt(0)
	s_and_b32 s0, 0xffff, s0
	s_delay_alu instid0(SALU_CYCLE_1) | instskip(NEXT) | instid1(SALU_CYCLE_1)
	s_lshr_b32 s0, s0, 5
	v_cmp_gt_u32_e32 vcc_lo, s0, v8
	s_and_saveexec_b32 s0, vcc_lo
	s_cbranch_execz .LBB1_7
; %bb.6:
	v_lshlrev_b32_e32 v0, 2, v8
	s_delay_alu instid0(VALU_DEP_1)
	v_and_or_b32 v0, 0x1f80, v21, v0
	ds_load_b32 v0, v0
.LBB1_7:
	s_or_b32 exec_lo, exec_lo, s0
	s_waitcnt lgkmcnt(0)
	ds_bpermute_b32 v2, v2, v0
	v_cmp_eq_u32_e32 vcc_lo, 0, v7
	s_waitcnt lgkmcnt(0)
	v_add_f32_e32 v0, v0, v2
	ds_bpermute_b32 v2, v3, v0
	s_waitcnt lgkmcnt(0)
	v_add_f32_e32 v0, v0, v2
	ds_bpermute_b32 v2, v4, v0
	;; [unrolled: 3-line block ×4, first 2 shown]
	s_and_b32 exec_lo, exec_lo, vcc_lo
	s_cbranch_execz .LBB1_9
; %bb.8:
	s_lshl_b32 s0, s15, 1
	v_mov_b32_e32 v3, 0
	v_and_or_b32 v2, 0x7ffffffe, s0, v5
	v_cvt_f16_f32_e32 v4, v0
	s_waitcnt lgkmcnt(0)
	v_cvt_f16_f32_e32 v5, v1
	s_delay_alu instid0(VALU_DEP_3) | instskip(NEXT) | instid1(VALU_DEP_2)
	v_lshlrev_b64 v[0:1], 2, v[2:3]
	v_pack_b32_f16 v2, v4, v5
	s_delay_alu instid0(VALU_DEP_2) | instskip(NEXT) | instid1(VALU_DEP_3)
	v_add_co_u32 v0, vcc_lo, s8, v0
	v_add_co_ci_u32_e32 v1, vcc_lo, s9, v1, vcc_lo
	global_store_b32 v[0:1], v2, off
.LBB1_9:
	s_nop 0
	s_sendmsg sendmsg(MSG_DEALLOC_VGPRS)
	s_endpgm
	.section	.rodata,"a",@progbits
	.p2align	6, 0x0
	.amdhsa_kernel _Z14LLGemm1_kernelIN3c104HalfELi4EEvPKT_S4_PS2_i
		.amdhsa_group_segment_fixed_size 512
		.amdhsa_private_segment_fixed_size 0
		.amdhsa_kernarg_size 288
		.amdhsa_user_sgpr_count 15
		.amdhsa_user_sgpr_dispatch_ptr 0
		.amdhsa_user_sgpr_queue_ptr 0
		.amdhsa_user_sgpr_kernarg_segment_ptr 1
		.amdhsa_user_sgpr_dispatch_id 0
		.amdhsa_user_sgpr_private_segment_size 0
		.amdhsa_wavefront_size32 1
		.amdhsa_uses_dynamic_stack 0
		.amdhsa_enable_private_segment 0
		.amdhsa_system_sgpr_workgroup_id_x 1
		.amdhsa_system_sgpr_workgroup_id_y 0
		.amdhsa_system_sgpr_workgroup_id_z 0
		.amdhsa_system_sgpr_workgroup_info 0
		.amdhsa_system_vgpr_workitem_id 0
		.amdhsa_next_free_vgpr 23
		.amdhsa_next_free_sgpr 16
		.amdhsa_reserve_vcc 1
		.amdhsa_float_round_mode_32 0
		.amdhsa_float_round_mode_16_64 0
		.amdhsa_float_denorm_mode_32 3
		.amdhsa_float_denorm_mode_16_64 3
		.amdhsa_dx10_clamp 1
		.amdhsa_ieee_mode 1
		.amdhsa_fp16_overflow 0
		.amdhsa_workgroup_processor_mode 1
		.amdhsa_memory_ordered 1
		.amdhsa_forward_progress 0
		.amdhsa_shared_vgpr_count 0
		.amdhsa_exception_fp_ieee_invalid_op 0
		.amdhsa_exception_fp_denorm_src 0
		.amdhsa_exception_fp_ieee_div_zero 0
		.amdhsa_exception_fp_ieee_overflow 0
		.amdhsa_exception_fp_ieee_underflow 0
		.amdhsa_exception_fp_ieee_inexact 0
		.amdhsa_exception_int_div_zero 0
	.end_amdhsa_kernel
	.section	.text._Z14LLGemm1_kernelIN3c104HalfELi4EEvPKT_S4_PS2_i,"axG",@progbits,_Z14LLGemm1_kernelIN3c104HalfELi4EEvPKT_S4_PS2_i,comdat
.Lfunc_end1:
	.size	_Z14LLGemm1_kernelIN3c104HalfELi4EEvPKT_S4_PS2_i, .Lfunc_end1-_Z14LLGemm1_kernelIN3c104HalfELi4EEvPKT_S4_PS2_i
                                        ; -- End function
	.section	.AMDGPU.csdata,"",@progbits
; Kernel info:
; codeLenInByte = 1256
; NumSgprs: 18
; NumVgprs: 23
; ScratchSize: 0
; MemoryBound: 0
; FloatMode: 240
; IeeeMode: 1
; LDSByteSize: 512 bytes/workgroup (compile time only)
; SGPRBlocks: 2
; VGPRBlocks: 2
; NumSGPRsForWavesPerEU: 18
; NumVGPRsForWavesPerEU: 23
; Occupancy: 16
; WaveLimiterHint : 0
; COMPUTE_PGM_RSRC2:SCRATCH_EN: 0
; COMPUTE_PGM_RSRC2:USER_SGPR: 15
; COMPUTE_PGM_RSRC2:TRAP_HANDLER: 0
; COMPUTE_PGM_RSRC2:TGID_X_EN: 1
; COMPUTE_PGM_RSRC2:TGID_Y_EN: 0
; COMPUTE_PGM_RSRC2:TGID_Z_EN: 0
; COMPUTE_PGM_RSRC2:TIDIG_COMP_CNT: 0
	.section	.text._Z14LLGemm1_kernelIN3c104HalfELi8EEvPKT_S4_PS2_i,"axG",@progbits,_Z14LLGemm1_kernelIN3c104HalfELi8EEvPKT_S4_PS2_i,comdat
	.protected	_Z14LLGemm1_kernelIN3c104HalfELi8EEvPKT_S4_PS2_i ; -- Begin function _Z14LLGemm1_kernelIN3c104HalfELi8EEvPKT_S4_PS2_i
	.globl	_Z14LLGemm1_kernelIN3c104HalfELi8EEvPKT_S4_PS2_i
	.p2align	8
	.type	_Z14LLGemm1_kernelIN3c104HalfELi8EEvPKT_S4_PS2_i,@function
_Z14LLGemm1_kernelIN3c104HalfELi8EEvPKT_S4_PS2_i: ; @_Z14LLGemm1_kernelIN3c104HalfELi8EEvPKT_S4_PS2_i
; %bb.0:
	s_clause 0x2
	s_load_b32 s2, s[0:1], 0x18
	s_load_b128 s[4:7], s[0:1], 0x0
	s_load_b64 s[8:9], s[0:1], 0x10
	v_lshlrev_b32_e32 v37, 3, v0
                                        ; implicit-def: $vgpr4
                                        ; implicit-def: $vgpr5
                                        ; implicit-def: $vgpr9
                                        ; implicit-def: $vgpr17
                                        ; implicit-def: $vgpr21
                                        ; implicit-def: $vgpr13
                                        ; implicit-def: $vgpr25
                                        ; implicit-def: $vgpr29
                                        ; implicit-def: $vgpr33
	s_waitcnt lgkmcnt(0)
	s_delay_alu instid0(VALU_DEP_1)
	v_cmp_gt_i32_e32 vcc_lo, s2, v37
	s_and_saveexec_b32 s3, vcc_lo
	s_cbranch_execz .LBB2_2
; %bb.1:
	s_mul_i32 s10, s15, s2
	s_mov_b32 s11, 0
	s_and_b32 s10, s10, 0x1fffffff
	s_delay_alu instid0(SALU_CYCLE_1) | instskip(SKIP_3) | instid1(VALU_DEP_2)
	v_dual_mov_b32 v2, 0 :: v_dual_add_nc_u32 v1, s10, v0
	s_lshr_b32 s10, s2, 3
	v_lshlrev_b32_e32 v38, 4, v0
	s_lshl_b64 s[12:13], s[10:11], 4
	v_lshlrev_b64 v[3:4], 4, v[1:2]
	v_add3_u32 v1, s10, s10, v1
	s_delay_alu instid0(VALU_DEP_1) | instskip(SKIP_1) | instid1(VALU_DEP_4)
	v_lshlrev_b64 v[5:6], 4, v[1:2]
	v_add_nc_u32_e32 v1, s10, v1
	v_add_co_u32 v3, s2, s4, v3
	s_delay_alu instid0(VALU_DEP_1) | instskip(NEXT) | instid1(VALU_DEP_3)
	v_add_co_ci_u32_e64 v4, s2, s5, v4, s2
	v_lshlrev_b64 v[7:8], 4, v[1:2]
	s_delay_alu instid0(VALU_DEP_3) | instskip(SKIP_1) | instid1(VALU_DEP_4)
	v_add_co_u32 v9, s2, v3, s12
	v_add_nc_u32_e32 v1, s10, v1
	v_add_co_ci_u32_e64 v10, s2, s13, v4, s2
	v_add_co_u32 v5, s2, s4, v5
	s_delay_alu instid0(VALU_DEP_1) | instskip(NEXT) | instid1(VALU_DEP_4)
	v_add_co_ci_u32_e64 v6, s2, s5, v6, s2
	v_lshlrev_b64 v[11:12], 4, v[1:2]
	v_add_nc_u32_e32 v1, s10, v1
	v_add_co_u32 v7, s2, s4, v7
	s_delay_alu instid0(VALU_DEP_1)
	v_add_co_ci_u32_e64 v8, s2, s5, v8, s2
	s_clause 0x3
	global_load_b128 v[33:36], v[3:4], off slc dlc
	global_load_b128 v[29:32], v[9:10], off slc dlc
	;; [unrolled: 1-line block ×4, first 2 shown]
	v_lshlrev_b64 v[3:4], 4, v[1:2]
	v_add_nc_u32_e32 v1, s10, v1
	v_add_co_u32 v5, s2, s4, v11
	s_delay_alu instid0(VALU_DEP_1) | instskip(NEXT) | instid1(VALU_DEP_3)
	v_add_co_ci_u32_e64 v6, s2, s5, v12, s2
	v_lshlrev_b64 v[7:8], 4, v[1:2]
	v_add_nc_u32_e32 v1, s10, v1
	v_add_co_u32 v3, s2, s4, v3
	s_delay_alu instid0(VALU_DEP_1) | instskip(NEXT) | instid1(VALU_DEP_3)
	v_add_co_ci_u32_e64 v4, s2, s5, v4, s2
	v_lshlrev_b64 v[1:2], 4, v[1:2]
	v_add_co_u32 v7, s2, s4, v7
	s_delay_alu instid0(VALU_DEP_1) | instskip(NEXT) | instid1(VALU_DEP_3)
	v_add_co_ci_u32_e64 v8, s2, s5, v8, s2
	v_add_co_u32 v1, s2, s4, v1
	s_delay_alu instid0(VALU_DEP_1)
	v_add_co_ci_u32_e64 v2, s2, s5, v2, s2
	s_clause 0x3
	global_load_b128 v[21:24], v[5:6], off slc dlc
	global_load_b128 v[17:20], v[3:4], off slc dlc
	;; [unrolled: 1-line block ×4, first 2 shown]
	global_load_b128 v[1:4], v38, s[6:7]
.LBB2_2:
	s_or_b32 exec_lo, exec_lo, s3
	s_waitcnt vmcnt(0)
	v_pk_mul_f16 v33, v1, v33
	v_pk_mul_f16 v29, v1, v29
	;; [unrolled: 1-line block ×5, first 2 shown]
	v_pk_fma_f16 v33, v34, v2, v33
	v_pk_fma_f16 v29, v30, v2, v29
	;; [unrolled: 1-line block ×4, first 2 shown]
	v_pk_mul_f16 v9, v1, v9
	v_pk_fma_f16 v26, v35, v3, v33
	v_pk_fma_f16 v29, v31, v3, v29
	;; [unrolled: 1-line block ×5, first 2 shown]
	v_pk_mul_f16 v21, v1, v21
	v_pk_fma_f16 v14, v36, v4, v26
	v_pk_fma_f16 v26, v32, v4, v29
	;; [unrolled: 1-line block ×4, first 2 shown]
	v_pk_mul_f16 v1, v1, v5
	v_pk_fma_f16 v9, v10, v2, v9
	v_pk_fma_f16 v10, v19, v3, v17
	v_cvt_f32_f16_e32 v15, v14
	v_lshrrev_b32_e32 v14, 16, v14
	v_lshrrev_b32_e32 v27, 16, v26
	;; [unrolled: 1-line block ×3, first 2 shown]
	v_pk_fma_f16 v16, v22, v2, v21
	v_lshrrev_b32_e32 v22, 16, v13
	v_pk_fma_f16 v1, v6, v2, v1
	v_pk_fma_f16 v6, v11, v3, v9
	;; [unrolled: 1-line block ×3, first 2 shown]
	v_cvt_f32_f16_e32 v26, v26
	v_cvt_f32_f16_e32 v25, v25
	;; [unrolled: 1-line block ×7, first 2 shown]
	v_pk_fma_f16 v16, v23, v3, v16
	v_pk_fma_f16 v1, v7, v3, v1
	v_lshrrev_b32_e32 v7, 16, v9
	v_dual_add_f32 v14, v15, v14 :: v_dual_add_f32 v15, v26, v27
	v_add_f32_e32 v21, v25, v28
	v_add_f32_e32 v5, v13, v22
	v_pk_fma_f16 v13, v24, v4, v16
	v_pk_fma_f16 v6, v12, v4, v6
	;; [unrolled: 1-line block ×3, first 2 shown]
	v_cvt_f32_f16_e32 v4, v9
	v_cvt_f32_f16_e32 v7, v7
	v_dual_cndmask_b32 v14, 0, v14 :: v_dual_cndmask_b32 v21, 0, v21
	v_mbcnt_lo_u32_b32 v8, -1, 0
	v_lshrrev_b32_e32 v9, 16, v6
	s_delay_alu instid0(VALU_DEP_4)
	v_add_f32_e32 v4, v4, v7
	v_lshrrev_b32_e32 v10, 16, v1
	v_cvt_f32_f16_e32 v3, v13
	v_xor_b32_e32 v11, 16, v8
	v_cvt_f32_f16_e32 v6, v6
	v_dual_cndmask_b32 v4, 0, v4 :: v_dual_cndmask_b32 v15, 0, v15
	v_cndmask_b32_e32 v2, 0, v5, vcc_lo
	v_lshrrev_b32_e32 v5, 16, v13
	v_cvt_f32_f16_e32 v9, v9
	v_cvt_f32_f16_e32 v1, v1
	;; [unrolled: 1-line block ×3, first 2 shown]
	v_cmp_gt_i32_e64 s2, 32, v11
	v_cvt_f32_f16_e32 v5, v5
	v_xor_b32_e32 v18, 8, v8
	v_xor_b32_e32 v20, 4, v8
	s_delay_alu instid0(VALU_DEP_4) | instskip(NEXT) | instid1(VALU_DEP_4)
	v_cndmask_b32_e64 v11, v8, v11, s2
	v_add_f32_e32 v3, v3, v5
	v_dual_add_f32 v5, v6, v9 :: v_dual_add_f32 v6, v1, v10
	s_mov_b32 s2, exec_lo
	s_delay_alu instid0(VALU_DEP_1) | instskip(NEXT) | instid1(VALU_DEP_2)
	v_dual_cndmask_b32 v3, 0, v3 :: v_dual_cndmask_b32 v6, 0, v6
	v_cndmask_b32_e32 v5, 0, v5, vcc_lo
	v_cmp_gt_i32_e32 vcc_lo, 32, v18
	v_dual_cndmask_b32 v18, v8, v18 :: v_dual_lshlrev_b32 v1, 2, v11
	ds_bpermute_b32 v10, v1, v21
	ds_bpermute_b32 v11, v1, v2
	;; [unrolled: 1-line block ×6, first 2 shown]
	v_cmp_gt_i32_e32 vcc_lo, 32, v20
	v_cndmask_b32_e32 v20, v8, v20, vcc_lo
	s_waitcnt lgkmcnt(5)
	v_add_f32_e32 v10, v21, v10
	ds_bpermute_b32 v12, v1, v3
	s_waitcnt lgkmcnt(5)
	v_dual_add_f32 v11, v2, v11 :: v_dual_lshlrev_b32 v2, 2, v18
	s_waitcnt lgkmcnt(2)
	v_add_f32_e32 v4, v4, v13
	ds_bpermute_b32 v16, v1, v5
	v_add_f32_e32 v7, v14, v7
	v_add_f32_e32 v9, v15, v9
	s_waitcnt lgkmcnt(2)
	v_add_f32_e32 v6, v6, v17
	ds_bpermute_b32 v14, v2, v10
	ds_bpermute_b32 v15, v2, v11
	;; [unrolled: 1-line block ×5, first 2 shown]
	v_xor_b32_e32 v21, 2, v8
	s_delay_alu instid0(VALU_DEP_1)
	v_cmp_gt_i32_e32 vcc_lo, 32, v21
	s_waitcnt lgkmcnt(6)
	v_add_f32_e32 v12, v3, v12
	ds_bpermute_b32 v3, v2, v7
	s_waitcnt lgkmcnt(6)
	v_add_f32_e32 v5, v5, v16
	ds_bpermute_b32 v16, v2, v12
	;; [unrolled: 3-line block ×3, first 2 shown]
	s_waitcnt lgkmcnt(3)
	v_dual_add_f32 v9, v9, v13 :: v_dual_add_f32 v6, v6, v19
	s_waitcnt lgkmcnt(2)
	v_add_f32_e32 v7, v7, v3
	v_lshlrev_b32_e32 v3, 2, v20
	s_waitcnt lgkmcnt(1)
	v_add_f32_e32 v12, v12, v16
	ds_bpermute_b32 v14, v3, v9
	ds_bpermute_b32 v20, v3, v6
	s_waitcnt lgkmcnt(1)
	v_add_f32_e32 v9, v9, v14
	v_cndmask_b32_e32 v21, v8, v21, vcc_lo
	v_add_f32_e32 v11, v11, v15
	ds_bpermute_b32 v15, v3, v10
	v_add_f32_e32 v13, v4, v17
	ds_bpermute_b32 v17, v3, v12
	ds_bpermute_b32 v4, v3, v7
	s_waitcnt lgkmcnt(2)
	v_dual_add_f32 v5, v5, v18 :: v_dual_add_f32 v10, v10, v15
	ds_bpermute_b32 v18, v3, v13
	s_waitcnt lgkmcnt(2)
	v_add_f32_e32 v14, v12, v17
	v_xor_b32_e32 v17, 1, v8
	v_add_f32_e32 v15, v6, v20
	ds_bpermute_b32 v19, v3, v5
	v_cmp_gt_i32_e32 vcc_lo, 32, v17
	s_waitcnt lgkmcnt(2)
	v_dual_add_f32 v7, v7, v4 :: v_dual_lshlrev_b32 v4, 2, v21
	ds_bpermute_b32 v16, v3, v11
	v_cndmask_b32_e32 v8, v8, v17, vcc_lo
	ds_bpermute_b32 v6, v4, v7
	ds_bpermute_b32 v24, v4, v15
	ds_bpermute_b32 v12, v4, v9
	ds_bpermute_b32 v21, v4, v14
	s_waitcnt lgkmcnt(6)
	v_add_f32_e32 v13, v13, v18
	s_waitcnt lgkmcnt(5)
	v_add_f32_e32 v5, v5, v19
	s_waitcnt lgkmcnt(3)
	v_dual_add_f32 v17, v7, v6 :: v_dual_lshlrev_b32 v6, 2, v8
	s_waitcnt lgkmcnt(2)
	v_add_f32_e32 v8, v15, v24
	ds_bpermute_b32 v22, v4, v13
	v_add_f32_e32 v11, v11, v16
	ds_bpermute_b32 v16, v4, v10
	ds_bpermute_b32 v23, v4, v5
	s_waitcnt lgkmcnt(4)
	v_add_f32_e32 v18, v9, v12
	v_and_b32_e32 v7, 31, v0
	s_waitcnt lgkmcnt(1)
	v_dual_add_f32 v19, v10, v16 :: v_dual_add_f32 v10, v13, v22
	ds_bpermute_b32 v20, v4, v11
	s_waitcnt lgkmcnt(1)
	v_add_f32_e32 v9, v5, v23
	ds_bpermute_b32 v22, v6, v18
	ds_bpermute_b32 v23, v6, v19
	;; [unrolled: 1-line block ×4, first 2 shown]
	v_lshrrev_b32_e32 v5, 5, v0
	s_waitcnt lgkmcnt(4)
	v_dual_add_f32 v12, v11, v20 :: v_dual_add_f32 v11, v14, v21
	ds_bpermute_b32 v21, v6, v17
	ds_bpermute_b32 v14, v6, v9
	;; [unrolled: 1-line block ×4, first 2 shown]
	v_cmpx_gt_u32_e32 8, v7
	s_cbranch_execz .LBB2_4
; %bb.3:
	s_waitcnt lgkmcnt(3)
	v_dual_add_f32 v17, v17, v21 :: v_dual_add_f32 v18, v18, v22
	v_cmp_eq_u32_e32 vcc_lo, 1, v7
	s_waitcnt lgkmcnt(1)
	v_dual_add_f32 v19, v19, v23 :: v_dual_add_f32 v12, v12, v20
	s_waitcnt lgkmcnt(0)
	v_dual_add_f32 v10, v10, v15 :: v_dual_add_f32 v11, v11, v16
	v_dual_add_f32 v8, v8, v13 :: v_dual_cndmask_b32 v17, v17, v18
	v_cmp_eq_u32_e32 vcc_lo, 2, v7
	v_add_f32_e32 v9, v9, v14
	s_delay_alu instid0(VALU_DEP_3) | instskip(SKIP_1) | instid1(VALU_DEP_2)
	v_cndmask_b32_e32 v17, v17, v19, vcc_lo
	v_cmp_eq_u32_e32 vcc_lo, 3, v7
	v_cndmask_b32_e32 v12, v17, v12, vcc_lo
	v_cmp_eq_u32_e32 vcc_lo, 4, v7
	s_delay_alu instid0(VALU_DEP_2) | instskip(SKIP_1) | instid1(VALU_DEP_2)
	v_cndmask_b32_e32 v11, v12, v11, vcc_lo
	v_cmp_eq_u32_e32 vcc_lo, 5, v7
	v_cndmask_b32_e32 v10, v11, v10, vcc_lo
	v_cmp_eq_u32_e32 vcc_lo, 6, v7
	v_lshlrev_b32_e32 v11, 2, v5
	s_delay_alu instid0(VALU_DEP_3) | instskip(SKIP_1) | instid1(VALU_DEP_3)
	v_cndmask_b32_e32 v9, v10, v9, vcc_lo
	v_cmp_eq_u32_e32 vcc_lo, 7, v7
	v_lshl_or_b32 v10, v7, 7, v11
	s_delay_alu instid0(VALU_DEP_3)
	v_cndmask_b32_e32 v8, v9, v8, vcc_lo
	ds_store_b32 v10, v8
.LBB2_4:
	s_or_b32 exec_lo, exec_lo, s2
	s_waitcnt lgkmcnt(0)
	s_barrier
	buffer_gl0_inv
	s_mov_b32 s2, exec_lo
	v_cmpx_gt_u32_e32 0x80, v0
	s_cbranch_execz .LBB2_9
; %bb.5:
	s_load_b32 s0, s[0:1], 0x2c
	v_and_b32_e32 v8, 15, v0
	v_mov_b32_e32 v0, 0
	s_waitcnt lgkmcnt(0)
	s_and_b32 s0, 0xffff, s0
	s_delay_alu instid0(SALU_CYCLE_1) | instskip(NEXT) | instid1(SALU_CYCLE_1)
	s_lshr_b32 s0, s0, 5
	v_cmp_gt_u32_e32 vcc_lo, s0, v8
	s_and_saveexec_b32 s0, vcc_lo
	s_cbranch_execz .LBB2_7
; %bb.6:
	v_lshlrev_b32_e32 v0, 2, v8
	s_delay_alu instid0(VALU_DEP_1)
	v_and_or_b32 v0, 0x1f80, v37, v0
	ds_load_b32 v0, v0
.LBB2_7:
	s_or_b32 exec_lo, exec_lo, s0
	s_waitcnt lgkmcnt(0)
	ds_bpermute_b32 v2, v2, v0
	v_cmp_eq_u32_e32 vcc_lo, 0, v7
	s_waitcnt lgkmcnt(0)
	v_add_f32_e32 v0, v0, v2
	ds_bpermute_b32 v2, v3, v0
	s_waitcnt lgkmcnt(0)
	v_add_f32_e32 v0, v0, v2
	ds_bpermute_b32 v2, v4, v0
	;; [unrolled: 3-line block ×4, first 2 shown]
	s_and_b32 exec_lo, exec_lo, vcc_lo
	s_cbranch_execz .LBB2_9
; %bb.8:
	s_lshl_b32 s0, s15, 2
	v_mov_b32_e32 v3, 0
	v_and_or_b32 v2, 0x7ffffffc, s0, v5
	v_cvt_f16_f32_e32 v4, v0
	s_waitcnt lgkmcnt(0)
	v_cvt_f16_f32_e32 v5, v1
	s_delay_alu instid0(VALU_DEP_3) | instskip(NEXT) | instid1(VALU_DEP_2)
	v_lshlrev_b64 v[0:1], 2, v[2:3]
	v_pack_b32_f16 v2, v4, v5
	s_delay_alu instid0(VALU_DEP_2) | instskip(NEXT) | instid1(VALU_DEP_3)
	v_add_co_u32 v0, vcc_lo, s8, v0
	v_add_co_ci_u32_e32 v1, vcc_lo, s9, v1, vcc_lo
	global_store_b32 v[0:1], v2, off
.LBB2_9:
	s_nop 0
	s_sendmsg sendmsg(MSG_DEALLOC_VGPRS)
	s_endpgm
	.section	.rodata,"a",@progbits
	.p2align	6, 0x0
	.amdhsa_kernel _Z14LLGemm1_kernelIN3c104HalfELi8EEvPKT_S4_PS2_i
		.amdhsa_group_segment_fixed_size 1024
		.amdhsa_private_segment_fixed_size 0
		.amdhsa_kernarg_size 288
		.amdhsa_user_sgpr_count 15
		.amdhsa_user_sgpr_dispatch_ptr 0
		.amdhsa_user_sgpr_queue_ptr 0
		.amdhsa_user_sgpr_kernarg_segment_ptr 1
		.amdhsa_user_sgpr_dispatch_id 0
		.amdhsa_user_sgpr_private_segment_size 0
		.amdhsa_wavefront_size32 1
		.amdhsa_uses_dynamic_stack 0
		.amdhsa_enable_private_segment 0
		.amdhsa_system_sgpr_workgroup_id_x 1
		.amdhsa_system_sgpr_workgroup_id_y 0
		.amdhsa_system_sgpr_workgroup_id_z 0
		.amdhsa_system_sgpr_workgroup_info 0
		.amdhsa_system_vgpr_workitem_id 0
		.amdhsa_next_free_vgpr 39
		.amdhsa_next_free_sgpr 16
		.amdhsa_reserve_vcc 1
		.amdhsa_float_round_mode_32 0
		.amdhsa_float_round_mode_16_64 0
		.amdhsa_float_denorm_mode_32 3
		.amdhsa_float_denorm_mode_16_64 3
		.amdhsa_dx10_clamp 1
		.amdhsa_ieee_mode 1
		.amdhsa_fp16_overflow 0
		.amdhsa_workgroup_processor_mode 1
		.amdhsa_memory_ordered 1
		.amdhsa_forward_progress 0
		.amdhsa_shared_vgpr_count 0
		.amdhsa_exception_fp_ieee_invalid_op 0
		.amdhsa_exception_fp_denorm_src 0
		.amdhsa_exception_fp_ieee_div_zero 0
		.amdhsa_exception_fp_ieee_overflow 0
		.amdhsa_exception_fp_ieee_underflow 0
		.amdhsa_exception_fp_ieee_inexact 0
		.amdhsa_exception_int_div_zero 0
	.end_amdhsa_kernel
	.section	.text._Z14LLGemm1_kernelIN3c104HalfELi8EEvPKT_S4_PS2_i,"axG",@progbits,_Z14LLGemm1_kernelIN3c104HalfELi8EEvPKT_S4_PS2_i,comdat
.Lfunc_end2:
	.size	_Z14LLGemm1_kernelIN3c104HalfELi8EEvPKT_S4_PS2_i, .Lfunc_end2-_Z14LLGemm1_kernelIN3c104HalfELi8EEvPKT_S4_PS2_i
                                        ; -- End function
	.section	.AMDGPU.csdata,"",@progbits
; Kernel info:
; codeLenInByte = 1940
; NumSgprs: 18
; NumVgprs: 39
; ScratchSize: 0
; MemoryBound: 0
; FloatMode: 240
; IeeeMode: 1
; LDSByteSize: 1024 bytes/workgroup (compile time only)
; SGPRBlocks: 2
; VGPRBlocks: 4
; NumSGPRsForWavesPerEU: 18
; NumVGPRsForWavesPerEU: 39
; Occupancy: 16
; WaveLimiterHint : 0
; COMPUTE_PGM_RSRC2:SCRATCH_EN: 0
; COMPUTE_PGM_RSRC2:USER_SGPR: 15
; COMPUTE_PGM_RSRC2:TRAP_HANDLER: 0
; COMPUTE_PGM_RSRC2:TGID_X_EN: 1
; COMPUTE_PGM_RSRC2:TGID_Y_EN: 0
; COMPUTE_PGM_RSRC2:TGID_Z_EN: 0
; COMPUTE_PGM_RSRC2:TIDIG_COMP_CNT: 0
	.section	.text._Z14LLGemm1_kernelIN3c104HalfELi16EEvPKT_S4_PS2_i,"axG",@progbits,_Z14LLGemm1_kernelIN3c104HalfELi16EEvPKT_S4_PS2_i,comdat
	.protected	_Z14LLGemm1_kernelIN3c104HalfELi16EEvPKT_S4_PS2_i ; -- Begin function _Z14LLGemm1_kernelIN3c104HalfELi16EEvPKT_S4_PS2_i
	.globl	_Z14LLGemm1_kernelIN3c104HalfELi16EEvPKT_S4_PS2_i
	.p2align	8
	.type	_Z14LLGemm1_kernelIN3c104HalfELi16EEvPKT_S4_PS2_i,@function
_Z14LLGemm1_kernelIN3c104HalfELi16EEvPKT_S4_PS2_i: ; @_Z14LLGemm1_kernelIN3c104HalfELi16EEvPKT_S4_PS2_i
; %bb.0:
	s_clause 0x2
	s_load_b32 s12, s[0:1], 0x18
	s_load_b128 s[4:7], s[0:1], 0x0
	s_load_b64 s[8:9], s[0:1], 0x10
	v_lshlrev_b32_e32 v69, 3, v0
                                        ; implicit-def: $vgpr4
                                        ; implicit-def: $vgpr5
                                        ; implicit-def: $vgpr9
                                        ; implicit-def: $vgpr13
                                        ; implicit-def: $vgpr21
                                        ; implicit-def: $vgpr17
                                        ; implicit-def: $vgpr29
                                        ; implicit-def: $vgpr41
                                        ; implicit-def: $vgpr53
                                        ; implicit-def: $vgpr25
                                        ; implicit-def: $vgpr37
                                        ; implicit-def: $vgpr61
                                        ; implicit-def: $vgpr65
                                        ; implicit-def: $vgpr33
                                        ; implicit-def: $vgpr45
                                        ; implicit-def: $vgpr49
                                        ; implicit-def: $vgpr57
	s_waitcnt lgkmcnt(0)
	s_delay_alu instid0(VALU_DEP_1)
	v_cmp_gt_i32_e32 vcc_lo, s12, v69
	s_and_saveexec_b32 s3, vcc_lo
	s_cbranch_execz .LBB3_2
; %bb.1:
	s_mul_i32 s2, s15, s12
	s_lshr_b32 s10, s12, 3
	s_lshl_b32 s2, s2, 1
	s_mov_b32 s11, 0
	s_and_b32 s2, s2, 0x1ffffffe
	s_delay_alu instid0(SALU_CYCLE_1) | instskip(SKIP_3) | instid1(VALU_DEP_2)
	v_dual_mov_b32 v2, 0 :: v_dual_add_nc_u32 v1, s2, v0
	s_lshl_b64 s[16:17], s[10:11], 4
	s_and_b32 s11, s12, -8
	v_lshlrev_b32_e32 v70, 4, v0
	v_lshlrev_b64 v[5:6], 4, v[1:2]
	v_add3_u32 v3, s10, s10, v1
	v_dual_mov_b32 v4, v2 :: v_dual_add_nc_u32 v1, s11, v1
	s_delay_alu instid0(VALU_DEP_2) | instskip(NEXT) | instid1(VALU_DEP_2)
	v_dual_mov_b32 v8, v2 :: v_dual_add_nc_u32 v7, s10, v3
	v_lshlrev_b64 v[9:10], 4, v[3:4]
	v_add_co_u32 v3, s2, s4, v5
	s_delay_alu instid0(VALU_DEP_3) | instskip(SKIP_2) | instid1(VALU_DEP_4)
	v_add_nc_u32_e32 v13, s10, v7
	v_add_co_ci_u32_e64 v4, s2, s5, v6, s2
	v_lshlrev_b64 v[5:6], 4, v[7:8]
	v_add_co_u32 v11, s2, v3, s16
	s_delay_alu instid0(VALU_DEP_1) | instskip(SKIP_1) | instid1(VALU_DEP_1)
	v_add_co_ci_u32_e64 v12, s2, s17, v4, s2
	v_add_co_u32 v8, s2, s4, v9
	v_add_co_ci_u32_e64 v9, s2, s5, v10, s2
	v_dual_mov_b32 v14, v2 :: v_dual_add_nc_u32 v15, s10, v13
	v_add_co_u32 v5, s2, s4, v5
	s_delay_alu instid0(VALU_DEP_1) | instskip(NEXT) | instid1(VALU_DEP_3)
	v_add_co_ci_u32_e64 v6, s2, s5, v6, s2
	v_dual_mov_b32 v16, v2 :: v_dual_add_nc_u32 v7, s10, v15
	s_clause 0x1
	global_load_b128 v[57:60], v[3:4], off slc dlc
	global_load_b128 v[49:52], v[11:12], off slc dlc
	v_lshlrev_b64 v[3:4], 4, v[13:14]
	s_clause 0x1
	global_load_b128 v[45:48], v[8:9], off slc dlc
	global_load_b128 v[33:36], v[5:6], off slc dlc
	v_mov_b32_e32 v8, v2
	v_lshlrev_b64 v[5:6], 4, v[15:16]
	v_dual_mov_b32 v11, v2 :: v_dual_add_nc_u32 v10, s10, v7
	v_add_co_u32 v3, s2, s4, v3
	s_delay_alu instid0(VALU_DEP_4)
	v_lshlrev_b64 v[8:9], 4, v[7:8]
	v_add_co_ci_u32_e64 v4, s2, s5, v4, s2
	v_add_co_u32 v5, s2, s4, v5
	v_lshlrev_b64 v[11:12], 4, v[10:11]
	v_add_co_ci_u32_e64 v6, s2, s5, v6, s2
	v_add_co_u32 v7, s2, s4, v8
	s_delay_alu instid0(VALU_DEP_1) | instskip(SKIP_3) | instid1(VALU_DEP_1)
	v_add_co_ci_u32_e64 v8, s2, s5, v9, s2
	v_lshlrev_b64 v[13:14], 4, v[1:2]
	v_lshl_add_u32 v1, s10, 1, v10
	v_add_co_u32 v11, s2, s4, v11
	v_add_co_ci_u32_e64 v12, s2, s5, v12, s2
	s_clause 0x3
	global_load_b128 v[65:68], v[3:4], off slc dlc
	global_load_b128 v[61:64], v[5:6], off slc dlc
	;; [unrolled: 1-line block ×4, first 2 shown]
	v_lshlrev_b64 v[3:4], 4, v[1:2]
	v_add_nc_u32_e32 v1, s10, v1
	v_add_co_u32 v5, s2, s4, v13
	s_delay_alu instid0(VALU_DEP_1) | instskip(NEXT) | instid1(VALU_DEP_3)
	v_add_co_ci_u32_e64 v6, s2, s5, v14, s2
	v_lshlrev_b64 v[7:8], 4, v[1:2]
	v_add_nc_u32_e32 v1, s10, v1
	v_add_co_u32 v3, s2, s4, v3
	s_delay_alu instid0(VALU_DEP_1) | instskip(NEXT) | instid1(VALU_DEP_3)
	v_add_co_ci_u32_e64 v4, s2, s5, v4, s2
	;; [unrolled: 5-line block ×3, first 2 shown]
	v_lshlrev_b64 v[11:12], 4, v[1:2]
	v_add_nc_u32_e32 v1, s10, v1
	v_add_co_u32 v9, s2, s4, v9
	s_delay_alu instid0(VALU_DEP_1)
	v_add_co_ci_u32_e64 v10, s2, s5, v10, s2
	s_clause 0x3
	global_load_b128 v[53:56], v[5:6], off slc dlc
	global_load_b128 v[41:44], v[3:4], off slc dlc
	;; [unrolled: 1-line block ×4, first 2 shown]
	v_lshlrev_b64 v[3:4], 4, v[1:2]
	v_add_nc_u32_e32 v1, s10, v1
	v_add_co_u32 v5, s2, s4, v11
	s_delay_alu instid0(VALU_DEP_1) | instskip(NEXT) | instid1(VALU_DEP_3)
	v_add_co_ci_u32_e64 v6, s2, s5, v12, s2
	v_lshlrev_b64 v[7:8], 4, v[1:2]
	v_add_nc_u32_e32 v1, s10, v1
	v_add_co_u32 v3, s2, s4, v3
	s_delay_alu instid0(VALU_DEP_1) | instskip(NEXT) | instid1(VALU_DEP_3)
	v_add_co_ci_u32_e64 v4, s2, s5, v4, s2
	v_lshlrev_b64 v[1:2], 4, v[1:2]
	v_add_co_u32 v7, s2, s4, v7
	s_delay_alu instid0(VALU_DEP_1) | instskip(NEXT) | instid1(VALU_DEP_3)
	v_add_co_ci_u32_e64 v8, s2, s5, v8, s2
	v_add_co_u32 v1, s2, s4, v1
	s_delay_alu instid0(VALU_DEP_1)
	v_add_co_ci_u32_e64 v2, s2, s5, v2, s2
	s_clause 0x3
	global_load_b128 v[21:24], v[5:6], off slc dlc
	global_load_b128 v[13:16], v[3:4], off slc dlc
	;; [unrolled: 1-line block ×4, first 2 shown]
	global_load_b128 v[1:4], v70, s[6:7]
.LBB3_2:
	s_or_b32 exec_lo, exec_lo, s3
	s_waitcnt vmcnt(0)
	v_pk_mul_f16 v45, v1, v45
	v_pk_mul_f16 v57, v1, v57
	;; [unrolled: 1-line block ×5, first 2 shown]
	v_pk_fma_f16 v45, v46, v2, v45
	v_pk_fma_f16 v57, v58, v2, v57
	;; [unrolled: 1-line block ×3, first 2 shown]
	v_pk_mul_f16 v50, v1, v65
	v_pk_fma_f16 v33, v34, v2, v33
	v_pk_fma_f16 v45, v47, v3, v45
	v_pk_mul_f16 v47, v1, v61
	v_pk_fma_f16 v46, v59, v3, v57
	v_pk_fma_f16 v49, v51, v3, v49
	;; [unrolled: 1-line block ×7, first 2 shown]
	v_pk_mul_f16 v25, v1, v25
	v_pk_fma_f16 v48, v66, v2, v50
	v_pk_fma_f16 v47, v63, v3, v47
	v_cvt_f32_f16_e32 v49, v46
	v_lshrrev_b32_e32 v46, 16, v46
	v_lshrrev_b32_e32 v50, 16, v34
	;; [unrolled: 1-line block ×3, first 2 shown]
	v_pk_fma_f16 v38, v64, v4, v47
	v_pk_fma_f16 v37, v39, v3, v37
	;; [unrolled: 1-line block ×3, first 2 shown]
	v_cvt_f32_f16_e32 v34, v34
	v_cvt_f32_f16_e32 v45, v45
	v_lshrrev_b32_e32 v39, 16, v38
	v_cvt_f32_f16_e32 v46, v46
	v_cvt_f32_f16_e32 v50, v50
	v_cvt_f32_f16_e32 v51, v51
	v_pk_fma_f16 v33, v35, v3, v33
	v_cvt_f32_f16_e32 v38, v38
	v_pk_fma_f16 v26, v40, v4, v37
	v_cvt_f32_f16_e32 v37, v39
	v_pk_fma_f16 v25, v27, v3, v25
	v_dual_add_f32 v34, v34, v50 :: v_dual_add_f32 v45, v45, v51
	v_add_f32_e32 v35, v49, v46
	v_pk_fma_f16 v46, v67, v3, v48
	v_pk_fma_f16 v33, v36, v4, v33
	v_add_f32_e32 v37, v38, v37
	v_pk_mul_f16 v38, v1, v53
	v_pk_fma_f16 v25, v28, v4, v25
	v_pk_mul_f16 v28, v1, v41
	v_pk_mul_f16 v29, v1, v29
	;; [unrolled: 1-line block ×7, first 2 shown]
	v_cndmask_b32_e32 v36, 0, v45, vcc_lo
	v_pk_fma_f16 v45, v68, v4, v46
	v_lshrrev_b32_e32 v46, 16, v33
	v_lshrrev_b32_e32 v27, 16, v26
	v_pk_fma_f16 v1, v6, v2, v1
	v_cvt_f32_f16_e32 v33, v33
	v_cvt_f32_f16_e32 v26, v26
	;; [unrolled: 1-line block ×4, first 2 shown]
	v_pk_fma_f16 v1, v7, v3, v1
	v_pk_fma_f16 v38, v54, v2, v38
	v_lshrrev_b32_e32 v40, 16, v25
	s_delay_alu instid0(VALU_DEP_4)
	v_dual_add_f32 v33, v33, v46 :: v_dual_add_f32 v26, v26, v27
	v_pk_fma_f16 v27, v42, v2, v28
	v_pk_fma_f16 v29, v30, v2, v29
	;; [unrolled: 1-line block ×4, first 2 shown]
	v_cvt_f32_f16_e32 v25, v25
	v_pk_fma_f16 v28, v55, v3, v38
	v_cvt_f32_f16_e32 v38, v40
	v_pk_fma_f16 v27, v43, v3, v27
	v_pk_fma_f16 v29, v31, v3, v29
	;; [unrolled: 1-line block ×6, first 2 shown]
	v_lshrrev_b32_e32 v11, 16, v1
	v_pk_fma_f16 v28, v56, v4, v28
	v_pk_fma_f16 v27, v44, v4, v27
	v_pk_fma_f16 v29, v32, v4, v29
	v_pk_fma_f16 v2, v12, v4, v2
	v_mbcnt_lo_u32_b32 v7, -1, 0
	v_cvt_f32_f16_e32 v12, v1
	v_cvt_f32_f16_e32 v11, v11
	v_add_f32_e32 v25, v25, v38
	v_lshrrev_b32_e32 v30, 16, v28
	v_lshrrev_b32_e32 v31, 16, v27
	v_pk_fma_f16 v17, v19, v3, v17
	v_pk_fma_f16 v21, v23, v3, v21
	v_cndmask_b32_e32 v19, 0, v25, vcc_lo
	v_lshrrev_b32_e32 v25, 16, v29
	v_pk_fma_f16 v10, v15, v3, v13
	v_xor_b32_e32 v8, 16, v7
	v_cvt_f32_f16_e32 v18, v30
	v_cvt_f32_f16_e32 v27, v27
	;; [unrolled: 1-line block ×3, first 2 shown]
	v_pk_fma_f16 v17, v20, v4, v17
	v_cvt_f32_f16_e32 v20, v29
	v_cvt_f32_f16_e32 v25, v25
	v_pk_fma_f16 v14, v24, v4, v21
	v_pk_fma_f16 v6, v16, v4, v10
	v_lshrrev_b32_e32 v4, 16, v2
	v_cmp_gt_i32_e64 s2, 32, v8
	v_dual_add_f32 v27, v27, v30 :: v_dual_add_f32 v20, v20, v25
	v_lshrrev_b32_e32 v13, 16, v14
	v_cvt_f32_f16_e32 v2, v2
	v_cvt_f32_f16_e32 v4, v4
	v_cndmask_b32_e64 v8, v7, v8, s2
	v_dual_cndmask_b32 v35, 0, v35 :: v_dual_cndmask_b32 v34, 0, v34
	v_dual_cndmask_b32 v20, 0, v20 :: v_dual_cndmask_b32 v37, 0, v37
	s_delay_alu instid0(VALU_DEP_4)
	v_add_f32_e32 v2, v2, v4
	v_cvt_f32_f16_e32 v5, v14
	v_cvt_f32_f16_e32 v10, v13
	v_dual_add_f32 v4, v12, v11 :: v_dual_lshlrev_b32 v1, 2, v8
	v_cndmask_b32_e32 v27, 0, v27, vcc_lo
	v_lshrrev_b32_e32 v3, 16, v6
	v_cvt_f32_f16_e32 v6, v6
	v_cvt_f32_f16_e32 v28, v28
	v_cndmask_b32_e32 v4, 0, v4, vcc_lo
	ds_bpermute_b32 v21, v1, v27
	v_add_f32_e32 v5, v5, v10
	ds_bpermute_b32 v10, v1, v34
	v_cvt_f32_f16_e32 v3, v3
	v_dual_cndmask_b32 v33, 0, v33 :: v_dual_add_f32 v18, v28, v18
	v_lshrrev_b32_e32 v48, 16, v45
	s_delay_alu instid0(VALU_DEP_3) | instskip(SKIP_2) | instid1(VALU_DEP_4)
	v_dual_cndmask_b32 v8, 0, v2 :: v_dual_add_f32 v3, v6, v3
	v_cvt_f32_f16_e32 v45, v45
	v_lshrrev_b32_e32 v28, 16, v17
	v_cvt_f32_f16_e32 v47, v48
	v_cvt_f32_f16_e32 v17, v17
	v_cndmask_b32_e32 v26, 0, v26, vcc_lo
	v_cndmask_b32_e32 v18, 0, v18, vcc_lo
	v_cvt_f32_f16_e32 v22, v28
	v_add_f32_e32 v45, v45, v47
	v_xor_b32_e32 v2, 8, v7
	s_mov_b32 s2, exec_lo
	s_waitcnt lgkmcnt(0)
	s_delay_alu instid0(VALU_DEP_2)
	v_dual_cndmask_b32 v39, 0, v45 :: v_dual_add_f32 v10, v34, v10
	ds_bpermute_b32 v6, v1, v35
	ds_bpermute_b32 v12, v1, v33
	;; [unrolled: 1-line block ×3, first 2 shown]
	v_add_f32_e32 v17, v17, v22
	ds_bpermute_b32 v15, v1, v26
	ds_bpermute_b32 v22, v1, v20
	;; [unrolled: 1-line block ×7, first 2 shown]
	s_waitcnt lgkmcnt(9)
	v_dual_add_f32 v6, v35, v6 :: v_dual_cndmask_b32 v3, 0, v3
	s_waitcnt lgkmcnt(8)
	v_add_f32_e32 v12, v33, v12
	s_waitcnt lgkmcnt(7)
	v_dual_add_f32 v16, v19, v16 :: v_dual_cndmask_b32 v9, 0, v17
	ds_bpermute_b32 v17, v1, v18
	ds_bpermute_b32 v25, v1, v3
	s_waitcnt lgkmcnt(8)
	v_add_f32_e32 v15, v26, v15
	s_waitcnt lgkmcnt(7)
	v_add_f32_e32 v19, v20, v22
	s_waitcnt lgkmcnt(5)
	v_dual_add_f32 v11, v36, v11 :: v_dual_add_f32 v14, v37, v14
	s_waitcnt lgkmcnt(4)
	v_add_f32_e32 v4, v4, v29
	v_xor_b32_e32 v29, 4, v7
	s_waitcnt lgkmcnt(2)
	v_dual_add_f32 v13, v39, v13 :: v_dual_add_f32 v8, v8, v28
	s_waitcnt lgkmcnt(0)
	v_add_f32_e32 v20, v3, v25
	v_add_f32_e32 v17, v18, v17
	;; [unrolled: 1-line block ×3, first 2 shown]
	v_cndmask_b32_e32 v5, 0, v5, vcc_lo
	v_cmp_gt_i32_e32 vcc_lo, 32, v2
	v_cndmask_b32_e32 v2, v7, v2, vcc_lo
	ds_bpermute_b32 v23, v1, v9
	v_cmp_gt_i32_e32 vcc_lo, 32, v29
	v_lshlrev_b32_e32 v2, 2, v2
	ds_bpermute_b32 v24, v1, v5
	ds_bpermute_b32 v31, v2, v10
	;; [unrolled: 1-line block ×10, first 2 shown]
	s_waitcnt lgkmcnt(10)
	v_add_f32_e32 v9, v9, v23
	ds_bpermute_b32 v23, v2, v14
	v_cndmask_b32_e32 v29, v7, v29, vcc_lo
	s_waitcnt lgkmcnt(10)
	v_add_f32_e32 v5, v5, v24
	ds_bpermute_b32 v24, v2, v15
	s_waitcnt lgkmcnt(10)
	v_add_f32_e32 v10, v10, v31
	s_waitcnt lgkmcnt(8)
	v_dual_add_f32 v11, v11, v3 :: v_dual_add_f32 v12, v12, v21
	ds_bpermute_b32 v21, v2, v4
	s_waitcnt lgkmcnt(8)
	v_add_f32_e32 v20, v20, v32
	ds_bpermute_b32 v26, v2, v17
	s_waitcnt lgkmcnt(8)
	v_add_f32_e32 v6, v6, v30
	ds_bpermute_b32 v30, v2, v9
	ds_bpermute_b32 v31, v2, v5
	s_waitcnt lgkmcnt(9)
	v_add_f32_e32 v18, v18, v27
	ds_bpermute_b32 v28, v2, v19
	s_waitcnt lgkmcnt(8)
	v_dual_add_f32 v13, v13, v22 :: v_dual_add_f32 v16, v16, v25
	s_waitcnt lgkmcnt(6)
	v_dual_add_f32 v14, v14, v23 :: v_dual_lshlrev_b32 v3, 2, v29
	s_waitcnt lgkmcnt(5)
	v_dual_add_f32 v8, v8, v33 :: v_dual_add_f32 v15, v15, v24
	ds_bpermute_b32 v23, v3, v10
	ds_bpermute_b32 v22, v3, v6
	;; [unrolled: 1-line block ×5, first 2 shown]
	s_waitcnt lgkmcnt(9)
	v_add_f32_e32 v21, v4, v21
	s_waitcnt lgkmcnt(8)
	v_add_f32_e32 v17, v17, v26
	ds_bpermute_b32 v26, v3, v13
	v_xor_b32_e32 v4, 2, v7
	s_waitcnt lgkmcnt(8)
	v_add_f32_e32 v9, v9, v30
	ds_bpermute_b32 v29, v3, v16
	s_waitcnt lgkmcnt(7)
	v_add_f32_e32 v19, v19, v28
	ds_bpermute_b32 v28, v3, v15
	v_cmp_gt_i32_e32 vcc_lo, 32, v4
	v_add_f32_e32 v5, v5, v31
	ds_bpermute_b32 v31, v3, v18
	v_cndmask_b32_e32 v4, v7, v4, vcc_lo
	ds_bpermute_b32 v34, v3, v5
	s_waitcnt lgkmcnt(9)
	v_add_f32_e32 v10, v10, v23
	ds_bpermute_b32 v30, v3, v17
	s_waitcnt lgkmcnt(9)
	v_add_f32_e32 v6, v6, v22
	;; [unrolled: 3-line block ×4, first 2 shown]
	ds_bpermute_b32 v33, v3, v9
	s_waitcnt lgkmcnt(8)
	v_dual_add_f32 v13, v13, v26 :: v_dual_lshlrev_b32 v4, 2, v4
	ds_bpermute_b32 v23, v3, v8
	v_add_f32_e32 v14, v14, v27
	ds_bpermute_b32 v24, v3, v21
	s_waitcnt lgkmcnt(8)
	v_dual_add_f32 v15, v15, v28 :: v_dual_add_f32 v16, v16, v29
	s_waitcnt lgkmcnt(7)
	v_add_f32_e32 v18, v18, v31
	ds_bpermute_b32 v28, v4, v12
	ds_bpermute_b32 v29, v4, v14
	s_waitcnt lgkmcnt(8)
	v_add_f32_e32 v27, v5, v34
	ds_bpermute_b32 v5, v4, v6
	s_waitcnt lgkmcnt(8)
	v_add_f32_e32 v25, v17, v30
	;; [unrolled: 3-line block ×5, first 2 shown]
	ds_bpermute_b32 v30, v4, v15
	ds_bpermute_b32 v34, v4, v16
	s_waitcnt lgkmcnt(9)
	v_add_f32_e32 v8, v8, v23
	ds_bpermute_b32 v35, v4, v18
	s_waitcnt lgkmcnt(9)
	v_add_f32_e32 v23, v21, v24
	ds_bpermute_b32 v24, v4, v25
	ds_bpermute_b32 v36, v4, v26
	;; [unrolled: 1-line block ×6, first 2 shown]
	s_waitcnt lgkmcnt(14)
	v_add_f32_e32 v21, v12, v28
	s_waitcnt lgkmcnt(12)
	v_add_f32_e32 v31, v6, v5
	v_xor_b32_e32 v5, 1, v7
	s_waitcnt lgkmcnt(11)
	v_add_f32_e32 v32, v10, v17
	ds_bpermute_b32 v41, v4, v23
	s_waitcnt lgkmcnt(11)
	v_add_f32_e32 v33, v11, v19
	v_add_f32_e32 v19, v14, v29
	v_cmp_gt_i32_e32 vcc_lo, 32, v5
	s_waitcnt lgkmcnt(10)
	v_add_f32_e32 v22, v13, v22
	s_waitcnt lgkmcnt(9)
	v_add_f32_e32 v17, v15, v30
	;; [unrolled: 2-line block ×3, first 2 shown]
	v_lshrrev_b32_e32 v6, 5, v0
	s_waitcnt lgkmcnt(7)
	v_dual_cndmask_b32 v5, v7, v5 :: v_dual_add_f32 v14, v18, v35
	s_waitcnt lgkmcnt(6)
	v_add_f32_e32 v16, v25, v24
	s_waitcnt lgkmcnt(4)
	v_dual_add_f32 v13, v26, v36 :: v_dual_add_f32 v12, v9, v37
	v_lshlrev_b32_e32 v5, 2, v5
	s_waitcnt lgkmcnt(2)
	v_dual_add_f32 v11, v27, v38 :: v_dual_add_f32 v10, v20, v39
	s_waitcnt lgkmcnt(1)
	v_add_f32_e32 v9, v8, v40
	v_and_b32_e32 v7, 31, v0
	ds_bpermute_b32 v37, v5, v31
	ds_bpermute_b32 v38, v5, v32
	s_waitcnt lgkmcnt(2)
	v_add_f32_e32 v8, v23, v41
	ds_bpermute_b32 v39, v5, v33
	ds_bpermute_b32 v36, v5, v21
	;; [unrolled: 1-line block ×14, first 2 shown]
	v_cmpx_gt_u32_e32 16, v7
	s_cbranch_execz .LBB3_4
; %bb.3:
	s_waitcnt lgkmcnt(14)
	v_dual_add_f32 v31, v31, v37 :: v_dual_add_f32 v32, v32, v38
	v_cmp_eq_u32_e32 vcc_lo, 1, v7
	s_waitcnt lgkmcnt(7)
	v_dual_add_f32 v33, v33, v39 :: v_dual_add_f32 v16, v16, v28
	s_waitcnt lgkmcnt(6)
	v_dual_add_f32 v21, v21, v36 :: v_dual_add_f32 v14, v14, v27
	v_dual_cndmask_b32 v31, v31, v32 :: v_dual_add_f32 v22, v22, v35
	v_cmp_eq_u32_e32 vcc_lo, 2, v7
	s_waitcnt lgkmcnt(4)
	v_dual_add_f32 v19, v19, v34 :: v_dual_add_f32 v12, v12, v25
	v_add_f32_e32 v17, v17, v30
	s_waitcnt lgkmcnt(0)
	v_dual_add_f32 v15, v15, v29 :: v_dual_add_f32 v8, v8, v18
	v_cndmask_b32_e32 v31, v31, v33, vcc_lo
	v_cmp_eq_u32_e32 vcc_lo, 3, v7
	v_dual_add_f32 v10, v10, v23 :: v_dual_add_f32 v13, v13, v26
	v_add_f32_e32 v11, v11, v24
	v_add_f32_e32 v9, v9, v20
	v_cndmask_b32_e32 v21, v31, v21, vcc_lo
	v_cmp_eq_u32_e32 vcc_lo, 4, v7
	s_delay_alu instid0(VALU_DEP_2) | instskip(SKIP_1) | instid1(VALU_DEP_2)
	v_cndmask_b32_e32 v21, v21, v22, vcc_lo
	v_cmp_eq_u32_e32 vcc_lo, 5, v7
	v_cndmask_b32_e32 v19, v21, v19, vcc_lo
	v_cmp_eq_u32_e32 vcc_lo, 6, v7
	s_delay_alu instid0(VALU_DEP_2) | instskip(SKIP_1) | instid1(VALU_DEP_2)
	v_cndmask_b32_e32 v17, v19, v17, vcc_lo
	v_cmp_eq_u32_e32 vcc_lo, 7, v7
	;; [unrolled: 5-line block ×5, first 2 shown]
	v_cndmask_b32_e32 v10, v11, v10, vcc_lo
	v_cmp_eq_u32_e32 vcc_lo, 14, v7
	v_lshlrev_b32_e32 v11, 2, v6
	s_delay_alu instid0(VALU_DEP_3) | instskip(SKIP_1) | instid1(VALU_DEP_3)
	v_cndmask_b32_e32 v9, v10, v9, vcc_lo
	v_cmp_eq_u32_e32 vcc_lo, 15, v7
	v_lshl_or_b32 v10, v7, 7, v11
	s_delay_alu instid0(VALU_DEP_3)
	v_cndmask_b32_e32 v8, v9, v8, vcc_lo
	ds_store_b32 v10, v8
.LBB3_4:
	s_or_b32 exec_lo, exec_lo, s2
	s_waitcnt lgkmcnt(0)
	s_barrier
	buffer_gl0_inv
	s_mov_b32 s2, exec_lo
	v_cmpx_gt_u32_e32 0x100, v0
	s_cbranch_execz .LBB3_9
; %bb.5:
	s_load_b32 s0, s[0:1], 0x2c
	v_and_b32_e32 v8, 15, v0
	v_mov_b32_e32 v0, 0
	s_waitcnt lgkmcnt(0)
	s_and_b32 s0, 0xffff, s0
	s_delay_alu instid0(SALU_CYCLE_1) | instskip(NEXT) | instid1(SALU_CYCLE_1)
	s_lshr_b32 s0, s0, 5
	v_cmp_gt_u32_e32 vcc_lo, s0, v8
	s_and_saveexec_b32 s0, vcc_lo
	s_cbranch_execz .LBB3_7
; %bb.6:
	v_lshlrev_b32_e32 v0, 2, v8
	s_delay_alu instid0(VALU_DEP_1)
	v_and_or_b32 v0, 0x1f80, v69, v0
	ds_load_b32 v0, v0
.LBB3_7:
	s_or_b32 exec_lo, exec_lo, s0
	s_waitcnt lgkmcnt(0)
	ds_bpermute_b32 v2, v2, v0
	v_cmp_eq_u32_e32 vcc_lo, 0, v7
	s_waitcnt lgkmcnt(0)
	v_add_f32_e32 v0, v0, v2
	ds_bpermute_b32 v2, v3, v0
	s_waitcnt lgkmcnt(0)
	v_add_f32_e32 v0, v0, v2
	ds_bpermute_b32 v2, v4, v0
	;; [unrolled: 3-line block ×4, first 2 shown]
	s_and_b32 exec_lo, exec_lo, vcc_lo
	s_cbranch_execz .LBB3_9
; %bb.8:
	s_lshl_b32 s0, s15, 3
	v_mov_b32_e32 v3, 0
	v_and_or_b32 v2, 0x7ffffff8, s0, v6
	v_cvt_f16_f32_e32 v4, v0
	s_waitcnt lgkmcnt(0)
	v_cvt_f16_f32_e32 v5, v1
	s_delay_alu instid0(VALU_DEP_3) | instskip(NEXT) | instid1(VALU_DEP_2)
	v_lshlrev_b64 v[0:1], 2, v[2:3]
	v_pack_b32_f16 v2, v4, v5
	s_delay_alu instid0(VALU_DEP_2) | instskip(NEXT) | instid1(VALU_DEP_3)
	v_add_co_u32 v0, vcc_lo, s8, v0
	v_add_co_ci_u32_e32 v1, vcc_lo, s9, v1, vcc_lo
	global_store_b32 v[0:1], v2, off
.LBB3_9:
	s_nop 0
	s_sendmsg sendmsg(MSG_DEALLOC_VGPRS)
	s_endpgm
	.section	.rodata,"a",@progbits
	.p2align	6, 0x0
	.amdhsa_kernel _Z14LLGemm1_kernelIN3c104HalfELi16EEvPKT_S4_PS2_i
		.amdhsa_group_segment_fixed_size 2048
		.amdhsa_private_segment_fixed_size 0
		.amdhsa_kernarg_size 288
		.amdhsa_user_sgpr_count 15
		.amdhsa_user_sgpr_dispatch_ptr 0
		.amdhsa_user_sgpr_queue_ptr 0
		.amdhsa_user_sgpr_kernarg_segment_ptr 1
		.amdhsa_user_sgpr_dispatch_id 0
		.amdhsa_user_sgpr_private_segment_size 0
		.amdhsa_wavefront_size32 1
		.amdhsa_uses_dynamic_stack 0
		.amdhsa_enable_private_segment 0
		.amdhsa_system_sgpr_workgroup_id_x 1
		.amdhsa_system_sgpr_workgroup_id_y 0
		.amdhsa_system_sgpr_workgroup_id_z 0
		.amdhsa_system_sgpr_workgroup_info 0
		.amdhsa_system_vgpr_workitem_id 0
		.amdhsa_next_free_vgpr 71
		.amdhsa_next_free_sgpr 18
		.amdhsa_reserve_vcc 1
		.amdhsa_float_round_mode_32 0
		.amdhsa_float_round_mode_16_64 0
		.amdhsa_float_denorm_mode_32 3
		.amdhsa_float_denorm_mode_16_64 3
		.amdhsa_dx10_clamp 1
		.amdhsa_ieee_mode 1
		.amdhsa_fp16_overflow 0
		.amdhsa_workgroup_processor_mode 1
		.amdhsa_memory_ordered 1
		.amdhsa_forward_progress 0
		.amdhsa_shared_vgpr_count 0
		.amdhsa_exception_fp_ieee_invalid_op 0
		.amdhsa_exception_fp_denorm_src 0
		.amdhsa_exception_fp_ieee_div_zero 0
		.amdhsa_exception_fp_ieee_overflow 0
		.amdhsa_exception_fp_ieee_underflow 0
		.amdhsa_exception_fp_ieee_inexact 0
		.amdhsa_exception_int_div_zero 0
	.end_amdhsa_kernel
	.section	.text._Z14LLGemm1_kernelIN3c104HalfELi16EEvPKT_S4_PS2_i,"axG",@progbits,_Z14LLGemm1_kernelIN3c104HalfELi16EEvPKT_S4_PS2_i,comdat
.Lfunc_end3:
	.size	_Z14LLGemm1_kernelIN3c104HalfELi16EEvPKT_S4_PS2_i, .Lfunc_end3-_Z14LLGemm1_kernelIN3c104HalfELi16EEvPKT_S4_PS2_i
                                        ; -- End function
	.section	.AMDGPU.csdata,"",@progbits
; Kernel info:
; codeLenInByte = 3392
; NumSgprs: 20
; NumVgprs: 71
; ScratchSize: 0
; MemoryBound: 0
; FloatMode: 240
; IeeeMode: 1
; LDSByteSize: 2048 bytes/workgroup (compile time only)
; SGPRBlocks: 2
; VGPRBlocks: 8
; NumSGPRsForWavesPerEU: 20
; NumVGPRsForWavesPerEU: 71
; Occupancy: 16
; WaveLimiterHint : 0
; COMPUTE_PGM_RSRC2:SCRATCH_EN: 0
; COMPUTE_PGM_RSRC2:USER_SGPR: 15
; COMPUTE_PGM_RSRC2:TRAP_HANDLER: 0
; COMPUTE_PGM_RSRC2:TGID_X_EN: 1
; COMPUTE_PGM_RSRC2:TGID_Y_EN: 0
; COMPUTE_PGM_RSRC2:TGID_Z_EN: 0
; COMPUTE_PGM_RSRC2:TIDIG_COMP_CNT: 0
	.section	.text._Z14LLGemm1_kernelIN3c108BFloat16ELi2EEvPKT_S4_PS2_i,"axG",@progbits,_Z14LLGemm1_kernelIN3c108BFloat16ELi2EEvPKT_S4_PS2_i,comdat
	.protected	_Z14LLGemm1_kernelIN3c108BFloat16ELi2EEvPKT_S4_PS2_i ; -- Begin function _Z14LLGemm1_kernelIN3c108BFloat16ELi2EEvPKT_S4_PS2_i
	.globl	_Z14LLGemm1_kernelIN3c108BFloat16ELi2EEvPKT_S4_PS2_i
	.p2align	8
	.type	_Z14LLGemm1_kernelIN3c108BFloat16ELi2EEvPKT_S4_PS2_i,@function
_Z14LLGemm1_kernelIN3c108BFloat16ELi2EEvPKT_S4_PS2_i: ; @_Z14LLGemm1_kernelIN3c108BFloat16ELi2EEvPKT_S4_PS2_i
; %bb.0:
	s_clause 0x2
	s_load_b32 s2, s[0:1], 0x18
	s_load_b128 s[4:7], s[0:1], 0x0
	s_load_b64 s[8:9], s[0:1], 0x10
	v_dual_mov_b32 v14, 0 :: v_dual_lshlrev_b32 v9, 3, v0
	v_dual_mov_b32 v11, 0 :: v_dual_mov_b32 v10, 0
	v_dual_mov_b32 v13, 0 :: v_dual_mov_b32 v12, 0
	;; [unrolled: 1-line block ×3, first 2 shown]
	v_mov_b32_e32 v17, 0
	s_mov_b32 s11, 0
                                        ; implicit-def: $vgpr1
                                        ; implicit-def: $vgpr5
	s_waitcnt lgkmcnt(0)
	v_cmp_gt_i32_e32 vcc_lo, s2, v9
	s_and_saveexec_b32 s3, vcc_lo
	s_cbranch_execz .LBB4_2
; %bb.1:
	s_mul_i32 s10, s15, s2
	v_lshlrev_b32_e32 v3, 4, v0
	s_bfe_u32 s10, s10, 0x1d0002
	s_delay_alu instid0(SALU_CYCLE_1) | instskip(SKIP_3) | instid1(VALU_DEP_1)
	v_dual_mov_b32 v2, 0 :: v_dual_add_nc_u32 v1, s10, v0
	s_lshr_b32 s10, s2, 3
	global_load_b128 v[17:20], v3, s[6:7]
	v_lshlrev_b64 v[1:2], 4, v[1:2]
	v_add_co_u32 v1, s2, s4, v1
	s_delay_alu instid0(VALU_DEP_1)
	v_add_co_ci_u32_e64 v2, s2, s5, v2, s2
	s_lshl_b64 s[4:5], s[10:11], 4
	s_delay_alu instid0(VALU_DEP_2) | instid1(SALU_CYCLE_1)
	v_add_co_u32 v3, s2, v1, s4
	s_delay_alu instid0(VALU_DEP_1)
	v_add_co_ci_u32_e64 v4, s2, s5, v2, s2
	s_clause 0x1
	global_load_b128 v[5:8], v[1:2], off slc dlc
	global_load_b128 v[1:4], v[3:4], off slc dlc
	s_waitcnt vmcnt(2)
	v_and_b32_e32 v16, 0xffff0000, v17
	v_lshlrev_b32_e32 v17, 16, v17
	v_and_b32_e32 v14, 0xffff0000, v18
	v_lshlrev_b32_e32 v15, 16, v18
	;; [unrolled: 2-line block ×4, first 2 shown]
.LBB4_2:
	s_or_b32 exec_lo, exec_lo, s3
	s_waitcnt vmcnt(1)
	v_lshlrev_b32_e32 v18, 16, v5
	s_delay_alu instid0(VALU_DEP_1) | instskip(NEXT) | instid1(VALU_DEP_1)
	v_mul_f32_e32 v19, v17, v18
	v_and_b32_e32 v18, 0x7f800000, v19
	s_delay_alu instid0(VALU_DEP_1) | instskip(NEXT) | instid1(VALU_DEP_1)
	v_cmp_ne_u32_e64 s2, 0x7f800000, v18
                                        ; implicit-def: $vgpr18
	s_and_saveexec_b32 s3, s2
	s_delay_alu instid0(SALU_CYCLE_1)
	s_xor_b32 s2, exec_lo, s3
; %bb.3:
	v_bfe_u32 v18, v19, 16, 1
	s_delay_alu instid0(VALU_DEP_1)
	v_add3_u32 v18, v19, v18, 0x7fff
                                        ; implicit-def: $vgpr19
; %bb.4:
	s_and_not1_saveexec_b32 s3, s2
; %bb.5:
	v_and_b32_e32 v18, 0xffff, v19
	v_or_b32_e32 v20, 0x10000, v19
	s_delay_alu instid0(VALU_DEP_2) | instskip(NEXT) | instid1(VALU_DEP_1)
	v_cmp_eq_u32_e64 s2, 0, v18
	v_cndmask_b32_e64 v18, v20, v19, s2
; %bb.6:
	s_or_b32 exec_lo, exec_lo, s3
	v_and_b32_e32 v5, 0xffff0000, v5
	s_delay_alu instid0(VALU_DEP_1) | instskip(NEXT) | instid1(VALU_DEP_1)
	v_mul_f32_e32 v19, v16, v5
	v_and_b32_e32 v5, 0x7f800000, v19
	s_delay_alu instid0(VALU_DEP_1) | instskip(NEXT) | instid1(VALU_DEP_1)
	v_cmp_ne_u32_e64 s2, 0x7f800000, v5
                                        ; implicit-def: $vgpr5
	s_and_saveexec_b32 s3, s2
	s_delay_alu instid0(SALU_CYCLE_1)
	s_xor_b32 s2, exec_lo, s3
; %bb.7:
	v_bfe_u32 v5, v19, 16, 1
	s_delay_alu instid0(VALU_DEP_1)
	v_add3_u32 v5, v19, v5, 0x7fff
                                        ; implicit-def: $vgpr19
; %bb.8:
	s_and_not1_saveexec_b32 s3, s2
; %bb.9:
	v_and_b32_e32 v5, 0xffff, v19
	v_or_b32_e32 v20, 0x10000, v19
	s_delay_alu instid0(VALU_DEP_2) | instskip(NEXT) | instid1(VALU_DEP_1)
	v_cmp_eq_u32_e64 s2, 0, v5
	v_cndmask_b32_e64 v5, v20, v19, s2
; %bb.10:
	s_or_b32 exec_lo, exec_lo, s3
	v_and_b32_e32 v19, 0xffff0000, v18
	v_lshlrev_b32_e32 v18, 16, v6
	s_delay_alu instid0(VALU_DEP_1) | instskip(NEXT) | instid1(VALU_DEP_1)
	v_fmac_f32_e32 v19, v18, v15
	v_and_b32_e32 v18, 0x7f800000, v19
	s_delay_alu instid0(VALU_DEP_1) | instskip(NEXT) | instid1(VALU_DEP_1)
	v_cmp_ne_u32_e64 s2, 0x7f800000, v18
                                        ; implicit-def: $vgpr18
	s_and_saveexec_b32 s3, s2
	s_delay_alu instid0(SALU_CYCLE_1)
	s_xor_b32 s2, exec_lo, s3
; %bb.11:
	v_bfe_u32 v18, v19, 16, 1
	s_delay_alu instid0(VALU_DEP_1)
	v_add3_u32 v18, v19, v18, 0x7fff
                                        ; implicit-def: $vgpr19
; %bb.12:
	s_and_not1_saveexec_b32 s3, s2
; %bb.13:
	v_and_b32_e32 v18, 0xffff, v19
	v_or_b32_e32 v20, 0x10000, v19
	s_delay_alu instid0(VALU_DEP_2) | instskip(NEXT) | instid1(VALU_DEP_1)
	v_cmp_eq_u32_e64 s2, 0, v18
	v_cndmask_b32_e64 v18, v20, v19, s2
; %bb.14:
	s_or_b32 exec_lo, exec_lo, s3
	v_and_b32_e32 v19, 0xffff0000, v5
	v_and_b32_e32 v5, 0xffff0000, v6
	s_delay_alu instid0(VALU_DEP_1) | instskip(NEXT) | instid1(VALU_DEP_1)
	v_fmac_f32_e32 v19, v5, v14
	v_and_b32_e32 v5, 0x7f800000, v19
	s_delay_alu instid0(VALU_DEP_1) | instskip(NEXT) | instid1(VALU_DEP_1)
	v_cmp_ne_u32_e64 s2, 0x7f800000, v5
                                        ; implicit-def: $vgpr5
	s_and_saveexec_b32 s3, s2
	s_delay_alu instid0(SALU_CYCLE_1)
	s_xor_b32 s2, exec_lo, s3
; %bb.15:
	v_bfe_u32 v5, v19, 16, 1
	s_delay_alu instid0(VALU_DEP_1)
	v_add3_u32 v5, v19, v5, 0x7fff
                                        ; implicit-def: $vgpr19
; %bb.16:
	s_and_not1_saveexec_b32 s3, s2
; %bb.17:
	v_and_b32_e32 v5, 0xffff, v19
	v_or_b32_e32 v6, 0x10000, v19
	s_delay_alu instid0(VALU_DEP_2) | instskip(NEXT) | instid1(VALU_DEP_1)
	v_cmp_eq_u32_e64 s2, 0, v5
	v_cndmask_b32_e64 v5, v6, v19, s2
; %bb.18:
	s_or_b32 exec_lo, exec_lo, s3
	v_and_b32_e32 v18, 0xffff0000, v18
	v_lshlrev_b32_e32 v6, 16, v7
	s_delay_alu instid0(VALU_DEP_1) | instskip(NEXT) | instid1(VALU_DEP_1)
	v_fmac_f32_e32 v18, v6, v13
	v_and_b32_e32 v6, 0x7f800000, v18
	s_delay_alu instid0(VALU_DEP_1) | instskip(NEXT) | instid1(VALU_DEP_1)
	v_cmp_ne_u32_e64 s2, 0x7f800000, v6
                                        ; implicit-def: $vgpr6
	s_and_saveexec_b32 s3, s2
	s_delay_alu instid0(SALU_CYCLE_1)
	s_xor_b32 s2, exec_lo, s3
; %bb.19:
	v_bfe_u32 v6, v18, 16, 1
	s_delay_alu instid0(VALU_DEP_1)
	v_add3_u32 v6, v18, v6, 0x7fff
                                        ; implicit-def: $vgpr18
; %bb.20:
	s_and_not1_saveexec_b32 s3, s2
; %bb.21:
	v_and_b32_e32 v6, 0xffff, v18
	v_or_b32_e32 v19, 0x10000, v18
	s_delay_alu instid0(VALU_DEP_2) | instskip(NEXT) | instid1(VALU_DEP_1)
	v_cmp_eq_u32_e64 s2, 0, v6
	v_cndmask_b32_e64 v6, v19, v18, s2
; %bb.22:
	s_or_b32 exec_lo, exec_lo, s3
	v_and_b32_e32 v5, 0xffff0000, v5
	v_and_b32_e32 v7, 0xffff0000, v7
	s_delay_alu instid0(VALU_DEP_1) | instskip(NEXT) | instid1(VALU_DEP_1)
	v_fmac_f32_e32 v5, v7, v12
	v_and_b32_e32 v7, 0x7f800000, v5
	s_delay_alu instid0(VALU_DEP_1) | instskip(NEXT) | instid1(VALU_DEP_1)
	v_cmp_ne_u32_e64 s2, 0x7f800000, v7
                                        ; implicit-def: $vgpr7
	s_and_saveexec_b32 s3, s2
	s_delay_alu instid0(SALU_CYCLE_1)
	s_xor_b32 s2, exec_lo, s3
; %bb.23:
	v_bfe_u32 v7, v5, 16, 1
	s_delay_alu instid0(VALU_DEP_1)
	v_add3_u32 v7, v5, v7, 0x7fff
                                        ; implicit-def: $vgpr5
; %bb.24:
	s_and_not1_saveexec_b32 s3, s2
; %bb.25:
	v_and_b32_e32 v7, 0xffff, v5
	v_or_b32_e32 v18, 0x10000, v5
	s_delay_alu instid0(VALU_DEP_2) | instskip(NEXT) | instid1(VALU_DEP_1)
	v_cmp_eq_u32_e64 s2, 0, v7
	v_cndmask_b32_e64 v7, v18, v5, s2
; %bb.26:
	s_or_b32 exec_lo, exec_lo, s3
	v_and_b32_e32 v6, 0xffff0000, v6
	v_lshlrev_b32_e32 v5, 16, v8
	s_delay_alu instid0(VALU_DEP_1) | instskip(NEXT) | instid1(VALU_DEP_1)
	v_fmac_f32_e32 v6, v5, v11
	v_and_b32_e32 v5, 0x7f800000, v6
	s_delay_alu instid0(VALU_DEP_1) | instskip(NEXT) | instid1(VALU_DEP_1)
	v_cmp_ne_u32_e64 s2, 0x7f800000, v5
                                        ; implicit-def: $vgpr5
	s_and_saveexec_b32 s3, s2
	s_delay_alu instid0(SALU_CYCLE_1)
	s_xor_b32 s2, exec_lo, s3
; %bb.27:
	v_bfe_u32 v5, v6, 16, 1
	s_delay_alu instid0(VALU_DEP_1)
	v_add3_u32 v5, v6, v5, 0x7fff
                                        ; implicit-def: $vgpr6
; %bb.28:
	s_and_not1_saveexec_b32 s3, s2
; %bb.29:
	v_and_b32_e32 v5, 0xffff, v6
	v_or_b32_e32 v18, 0x10000, v6
	s_delay_alu instid0(VALU_DEP_2) | instskip(NEXT) | instid1(VALU_DEP_1)
	v_cmp_eq_u32_e64 s2, 0, v5
	v_cndmask_b32_e64 v5, v18, v6, s2
; %bb.30:
	s_or_b32 exec_lo, exec_lo, s3
	v_and_b32_e32 v7, 0xffff0000, v7
	v_and_b32_e32 v6, 0xffff0000, v8
	s_delay_alu instid0(VALU_DEP_1) | instskip(NEXT) | instid1(VALU_DEP_1)
	v_fmac_f32_e32 v7, v6, v10
	v_and_b32_e32 v6, 0x7f800000, v7
	s_delay_alu instid0(VALU_DEP_1) | instskip(NEXT) | instid1(VALU_DEP_1)
	v_cmp_ne_u32_e64 s2, 0x7f800000, v6
                                        ; implicit-def: $vgpr6
	s_and_saveexec_b32 s3, s2
	s_delay_alu instid0(SALU_CYCLE_1)
	s_xor_b32 s2, exec_lo, s3
; %bb.31:
	v_bfe_u32 v6, v7, 16, 1
	s_delay_alu instid0(VALU_DEP_1)
	v_add3_u32 v6, v7, v6, 0x7fff
                                        ; implicit-def: $vgpr7
; %bb.32:
	s_and_not1_saveexec_b32 s3, s2
; %bb.33:
	v_and_b32_e32 v6, 0xffff, v7
	v_or_b32_e32 v8, 0x10000, v7
	s_delay_alu instid0(VALU_DEP_2) | instskip(NEXT) | instid1(VALU_DEP_1)
	v_cmp_eq_u32_e64 s2, 0, v6
	v_cndmask_b32_e64 v6, v8, v7, s2
; %bb.34:
	s_or_b32 exec_lo, exec_lo, s3
	s_waitcnt vmcnt(0)
	v_lshlrev_b32_e32 v7, 16, v1
	s_delay_alu instid0(VALU_DEP_1) | instskip(NEXT) | instid1(VALU_DEP_1)
	v_mul_f32_e32 v8, v17, v7
	v_and_b32_e32 v7, 0x7f800000, v8
	s_delay_alu instid0(VALU_DEP_1) | instskip(NEXT) | instid1(VALU_DEP_1)
	v_cmp_ne_u32_e64 s2, 0x7f800000, v7
                                        ; implicit-def: $vgpr7
	s_and_saveexec_b32 s3, s2
	s_delay_alu instid0(SALU_CYCLE_1)
	s_xor_b32 s2, exec_lo, s3
; %bb.35:
	v_bfe_u32 v7, v8, 16, 1
	s_delay_alu instid0(VALU_DEP_1)
	v_add3_u32 v7, v8, v7, 0x7fff
                                        ; implicit-def: $vgpr8
; %bb.36:
	s_and_not1_saveexec_b32 s3, s2
; %bb.37:
	v_and_b32_e32 v7, 0xffff, v8
	v_or_b32_e32 v17, 0x10000, v8
	s_delay_alu instid0(VALU_DEP_2) | instskip(NEXT) | instid1(VALU_DEP_1)
	v_cmp_eq_u32_e64 s2, 0, v7
	v_cndmask_b32_e64 v7, v17, v8, s2
; %bb.38:
	s_or_b32 exec_lo, exec_lo, s3
	v_and_b32_e32 v1, 0xffff0000, v1
	s_delay_alu instid0(VALU_DEP_1) | instskip(NEXT) | instid1(VALU_DEP_1)
	v_mul_f32_e32 v8, v16, v1
	v_and_b32_e32 v1, 0x7f800000, v8
	s_delay_alu instid0(VALU_DEP_1) | instskip(NEXT) | instid1(VALU_DEP_1)
	v_cmp_ne_u32_e64 s2, 0x7f800000, v1
                                        ; implicit-def: $vgpr1
	s_and_saveexec_b32 s3, s2
	s_delay_alu instid0(SALU_CYCLE_1)
	s_xor_b32 s2, exec_lo, s3
; %bb.39:
	v_bfe_u32 v1, v8, 16, 1
	s_delay_alu instid0(VALU_DEP_1)
	v_add3_u32 v1, v8, v1, 0x7fff
                                        ; implicit-def: $vgpr8
; %bb.40:
	s_and_not1_saveexec_b32 s3, s2
; %bb.41:
	v_and_b32_e32 v1, 0xffff, v8
	v_or_b32_e32 v16, 0x10000, v8
	s_delay_alu instid0(VALU_DEP_2) | instskip(NEXT) | instid1(VALU_DEP_1)
	v_cmp_eq_u32_e64 s2, 0, v1
	v_cndmask_b32_e64 v1, v16, v8, s2
; %bb.42:
	s_or_b32 exec_lo, exec_lo, s3
	v_and_b32_e32 v8, 0xffff0000, v7
	v_lshlrev_b32_e32 v7, 16, v2
	s_delay_alu instid0(VALU_DEP_1) | instskip(NEXT) | instid1(VALU_DEP_1)
	v_fmac_f32_e32 v8, v7, v15
	v_and_b32_e32 v7, 0x7f800000, v8
	s_delay_alu instid0(VALU_DEP_1) | instskip(NEXT) | instid1(VALU_DEP_1)
	v_cmp_ne_u32_e64 s2, 0x7f800000, v7
                                        ; implicit-def: $vgpr7
	s_and_saveexec_b32 s3, s2
	s_delay_alu instid0(SALU_CYCLE_1)
	s_xor_b32 s2, exec_lo, s3
; %bb.43:
	v_bfe_u32 v7, v8, 16, 1
	s_delay_alu instid0(VALU_DEP_1)
	v_add3_u32 v7, v8, v7, 0x7fff
                                        ; implicit-def: $vgpr8
; %bb.44:
	s_and_not1_saveexec_b32 s3, s2
; %bb.45:
	v_and_b32_e32 v7, 0xffff, v8
	v_or_b32_e32 v15, 0x10000, v8
	s_delay_alu instid0(VALU_DEP_2) | instskip(NEXT) | instid1(VALU_DEP_1)
	v_cmp_eq_u32_e64 s2, 0, v7
	v_cndmask_b32_e64 v7, v15, v8, s2
; %bb.46:
	s_or_b32 exec_lo, exec_lo, s3
	v_and_b32_e32 v8, 0xffff0000, v1
	v_and_b32_e32 v1, 0xffff0000, v2
	s_delay_alu instid0(VALU_DEP_1) | instskip(NEXT) | instid1(VALU_DEP_1)
	v_fmac_f32_e32 v8, v1, v14
	v_and_b32_e32 v1, 0x7f800000, v8
	s_delay_alu instid0(VALU_DEP_1) | instskip(NEXT) | instid1(VALU_DEP_1)
	v_cmp_ne_u32_e64 s2, 0x7f800000, v1
                                        ; implicit-def: $vgpr1
	s_and_saveexec_b32 s3, s2
	s_delay_alu instid0(SALU_CYCLE_1)
	s_xor_b32 s2, exec_lo, s3
; %bb.47:
	v_bfe_u32 v1, v8, 16, 1
	s_delay_alu instid0(VALU_DEP_1)
	v_add3_u32 v1, v8, v1, 0x7fff
                                        ; implicit-def: $vgpr8
; %bb.48:
	s_and_not1_saveexec_b32 s3, s2
; %bb.49:
	v_and_b32_e32 v1, 0xffff, v8
	v_or_b32_e32 v2, 0x10000, v8
	s_delay_alu instid0(VALU_DEP_2) | instskip(NEXT) | instid1(VALU_DEP_1)
	v_cmp_eq_u32_e64 s2, 0, v1
	v_cndmask_b32_e64 v1, v2, v8, s2
; %bb.50:
	s_or_b32 exec_lo, exec_lo, s3
	v_and_b32_e32 v7, 0xffff0000, v7
	v_lshlrev_b32_e32 v2, 16, v3
	s_delay_alu instid0(VALU_DEP_1) | instskip(NEXT) | instid1(VALU_DEP_1)
	v_fmac_f32_e32 v7, v2, v13
	v_and_b32_e32 v2, 0x7f800000, v7
	s_delay_alu instid0(VALU_DEP_1) | instskip(NEXT) | instid1(VALU_DEP_1)
	v_cmp_ne_u32_e64 s2, 0x7f800000, v2
                                        ; implicit-def: $vgpr2
	s_and_saveexec_b32 s3, s2
	s_delay_alu instid0(SALU_CYCLE_1)
	s_xor_b32 s2, exec_lo, s3
; %bb.51:
	v_bfe_u32 v2, v7, 16, 1
	s_delay_alu instid0(VALU_DEP_1)
	v_add3_u32 v2, v7, v2, 0x7fff
                                        ; implicit-def: $vgpr7
; %bb.52:
	s_and_not1_saveexec_b32 s3, s2
; %bb.53:
	v_and_b32_e32 v2, 0xffff, v7
	v_or_b32_e32 v8, 0x10000, v7
	s_delay_alu instid0(VALU_DEP_2) | instskip(NEXT) | instid1(VALU_DEP_1)
	v_cmp_eq_u32_e64 s2, 0, v2
	v_cndmask_b32_e64 v2, v8, v7, s2
; %bb.54:
	s_or_b32 exec_lo, exec_lo, s3
	v_and_b32_e32 v1, 0xffff0000, v1
	v_and_b32_e32 v3, 0xffff0000, v3
	s_delay_alu instid0(VALU_DEP_1) | instskip(NEXT) | instid1(VALU_DEP_1)
	v_fmac_f32_e32 v1, v3, v12
	v_and_b32_e32 v3, 0x7f800000, v1
	s_delay_alu instid0(VALU_DEP_1) | instskip(NEXT) | instid1(VALU_DEP_1)
	v_cmp_ne_u32_e64 s2, 0x7f800000, v3
                                        ; implicit-def: $vgpr3
	s_and_saveexec_b32 s3, s2
	s_delay_alu instid0(SALU_CYCLE_1)
	s_xor_b32 s2, exec_lo, s3
; %bb.55:
	v_bfe_u32 v3, v1, 16, 1
	s_delay_alu instid0(VALU_DEP_1)
	v_add3_u32 v3, v1, v3, 0x7fff
                                        ; implicit-def: $vgpr1
; %bb.56:
	s_and_not1_saveexec_b32 s3, s2
; %bb.57:
	v_and_b32_e32 v3, 0xffff, v1
	v_or_b32_e32 v7, 0x10000, v1
	s_delay_alu instid0(VALU_DEP_2) | instskip(NEXT) | instid1(VALU_DEP_1)
	v_cmp_eq_u32_e64 s2, 0, v3
	v_cndmask_b32_e64 v3, v7, v1, s2
; %bb.58:
	s_or_b32 exec_lo, exec_lo, s3
	v_and_b32_e32 v2, 0xffff0000, v2
	v_lshlrev_b32_e32 v1, 16, v4
	s_delay_alu instid0(VALU_DEP_1) | instskip(NEXT) | instid1(VALU_DEP_1)
	v_fmac_f32_e32 v2, v1, v11
	v_and_b32_e32 v1, 0x7f800000, v2
	s_delay_alu instid0(VALU_DEP_1) | instskip(NEXT) | instid1(VALU_DEP_1)
	v_cmp_ne_u32_e64 s2, 0x7f800000, v1
                                        ; implicit-def: $vgpr1
	s_and_saveexec_b32 s3, s2
	s_delay_alu instid0(SALU_CYCLE_1)
	s_xor_b32 s2, exec_lo, s3
; %bb.59:
	v_bfe_u32 v1, v2, 16, 1
	s_delay_alu instid0(VALU_DEP_1)
	v_add3_u32 v1, v2, v1, 0x7fff
                                        ; implicit-def: $vgpr2
; %bb.60:
	s_and_not1_saveexec_b32 s3, s2
; %bb.61:
	v_and_b32_e32 v1, 0xffff, v2
	v_or_b32_e32 v7, 0x10000, v2
	s_delay_alu instid0(VALU_DEP_2) | instskip(NEXT) | instid1(VALU_DEP_1)
	v_cmp_eq_u32_e64 s2, 0, v1
	v_cndmask_b32_e64 v1, v7, v2, s2
; %bb.62:
	s_or_b32 exec_lo, exec_lo, s3
	v_and_b32_e32 v3, 0xffff0000, v3
	v_and_b32_e32 v2, 0xffff0000, v4
	s_delay_alu instid0(VALU_DEP_1) | instskip(NEXT) | instid1(VALU_DEP_1)
	v_fmac_f32_e32 v3, v2, v10
	v_and_b32_e32 v2, 0x7f800000, v3
	s_delay_alu instid0(VALU_DEP_1) | instskip(NEXT) | instid1(VALU_DEP_1)
	v_cmp_ne_u32_e64 s2, 0x7f800000, v2
                                        ; implicit-def: $vgpr2
	s_and_saveexec_b32 s3, s2
	s_delay_alu instid0(SALU_CYCLE_1)
	s_xor_b32 s2, exec_lo, s3
; %bb.63:
	v_bfe_u32 v2, v3, 16, 1
	s_delay_alu instid0(VALU_DEP_1)
	v_add3_u32 v2, v3, v2, 0x7fff
                                        ; implicit-def: $vgpr3
; %bb.64:
	s_and_not1_saveexec_b32 s3, s2
; %bb.65:
	v_and_b32_e32 v2, 0xffff, v3
	v_or_b32_e32 v4, 0x10000, v3
	s_delay_alu instid0(VALU_DEP_2) | instskip(NEXT) | instid1(VALU_DEP_1)
	v_cmp_eq_u32_e64 s2, 0, v2
	v_cndmask_b32_e64 v2, v4, v3, s2
; %bb.66:
	s_or_b32 exec_lo, exec_lo, s3
	v_mbcnt_lo_u32_b32 v7, -1, 0
	v_and_b32_e32 v4, 0xffff0000, v6
	v_and_b32_e32 v1, 0xffff0000, v1
	;; [unrolled: 1-line block ×4, first 2 shown]
	v_xor_b32_e32 v5, 16, v7
	s_delay_alu instid0(VALU_DEP_2) | instskip(NEXT) | instid1(VALU_DEP_2)
	v_dual_add_f32 v2, v1, v2 :: v_dual_add_f32 v3, v3, v4
	v_cmp_gt_i32_e64 s2, 32, v5
	s_delay_alu instid0(VALU_DEP_2) | instskip(NEXT) | instid1(VALU_DEP_2)
	v_cndmask_b32_e32 v3, 0, v3, vcc_lo
	v_cndmask_b32_e64 v4, v7, v5, s2
	s_mov_b32 s2, exec_lo
	s_delay_alu instid0(VALU_DEP_1) | instskip(SKIP_1) | instid1(VALU_DEP_1)
	v_dual_cndmask_b32 v4, 0, v2 :: v_dual_lshlrev_b32 v1, 2, v4
	v_xor_b32_e32 v2, 8, v7
	v_cmp_gt_i32_e32 vcc_lo, 32, v2
	v_cndmask_b32_e32 v2, v7, v2, vcc_lo
	ds_bpermute_b32 v5, v1, v3
	ds_bpermute_b32 v6, v1, v4
	s_waitcnt lgkmcnt(1)
	v_dual_add_f32 v5, v3, v5 :: v_dual_lshlrev_b32 v2, 2, v2
	v_xor_b32_e32 v3, 4, v7
	s_delay_alu instid0(VALU_DEP_1)
	v_cmp_gt_i32_e32 vcc_lo, 32, v3
	s_waitcnt lgkmcnt(0)
	v_add_f32_e32 v4, v4, v6
	ds_bpermute_b32 v6, v2, v5
	v_cndmask_b32_e32 v3, v7, v3, vcc_lo
	ds_bpermute_b32 v8, v2, v4
	v_lshlrev_b32_e32 v3, 2, v3
	s_waitcnt lgkmcnt(0)
	v_dual_add_f32 v5, v5, v6 :: v_dual_add_f32 v6, v4, v8
	v_xor_b32_e32 v4, 2, v7
	ds_bpermute_b32 v10, v3, v6
	v_cmp_gt_i32_e32 vcc_lo, 32, v4
	v_cndmask_b32_e32 v4, v7, v4, vcc_lo
	ds_bpermute_b32 v8, v3, v5
	s_waitcnt lgkmcnt(1)
	v_add_f32_e32 v6, v6, v10
	s_waitcnt lgkmcnt(0)
	v_add_f32_e32 v8, v5, v8
	v_xor_b32_e32 v5, 1, v7
	s_delay_alu instid0(VALU_DEP_1)
	v_cmp_gt_i32_e32 vcc_lo, 32, v5
	v_dual_cndmask_b32 v5, v7, v5 :: v_dual_lshlrev_b32 v4, 2, v4
	ds_bpermute_b32 v11, v4, v6
	v_lshlrev_b32_e32 v5, 2, v5
	ds_bpermute_b32 v10, v4, v8
	s_waitcnt lgkmcnt(0)
	v_dual_add_f32 v7, v8, v10 :: v_dual_add_f32 v8, v6, v11
	v_and_b32_e32 v6, 31, v0
	ds_bpermute_b32 v10, v5, v7
	ds_bpermute_b32 v11, v5, v8
	v_cmpx_gt_u32_e32 2, v6
	s_cbranch_execz .LBB4_68
; %bb.67:
	v_lshrrev_b32_e32 v12, 3, v0
	s_waitcnt lgkmcnt(0)
	v_add_f32_e32 v8, v8, v11
	v_cmp_eq_u32_e32 vcc_lo, 1, v6
	s_delay_alu instid0(VALU_DEP_3) | instskip(NEXT) | instid1(VALU_DEP_1)
	v_dual_add_f32 v7, v7, v10 :: v_dual_and_b32 v12, 0x7c, v12
	v_cndmask_b32_e32 v7, v7, v8, vcc_lo
	s_delay_alu instid0(VALU_DEP_2)
	v_lshl_or_b32 v10, v6, 7, v12
	ds_store_b32 v10, v7
.LBB4_68:
	s_or_b32 exec_lo, exec_lo, s2
	s_waitcnt lgkmcnt(0)
	s_barrier
	buffer_gl0_inv
	s_mov_b32 s2, exec_lo
	v_cmpx_gt_u32_e32 32, v0
	s_cbranch_execz .LBB4_81
; %bb.69:
	s_load_b32 s0, s[0:1], 0x2c
	v_dual_mov_b32 v0, 0 :: v_dual_and_b32 v7, 15, v0
	s_waitcnt lgkmcnt(0)
	s_and_b32 s0, 0xffff, s0
	s_delay_alu instid0(SALU_CYCLE_1)
	s_lshr_b32 s0, s0, 5
	s_delay_alu instid0(VALU_DEP_1) | instid1(SALU_CYCLE_1)
	v_cmp_gt_u32_e32 vcc_lo, s0, v7
	s_and_saveexec_b32 s0, vcc_lo
	s_cbranch_execz .LBB4_71
; %bb.70:
	v_lshlrev_b32_e32 v0, 2, v7
	s_delay_alu instid0(VALU_DEP_1)
	v_and_or_b32 v0, 0x1f80, v9, v0
	ds_load_b32 v0, v0
.LBB4_71:
	s_or_b32 exec_lo, exec_lo, s0
	s_waitcnt lgkmcnt(0)
	ds_bpermute_b32 v2, v2, v0
	v_cmp_eq_u32_e32 vcc_lo, 0, v6
	s_waitcnt lgkmcnt(0)
	v_add_f32_e32 v0, v0, v2
	ds_bpermute_b32 v2, v3, v0
	s_waitcnt lgkmcnt(0)
	v_add_f32_e32 v0, v0, v2
	ds_bpermute_b32 v2, v4, v0
	;; [unrolled: 3-line block ×4, first 2 shown]
	s_and_b32 exec_lo, exec_lo, vcc_lo
	s_cbranch_execz .LBB4_81
; %bb.72:
	v_and_b32_e32 v0, 0x7f800000, v2
	s_delay_alu instid0(VALU_DEP_1) | instskip(SKIP_1) | instid1(SALU_CYCLE_1)
	v_cmp_ne_u32_e32 vcc_lo, 0x7f800000, v0
                                        ; implicit-def: $vgpr0
	s_and_saveexec_b32 s0, vcc_lo
	s_xor_b32 s0, exec_lo, s0
; %bb.73:
	v_bfe_u32 v0, v2, 16, 1
	s_delay_alu instid0(VALU_DEP_1)
	v_add3_u32 v0, v2, v0, 0x7fff
                                        ; implicit-def: $vgpr2
; %bb.74:
	s_and_not1_saveexec_b32 s0, s0
; %bb.75:
	v_and_b32_e32 v0, 0xffff, v2
	v_or_b32_e32 v3, 0x10000, v2
	s_delay_alu instid0(VALU_DEP_2) | instskip(NEXT) | instid1(VALU_DEP_2)
	v_cmp_eq_u32_e32 vcc_lo, 0, v0
	v_cndmask_b32_e32 v0, v3, v2, vcc_lo
; %bb.76:
	s_or_b32 exec_lo, exec_lo, s0
	s_waitcnt lgkmcnt(0)
	v_and_b32_e32 v2, 0x7f800000, v1
	s_delay_alu instid0(VALU_DEP_1) | instskip(SKIP_1) | instid1(SALU_CYCLE_1)
	v_cmp_ne_u32_e32 vcc_lo, 0x7f800000, v2
                                        ; implicit-def: $vgpr2
	s_and_saveexec_b32 s0, vcc_lo
	s_xor_b32 s0, exec_lo, s0
; %bb.77:
	v_bfe_u32 v2, v1, 16, 1
	s_delay_alu instid0(VALU_DEP_1)
	v_add3_u32 v2, v1, v2, 0x7fff
                                        ; implicit-def: $vgpr1
; %bb.78:
	s_and_not1_saveexec_b32 s0, s0
; %bb.79:
	v_and_b32_e32 v2, 0xffff, v1
	v_or_b32_e32 v3, 0x10000, v1
	s_delay_alu instid0(VALU_DEP_2) | instskip(NEXT) | instid1(VALU_DEP_2)
	v_cmp_eq_u32_e32 vcc_lo, 0, v2
	v_cndmask_b32_e32 v2, v3, v1, vcc_lo
; %bb.80:
	s_or_b32 exec_lo, exec_lo, s0
	s_and_b32 s0, s15, 0x7fffffff
	s_mov_b32 s1, 0
	v_mov_b32_e32 v1, 0
	s_lshl_b64 s[0:1], s[0:1], 2
	v_perm_b32 v0, v2, v0, 0x7060302
	s_add_u32 s0, s8, s0
	s_addc_u32 s1, s9, s1
	global_store_b32 v1, v0, s[0:1]
.LBB4_81:
	s_nop 0
	s_sendmsg sendmsg(MSG_DEALLOC_VGPRS)
	s_endpgm
	.section	.rodata,"a",@progbits
	.p2align	6, 0x0
	.amdhsa_kernel _Z14LLGemm1_kernelIN3c108BFloat16ELi2EEvPKT_S4_PS2_i
		.amdhsa_group_segment_fixed_size 256
		.amdhsa_private_segment_fixed_size 0
		.amdhsa_kernarg_size 288
		.amdhsa_user_sgpr_count 15
		.amdhsa_user_sgpr_dispatch_ptr 0
		.amdhsa_user_sgpr_queue_ptr 0
		.amdhsa_user_sgpr_kernarg_segment_ptr 1
		.amdhsa_user_sgpr_dispatch_id 0
		.amdhsa_user_sgpr_private_segment_size 0
		.amdhsa_wavefront_size32 1
		.amdhsa_uses_dynamic_stack 0
		.amdhsa_enable_private_segment 0
		.amdhsa_system_sgpr_workgroup_id_x 1
		.amdhsa_system_sgpr_workgroup_id_y 0
		.amdhsa_system_sgpr_workgroup_id_z 0
		.amdhsa_system_sgpr_workgroup_info 0
		.amdhsa_system_vgpr_workitem_id 0
		.amdhsa_next_free_vgpr 21
		.amdhsa_next_free_sgpr 16
		.amdhsa_reserve_vcc 1
		.amdhsa_float_round_mode_32 0
		.amdhsa_float_round_mode_16_64 0
		.amdhsa_float_denorm_mode_32 3
		.amdhsa_float_denorm_mode_16_64 3
		.amdhsa_dx10_clamp 1
		.amdhsa_ieee_mode 1
		.amdhsa_fp16_overflow 0
		.amdhsa_workgroup_processor_mode 1
		.amdhsa_memory_ordered 1
		.amdhsa_forward_progress 0
		.amdhsa_shared_vgpr_count 0
		.amdhsa_exception_fp_ieee_invalid_op 0
		.amdhsa_exception_fp_denorm_src 0
		.amdhsa_exception_fp_ieee_div_zero 0
		.amdhsa_exception_fp_ieee_overflow 0
		.amdhsa_exception_fp_ieee_underflow 0
		.amdhsa_exception_fp_ieee_inexact 0
		.amdhsa_exception_int_div_zero 0
	.end_amdhsa_kernel
	.section	.text._Z14LLGemm1_kernelIN3c108BFloat16ELi2EEvPKT_S4_PS2_i,"axG",@progbits,_Z14LLGemm1_kernelIN3c108BFloat16ELi2EEvPKT_S4_PS2_i,comdat
.Lfunc_end4:
	.size	_Z14LLGemm1_kernelIN3c108BFloat16ELi2EEvPKT_S4_PS2_i, .Lfunc_end4-_Z14LLGemm1_kernelIN3c108BFloat16ELi2EEvPKT_S4_PS2_i
                                        ; -- End function
	.section	.AMDGPU.csdata,"",@progbits
; Kernel info:
; codeLenInByte = 3064
; NumSgprs: 18
; NumVgprs: 21
; ScratchSize: 0
; MemoryBound: 0
; FloatMode: 240
; IeeeMode: 1
; LDSByteSize: 256 bytes/workgroup (compile time only)
; SGPRBlocks: 2
; VGPRBlocks: 2
; NumSGPRsForWavesPerEU: 18
; NumVGPRsForWavesPerEU: 21
; Occupancy: 16
; WaveLimiterHint : 0
; COMPUTE_PGM_RSRC2:SCRATCH_EN: 0
; COMPUTE_PGM_RSRC2:USER_SGPR: 15
; COMPUTE_PGM_RSRC2:TRAP_HANDLER: 0
; COMPUTE_PGM_RSRC2:TGID_X_EN: 1
; COMPUTE_PGM_RSRC2:TGID_Y_EN: 0
; COMPUTE_PGM_RSRC2:TGID_Z_EN: 0
; COMPUTE_PGM_RSRC2:TIDIG_COMP_CNT: 0
	.section	.text._Z14LLGemm1_kernelIN3c108BFloat16ELi4EEvPKT_S4_PS2_i,"axG",@progbits,_Z14LLGemm1_kernelIN3c108BFloat16ELi4EEvPKT_S4_PS2_i,comdat
	.protected	_Z14LLGemm1_kernelIN3c108BFloat16ELi4EEvPKT_S4_PS2_i ; -- Begin function _Z14LLGemm1_kernelIN3c108BFloat16ELi4EEvPKT_S4_PS2_i
	.globl	_Z14LLGemm1_kernelIN3c108BFloat16ELi4EEvPKT_S4_PS2_i
	.p2align	8
	.type	_Z14LLGemm1_kernelIN3c108BFloat16ELi4EEvPKT_S4_PS2_i,@function
_Z14LLGemm1_kernelIN3c108BFloat16ELi4EEvPKT_S4_PS2_i: ; @_Z14LLGemm1_kernelIN3c108BFloat16ELi4EEvPKT_S4_PS2_i
; %bb.0:
	s_clause 0x2
	s_load_b32 s2, s[0:1], 0x18
	s_load_b128 s[4:7], s[0:1], 0x0
	s_load_b64 s[8:9], s[0:1], 0x10
	v_dual_mov_b32 v22, 0 :: v_dual_lshlrev_b32 v17, 3, v0
	v_dual_mov_b32 v19, 0 :: v_dual_mov_b32 v18, 0
	v_dual_mov_b32 v21, 0 :: v_dual_mov_b32 v20, 0
	;; [unrolled: 1-line block ×3, first 2 shown]
	v_mov_b32_e32 v25, 0
	s_mov_b32 s3, 0
                                        ; implicit-def: $vgpr1
                                        ; implicit-def: $vgpr5
                                        ; implicit-def: $vgpr9
                                        ; implicit-def: $vgpr13
	s_waitcnt lgkmcnt(0)
	v_cmp_gt_i32_e32 vcc_lo, s2, v17
	s_and_saveexec_b32 s10, vcc_lo
	s_cbranch_execz .LBB5_2
; %bb.1:
	s_mul_i32 s11, s15, s2
	s_lshr_b32 s2, s2, 3
	s_bfe_u32 s11, s11, 0x1d0001
	s_delay_alu instid0(SALU_CYCLE_1) | instskip(SKIP_2) | instid1(VALU_DEP_2)
	v_dual_mov_b32 v2, 0 :: v_dual_add_nc_u32 v1, s11, v0
	v_lshlrev_b32_e32 v5, 4, v0
	s_lshl_b64 s[12:13], s[2:3], 4
	v_lshlrev_b64 v[3:4], 4, v[1:2]
	v_add3_u32 v1, s2, s2, v1
	global_load_b128 v[25:28], v5, s[6:7]
	v_lshlrev_b64 v[5:6], 4, v[1:2]
	v_add_nc_u32_e32 v1, s2, v1
	v_add_co_u32 v3, s2, s4, v3
	s_delay_alu instid0(VALU_DEP_1) | instskip(NEXT) | instid1(VALU_DEP_3)
	v_add_co_ci_u32_e64 v4, s2, s5, v4, s2
	v_lshlrev_b64 v[1:2], 4, v[1:2]
	s_delay_alu instid0(VALU_DEP_3) | instskip(NEXT) | instid1(VALU_DEP_1)
	v_add_co_u32 v7, s2, v3, s12
	v_add_co_ci_u32_e64 v8, s2, s13, v4, s2
	v_add_co_u32 v5, s2, s4, v5
	s_delay_alu instid0(VALU_DEP_1) | instskip(SKIP_1) | instid1(VALU_DEP_1)
	v_add_co_ci_u32_e64 v6, s2, s5, v6, s2
	v_add_co_u32 v1, s2, s4, v1
	v_add_co_ci_u32_e64 v2, s2, s5, v2, s2
	s_clause 0x3
	global_load_b128 v[13:16], v[3:4], off slc dlc
	global_load_b128 v[9:12], v[7:8], off slc dlc
	;; [unrolled: 1-line block ×4, first 2 shown]
	s_waitcnt vmcnt(4)
	v_and_b32_e32 v24, 0xffff0000, v25
	v_lshlrev_b32_e32 v25, 16, v25
	v_and_b32_e32 v22, 0xffff0000, v26
	v_lshlrev_b32_e32 v23, 16, v26
	;; [unrolled: 2-line block ×4, first 2 shown]
.LBB5_2:
	s_or_b32 exec_lo, exec_lo, s10
	s_waitcnt vmcnt(3)
	v_lshlrev_b32_e32 v26, 16, v13
	s_delay_alu instid0(VALU_DEP_1) | instskip(NEXT) | instid1(VALU_DEP_1)
	v_mul_f32_e32 v27, v25, v26
	v_and_b32_e32 v26, 0x7f800000, v27
	s_delay_alu instid0(VALU_DEP_1) | instskip(NEXT) | instid1(VALU_DEP_1)
	v_cmp_ne_u32_e64 s2, 0x7f800000, v26
                                        ; implicit-def: $vgpr26
	s_and_saveexec_b32 s3, s2
	s_delay_alu instid0(SALU_CYCLE_1)
	s_xor_b32 s2, exec_lo, s3
; %bb.3:
	v_bfe_u32 v26, v27, 16, 1
	s_delay_alu instid0(VALU_DEP_1)
	v_add3_u32 v26, v27, v26, 0x7fff
                                        ; implicit-def: $vgpr27
; %bb.4:
	s_and_not1_saveexec_b32 s3, s2
; %bb.5:
	v_and_b32_e32 v26, 0xffff, v27
	v_or_b32_e32 v28, 0x10000, v27
	s_delay_alu instid0(VALU_DEP_2) | instskip(NEXT) | instid1(VALU_DEP_1)
	v_cmp_eq_u32_e64 s2, 0, v26
	v_cndmask_b32_e64 v26, v28, v27, s2
; %bb.6:
	s_or_b32 exec_lo, exec_lo, s3
	v_and_b32_e32 v13, 0xffff0000, v13
	s_delay_alu instid0(VALU_DEP_1) | instskip(NEXT) | instid1(VALU_DEP_1)
	v_mul_f32_e32 v27, v24, v13
	v_and_b32_e32 v13, 0x7f800000, v27
	s_delay_alu instid0(VALU_DEP_1) | instskip(NEXT) | instid1(VALU_DEP_1)
	v_cmp_ne_u32_e64 s2, 0x7f800000, v13
                                        ; implicit-def: $vgpr13
	s_and_saveexec_b32 s3, s2
	s_delay_alu instid0(SALU_CYCLE_1)
	s_xor_b32 s2, exec_lo, s3
; %bb.7:
	v_bfe_u32 v13, v27, 16, 1
	s_delay_alu instid0(VALU_DEP_1)
	v_add3_u32 v13, v27, v13, 0x7fff
                                        ; implicit-def: $vgpr27
; %bb.8:
	s_and_not1_saveexec_b32 s3, s2
; %bb.9:
	v_and_b32_e32 v13, 0xffff, v27
	v_or_b32_e32 v28, 0x10000, v27
	s_delay_alu instid0(VALU_DEP_2) | instskip(NEXT) | instid1(VALU_DEP_1)
	v_cmp_eq_u32_e64 s2, 0, v13
	v_cndmask_b32_e64 v13, v28, v27, s2
; %bb.10:
	s_or_b32 exec_lo, exec_lo, s3
	v_and_b32_e32 v27, 0xffff0000, v26
	v_lshlrev_b32_e32 v26, 16, v14
	s_delay_alu instid0(VALU_DEP_1) | instskip(NEXT) | instid1(VALU_DEP_1)
	v_fmac_f32_e32 v27, v26, v23
	v_and_b32_e32 v26, 0x7f800000, v27
	s_delay_alu instid0(VALU_DEP_1) | instskip(NEXT) | instid1(VALU_DEP_1)
	v_cmp_ne_u32_e64 s2, 0x7f800000, v26
                                        ; implicit-def: $vgpr26
	s_and_saveexec_b32 s3, s2
	s_delay_alu instid0(SALU_CYCLE_1)
	s_xor_b32 s2, exec_lo, s3
; %bb.11:
	v_bfe_u32 v26, v27, 16, 1
	s_delay_alu instid0(VALU_DEP_1)
	v_add3_u32 v26, v27, v26, 0x7fff
                                        ; implicit-def: $vgpr27
; %bb.12:
	s_and_not1_saveexec_b32 s3, s2
; %bb.13:
	v_and_b32_e32 v26, 0xffff, v27
	v_or_b32_e32 v28, 0x10000, v27
	s_delay_alu instid0(VALU_DEP_2) | instskip(NEXT) | instid1(VALU_DEP_1)
	v_cmp_eq_u32_e64 s2, 0, v26
	v_cndmask_b32_e64 v26, v28, v27, s2
; %bb.14:
	s_or_b32 exec_lo, exec_lo, s3
	v_and_b32_e32 v27, 0xffff0000, v13
	v_and_b32_e32 v13, 0xffff0000, v14
	s_delay_alu instid0(VALU_DEP_1) | instskip(NEXT) | instid1(VALU_DEP_1)
	v_fmac_f32_e32 v27, v13, v22
	v_and_b32_e32 v13, 0x7f800000, v27
	s_delay_alu instid0(VALU_DEP_1) | instskip(NEXT) | instid1(VALU_DEP_1)
	v_cmp_ne_u32_e64 s2, 0x7f800000, v13
                                        ; implicit-def: $vgpr13
	s_and_saveexec_b32 s3, s2
	s_delay_alu instid0(SALU_CYCLE_1)
	s_xor_b32 s2, exec_lo, s3
; %bb.15:
	v_bfe_u32 v13, v27, 16, 1
	s_delay_alu instid0(VALU_DEP_1)
	v_add3_u32 v13, v27, v13, 0x7fff
                                        ; implicit-def: $vgpr27
; %bb.16:
	s_and_not1_saveexec_b32 s3, s2
; %bb.17:
	v_and_b32_e32 v13, 0xffff, v27
	v_or_b32_e32 v14, 0x10000, v27
	s_delay_alu instid0(VALU_DEP_2) | instskip(NEXT) | instid1(VALU_DEP_1)
	v_cmp_eq_u32_e64 s2, 0, v13
	v_cndmask_b32_e64 v13, v14, v27, s2
; %bb.18:
	s_or_b32 exec_lo, exec_lo, s3
	v_and_b32_e32 v26, 0xffff0000, v26
	v_lshlrev_b32_e32 v14, 16, v15
	s_delay_alu instid0(VALU_DEP_1) | instskip(NEXT) | instid1(VALU_DEP_1)
	v_fmac_f32_e32 v26, v14, v21
	v_and_b32_e32 v14, 0x7f800000, v26
	s_delay_alu instid0(VALU_DEP_1) | instskip(NEXT) | instid1(VALU_DEP_1)
	v_cmp_ne_u32_e64 s2, 0x7f800000, v14
                                        ; implicit-def: $vgpr14
	s_and_saveexec_b32 s3, s2
	s_delay_alu instid0(SALU_CYCLE_1)
	s_xor_b32 s2, exec_lo, s3
; %bb.19:
	v_bfe_u32 v14, v26, 16, 1
	s_delay_alu instid0(VALU_DEP_1)
	v_add3_u32 v14, v26, v14, 0x7fff
                                        ; implicit-def: $vgpr26
; %bb.20:
	s_and_not1_saveexec_b32 s3, s2
; %bb.21:
	v_and_b32_e32 v14, 0xffff, v26
	v_or_b32_e32 v27, 0x10000, v26
	s_delay_alu instid0(VALU_DEP_2) | instskip(NEXT) | instid1(VALU_DEP_1)
	v_cmp_eq_u32_e64 s2, 0, v14
	v_cndmask_b32_e64 v14, v27, v26, s2
; %bb.22:
	s_or_b32 exec_lo, exec_lo, s3
	v_and_b32_e32 v13, 0xffff0000, v13
	v_and_b32_e32 v15, 0xffff0000, v15
	s_delay_alu instid0(VALU_DEP_1) | instskip(NEXT) | instid1(VALU_DEP_1)
	v_fmac_f32_e32 v13, v15, v20
	v_and_b32_e32 v15, 0x7f800000, v13
	s_delay_alu instid0(VALU_DEP_1) | instskip(NEXT) | instid1(VALU_DEP_1)
	v_cmp_ne_u32_e64 s2, 0x7f800000, v15
                                        ; implicit-def: $vgpr15
	s_and_saveexec_b32 s3, s2
	s_delay_alu instid0(SALU_CYCLE_1)
	s_xor_b32 s2, exec_lo, s3
; %bb.23:
	v_bfe_u32 v15, v13, 16, 1
	s_delay_alu instid0(VALU_DEP_1)
	v_add3_u32 v15, v13, v15, 0x7fff
                                        ; implicit-def: $vgpr13
; %bb.24:
	s_and_not1_saveexec_b32 s3, s2
; %bb.25:
	v_and_b32_e32 v15, 0xffff, v13
	v_or_b32_e32 v26, 0x10000, v13
	s_delay_alu instid0(VALU_DEP_2) | instskip(NEXT) | instid1(VALU_DEP_1)
	v_cmp_eq_u32_e64 s2, 0, v15
	v_cndmask_b32_e64 v15, v26, v13, s2
; %bb.26:
	s_or_b32 exec_lo, exec_lo, s3
	v_and_b32_e32 v14, 0xffff0000, v14
	v_lshlrev_b32_e32 v13, 16, v16
	s_delay_alu instid0(VALU_DEP_1) | instskip(NEXT) | instid1(VALU_DEP_1)
	v_fmac_f32_e32 v14, v13, v19
	v_and_b32_e32 v13, 0x7f800000, v14
	s_delay_alu instid0(VALU_DEP_1) | instskip(NEXT) | instid1(VALU_DEP_1)
	v_cmp_ne_u32_e64 s2, 0x7f800000, v13
                                        ; implicit-def: $vgpr13
	s_and_saveexec_b32 s3, s2
	s_delay_alu instid0(SALU_CYCLE_1)
	s_xor_b32 s2, exec_lo, s3
; %bb.27:
	v_bfe_u32 v13, v14, 16, 1
	s_delay_alu instid0(VALU_DEP_1)
	v_add3_u32 v13, v14, v13, 0x7fff
                                        ; implicit-def: $vgpr14
; %bb.28:
	s_and_not1_saveexec_b32 s3, s2
; %bb.29:
	v_and_b32_e32 v13, 0xffff, v14
	v_or_b32_e32 v26, 0x10000, v14
	s_delay_alu instid0(VALU_DEP_2) | instskip(NEXT) | instid1(VALU_DEP_1)
	v_cmp_eq_u32_e64 s2, 0, v13
	v_cndmask_b32_e64 v13, v26, v14, s2
; %bb.30:
	s_or_b32 exec_lo, exec_lo, s3
	v_and_b32_e32 v15, 0xffff0000, v15
	v_and_b32_e32 v14, 0xffff0000, v16
	s_delay_alu instid0(VALU_DEP_1) | instskip(NEXT) | instid1(VALU_DEP_1)
	v_fmac_f32_e32 v15, v14, v18
	v_and_b32_e32 v14, 0x7f800000, v15
	s_delay_alu instid0(VALU_DEP_1) | instskip(NEXT) | instid1(VALU_DEP_1)
	v_cmp_ne_u32_e64 s2, 0x7f800000, v14
                                        ; implicit-def: $vgpr14
	s_and_saveexec_b32 s3, s2
	s_delay_alu instid0(SALU_CYCLE_1)
	s_xor_b32 s2, exec_lo, s3
; %bb.31:
	v_bfe_u32 v14, v15, 16, 1
	s_delay_alu instid0(VALU_DEP_1)
	v_add3_u32 v14, v15, v14, 0x7fff
                                        ; implicit-def: $vgpr15
; %bb.32:
	s_and_not1_saveexec_b32 s3, s2
; %bb.33:
	v_and_b32_e32 v14, 0xffff, v15
	v_or_b32_e32 v16, 0x10000, v15
	s_delay_alu instid0(VALU_DEP_2) | instskip(NEXT) | instid1(VALU_DEP_1)
	v_cmp_eq_u32_e64 s2, 0, v14
	v_cndmask_b32_e64 v14, v16, v15, s2
; %bb.34:
	s_or_b32 exec_lo, exec_lo, s3
	s_waitcnt vmcnt(2)
	v_lshlrev_b32_e32 v15, 16, v9
	s_delay_alu instid0(VALU_DEP_1) | instskip(NEXT) | instid1(VALU_DEP_1)
	v_mul_f32_e32 v16, v25, v15
	v_and_b32_e32 v15, 0x7f800000, v16
	s_delay_alu instid0(VALU_DEP_1) | instskip(NEXT) | instid1(VALU_DEP_1)
	v_cmp_ne_u32_e64 s2, 0x7f800000, v15
                                        ; implicit-def: $vgpr15
	s_and_saveexec_b32 s3, s2
	s_delay_alu instid0(SALU_CYCLE_1)
	s_xor_b32 s2, exec_lo, s3
; %bb.35:
	v_bfe_u32 v15, v16, 16, 1
	s_delay_alu instid0(VALU_DEP_1)
	v_add3_u32 v15, v16, v15, 0x7fff
                                        ; implicit-def: $vgpr16
; %bb.36:
	s_and_not1_saveexec_b32 s3, s2
; %bb.37:
	v_and_b32_e32 v15, 0xffff, v16
	v_or_b32_e32 v26, 0x10000, v16
	s_delay_alu instid0(VALU_DEP_2) | instskip(NEXT) | instid1(VALU_DEP_1)
	v_cmp_eq_u32_e64 s2, 0, v15
	v_cndmask_b32_e64 v15, v26, v16, s2
; %bb.38:
	s_or_b32 exec_lo, exec_lo, s3
	v_and_b32_e32 v9, 0xffff0000, v9
	s_delay_alu instid0(VALU_DEP_1) | instskip(NEXT) | instid1(VALU_DEP_1)
	v_mul_f32_e32 v16, v24, v9
	v_and_b32_e32 v9, 0x7f800000, v16
	s_delay_alu instid0(VALU_DEP_1) | instskip(NEXT) | instid1(VALU_DEP_1)
	v_cmp_ne_u32_e64 s2, 0x7f800000, v9
                                        ; implicit-def: $vgpr9
	s_and_saveexec_b32 s3, s2
	s_delay_alu instid0(SALU_CYCLE_1)
	s_xor_b32 s2, exec_lo, s3
; %bb.39:
	v_bfe_u32 v9, v16, 16, 1
	s_delay_alu instid0(VALU_DEP_1)
	v_add3_u32 v9, v16, v9, 0x7fff
                                        ; implicit-def: $vgpr16
; %bb.40:
	s_and_not1_saveexec_b32 s3, s2
; %bb.41:
	v_and_b32_e32 v9, 0xffff, v16
	v_or_b32_e32 v26, 0x10000, v16
	s_delay_alu instid0(VALU_DEP_2) | instskip(NEXT) | instid1(VALU_DEP_1)
	v_cmp_eq_u32_e64 s2, 0, v9
	v_cndmask_b32_e64 v9, v26, v16, s2
; %bb.42:
	s_or_b32 exec_lo, exec_lo, s3
	v_and_b32_e32 v16, 0xffff0000, v15
	v_lshlrev_b32_e32 v15, 16, v10
	s_delay_alu instid0(VALU_DEP_1) | instskip(NEXT) | instid1(VALU_DEP_1)
	v_fmac_f32_e32 v16, v15, v23
	v_and_b32_e32 v15, 0x7f800000, v16
	s_delay_alu instid0(VALU_DEP_1) | instskip(NEXT) | instid1(VALU_DEP_1)
	v_cmp_ne_u32_e64 s2, 0x7f800000, v15
                                        ; implicit-def: $vgpr15
	s_and_saveexec_b32 s3, s2
	s_delay_alu instid0(SALU_CYCLE_1)
	s_xor_b32 s2, exec_lo, s3
; %bb.43:
	v_bfe_u32 v15, v16, 16, 1
	s_delay_alu instid0(VALU_DEP_1)
	v_add3_u32 v15, v16, v15, 0x7fff
                                        ; implicit-def: $vgpr16
; %bb.44:
	s_and_not1_saveexec_b32 s3, s2
; %bb.45:
	v_and_b32_e32 v15, 0xffff, v16
	v_or_b32_e32 v26, 0x10000, v16
	s_delay_alu instid0(VALU_DEP_2) | instskip(NEXT) | instid1(VALU_DEP_1)
	v_cmp_eq_u32_e64 s2, 0, v15
	v_cndmask_b32_e64 v15, v26, v16, s2
; %bb.46:
	s_or_b32 exec_lo, exec_lo, s3
	v_and_b32_e32 v16, 0xffff0000, v9
	v_and_b32_e32 v9, 0xffff0000, v10
	s_delay_alu instid0(VALU_DEP_1) | instskip(NEXT) | instid1(VALU_DEP_1)
	v_fmac_f32_e32 v16, v9, v22
	v_and_b32_e32 v9, 0x7f800000, v16
	s_delay_alu instid0(VALU_DEP_1) | instskip(NEXT) | instid1(VALU_DEP_1)
	v_cmp_ne_u32_e64 s2, 0x7f800000, v9
                                        ; implicit-def: $vgpr9
	s_and_saveexec_b32 s3, s2
	s_delay_alu instid0(SALU_CYCLE_1)
	s_xor_b32 s2, exec_lo, s3
; %bb.47:
	v_bfe_u32 v9, v16, 16, 1
	s_delay_alu instid0(VALU_DEP_1)
	v_add3_u32 v9, v16, v9, 0x7fff
                                        ; implicit-def: $vgpr16
; %bb.48:
	s_and_not1_saveexec_b32 s3, s2
; %bb.49:
	v_and_b32_e32 v9, 0xffff, v16
	v_or_b32_e32 v10, 0x10000, v16
	s_delay_alu instid0(VALU_DEP_2) | instskip(NEXT) | instid1(VALU_DEP_1)
	v_cmp_eq_u32_e64 s2, 0, v9
	v_cndmask_b32_e64 v9, v10, v16, s2
; %bb.50:
	s_or_b32 exec_lo, exec_lo, s3
	v_and_b32_e32 v15, 0xffff0000, v15
	v_lshlrev_b32_e32 v10, 16, v11
	s_delay_alu instid0(VALU_DEP_1) | instskip(NEXT) | instid1(VALU_DEP_1)
	v_fmac_f32_e32 v15, v10, v21
	v_and_b32_e32 v10, 0x7f800000, v15
	s_delay_alu instid0(VALU_DEP_1) | instskip(NEXT) | instid1(VALU_DEP_1)
	v_cmp_ne_u32_e64 s2, 0x7f800000, v10
                                        ; implicit-def: $vgpr10
	s_and_saveexec_b32 s3, s2
	s_delay_alu instid0(SALU_CYCLE_1)
	s_xor_b32 s2, exec_lo, s3
; %bb.51:
	v_bfe_u32 v10, v15, 16, 1
	s_delay_alu instid0(VALU_DEP_1)
	v_add3_u32 v10, v15, v10, 0x7fff
                                        ; implicit-def: $vgpr15
; %bb.52:
	s_and_not1_saveexec_b32 s3, s2
; %bb.53:
	v_and_b32_e32 v10, 0xffff, v15
	v_or_b32_e32 v16, 0x10000, v15
	s_delay_alu instid0(VALU_DEP_2) | instskip(NEXT) | instid1(VALU_DEP_1)
	v_cmp_eq_u32_e64 s2, 0, v10
	v_cndmask_b32_e64 v10, v16, v15, s2
; %bb.54:
	s_or_b32 exec_lo, exec_lo, s3
	v_and_b32_e32 v9, 0xffff0000, v9
	v_and_b32_e32 v11, 0xffff0000, v11
	s_delay_alu instid0(VALU_DEP_1) | instskip(NEXT) | instid1(VALU_DEP_1)
	v_fmac_f32_e32 v9, v11, v20
	v_and_b32_e32 v11, 0x7f800000, v9
	s_delay_alu instid0(VALU_DEP_1) | instskip(NEXT) | instid1(VALU_DEP_1)
	v_cmp_ne_u32_e64 s2, 0x7f800000, v11
                                        ; implicit-def: $vgpr11
	s_and_saveexec_b32 s3, s2
	s_delay_alu instid0(SALU_CYCLE_1)
	s_xor_b32 s2, exec_lo, s3
; %bb.55:
	v_bfe_u32 v11, v9, 16, 1
	s_delay_alu instid0(VALU_DEP_1)
	v_add3_u32 v11, v9, v11, 0x7fff
                                        ; implicit-def: $vgpr9
; %bb.56:
	s_and_not1_saveexec_b32 s3, s2
; %bb.57:
	v_and_b32_e32 v11, 0xffff, v9
	v_or_b32_e32 v15, 0x10000, v9
	s_delay_alu instid0(VALU_DEP_2) | instskip(NEXT) | instid1(VALU_DEP_1)
	v_cmp_eq_u32_e64 s2, 0, v11
	v_cndmask_b32_e64 v11, v15, v9, s2
; %bb.58:
	s_or_b32 exec_lo, exec_lo, s3
	v_and_b32_e32 v10, 0xffff0000, v10
	v_lshlrev_b32_e32 v9, 16, v12
	s_delay_alu instid0(VALU_DEP_1) | instskip(NEXT) | instid1(VALU_DEP_1)
	v_fmac_f32_e32 v10, v9, v19
	v_and_b32_e32 v9, 0x7f800000, v10
	s_delay_alu instid0(VALU_DEP_1) | instskip(NEXT) | instid1(VALU_DEP_1)
	v_cmp_ne_u32_e64 s2, 0x7f800000, v9
                                        ; implicit-def: $vgpr9
	s_and_saveexec_b32 s3, s2
	s_delay_alu instid0(SALU_CYCLE_1)
	s_xor_b32 s2, exec_lo, s3
; %bb.59:
	v_bfe_u32 v9, v10, 16, 1
	s_delay_alu instid0(VALU_DEP_1)
	v_add3_u32 v9, v10, v9, 0x7fff
                                        ; implicit-def: $vgpr10
; %bb.60:
	s_and_not1_saveexec_b32 s3, s2
; %bb.61:
	v_and_b32_e32 v9, 0xffff, v10
	v_or_b32_e32 v15, 0x10000, v10
	s_delay_alu instid0(VALU_DEP_2) | instskip(NEXT) | instid1(VALU_DEP_1)
	v_cmp_eq_u32_e64 s2, 0, v9
	v_cndmask_b32_e64 v9, v15, v10, s2
; %bb.62:
	s_or_b32 exec_lo, exec_lo, s3
	v_and_b32_e32 v11, 0xffff0000, v11
	v_and_b32_e32 v10, 0xffff0000, v12
	s_delay_alu instid0(VALU_DEP_1) | instskip(NEXT) | instid1(VALU_DEP_1)
	v_fmac_f32_e32 v11, v10, v18
	v_and_b32_e32 v10, 0x7f800000, v11
	s_delay_alu instid0(VALU_DEP_1) | instskip(NEXT) | instid1(VALU_DEP_1)
	v_cmp_ne_u32_e64 s2, 0x7f800000, v10
                                        ; implicit-def: $vgpr10
	s_and_saveexec_b32 s3, s2
	s_delay_alu instid0(SALU_CYCLE_1)
	s_xor_b32 s2, exec_lo, s3
; %bb.63:
	v_bfe_u32 v10, v11, 16, 1
	s_delay_alu instid0(VALU_DEP_1)
	v_add3_u32 v10, v11, v10, 0x7fff
                                        ; implicit-def: $vgpr11
; %bb.64:
	s_and_not1_saveexec_b32 s3, s2
; %bb.65:
	v_and_b32_e32 v10, 0xffff, v11
	v_or_b32_e32 v12, 0x10000, v11
	s_delay_alu instid0(VALU_DEP_2) | instskip(NEXT) | instid1(VALU_DEP_1)
	v_cmp_eq_u32_e64 s2, 0, v10
	v_cndmask_b32_e64 v10, v12, v11, s2
; %bb.66:
	s_or_b32 exec_lo, exec_lo, s3
	s_waitcnt vmcnt(1)
	v_lshlrev_b32_e32 v11, 16, v5
	s_delay_alu instid0(VALU_DEP_1) | instskip(NEXT) | instid1(VALU_DEP_1)
	v_mul_f32_e32 v12, v25, v11
	v_and_b32_e32 v11, 0x7f800000, v12
	s_delay_alu instid0(VALU_DEP_1) | instskip(NEXT) | instid1(VALU_DEP_1)
	v_cmp_ne_u32_e64 s2, 0x7f800000, v11
                                        ; implicit-def: $vgpr11
	s_and_saveexec_b32 s3, s2
	s_delay_alu instid0(SALU_CYCLE_1)
	s_xor_b32 s2, exec_lo, s3
; %bb.67:
	v_bfe_u32 v11, v12, 16, 1
	s_delay_alu instid0(VALU_DEP_1)
	v_add3_u32 v11, v12, v11, 0x7fff
                                        ; implicit-def: $vgpr12
; %bb.68:
	s_and_not1_saveexec_b32 s3, s2
; %bb.69:
	v_and_b32_e32 v11, 0xffff, v12
	v_or_b32_e32 v15, 0x10000, v12
	s_delay_alu instid0(VALU_DEP_2) | instskip(NEXT) | instid1(VALU_DEP_1)
	v_cmp_eq_u32_e64 s2, 0, v11
	v_cndmask_b32_e64 v11, v15, v12, s2
; %bb.70:
	s_or_b32 exec_lo, exec_lo, s3
	v_and_b32_e32 v5, 0xffff0000, v5
	s_delay_alu instid0(VALU_DEP_1) | instskip(NEXT) | instid1(VALU_DEP_1)
	v_mul_f32_e32 v12, v24, v5
	v_and_b32_e32 v5, 0x7f800000, v12
	s_delay_alu instid0(VALU_DEP_1) | instskip(NEXT) | instid1(VALU_DEP_1)
	v_cmp_ne_u32_e64 s2, 0x7f800000, v5
                                        ; implicit-def: $vgpr5
	s_and_saveexec_b32 s3, s2
	s_delay_alu instid0(SALU_CYCLE_1)
	s_xor_b32 s2, exec_lo, s3
; %bb.71:
	v_bfe_u32 v5, v12, 16, 1
	s_delay_alu instid0(VALU_DEP_1)
	v_add3_u32 v5, v12, v5, 0x7fff
                                        ; implicit-def: $vgpr12
; %bb.72:
	s_and_not1_saveexec_b32 s3, s2
; %bb.73:
	v_and_b32_e32 v5, 0xffff, v12
	v_or_b32_e32 v15, 0x10000, v12
	s_delay_alu instid0(VALU_DEP_2) | instskip(NEXT) | instid1(VALU_DEP_1)
	v_cmp_eq_u32_e64 s2, 0, v5
	v_cndmask_b32_e64 v5, v15, v12, s2
; %bb.74:
	s_or_b32 exec_lo, exec_lo, s3
	v_and_b32_e32 v12, 0xffff0000, v11
	v_lshlrev_b32_e32 v11, 16, v6
	s_delay_alu instid0(VALU_DEP_1) | instskip(NEXT) | instid1(VALU_DEP_1)
	v_fmac_f32_e32 v12, v11, v23
	v_and_b32_e32 v11, 0x7f800000, v12
	s_delay_alu instid0(VALU_DEP_1) | instskip(NEXT) | instid1(VALU_DEP_1)
	v_cmp_ne_u32_e64 s2, 0x7f800000, v11
                                        ; implicit-def: $vgpr11
	s_and_saveexec_b32 s3, s2
	s_delay_alu instid0(SALU_CYCLE_1)
	s_xor_b32 s2, exec_lo, s3
; %bb.75:
	v_bfe_u32 v11, v12, 16, 1
	s_delay_alu instid0(VALU_DEP_1)
	v_add3_u32 v11, v12, v11, 0x7fff
                                        ; implicit-def: $vgpr12
; %bb.76:
	s_and_not1_saveexec_b32 s3, s2
; %bb.77:
	v_and_b32_e32 v11, 0xffff, v12
	v_or_b32_e32 v15, 0x10000, v12
	s_delay_alu instid0(VALU_DEP_2) | instskip(NEXT) | instid1(VALU_DEP_1)
	v_cmp_eq_u32_e64 s2, 0, v11
	v_cndmask_b32_e64 v11, v15, v12, s2
; %bb.78:
	s_or_b32 exec_lo, exec_lo, s3
	v_and_b32_e32 v12, 0xffff0000, v5
	v_and_b32_e32 v5, 0xffff0000, v6
	s_delay_alu instid0(VALU_DEP_1) | instskip(NEXT) | instid1(VALU_DEP_1)
	v_fmac_f32_e32 v12, v5, v22
	v_and_b32_e32 v5, 0x7f800000, v12
	s_delay_alu instid0(VALU_DEP_1) | instskip(NEXT) | instid1(VALU_DEP_1)
	v_cmp_ne_u32_e64 s2, 0x7f800000, v5
                                        ; implicit-def: $vgpr5
	s_and_saveexec_b32 s3, s2
	s_delay_alu instid0(SALU_CYCLE_1)
	s_xor_b32 s2, exec_lo, s3
; %bb.79:
	v_bfe_u32 v5, v12, 16, 1
	s_delay_alu instid0(VALU_DEP_1)
	v_add3_u32 v5, v12, v5, 0x7fff
                                        ; implicit-def: $vgpr12
; %bb.80:
	s_and_not1_saveexec_b32 s3, s2
; %bb.81:
	v_and_b32_e32 v5, 0xffff, v12
	v_or_b32_e32 v6, 0x10000, v12
	s_delay_alu instid0(VALU_DEP_2) | instskip(NEXT) | instid1(VALU_DEP_1)
	v_cmp_eq_u32_e64 s2, 0, v5
	v_cndmask_b32_e64 v5, v6, v12, s2
; %bb.82:
	s_or_b32 exec_lo, exec_lo, s3
	v_and_b32_e32 v11, 0xffff0000, v11
	v_lshlrev_b32_e32 v6, 16, v7
	s_delay_alu instid0(VALU_DEP_1) | instskip(NEXT) | instid1(VALU_DEP_1)
	v_fmac_f32_e32 v11, v6, v21
	v_and_b32_e32 v6, 0x7f800000, v11
	s_delay_alu instid0(VALU_DEP_1) | instskip(NEXT) | instid1(VALU_DEP_1)
	v_cmp_ne_u32_e64 s2, 0x7f800000, v6
                                        ; implicit-def: $vgpr6
	s_and_saveexec_b32 s3, s2
	s_delay_alu instid0(SALU_CYCLE_1)
	s_xor_b32 s2, exec_lo, s3
; %bb.83:
	v_bfe_u32 v6, v11, 16, 1
	s_delay_alu instid0(VALU_DEP_1)
	v_add3_u32 v6, v11, v6, 0x7fff
                                        ; implicit-def: $vgpr11
; %bb.84:
	s_and_not1_saveexec_b32 s3, s2
; %bb.85:
	v_and_b32_e32 v6, 0xffff, v11
	v_or_b32_e32 v12, 0x10000, v11
	s_delay_alu instid0(VALU_DEP_2) | instskip(NEXT) | instid1(VALU_DEP_1)
	v_cmp_eq_u32_e64 s2, 0, v6
	v_cndmask_b32_e64 v6, v12, v11, s2
; %bb.86:
	s_or_b32 exec_lo, exec_lo, s3
	v_and_b32_e32 v5, 0xffff0000, v5
	v_and_b32_e32 v7, 0xffff0000, v7
	s_delay_alu instid0(VALU_DEP_1) | instskip(NEXT) | instid1(VALU_DEP_1)
	v_fmac_f32_e32 v5, v7, v20
	v_and_b32_e32 v7, 0x7f800000, v5
	s_delay_alu instid0(VALU_DEP_1) | instskip(NEXT) | instid1(VALU_DEP_1)
	v_cmp_ne_u32_e64 s2, 0x7f800000, v7
                                        ; implicit-def: $vgpr7
	s_and_saveexec_b32 s3, s2
	s_delay_alu instid0(SALU_CYCLE_1)
	s_xor_b32 s2, exec_lo, s3
; %bb.87:
	v_bfe_u32 v7, v5, 16, 1
	s_delay_alu instid0(VALU_DEP_1)
	v_add3_u32 v7, v5, v7, 0x7fff
                                        ; implicit-def: $vgpr5
; %bb.88:
	s_and_not1_saveexec_b32 s3, s2
; %bb.89:
	v_and_b32_e32 v7, 0xffff, v5
	v_or_b32_e32 v11, 0x10000, v5
	s_delay_alu instid0(VALU_DEP_2) | instskip(NEXT) | instid1(VALU_DEP_1)
	v_cmp_eq_u32_e64 s2, 0, v7
	v_cndmask_b32_e64 v7, v11, v5, s2
; %bb.90:
	s_or_b32 exec_lo, exec_lo, s3
	v_and_b32_e32 v6, 0xffff0000, v6
	v_lshlrev_b32_e32 v5, 16, v8
	s_delay_alu instid0(VALU_DEP_1) | instskip(NEXT) | instid1(VALU_DEP_1)
	v_fmac_f32_e32 v6, v5, v19
	v_and_b32_e32 v5, 0x7f800000, v6
	s_delay_alu instid0(VALU_DEP_1) | instskip(NEXT) | instid1(VALU_DEP_1)
	v_cmp_ne_u32_e64 s2, 0x7f800000, v5
                                        ; implicit-def: $vgpr5
	s_and_saveexec_b32 s3, s2
	s_delay_alu instid0(SALU_CYCLE_1)
	s_xor_b32 s2, exec_lo, s3
; %bb.91:
	v_bfe_u32 v5, v6, 16, 1
	s_delay_alu instid0(VALU_DEP_1)
	v_add3_u32 v5, v6, v5, 0x7fff
                                        ; implicit-def: $vgpr6
; %bb.92:
	s_and_not1_saveexec_b32 s3, s2
; %bb.93:
	v_and_b32_e32 v5, 0xffff, v6
	v_or_b32_e32 v11, 0x10000, v6
	s_delay_alu instid0(VALU_DEP_2) | instskip(NEXT) | instid1(VALU_DEP_1)
	v_cmp_eq_u32_e64 s2, 0, v5
	v_cndmask_b32_e64 v5, v11, v6, s2
; %bb.94:
	s_or_b32 exec_lo, exec_lo, s3
	v_and_b32_e32 v7, 0xffff0000, v7
	v_and_b32_e32 v6, 0xffff0000, v8
	s_delay_alu instid0(VALU_DEP_1) | instskip(NEXT) | instid1(VALU_DEP_1)
	v_fmac_f32_e32 v7, v6, v18
	v_and_b32_e32 v6, 0x7f800000, v7
	s_delay_alu instid0(VALU_DEP_1) | instskip(NEXT) | instid1(VALU_DEP_1)
	v_cmp_ne_u32_e64 s2, 0x7f800000, v6
                                        ; implicit-def: $vgpr6
	s_and_saveexec_b32 s3, s2
	s_delay_alu instid0(SALU_CYCLE_1)
	s_xor_b32 s2, exec_lo, s3
; %bb.95:
	v_bfe_u32 v6, v7, 16, 1
	s_delay_alu instid0(VALU_DEP_1)
	v_add3_u32 v6, v7, v6, 0x7fff
                                        ; implicit-def: $vgpr7
; %bb.96:
	s_and_not1_saveexec_b32 s3, s2
; %bb.97:
	v_and_b32_e32 v6, 0xffff, v7
	v_or_b32_e32 v8, 0x10000, v7
	s_delay_alu instid0(VALU_DEP_2) | instskip(NEXT) | instid1(VALU_DEP_1)
	v_cmp_eq_u32_e64 s2, 0, v6
	v_cndmask_b32_e64 v6, v8, v7, s2
; %bb.98:
	s_or_b32 exec_lo, exec_lo, s3
	s_waitcnt vmcnt(0)
	v_lshlrev_b32_e32 v7, 16, v1
	s_delay_alu instid0(VALU_DEP_1) | instskip(NEXT) | instid1(VALU_DEP_1)
	v_mul_f32_e32 v8, v25, v7
	v_and_b32_e32 v7, 0x7f800000, v8
	s_delay_alu instid0(VALU_DEP_1) | instskip(NEXT) | instid1(VALU_DEP_1)
	v_cmp_ne_u32_e64 s2, 0x7f800000, v7
                                        ; implicit-def: $vgpr7
	s_and_saveexec_b32 s3, s2
	s_delay_alu instid0(SALU_CYCLE_1)
	s_xor_b32 s2, exec_lo, s3
; %bb.99:
	v_bfe_u32 v7, v8, 16, 1
	s_delay_alu instid0(VALU_DEP_1)
	v_add3_u32 v7, v8, v7, 0x7fff
                                        ; implicit-def: $vgpr8
; %bb.100:
	s_and_not1_saveexec_b32 s3, s2
; %bb.101:
	v_and_b32_e32 v7, 0xffff, v8
	v_or_b32_e32 v11, 0x10000, v8
	s_delay_alu instid0(VALU_DEP_2) | instskip(NEXT) | instid1(VALU_DEP_1)
	v_cmp_eq_u32_e64 s2, 0, v7
	v_cndmask_b32_e64 v7, v11, v8, s2
; %bb.102:
	s_or_b32 exec_lo, exec_lo, s3
	v_and_b32_e32 v1, 0xffff0000, v1
	s_delay_alu instid0(VALU_DEP_1) | instskip(NEXT) | instid1(VALU_DEP_1)
	v_mul_f32_e32 v8, v24, v1
	v_and_b32_e32 v1, 0x7f800000, v8
	s_delay_alu instid0(VALU_DEP_1) | instskip(NEXT) | instid1(VALU_DEP_1)
	v_cmp_ne_u32_e64 s2, 0x7f800000, v1
                                        ; implicit-def: $vgpr1
	s_and_saveexec_b32 s3, s2
	s_delay_alu instid0(SALU_CYCLE_1)
	s_xor_b32 s2, exec_lo, s3
; %bb.103:
	v_bfe_u32 v1, v8, 16, 1
	s_delay_alu instid0(VALU_DEP_1)
	v_add3_u32 v1, v8, v1, 0x7fff
                                        ; implicit-def: $vgpr8
; %bb.104:
	s_and_not1_saveexec_b32 s3, s2
; %bb.105:
	v_and_b32_e32 v1, 0xffff, v8
	v_or_b32_e32 v11, 0x10000, v8
	s_delay_alu instid0(VALU_DEP_2) | instskip(NEXT) | instid1(VALU_DEP_1)
	v_cmp_eq_u32_e64 s2, 0, v1
	v_cndmask_b32_e64 v1, v11, v8, s2
; %bb.106:
	s_or_b32 exec_lo, exec_lo, s3
	v_and_b32_e32 v8, 0xffff0000, v7
	v_lshlrev_b32_e32 v7, 16, v2
	s_delay_alu instid0(VALU_DEP_1) | instskip(NEXT) | instid1(VALU_DEP_1)
	v_fmac_f32_e32 v8, v7, v23
	v_and_b32_e32 v7, 0x7f800000, v8
	s_delay_alu instid0(VALU_DEP_1) | instskip(NEXT) | instid1(VALU_DEP_1)
	v_cmp_ne_u32_e64 s2, 0x7f800000, v7
                                        ; implicit-def: $vgpr7
	s_and_saveexec_b32 s3, s2
	s_delay_alu instid0(SALU_CYCLE_1)
	s_xor_b32 s2, exec_lo, s3
; %bb.107:
	v_bfe_u32 v7, v8, 16, 1
	s_delay_alu instid0(VALU_DEP_1)
	v_add3_u32 v7, v8, v7, 0x7fff
                                        ; implicit-def: $vgpr8
; %bb.108:
	s_and_not1_saveexec_b32 s3, s2
; %bb.109:
	v_and_b32_e32 v7, 0xffff, v8
	v_or_b32_e32 v11, 0x10000, v8
	s_delay_alu instid0(VALU_DEP_2) | instskip(NEXT) | instid1(VALU_DEP_1)
	v_cmp_eq_u32_e64 s2, 0, v7
	v_cndmask_b32_e64 v7, v11, v8, s2
; %bb.110:
	s_or_b32 exec_lo, exec_lo, s3
	v_and_b32_e32 v8, 0xffff0000, v1
	v_and_b32_e32 v1, 0xffff0000, v2
	s_delay_alu instid0(VALU_DEP_1) | instskip(NEXT) | instid1(VALU_DEP_1)
	v_fmac_f32_e32 v8, v1, v22
	v_and_b32_e32 v1, 0x7f800000, v8
	s_delay_alu instid0(VALU_DEP_1) | instskip(NEXT) | instid1(VALU_DEP_1)
	v_cmp_ne_u32_e64 s2, 0x7f800000, v1
                                        ; implicit-def: $vgpr1
	s_and_saveexec_b32 s3, s2
	s_delay_alu instid0(SALU_CYCLE_1)
	s_xor_b32 s2, exec_lo, s3
; %bb.111:
	v_bfe_u32 v1, v8, 16, 1
	s_delay_alu instid0(VALU_DEP_1)
	v_add3_u32 v1, v8, v1, 0x7fff
                                        ; implicit-def: $vgpr8
; %bb.112:
	s_and_not1_saveexec_b32 s3, s2
; %bb.113:
	v_and_b32_e32 v1, 0xffff, v8
	v_or_b32_e32 v2, 0x10000, v8
	s_delay_alu instid0(VALU_DEP_2) | instskip(NEXT) | instid1(VALU_DEP_1)
	v_cmp_eq_u32_e64 s2, 0, v1
	v_cndmask_b32_e64 v1, v2, v8, s2
; %bb.114:
	s_or_b32 exec_lo, exec_lo, s3
	v_and_b32_e32 v7, 0xffff0000, v7
	v_lshlrev_b32_e32 v2, 16, v3
	s_delay_alu instid0(VALU_DEP_1) | instskip(NEXT) | instid1(VALU_DEP_1)
	v_fmac_f32_e32 v7, v2, v21
	v_and_b32_e32 v2, 0x7f800000, v7
	s_delay_alu instid0(VALU_DEP_1) | instskip(NEXT) | instid1(VALU_DEP_1)
	v_cmp_ne_u32_e64 s2, 0x7f800000, v2
                                        ; implicit-def: $vgpr2
	s_and_saveexec_b32 s3, s2
	s_delay_alu instid0(SALU_CYCLE_1)
	s_xor_b32 s2, exec_lo, s3
; %bb.115:
	v_bfe_u32 v2, v7, 16, 1
	s_delay_alu instid0(VALU_DEP_1)
	v_add3_u32 v2, v7, v2, 0x7fff
                                        ; implicit-def: $vgpr7
; %bb.116:
	s_and_not1_saveexec_b32 s3, s2
; %bb.117:
	v_and_b32_e32 v2, 0xffff, v7
	v_or_b32_e32 v8, 0x10000, v7
	s_delay_alu instid0(VALU_DEP_2) | instskip(NEXT) | instid1(VALU_DEP_1)
	v_cmp_eq_u32_e64 s2, 0, v2
	v_cndmask_b32_e64 v2, v8, v7, s2
; %bb.118:
	s_or_b32 exec_lo, exec_lo, s3
	v_and_b32_e32 v1, 0xffff0000, v1
	v_and_b32_e32 v3, 0xffff0000, v3
	s_delay_alu instid0(VALU_DEP_1) | instskip(NEXT) | instid1(VALU_DEP_1)
	v_fmac_f32_e32 v1, v3, v20
	v_and_b32_e32 v3, 0x7f800000, v1
	s_delay_alu instid0(VALU_DEP_1) | instskip(NEXT) | instid1(VALU_DEP_1)
	v_cmp_ne_u32_e64 s2, 0x7f800000, v3
                                        ; implicit-def: $vgpr3
	s_and_saveexec_b32 s3, s2
	s_delay_alu instid0(SALU_CYCLE_1)
	s_xor_b32 s2, exec_lo, s3
; %bb.119:
	v_bfe_u32 v3, v1, 16, 1
	s_delay_alu instid0(VALU_DEP_1)
	v_add3_u32 v3, v1, v3, 0x7fff
                                        ; implicit-def: $vgpr1
; %bb.120:
	s_and_not1_saveexec_b32 s3, s2
; %bb.121:
	v_and_b32_e32 v3, 0xffff, v1
	v_or_b32_e32 v7, 0x10000, v1
	s_delay_alu instid0(VALU_DEP_2) | instskip(NEXT) | instid1(VALU_DEP_1)
	v_cmp_eq_u32_e64 s2, 0, v3
	v_cndmask_b32_e64 v3, v7, v1, s2
; %bb.122:
	s_or_b32 exec_lo, exec_lo, s3
	v_and_b32_e32 v2, 0xffff0000, v2
	v_lshlrev_b32_e32 v1, 16, v4
	s_delay_alu instid0(VALU_DEP_1) | instskip(NEXT) | instid1(VALU_DEP_1)
	v_fmac_f32_e32 v2, v1, v19
	v_and_b32_e32 v1, 0x7f800000, v2
	s_delay_alu instid0(VALU_DEP_1) | instskip(NEXT) | instid1(VALU_DEP_1)
	v_cmp_ne_u32_e64 s2, 0x7f800000, v1
                                        ; implicit-def: $vgpr1
	s_and_saveexec_b32 s3, s2
	s_delay_alu instid0(SALU_CYCLE_1)
	s_xor_b32 s2, exec_lo, s3
; %bb.123:
	v_bfe_u32 v1, v2, 16, 1
	s_delay_alu instid0(VALU_DEP_1)
	v_add3_u32 v1, v2, v1, 0x7fff
                                        ; implicit-def: $vgpr2
; %bb.124:
	s_and_not1_saveexec_b32 s3, s2
; %bb.125:
	v_and_b32_e32 v1, 0xffff, v2
	v_or_b32_e32 v7, 0x10000, v2
	s_delay_alu instid0(VALU_DEP_2) | instskip(NEXT) | instid1(VALU_DEP_1)
	v_cmp_eq_u32_e64 s2, 0, v1
	v_cndmask_b32_e64 v1, v7, v2, s2
; %bb.126:
	s_or_b32 exec_lo, exec_lo, s3
	v_and_b32_e32 v3, 0xffff0000, v3
	v_and_b32_e32 v2, 0xffff0000, v4
	s_delay_alu instid0(VALU_DEP_1) | instskip(NEXT) | instid1(VALU_DEP_1)
	v_fmac_f32_e32 v3, v2, v18
	v_and_b32_e32 v2, 0x7f800000, v3
	s_delay_alu instid0(VALU_DEP_1) | instskip(NEXT) | instid1(VALU_DEP_1)
	v_cmp_ne_u32_e64 s2, 0x7f800000, v2
                                        ; implicit-def: $vgpr2
	s_and_saveexec_b32 s3, s2
	s_delay_alu instid0(SALU_CYCLE_1)
	s_xor_b32 s2, exec_lo, s3
; %bb.127:
	v_bfe_u32 v2, v3, 16, 1
	s_delay_alu instid0(VALU_DEP_1)
	v_add3_u32 v2, v3, v2, 0x7fff
                                        ; implicit-def: $vgpr3
; %bb.128:
	s_and_not1_saveexec_b32 s3, s2
; %bb.129:
	v_and_b32_e32 v2, 0xffff, v3
	v_or_b32_e32 v4, 0x10000, v3
	s_delay_alu instid0(VALU_DEP_2) | instskip(NEXT) | instid1(VALU_DEP_1)
	v_cmp_eq_u32_e64 s2, 0, v2
	v_cndmask_b32_e64 v2, v4, v3, s2
; %bb.130:
	s_or_b32 exec_lo, exec_lo, s3
	v_and_b32_e32 v1, 0xffff0000, v1
	s_delay_alu instid0(VALU_DEP_2) | instskip(SKIP_1) | instid1(VALU_DEP_2)
	v_and_b32_e32 v2, 0xffff0000, v2
	v_mbcnt_lo_u32_b32 v7, -1, 0
	v_dual_add_f32 v1, v1, v2 :: v_dual_and_b32 v8, 0xffff0000, v9
	v_and_b32_e32 v10, 0xffff0000, v10
	s_delay_alu instid0(VALU_DEP_3) | instskip(NEXT) | instid1(VALU_DEP_3)
	v_xor_b32_e32 v9, 16, v7
	v_cndmask_b32_e32 v1, 0, v1, vcc_lo
	s_delay_alu instid0(VALU_DEP_3) | instskip(SKIP_4) | instid1(VALU_DEP_4)
	v_dual_add_f32 v8, v8, v10 :: v_dual_and_b32 v3, 0xffff0000, v5
	v_and_b32_e32 v6, 0xffff0000, v6
	v_and_b32_e32 v4, 0xffff0000, v13
	v_and_b32_e32 v5, 0xffff0000, v14
	v_cmp_gt_i32_e64 s2, 32, v9
	v_add_f32_e32 v3, v3, v6
	s_delay_alu instid0(VALU_DEP_1) | instskip(SKIP_4) | instid1(VALU_DEP_2)
	v_cndmask_b32_e32 v6, 0, v3, vcc_lo
	v_xor_b32_e32 v3, 8, v7
	v_add_f32_e32 v4, v4, v5
	v_cndmask_b32_e64 v5, v7, v9, s2
	s_mov_b32 s2, exec_lo
	v_cndmask_b32_e32 v4, 0, v4, vcc_lo
	s_delay_alu instid0(VALU_DEP_2)
	v_dual_cndmask_b32 v5, 0, v8 :: v_dual_lshlrev_b32 v2, 2, v5
	v_cmp_gt_i32_e32 vcc_lo, 32, v3
	ds_bpermute_b32 v11, v2, v1
	v_cndmask_b32_e32 v3, v7, v3, vcc_lo
	s_waitcnt lgkmcnt(0)
	v_add_f32_e32 v1, v1, v11
	ds_bpermute_b32 v8, v2, v4
	ds_bpermute_b32 v9, v2, v5
	;; [unrolled: 1-line block ×3, first 2 shown]
	s_waitcnt lgkmcnt(2)
	v_dual_add_f32 v8, v4, v8 :: v_dual_lshlrev_b32 v3, 2, v3
	ds_bpermute_b32 v12, v3, v1
	s_waitcnt lgkmcnt(1)
	v_dual_add_f32 v5, v5, v9 :: v_dual_add_f32 v6, v6, v10
	v_xor_b32_e32 v4, 4, v7
	ds_bpermute_b32 v9, v3, v8
	ds_bpermute_b32 v10, v3, v5
	v_cmp_gt_i32_e32 vcc_lo, 32, v4
	v_cndmask_b32_e32 v4, v7, v4, vcc_lo
	s_waitcnt lgkmcnt(2)
	v_add_f32_e32 v1, v1, v12
	ds_bpermute_b32 v11, v3, v6
	s_waitcnt lgkmcnt(0)
	v_add_f32_e32 v6, v6, v11
	v_dual_add_f32 v8, v8, v9 :: v_dual_add_f32 v9, v5, v10
	v_xor_b32_e32 v5, 2, v7
	s_delay_alu instid0(VALU_DEP_1)
	v_cmp_gt_i32_e32 vcc_lo, 32, v5
	v_dual_cndmask_b32 v5, v7, v5 :: v_dual_lshlrev_b32 v4, 2, v4
	ds_bpermute_b32 v10, v4, v8
	ds_bpermute_b32 v11, v4, v9
	;; [unrolled: 1-line block ×3, first 2 shown]
	v_lshlrev_b32_e32 v5, 2, v5
	ds_bpermute_b32 v12, v4, v6
	s_waitcnt lgkmcnt(1)
	v_dual_add_f32 v8, v8, v10 :: v_dual_add_f32 v1, v1, v13
	v_add_f32_e32 v10, v9, v11
	ds_bpermute_b32 v9, v5, v8
	s_waitcnt lgkmcnt(1)
	v_add_f32_e32 v11, v6, v12
	ds_bpermute_b32 v14, v5, v1
	v_xor_b32_e32 v6, 1, v7
	ds_bpermute_b32 v13, v5, v11
	v_cmp_gt_i32_e32 vcc_lo, 32, v6
	v_dual_cndmask_b32 v6, v7, v6 :: v_dual_and_b32 v7, 31, v0
	s_waitcnt lgkmcnt(2)
	s_delay_alu instid0(VALU_DEP_1)
	v_dual_add_f32 v9, v8, v9 :: v_dual_lshlrev_b32 v6, 2, v6
	ds_bpermute_b32 v12, v5, v10
	s_waitcnt lgkmcnt(2)
	v_add_f32_e32 v8, v1, v14
	v_lshrrev_b32_e32 v1, 5, v0
	s_waitcnt lgkmcnt(1)
	v_add_f32_e32 v11, v11, v13
	ds_bpermute_b32 v13, v6, v9
	ds_bpermute_b32 v15, v6, v11
	s_waitcnt lgkmcnt(2)
	v_add_f32_e32 v10, v10, v12
	ds_bpermute_b32 v12, v6, v8
	ds_bpermute_b32 v14, v6, v10
	v_cmpx_gt_u32_e32 4, v7
	s_cbranch_execz .LBB5_132
; %bb.131:
	s_waitcnt lgkmcnt(0)
	v_dual_add_f32 v9, v9, v13 :: v_dual_add_f32 v10, v10, v14
	v_cmp_eq_u32_e32 vcc_lo, 1, v7
	v_dual_add_f32 v11, v11, v15 :: v_dual_add_f32 v8, v8, v12
	s_delay_alu instid0(VALU_DEP_3) | instskip(SKIP_1) | instid1(VALU_DEP_2)
	v_dual_cndmask_b32 v9, v9, v10 :: v_dual_lshlrev_b32 v10, 2, v1
	v_cmp_eq_u32_e32 vcc_lo, 2, v7
	v_lshl_or_b32 v10, v7, 7, v10
	s_delay_alu instid0(VALU_DEP_3) | instskip(SKIP_1) | instid1(VALU_DEP_2)
	v_cndmask_b32_e32 v9, v9, v11, vcc_lo
	v_cmp_eq_u32_e32 vcc_lo, 3, v7
	v_cndmask_b32_e32 v8, v9, v8, vcc_lo
	ds_store_b32 v10, v8
.LBB5_132:
	s_or_b32 exec_lo, exec_lo, s2
	s_waitcnt lgkmcnt(0)
	s_barrier
	buffer_gl0_inv
	s_mov_b32 s2, exec_lo
	v_cmpx_gt_u32_e32 64, v0
	s_cbranch_execz .LBB5_145
; %bb.133:
	s_load_b32 s0, s[0:1], 0x2c
	v_and_b32_e32 v8, 15, v0
	v_mov_b32_e32 v0, 0
	s_waitcnt lgkmcnt(0)
	s_and_b32 s0, 0xffff, s0
	s_delay_alu instid0(SALU_CYCLE_1) | instskip(NEXT) | instid1(SALU_CYCLE_1)
	s_lshr_b32 s0, s0, 5
	v_cmp_gt_u32_e32 vcc_lo, s0, v8
	s_and_saveexec_b32 s0, vcc_lo
	s_cbranch_execz .LBB5_135
; %bb.134:
	v_lshlrev_b32_e32 v0, 2, v8
	s_delay_alu instid0(VALU_DEP_1)
	v_and_or_b32 v0, 0x1f80, v17, v0
	ds_load_b32 v0, v0
.LBB5_135:
	s_or_b32 exec_lo, exec_lo, s0
	s_waitcnt lgkmcnt(0)
	ds_bpermute_b32 v3, v3, v0
	v_cmp_eq_u32_e32 vcc_lo, 0, v7
	s_waitcnt lgkmcnt(0)
	v_add_f32_e32 v0, v0, v3
	ds_bpermute_b32 v3, v4, v0
	s_waitcnt lgkmcnt(0)
	v_add_f32_e32 v0, v0, v3
	ds_bpermute_b32 v3, v5, v0
	s_waitcnt lgkmcnt(0)
	v_add_f32_e32 v0, v0, v3
	ds_bpermute_b32 v3, v6, v0
	s_waitcnt lgkmcnt(0)
	v_add_f32_e32 v3, v0, v3
	ds_bpermute_b32 v2, v2, v3
	s_and_b32 exec_lo, exec_lo, vcc_lo
	s_cbranch_execz .LBB5_145
; %bb.136:
	v_and_b32_e32 v0, 0x7f800000, v3
	s_delay_alu instid0(VALU_DEP_1) | instskip(SKIP_1) | instid1(SALU_CYCLE_1)
	v_cmp_ne_u32_e32 vcc_lo, 0x7f800000, v0
                                        ; implicit-def: $vgpr0
	s_and_saveexec_b32 s0, vcc_lo
	s_xor_b32 s0, exec_lo, s0
; %bb.137:
	v_bfe_u32 v0, v3, 16, 1
	s_delay_alu instid0(VALU_DEP_1)
	v_add3_u32 v0, v3, v0, 0x7fff
                                        ; implicit-def: $vgpr3
; %bb.138:
	s_and_not1_saveexec_b32 s0, s0
; %bb.139:
	v_and_b32_e32 v0, 0xffff, v3
	v_or_b32_e32 v4, 0x10000, v3
	s_delay_alu instid0(VALU_DEP_2) | instskip(NEXT) | instid1(VALU_DEP_2)
	v_cmp_eq_u32_e32 vcc_lo, 0, v0
	v_cndmask_b32_e32 v0, v4, v3, vcc_lo
; %bb.140:
	s_or_b32 exec_lo, exec_lo, s0
	s_waitcnt lgkmcnt(0)
	v_and_b32_e32 v3, 0x7f800000, v2
	s_delay_alu instid0(VALU_DEP_1) | instskip(SKIP_1) | instid1(SALU_CYCLE_1)
	v_cmp_ne_u32_e32 vcc_lo, 0x7f800000, v3
                                        ; implicit-def: $vgpr3
	s_and_saveexec_b32 s0, vcc_lo
	s_xor_b32 s0, exec_lo, s0
; %bb.141:
	v_bfe_u32 v3, v2, 16, 1
	s_delay_alu instid0(VALU_DEP_1)
	v_add3_u32 v3, v2, v3, 0x7fff
                                        ; implicit-def: $vgpr2
; %bb.142:
	s_and_not1_saveexec_b32 s0, s0
; %bb.143:
	v_and_b32_e32 v3, 0xffff, v2
	v_or_b32_e32 v4, 0x10000, v2
	s_delay_alu instid0(VALU_DEP_2) | instskip(NEXT) | instid1(VALU_DEP_2)
	v_cmp_eq_u32_e32 vcc_lo, 0, v3
	v_cndmask_b32_e32 v3, v4, v2, vcc_lo
; %bb.144:
	s_or_b32 exec_lo, exec_lo, s0
	s_lshl_b32 s0, s15, 1
	v_mov_b32_e32 v2, 0
	v_and_or_b32 v1, 0x7ffffffe, s0, v1
	v_perm_b32 v0, v3, v0, 0x7060302
	s_delay_alu instid0(VALU_DEP_2) | instskip(NEXT) | instid1(VALU_DEP_1)
	v_lshlrev_b64 v[1:2], 2, v[1:2]
	v_add_co_u32 v1, vcc_lo, s8, v1
	s_delay_alu instid0(VALU_DEP_2)
	v_add_co_ci_u32_e32 v2, vcc_lo, s9, v2, vcc_lo
	global_store_b32 v[1:2], v0, off
.LBB5_145:
	s_nop 0
	s_sendmsg sendmsg(MSG_DEALLOC_VGPRS)
	s_endpgm
	.section	.rodata,"a",@progbits
	.p2align	6, 0x0
	.amdhsa_kernel _Z14LLGemm1_kernelIN3c108BFloat16ELi4EEvPKT_S4_PS2_i
		.amdhsa_group_segment_fixed_size 512
		.amdhsa_private_segment_fixed_size 0
		.amdhsa_kernarg_size 288
		.amdhsa_user_sgpr_count 15
		.amdhsa_user_sgpr_dispatch_ptr 0
		.amdhsa_user_sgpr_queue_ptr 0
		.amdhsa_user_sgpr_kernarg_segment_ptr 1
		.amdhsa_user_sgpr_dispatch_id 0
		.amdhsa_user_sgpr_private_segment_size 0
		.amdhsa_wavefront_size32 1
		.amdhsa_uses_dynamic_stack 0
		.amdhsa_enable_private_segment 0
		.amdhsa_system_sgpr_workgroup_id_x 1
		.amdhsa_system_sgpr_workgroup_id_y 0
		.amdhsa_system_sgpr_workgroup_id_z 0
		.amdhsa_system_sgpr_workgroup_info 0
		.amdhsa_system_vgpr_workitem_id 0
		.amdhsa_next_free_vgpr 29
		.amdhsa_next_free_sgpr 16
		.amdhsa_reserve_vcc 1
		.amdhsa_float_round_mode_32 0
		.amdhsa_float_round_mode_16_64 0
		.amdhsa_float_denorm_mode_32 3
		.amdhsa_float_denorm_mode_16_64 3
		.amdhsa_dx10_clamp 1
		.amdhsa_ieee_mode 1
		.amdhsa_fp16_overflow 0
		.amdhsa_workgroup_processor_mode 1
		.amdhsa_memory_ordered 1
		.amdhsa_forward_progress 0
		.amdhsa_shared_vgpr_count 0
		.amdhsa_exception_fp_ieee_invalid_op 0
		.amdhsa_exception_fp_denorm_src 0
		.amdhsa_exception_fp_ieee_div_zero 0
		.amdhsa_exception_fp_ieee_overflow 0
		.amdhsa_exception_fp_ieee_underflow 0
		.amdhsa_exception_fp_ieee_inexact 0
		.amdhsa_exception_int_div_zero 0
	.end_amdhsa_kernel
	.section	.text._Z14LLGemm1_kernelIN3c108BFloat16ELi4EEvPKT_S4_PS2_i,"axG",@progbits,_Z14LLGemm1_kernelIN3c108BFloat16ELi4EEvPKT_S4_PS2_i,comdat
.Lfunc_end5:
	.size	_Z14LLGemm1_kernelIN3c108BFloat16ELi4EEvPKT_S4_PS2_i, .Lfunc_end5-_Z14LLGemm1_kernelIN3c108BFloat16ELi4EEvPKT_S4_PS2_i
                                        ; -- End function
	.section	.AMDGPU.csdata,"",@progbits
; Kernel info:
; codeLenInByte = 5356
; NumSgprs: 18
; NumVgprs: 29
; ScratchSize: 0
; MemoryBound: 0
; FloatMode: 240
; IeeeMode: 1
; LDSByteSize: 512 bytes/workgroup (compile time only)
; SGPRBlocks: 2
; VGPRBlocks: 3
; NumSGPRsForWavesPerEU: 18
; NumVGPRsForWavesPerEU: 29
; Occupancy: 16
; WaveLimiterHint : 0
; COMPUTE_PGM_RSRC2:SCRATCH_EN: 0
; COMPUTE_PGM_RSRC2:USER_SGPR: 15
; COMPUTE_PGM_RSRC2:TRAP_HANDLER: 0
; COMPUTE_PGM_RSRC2:TGID_X_EN: 1
; COMPUTE_PGM_RSRC2:TGID_Y_EN: 0
; COMPUTE_PGM_RSRC2:TGID_Z_EN: 0
; COMPUTE_PGM_RSRC2:TIDIG_COMP_CNT: 0
	.section	.text._Z14LLGemm1_kernelIN3c108BFloat16ELi8EEvPKT_S4_PS2_i,"axG",@progbits,_Z14LLGemm1_kernelIN3c108BFloat16ELi8EEvPKT_S4_PS2_i,comdat
	.protected	_Z14LLGemm1_kernelIN3c108BFloat16ELi8EEvPKT_S4_PS2_i ; -- Begin function _Z14LLGemm1_kernelIN3c108BFloat16ELi8EEvPKT_S4_PS2_i
	.globl	_Z14LLGemm1_kernelIN3c108BFloat16ELi8EEvPKT_S4_PS2_i
	.p2align	8
	.type	_Z14LLGemm1_kernelIN3c108BFloat16ELi8EEvPKT_S4_PS2_i,@function
_Z14LLGemm1_kernelIN3c108BFloat16ELi8EEvPKT_S4_PS2_i: ; @_Z14LLGemm1_kernelIN3c108BFloat16ELi8EEvPKT_S4_PS2_i
; %bb.0:
	s_clause 0x2
	s_load_b32 s2, s[0:1], 0x18
	s_load_b128 s[4:7], s[0:1], 0x0
	s_load_b64 s[8:9], s[0:1], 0x10
	v_dual_mov_b32 v38, 0 :: v_dual_lshlrev_b32 v33, 3, v0
	v_dual_mov_b32 v35, 0 :: v_dual_mov_b32 v34, 0
	v_dual_mov_b32 v37, 0 :: v_dual_mov_b32 v36, 0
	v_dual_mov_b32 v39, 0 :: v_dual_mov_b32 v40, 0
	v_mov_b32_e32 v41, 0
	s_mov_b32 s11, 0
                                        ; implicit-def: $vgpr1
                                        ; implicit-def: $vgpr5
                                        ; implicit-def: $vgpr9
                                        ; implicit-def: $vgpr13
                                        ; implicit-def: $vgpr17
                                        ; implicit-def: $vgpr21
                                        ; implicit-def: $vgpr25
                                        ; implicit-def: $vgpr29
	s_waitcnt lgkmcnt(0)
	v_cmp_gt_i32_e32 vcc_lo, s2, v33
	s_and_saveexec_b32 s3, vcc_lo
	s_cbranch_execz .LBB6_2
; %bb.1:
	s_mul_i32 s10, s15, s2
	v_lshlrev_b32_e32 v13, 4, v0
	s_and_b32 s10, s10, 0x1fffffff
	s_delay_alu instid0(SALU_CYCLE_1) | instskip(SKIP_1) | instid1(SALU_CYCLE_1)
	v_dual_mov_b32 v2, 0 :: v_dual_add_nc_u32 v1, s10, v0
	s_lshr_b32 s10, s2, 3
	s_lshl_b64 s[12:13], s[10:11], 4
	s_delay_alu instid0(VALU_DEP_1) | instskip(SKIP_1) | instid1(VALU_DEP_1)
	v_lshlrev_b64 v[3:4], 4, v[1:2]
	v_add3_u32 v1, s10, s10, v1
	v_lshlrev_b64 v[5:6], 4, v[1:2]
	s_delay_alu instid0(VALU_DEP_3) | instskip(SKIP_2) | instid1(VALU_DEP_3)
	v_add_co_u32 v3, s2, s4, v3
	v_add_nc_u32_e32 v1, s10, v1
	v_add_co_ci_u32_e64 v4, s2, s5, v4, s2
	v_add_co_u32 v9, s2, v3, s12
	s_delay_alu instid0(VALU_DEP_3) | instskip(SKIP_1) | instid1(VALU_DEP_4)
	v_lshlrev_b64 v[7:8], 4, v[1:2]
	v_add_nc_u32_e32 v1, s10, v1
	v_add_co_ci_u32_e64 v10, s2, s13, v4, s2
	s_clause 0x1
	global_load_b128 v[29:32], v[3:4], off slc dlc
	global_load_b128 v[25:28], v[9:10], off slc dlc
	v_lshlrev_b64 v[3:4], 4, v[1:2]
	v_add_nc_u32_e32 v1, s10, v1
	v_add_co_u32 v5, s2, s4, v5
	s_delay_alu instid0(VALU_DEP_1) | instskip(NEXT) | instid1(VALU_DEP_3)
	v_add_co_ci_u32_e64 v6, s2, s5, v6, s2
	v_lshlrev_b64 v[9:10], 4, v[1:2]
	v_add_nc_u32_e32 v1, s10, v1
	v_add_co_u32 v7, s2, s4, v7
	s_delay_alu instid0(VALU_DEP_1) | instskip(NEXT) | instid1(VALU_DEP_3)
	v_add_co_ci_u32_e64 v8, s2, s5, v8, s2
	v_lshlrev_b64 v[11:12], 4, v[1:2]
	v_add_nc_u32_e32 v1, s10, v1
	v_add_co_u32 v3, s2, s4, v3
	s_delay_alu instid0(VALU_DEP_1) | instskip(SKIP_1) | instid1(VALU_DEP_4)
	v_add_co_ci_u32_e64 v4, s2, s5, v4, s2
	v_add_co_u32 v9, s2, s4, v9
	v_lshlrev_b64 v[1:2], 4, v[1:2]
	v_add_co_ci_u32_e64 v10, s2, s5, v10, s2
	v_add_co_u32 v34, s2, s4, v11
	s_delay_alu instid0(VALU_DEP_1) | instskip(NEXT) | instid1(VALU_DEP_4)
	v_add_co_ci_u32_e64 v35, s2, s5, v12, s2
	v_add_co_u32 v1, s2, s4, v1
	global_load_b128 v[41:44], v13, s[6:7]
	v_add_co_ci_u32_e64 v2, s2, s5, v2, s2
	s_clause 0x5
	global_load_b128 v[21:24], v[5:6], off slc dlc
	global_load_b128 v[17:20], v[7:8], off slc dlc
	;; [unrolled: 1-line block ×6, first 2 shown]
	s_waitcnt vmcnt(6)
	v_and_b32_e32 v40, 0xffff0000, v41
	v_lshlrev_b32_e32 v41, 16, v41
	v_and_b32_e32 v38, 0xffff0000, v42
	v_lshlrev_b32_e32 v39, 16, v42
	;; [unrolled: 2-line block ×4, first 2 shown]
.LBB6_2:
	s_or_b32 exec_lo, exec_lo, s3
	v_lshlrev_b32_e32 v42, 16, v29
	s_delay_alu instid0(VALU_DEP_1) | instskip(NEXT) | instid1(VALU_DEP_1)
	v_mul_f32_e32 v43, v41, v42
	v_and_b32_e32 v42, 0x7f800000, v43
	s_delay_alu instid0(VALU_DEP_1) | instskip(NEXT) | instid1(VALU_DEP_1)
	v_cmp_ne_u32_e64 s2, 0x7f800000, v42
                                        ; implicit-def: $vgpr42
	s_and_saveexec_b32 s3, s2
	s_delay_alu instid0(SALU_CYCLE_1)
	s_xor_b32 s2, exec_lo, s3
; %bb.3:
	v_bfe_u32 v42, v43, 16, 1
	s_delay_alu instid0(VALU_DEP_1)
	v_add3_u32 v42, v43, v42, 0x7fff
                                        ; implicit-def: $vgpr43
; %bb.4:
	s_and_not1_saveexec_b32 s3, s2
; %bb.5:
	v_and_b32_e32 v42, 0xffff, v43
	v_or_b32_e32 v44, 0x10000, v43
	s_delay_alu instid0(VALU_DEP_2) | instskip(NEXT) | instid1(VALU_DEP_1)
	v_cmp_eq_u32_e64 s2, 0, v42
	v_cndmask_b32_e64 v42, v44, v43, s2
; %bb.6:
	s_or_b32 exec_lo, exec_lo, s3
	v_and_b32_e32 v29, 0xffff0000, v29
	s_delay_alu instid0(VALU_DEP_1) | instskip(NEXT) | instid1(VALU_DEP_1)
	v_mul_f32_e32 v43, v40, v29
	v_and_b32_e32 v29, 0x7f800000, v43
	s_delay_alu instid0(VALU_DEP_1) | instskip(NEXT) | instid1(VALU_DEP_1)
	v_cmp_ne_u32_e64 s2, 0x7f800000, v29
                                        ; implicit-def: $vgpr29
	s_and_saveexec_b32 s3, s2
	s_delay_alu instid0(SALU_CYCLE_1)
	s_xor_b32 s2, exec_lo, s3
; %bb.7:
	v_bfe_u32 v29, v43, 16, 1
	s_delay_alu instid0(VALU_DEP_1)
	v_add3_u32 v29, v43, v29, 0x7fff
                                        ; implicit-def: $vgpr43
; %bb.8:
	s_and_not1_saveexec_b32 s3, s2
; %bb.9:
	v_and_b32_e32 v29, 0xffff, v43
	v_or_b32_e32 v44, 0x10000, v43
	s_delay_alu instid0(VALU_DEP_2) | instskip(NEXT) | instid1(VALU_DEP_1)
	v_cmp_eq_u32_e64 s2, 0, v29
	v_cndmask_b32_e64 v29, v44, v43, s2
; %bb.10:
	s_or_b32 exec_lo, exec_lo, s3
	v_and_b32_e32 v43, 0xffff0000, v42
	v_lshlrev_b32_e32 v42, 16, v30
	s_delay_alu instid0(VALU_DEP_1) | instskip(NEXT) | instid1(VALU_DEP_1)
	v_fmac_f32_e32 v43, v42, v39
	v_and_b32_e32 v42, 0x7f800000, v43
	s_delay_alu instid0(VALU_DEP_1) | instskip(NEXT) | instid1(VALU_DEP_1)
	v_cmp_ne_u32_e64 s2, 0x7f800000, v42
                                        ; implicit-def: $vgpr42
	s_and_saveexec_b32 s3, s2
	s_delay_alu instid0(SALU_CYCLE_1)
	s_xor_b32 s2, exec_lo, s3
; %bb.11:
	v_bfe_u32 v42, v43, 16, 1
	s_delay_alu instid0(VALU_DEP_1)
	v_add3_u32 v42, v43, v42, 0x7fff
                                        ; implicit-def: $vgpr43
; %bb.12:
	s_and_not1_saveexec_b32 s3, s2
; %bb.13:
	v_and_b32_e32 v42, 0xffff, v43
	v_or_b32_e32 v44, 0x10000, v43
	s_delay_alu instid0(VALU_DEP_2) | instskip(NEXT) | instid1(VALU_DEP_1)
	v_cmp_eq_u32_e64 s2, 0, v42
	v_cndmask_b32_e64 v42, v44, v43, s2
; %bb.14:
	s_or_b32 exec_lo, exec_lo, s3
	v_and_b32_e32 v43, 0xffff0000, v29
	v_and_b32_e32 v29, 0xffff0000, v30
	s_delay_alu instid0(VALU_DEP_1) | instskip(NEXT) | instid1(VALU_DEP_1)
	v_fmac_f32_e32 v43, v29, v38
	v_and_b32_e32 v29, 0x7f800000, v43
	s_delay_alu instid0(VALU_DEP_1) | instskip(NEXT) | instid1(VALU_DEP_1)
	v_cmp_ne_u32_e64 s2, 0x7f800000, v29
                                        ; implicit-def: $vgpr29
	s_and_saveexec_b32 s3, s2
	s_delay_alu instid0(SALU_CYCLE_1)
	s_xor_b32 s2, exec_lo, s3
; %bb.15:
	v_bfe_u32 v29, v43, 16, 1
	s_delay_alu instid0(VALU_DEP_1)
	v_add3_u32 v29, v43, v29, 0x7fff
                                        ; implicit-def: $vgpr43
; %bb.16:
	s_and_not1_saveexec_b32 s3, s2
; %bb.17:
	v_and_b32_e32 v29, 0xffff, v43
	v_or_b32_e32 v30, 0x10000, v43
	s_delay_alu instid0(VALU_DEP_2) | instskip(NEXT) | instid1(VALU_DEP_1)
	v_cmp_eq_u32_e64 s2, 0, v29
	v_cndmask_b32_e64 v29, v30, v43, s2
; %bb.18:
	s_or_b32 exec_lo, exec_lo, s3
	v_and_b32_e32 v42, 0xffff0000, v42
	v_lshlrev_b32_e32 v30, 16, v31
	s_delay_alu instid0(VALU_DEP_1) | instskip(NEXT) | instid1(VALU_DEP_1)
	v_fmac_f32_e32 v42, v30, v37
	v_and_b32_e32 v30, 0x7f800000, v42
	s_delay_alu instid0(VALU_DEP_1) | instskip(NEXT) | instid1(VALU_DEP_1)
	v_cmp_ne_u32_e64 s2, 0x7f800000, v30
                                        ; implicit-def: $vgpr30
	s_and_saveexec_b32 s3, s2
	s_delay_alu instid0(SALU_CYCLE_1)
	s_xor_b32 s2, exec_lo, s3
; %bb.19:
	v_bfe_u32 v30, v42, 16, 1
	s_delay_alu instid0(VALU_DEP_1)
	v_add3_u32 v30, v42, v30, 0x7fff
                                        ; implicit-def: $vgpr42
; %bb.20:
	s_and_not1_saveexec_b32 s3, s2
; %bb.21:
	v_and_b32_e32 v30, 0xffff, v42
	v_or_b32_e32 v43, 0x10000, v42
	s_delay_alu instid0(VALU_DEP_2) | instskip(NEXT) | instid1(VALU_DEP_1)
	v_cmp_eq_u32_e64 s2, 0, v30
	v_cndmask_b32_e64 v30, v43, v42, s2
; %bb.22:
	s_or_b32 exec_lo, exec_lo, s3
	v_and_b32_e32 v29, 0xffff0000, v29
	v_and_b32_e32 v31, 0xffff0000, v31
	s_delay_alu instid0(VALU_DEP_1) | instskip(NEXT) | instid1(VALU_DEP_1)
	v_fmac_f32_e32 v29, v31, v36
	v_and_b32_e32 v31, 0x7f800000, v29
	s_delay_alu instid0(VALU_DEP_1) | instskip(NEXT) | instid1(VALU_DEP_1)
	v_cmp_ne_u32_e64 s2, 0x7f800000, v31
                                        ; implicit-def: $vgpr31
	s_and_saveexec_b32 s3, s2
	s_delay_alu instid0(SALU_CYCLE_1)
	s_xor_b32 s2, exec_lo, s3
; %bb.23:
	v_bfe_u32 v31, v29, 16, 1
	s_delay_alu instid0(VALU_DEP_1)
	v_add3_u32 v31, v29, v31, 0x7fff
                                        ; implicit-def: $vgpr29
; %bb.24:
	s_and_not1_saveexec_b32 s3, s2
; %bb.25:
	v_and_b32_e32 v31, 0xffff, v29
	v_or_b32_e32 v42, 0x10000, v29
	s_delay_alu instid0(VALU_DEP_2) | instskip(NEXT) | instid1(VALU_DEP_1)
	v_cmp_eq_u32_e64 s2, 0, v31
	v_cndmask_b32_e64 v31, v42, v29, s2
; %bb.26:
	s_or_b32 exec_lo, exec_lo, s3
	v_and_b32_e32 v30, 0xffff0000, v30
	v_lshlrev_b32_e32 v29, 16, v32
	s_delay_alu instid0(VALU_DEP_1) | instskip(NEXT) | instid1(VALU_DEP_1)
	v_fmac_f32_e32 v30, v29, v35
	v_and_b32_e32 v29, 0x7f800000, v30
	s_delay_alu instid0(VALU_DEP_1) | instskip(NEXT) | instid1(VALU_DEP_1)
	v_cmp_ne_u32_e64 s2, 0x7f800000, v29
                                        ; implicit-def: $vgpr29
	s_and_saveexec_b32 s3, s2
	s_delay_alu instid0(SALU_CYCLE_1)
	s_xor_b32 s2, exec_lo, s3
; %bb.27:
	v_bfe_u32 v29, v30, 16, 1
	s_delay_alu instid0(VALU_DEP_1)
	v_add3_u32 v29, v30, v29, 0x7fff
                                        ; implicit-def: $vgpr30
; %bb.28:
	s_and_not1_saveexec_b32 s3, s2
; %bb.29:
	v_and_b32_e32 v29, 0xffff, v30
	v_or_b32_e32 v42, 0x10000, v30
	s_delay_alu instid0(VALU_DEP_2) | instskip(NEXT) | instid1(VALU_DEP_1)
	v_cmp_eq_u32_e64 s2, 0, v29
	v_cndmask_b32_e64 v29, v42, v30, s2
; %bb.30:
	s_or_b32 exec_lo, exec_lo, s3
	v_and_b32_e32 v31, 0xffff0000, v31
	v_and_b32_e32 v30, 0xffff0000, v32
	s_delay_alu instid0(VALU_DEP_1) | instskip(NEXT) | instid1(VALU_DEP_1)
	v_fmac_f32_e32 v31, v30, v34
	v_and_b32_e32 v30, 0x7f800000, v31
	s_delay_alu instid0(VALU_DEP_1) | instskip(NEXT) | instid1(VALU_DEP_1)
	v_cmp_ne_u32_e64 s2, 0x7f800000, v30
                                        ; implicit-def: $vgpr30
	s_and_saveexec_b32 s3, s2
	s_delay_alu instid0(SALU_CYCLE_1)
	s_xor_b32 s2, exec_lo, s3
; %bb.31:
	v_bfe_u32 v30, v31, 16, 1
	s_delay_alu instid0(VALU_DEP_1)
	v_add3_u32 v30, v31, v30, 0x7fff
                                        ; implicit-def: $vgpr31
; %bb.32:
	s_and_not1_saveexec_b32 s3, s2
; %bb.33:
	v_and_b32_e32 v30, 0xffff, v31
	v_or_b32_e32 v32, 0x10000, v31
	s_delay_alu instid0(VALU_DEP_2) | instskip(NEXT) | instid1(VALU_DEP_1)
	v_cmp_eq_u32_e64 s2, 0, v30
	v_cndmask_b32_e64 v30, v32, v31, s2
; %bb.34:
	s_or_b32 exec_lo, exec_lo, s3
	v_lshlrev_b32_e32 v31, 16, v25
	s_delay_alu instid0(VALU_DEP_1) | instskip(NEXT) | instid1(VALU_DEP_1)
	v_mul_f32_e32 v32, v41, v31
	v_and_b32_e32 v31, 0x7f800000, v32
	s_delay_alu instid0(VALU_DEP_1) | instskip(NEXT) | instid1(VALU_DEP_1)
	v_cmp_ne_u32_e64 s2, 0x7f800000, v31
                                        ; implicit-def: $vgpr31
	s_and_saveexec_b32 s3, s2
	s_delay_alu instid0(SALU_CYCLE_1)
	s_xor_b32 s2, exec_lo, s3
; %bb.35:
	v_bfe_u32 v31, v32, 16, 1
	s_delay_alu instid0(VALU_DEP_1)
	v_add3_u32 v31, v32, v31, 0x7fff
                                        ; implicit-def: $vgpr32
; %bb.36:
	s_and_not1_saveexec_b32 s3, s2
; %bb.37:
	v_and_b32_e32 v31, 0xffff, v32
	v_or_b32_e32 v42, 0x10000, v32
	s_delay_alu instid0(VALU_DEP_2) | instskip(NEXT) | instid1(VALU_DEP_1)
	v_cmp_eq_u32_e64 s2, 0, v31
	v_cndmask_b32_e64 v31, v42, v32, s2
; %bb.38:
	s_or_b32 exec_lo, exec_lo, s3
	v_and_b32_e32 v25, 0xffff0000, v25
	s_delay_alu instid0(VALU_DEP_1) | instskip(NEXT) | instid1(VALU_DEP_1)
	v_mul_f32_e32 v32, v40, v25
	v_and_b32_e32 v25, 0x7f800000, v32
	s_delay_alu instid0(VALU_DEP_1) | instskip(NEXT) | instid1(VALU_DEP_1)
	v_cmp_ne_u32_e64 s2, 0x7f800000, v25
                                        ; implicit-def: $vgpr25
	s_and_saveexec_b32 s3, s2
	s_delay_alu instid0(SALU_CYCLE_1)
	s_xor_b32 s2, exec_lo, s3
; %bb.39:
	v_bfe_u32 v25, v32, 16, 1
	s_delay_alu instid0(VALU_DEP_1)
	v_add3_u32 v25, v32, v25, 0x7fff
                                        ; implicit-def: $vgpr32
; %bb.40:
	s_and_not1_saveexec_b32 s3, s2
; %bb.41:
	v_and_b32_e32 v25, 0xffff, v32
	v_or_b32_e32 v42, 0x10000, v32
	s_delay_alu instid0(VALU_DEP_2) | instskip(NEXT) | instid1(VALU_DEP_1)
	v_cmp_eq_u32_e64 s2, 0, v25
	v_cndmask_b32_e64 v25, v42, v32, s2
; %bb.42:
	s_or_b32 exec_lo, exec_lo, s3
	v_and_b32_e32 v32, 0xffff0000, v31
	v_lshlrev_b32_e32 v31, 16, v26
	s_delay_alu instid0(VALU_DEP_1) | instskip(NEXT) | instid1(VALU_DEP_1)
	v_fmac_f32_e32 v32, v31, v39
	v_and_b32_e32 v31, 0x7f800000, v32
	s_delay_alu instid0(VALU_DEP_1) | instskip(NEXT) | instid1(VALU_DEP_1)
	v_cmp_ne_u32_e64 s2, 0x7f800000, v31
                                        ; implicit-def: $vgpr31
	s_and_saveexec_b32 s3, s2
	s_delay_alu instid0(SALU_CYCLE_1)
	s_xor_b32 s2, exec_lo, s3
; %bb.43:
	v_bfe_u32 v31, v32, 16, 1
	s_delay_alu instid0(VALU_DEP_1)
	v_add3_u32 v31, v32, v31, 0x7fff
                                        ; implicit-def: $vgpr32
; %bb.44:
	s_and_not1_saveexec_b32 s3, s2
; %bb.45:
	v_and_b32_e32 v31, 0xffff, v32
	v_or_b32_e32 v42, 0x10000, v32
	s_delay_alu instid0(VALU_DEP_2) | instskip(NEXT) | instid1(VALU_DEP_1)
	v_cmp_eq_u32_e64 s2, 0, v31
	v_cndmask_b32_e64 v31, v42, v32, s2
; %bb.46:
	s_or_b32 exec_lo, exec_lo, s3
	v_and_b32_e32 v32, 0xffff0000, v25
	v_and_b32_e32 v25, 0xffff0000, v26
	s_delay_alu instid0(VALU_DEP_1) | instskip(NEXT) | instid1(VALU_DEP_1)
	v_fmac_f32_e32 v32, v25, v38
	v_and_b32_e32 v25, 0x7f800000, v32
	s_delay_alu instid0(VALU_DEP_1) | instskip(NEXT) | instid1(VALU_DEP_1)
	v_cmp_ne_u32_e64 s2, 0x7f800000, v25
                                        ; implicit-def: $vgpr25
	s_and_saveexec_b32 s3, s2
	s_delay_alu instid0(SALU_CYCLE_1)
	s_xor_b32 s2, exec_lo, s3
; %bb.47:
	v_bfe_u32 v25, v32, 16, 1
	s_delay_alu instid0(VALU_DEP_1)
	v_add3_u32 v25, v32, v25, 0x7fff
                                        ; implicit-def: $vgpr32
; %bb.48:
	s_and_not1_saveexec_b32 s3, s2
; %bb.49:
	v_and_b32_e32 v25, 0xffff, v32
	v_or_b32_e32 v26, 0x10000, v32
	s_delay_alu instid0(VALU_DEP_2) | instskip(NEXT) | instid1(VALU_DEP_1)
	v_cmp_eq_u32_e64 s2, 0, v25
	v_cndmask_b32_e64 v25, v26, v32, s2
; %bb.50:
	s_or_b32 exec_lo, exec_lo, s3
	v_and_b32_e32 v31, 0xffff0000, v31
	v_lshlrev_b32_e32 v26, 16, v27
	s_delay_alu instid0(VALU_DEP_1) | instskip(NEXT) | instid1(VALU_DEP_1)
	v_fmac_f32_e32 v31, v26, v37
	v_and_b32_e32 v26, 0x7f800000, v31
	s_delay_alu instid0(VALU_DEP_1) | instskip(NEXT) | instid1(VALU_DEP_1)
	v_cmp_ne_u32_e64 s2, 0x7f800000, v26
                                        ; implicit-def: $vgpr26
	s_and_saveexec_b32 s3, s2
	s_delay_alu instid0(SALU_CYCLE_1)
	s_xor_b32 s2, exec_lo, s3
; %bb.51:
	v_bfe_u32 v26, v31, 16, 1
	s_delay_alu instid0(VALU_DEP_1)
	v_add3_u32 v26, v31, v26, 0x7fff
                                        ; implicit-def: $vgpr31
; %bb.52:
	s_and_not1_saveexec_b32 s3, s2
; %bb.53:
	v_and_b32_e32 v26, 0xffff, v31
	v_or_b32_e32 v32, 0x10000, v31
	s_delay_alu instid0(VALU_DEP_2) | instskip(NEXT) | instid1(VALU_DEP_1)
	v_cmp_eq_u32_e64 s2, 0, v26
	v_cndmask_b32_e64 v26, v32, v31, s2
; %bb.54:
	s_or_b32 exec_lo, exec_lo, s3
	v_and_b32_e32 v25, 0xffff0000, v25
	v_and_b32_e32 v27, 0xffff0000, v27
	s_delay_alu instid0(VALU_DEP_1) | instskip(NEXT) | instid1(VALU_DEP_1)
	v_fmac_f32_e32 v25, v27, v36
	v_and_b32_e32 v27, 0x7f800000, v25
	s_delay_alu instid0(VALU_DEP_1) | instskip(NEXT) | instid1(VALU_DEP_1)
	v_cmp_ne_u32_e64 s2, 0x7f800000, v27
                                        ; implicit-def: $vgpr27
	s_and_saveexec_b32 s3, s2
	s_delay_alu instid0(SALU_CYCLE_1)
	s_xor_b32 s2, exec_lo, s3
; %bb.55:
	v_bfe_u32 v27, v25, 16, 1
	s_delay_alu instid0(VALU_DEP_1)
	v_add3_u32 v27, v25, v27, 0x7fff
                                        ; implicit-def: $vgpr25
; %bb.56:
	s_and_not1_saveexec_b32 s3, s2
; %bb.57:
	v_and_b32_e32 v27, 0xffff, v25
	v_or_b32_e32 v31, 0x10000, v25
	s_delay_alu instid0(VALU_DEP_2) | instskip(NEXT) | instid1(VALU_DEP_1)
	v_cmp_eq_u32_e64 s2, 0, v27
	v_cndmask_b32_e64 v27, v31, v25, s2
; %bb.58:
	s_or_b32 exec_lo, exec_lo, s3
	v_and_b32_e32 v26, 0xffff0000, v26
	v_lshlrev_b32_e32 v25, 16, v28
	s_delay_alu instid0(VALU_DEP_1) | instskip(NEXT) | instid1(VALU_DEP_1)
	v_fmac_f32_e32 v26, v25, v35
	v_and_b32_e32 v25, 0x7f800000, v26
	s_delay_alu instid0(VALU_DEP_1) | instskip(NEXT) | instid1(VALU_DEP_1)
	v_cmp_ne_u32_e64 s2, 0x7f800000, v25
                                        ; implicit-def: $vgpr25
	s_and_saveexec_b32 s3, s2
	s_delay_alu instid0(SALU_CYCLE_1)
	s_xor_b32 s2, exec_lo, s3
; %bb.59:
	v_bfe_u32 v25, v26, 16, 1
	s_delay_alu instid0(VALU_DEP_1)
	v_add3_u32 v25, v26, v25, 0x7fff
                                        ; implicit-def: $vgpr26
; %bb.60:
	s_and_not1_saveexec_b32 s3, s2
; %bb.61:
	v_and_b32_e32 v25, 0xffff, v26
	v_or_b32_e32 v31, 0x10000, v26
	s_delay_alu instid0(VALU_DEP_2) | instskip(NEXT) | instid1(VALU_DEP_1)
	v_cmp_eq_u32_e64 s2, 0, v25
	v_cndmask_b32_e64 v25, v31, v26, s2
; %bb.62:
	s_or_b32 exec_lo, exec_lo, s3
	v_and_b32_e32 v27, 0xffff0000, v27
	v_and_b32_e32 v26, 0xffff0000, v28
	s_delay_alu instid0(VALU_DEP_1) | instskip(NEXT) | instid1(VALU_DEP_1)
	v_fmac_f32_e32 v27, v26, v34
	v_and_b32_e32 v26, 0x7f800000, v27
	s_delay_alu instid0(VALU_DEP_1) | instskip(NEXT) | instid1(VALU_DEP_1)
	v_cmp_ne_u32_e64 s2, 0x7f800000, v26
                                        ; implicit-def: $vgpr26
	s_and_saveexec_b32 s3, s2
	s_delay_alu instid0(SALU_CYCLE_1)
	s_xor_b32 s2, exec_lo, s3
; %bb.63:
	v_bfe_u32 v26, v27, 16, 1
	s_delay_alu instid0(VALU_DEP_1)
	v_add3_u32 v26, v27, v26, 0x7fff
                                        ; implicit-def: $vgpr27
; %bb.64:
	s_and_not1_saveexec_b32 s3, s2
; %bb.65:
	v_and_b32_e32 v26, 0xffff, v27
	v_or_b32_e32 v28, 0x10000, v27
	s_delay_alu instid0(VALU_DEP_2) | instskip(NEXT) | instid1(VALU_DEP_1)
	v_cmp_eq_u32_e64 s2, 0, v26
	v_cndmask_b32_e64 v26, v28, v27, s2
; %bb.66:
	s_or_b32 exec_lo, exec_lo, s3
	s_waitcnt vmcnt(5)
	v_lshlrev_b32_e32 v27, 16, v21
	s_delay_alu instid0(VALU_DEP_1) | instskip(NEXT) | instid1(VALU_DEP_1)
	v_mul_f32_e32 v28, v41, v27
	v_and_b32_e32 v27, 0x7f800000, v28
	s_delay_alu instid0(VALU_DEP_1) | instskip(NEXT) | instid1(VALU_DEP_1)
	v_cmp_ne_u32_e64 s2, 0x7f800000, v27
                                        ; implicit-def: $vgpr27
	s_and_saveexec_b32 s3, s2
	s_delay_alu instid0(SALU_CYCLE_1)
	s_xor_b32 s2, exec_lo, s3
; %bb.67:
	v_bfe_u32 v27, v28, 16, 1
	s_delay_alu instid0(VALU_DEP_1)
	v_add3_u32 v27, v28, v27, 0x7fff
                                        ; implicit-def: $vgpr28
; %bb.68:
	s_and_not1_saveexec_b32 s3, s2
; %bb.69:
	v_and_b32_e32 v27, 0xffff, v28
	v_or_b32_e32 v31, 0x10000, v28
	s_delay_alu instid0(VALU_DEP_2) | instskip(NEXT) | instid1(VALU_DEP_1)
	v_cmp_eq_u32_e64 s2, 0, v27
	v_cndmask_b32_e64 v27, v31, v28, s2
; %bb.70:
	s_or_b32 exec_lo, exec_lo, s3
	v_and_b32_e32 v21, 0xffff0000, v21
	s_delay_alu instid0(VALU_DEP_1) | instskip(NEXT) | instid1(VALU_DEP_1)
	v_mul_f32_e32 v28, v40, v21
	v_and_b32_e32 v21, 0x7f800000, v28
	s_delay_alu instid0(VALU_DEP_1) | instskip(NEXT) | instid1(VALU_DEP_1)
	v_cmp_ne_u32_e64 s2, 0x7f800000, v21
                                        ; implicit-def: $vgpr21
	s_and_saveexec_b32 s3, s2
	s_delay_alu instid0(SALU_CYCLE_1)
	s_xor_b32 s2, exec_lo, s3
; %bb.71:
	v_bfe_u32 v21, v28, 16, 1
	s_delay_alu instid0(VALU_DEP_1)
	v_add3_u32 v21, v28, v21, 0x7fff
                                        ; implicit-def: $vgpr28
; %bb.72:
	s_and_not1_saveexec_b32 s3, s2
; %bb.73:
	v_and_b32_e32 v21, 0xffff, v28
	v_or_b32_e32 v31, 0x10000, v28
	s_delay_alu instid0(VALU_DEP_2) | instskip(NEXT) | instid1(VALU_DEP_1)
	v_cmp_eq_u32_e64 s2, 0, v21
	v_cndmask_b32_e64 v21, v31, v28, s2
; %bb.74:
	s_or_b32 exec_lo, exec_lo, s3
	v_and_b32_e32 v28, 0xffff0000, v27
	v_lshlrev_b32_e32 v27, 16, v22
	s_delay_alu instid0(VALU_DEP_1) | instskip(NEXT) | instid1(VALU_DEP_1)
	v_fmac_f32_e32 v28, v27, v39
	v_and_b32_e32 v27, 0x7f800000, v28
	s_delay_alu instid0(VALU_DEP_1) | instskip(NEXT) | instid1(VALU_DEP_1)
	v_cmp_ne_u32_e64 s2, 0x7f800000, v27
                                        ; implicit-def: $vgpr27
	s_and_saveexec_b32 s3, s2
	s_delay_alu instid0(SALU_CYCLE_1)
	s_xor_b32 s2, exec_lo, s3
; %bb.75:
	v_bfe_u32 v27, v28, 16, 1
	s_delay_alu instid0(VALU_DEP_1)
	v_add3_u32 v27, v28, v27, 0x7fff
                                        ; implicit-def: $vgpr28
; %bb.76:
	s_and_not1_saveexec_b32 s3, s2
; %bb.77:
	v_and_b32_e32 v27, 0xffff, v28
	v_or_b32_e32 v31, 0x10000, v28
	s_delay_alu instid0(VALU_DEP_2) | instskip(NEXT) | instid1(VALU_DEP_1)
	v_cmp_eq_u32_e64 s2, 0, v27
	v_cndmask_b32_e64 v27, v31, v28, s2
; %bb.78:
	s_or_b32 exec_lo, exec_lo, s3
	v_and_b32_e32 v28, 0xffff0000, v21
	v_and_b32_e32 v21, 0xffff0000, v22
	s_delay_alu instid0(VALU_DEP_1) | instskip(NEXT) | instid1(VALU_DEP_1)
	v_fmac_f32_e32 v28, v21, v38
	v_and_b32_e32 v21, 0x7f800000, v28
	s_delay_alu instid0(VALU_DEP_1) | instskip(NEXT) | instid1(VALU_DEP_1)
	v_cmp_ne_u32_e64 s2, 0x7f800000, v21
                                        ; implicit-def: $vgpr21
	s_and_saveexec_b32 s3, s2
	s_delay_alu instid0(SALU_CYCLE_1)
	s_xor_b32 s2, exec_lo, s3
; %bb.79:
	v_bfe_u32 v21, v28, 16, 1
	s_delay_alu instid0(VALU_DEP_1)
	v_add3_u32 v21, v28, v21, 0x7fff
                                        ; implicit-def: $vgpr28
; %bb.80:
	s_and_not1_saveexec_b32 s3, s2
; %bb.81:
	v_and_b32_e32 v21, 0xffff, v28
	v_or_b32_e32 v22, 0x10000, v28
	s_delay_alu instid0(VALU_DEP_2) | instskip(NEXT) | instid1(VALU_DEP_1)
	v_cmp_eq_u32_e64 s2, 0, v21
	v_cndmask_b32_e64 v21, v22, v28, s2
; %bb.82:
	s_or_b32 exec_lo, exec_lo, s3
	v_and_b32_e32 v27, 0xffff0000, v27
	v_lshlrev_b32_e32 v22, 16, v23
	s_delay_alu instid0(VALU_DEP_1) | instskip(NEXT) | instid1(VALU_DEP_1)
	v_fmac_f32_e32 v27, v22, v37
	v_and_b32_e32 v22, 0x7f800000, v27
	s_delay_alu instid0(VALU_DEP_1) | instskip(NEXT) | instid1(VALU_DEP_1)
	v_cmp_ne_u32_e64 s2, 0x7f800000, v22
                                        ; implicit-def: $vgpr22
	s_and_saveexec_b32 s3, s2
	s_delay_alu instid0(SALU_CYCLE_1)
	s_xor_b32 s2, exec_lo, s3
; %bb.83:
	v_bfe_u32 v22, v27, 16, 1
	s_delay_alu instid0(VALU_DEP_1)
	v_add3_u32 v22, v27, v22, 0x7fff
                                        ; implicit-def: $vgpr27
; %bb.84:
	s_and_not1_saveexec_b32 s3, s2
; %bb.85:
	v_and_b32_e32 v22, 0xffff, v27
	v_or_b32_e32 v28, 0x10000, v27
	s_delay_alu instid0(VALU_DEP_2) | instskip(NEXT) | instid1(VALU_DEP_1)
	v_cmp_eq_u32_e64 s2, 0, v22
	v_cndmask_b32_e64 v22, v28, v27, s2
; %bb.86:
	s_or_b32 exec_lo, exec_lo, s3
	v_and_b32_e32 v21, 0xffff0000, v21
	v_and_b32_e32 v23, 0xffff0000, v23
	s_delay_alu instid0(VALU_DEP_1) | instskip(NEXT) | instid1(VALU_DEP_1)
	v_fmac_f32_e32 v21, v23, v36
	v_and_b32_e32 v23, 0x7f800000, v21
	s_delay_alu instid0(VALU_DEP_1) | instskip(NEXT) | instid1(VALU_DEP_1)
	v_cmp_ne_u32_e64 s2, 0x7f800000, v23
                                        ; implicit-def: $vgpr23
	s_and_saveexec_b32 s3, s2
	s_delay_alu instid0(SALU_CYCLE_1)
	s_xor_b32 s2, exec_lo, s3
; %bb.87:
	v_bfe_u32 v23, v21, 16, 1
	s_delay_alu instid0(VALU_DEP_1)
	v_add3_u32 v23, v21, v23, 0x7fff
                                        ; implicit-def: $vgpr21
; %bb.88:
	s_and_not1_saveexec_b32 s3, s2
; %bb.89:
	v_and_b32_e32 v23, 0xffff, v21
	v_or_b32_e32 v27, 0x10000, v21
	s_delay_alu instid0(VALU_DEP_2) | instskip(NEXT) | instid1(VALU_DEP_1)
	v_cmp_eq_u32_e64 s2, 0, v23
	v_cndmask_b32_e64 v23, v27, v21, s2
; %bb.90:
	s_or_b32 exec_lo, exec_lo, s3
	v_and_b32_e32 v22, 0xffff0000, v22
	v_lshlrev_b32_e32 v21, 16, v24
	s_delay_alu instid0(VALU_DEP_1) | instskip(NEXT) | instid1(VALU_DEP_1)
	v_fmac_f32_e32 v22, v21, v35
	v_and_b32_e32 v21, 0x7f800000, v22
	s_delay_alu instid0(VALU_DEP_1) | instskip(NEXT) | instid1(VALU_DEP_1)
	v_cmp_ne_u32_e64 s2, 0x7f800000, v21
                                        ; implicit-def: $vgpr21
	s_and_saveexec_b32 s3, s2
	s_delay_alu instid0(SALU_CYCLE_1)
	s_xor_b32 s2, exec_lo, s3
; %bb.91:
	v_bfe_u32 v21, v22, 16, 1
	s_delay_alu instid0(VALU_DEP_1)
	v_add3_u32 v21, v22, v21, 0x7fff
                                        ; implicit-def: $vgpr22
; %bb.92:
	s_and_not1_saveexec_b32 s3, s2
; %bb.93:
	v_and_b32_e32 v21, 0xffff, v22
	v_or_b32_e32 v27, 0x10000, v22
	s_delay_alu instid0(VALU_DEP_2) | instskip(NEXT) | instid1(VALU_DEP_1)
	v_cmp_eq_u32_e64 s2, 0, v21
	v_cndmask_b32_e64 v21, v27, v22, s2
; %bb.94:
	s_or_b32 exec_lo, exec_lo, s3
	v_and_b32_e32 v23, 0xffff0000, v23
	v_and_b32_e32 v22, 0xffff0000, v24
	s_delay_alu instid0(VALU_DEP_1) | instskip(NEXT) | instid1(VALU_DEP_1)
	v_fmac_f32_e32 v23, v22, v34
	v_and_b32_e32 v22, 0x7f800000, v23
	s_delay_alu instid0(VALU_DEP_1) | instskip(NEXT) | instid1(VALU_DEP_1)
	v_cmp_ne_u32_e64 s2, 0x7f800000, v22
                                        ; implicit-def: $vgpr22
	s_and_saveexec_b32 s3, s2
	s_delay_alu instid0(SALU_CYCLE_1)
	s_xor_b32 s2, exec_lo, s3
; %bb.95:
	v_bfe_u32 v22, v23, 16, 1
	s_delay_alu instid0(VALU_DEP_1)
	v_add3_u32 v22, v23, v22, 0x7fff
                                        ; implicit-def: $vgpr23
; %bb.96:
	s_and_not1_saveexec_b32 s3, s2
; %bb.97:
	v_and_b32_e32 v22, 0xffff, v23
	v_or_b32_e32 v24, 0x10000, v23
	s_delay_alu instid0(VALU_DEP_2) | instskip(NEXT) | instid1(VALU_DEP_1)
	v_cmp_eq_u32_e64 s2, 0, v22
	v_cndmask_b32_e64 v22, v24, v23, s2
; %bb.98:
	s_or_b32 exec_lo, exec_lo, s3
	s_waitcnt vmcnt(4)
	v_lshlrev_b32_e32 v23, 16, v17
	s_delay_alu instid0(VALU_DEP_1) | instskip(NEXT) | instid1(VALU_DEP_1)
	v_mul_f32_e32 v24, v41, v23
	v_and_b32_e32 v23, 0x7f800000, v24
	s_delay_alu instid0(VALU_DEP_1) | instskip(NEXT) | instid1(VALU_DEP_1)
	v_cmp_ne_u32_e64 s2, 0x7f800000, v23
                                        ; implicit-def: $vgpr23
	s_and_saveexec_b32 s3, s2
	s_delay_alu instid0(SALU_CYCLE_1)
	s_xor_b32 s2, exec_lo, s3
; %bb.99:
	v_bfe_u32 v23, v24, 16, 1
	s_delay_alu instid0(VALU_DEP_1)
	v_add3_u32 v23, v24, v23, 0x7fff
                                        ; implicit-def: $vgpr24
; %bb.100:
	s_and_not1_saveexec_b32 s3, s2
; %bb.101:
	v_and_b32_e32 v23, 0xffff, v24
	v_or_b32_e32 v27, 0x10000, v24
	s_delay_alu instid0(VALU_DEP_2) | instskip(NEXT) | instid1(VALU_DEP_1)
	v_cmp_eq_u32_e64 s2, 0, v23
	v_cndmask_b32_e64 v23, v27, v24, s2
; %bb.102:
	s_or_b32 exec_lo, exec_lo, s3
	v_and_b32_e32 v17, 0xffff0000, v17
	s_delay_alu instid0(VALU_DEP_1) | instskip(NEXT) | instid1(VALU_DEP_1)
	v_mul_f32_e32 v24, v40, v17
	v_and_b32_e32 v17, 0x7f800000, v24
	s_delay_alu instid0(VALU_DEP_1) | instskip(NEXT) | instid1(VALU_DEP_1)
	v_cmp_ne_u32_e64 s2, 0x7f800000, v17
                                        ; implicit-def: $vgpr17
	s_and_saveexec_b32 s3, s2
	s_delay_alu instid0(SALU_CYCLE_1)
	s_xor_b32 s2, exec_lo, s3
; %bb.103:
	v_bfe_u32 v17, v24, 16, 1
	s_delay_alu instid0(VALU_DEP_1)
	v_add3_u32 v17, v24, v17, 0x7fff
                                        ; implicit-def: $vgpr24
; %bb.104:
	s_and_not1_saveexec_b32 s3, s2
; %bb.105:
	v_and_b32_e32 v17, 0xffff, v24
	v_or_b32_e32 v27, 0x10000, v24
	s_delay_alu instid0(VALU_DEP_2) | instskip(NEXT) | instid1(VALU_DEP_1)
	v_cmp_eq_u32_e64 s2, 0, v17
	v_cndmask_b32_e64 v17, v27, v24, s2
; %bb.106:
	s_or_b32 exec_lo, exec_lo, s3
	v_and_b32_e32 v24, 0xffff0000, v23
	v_lshlrev_b32_e32 v23, 16, v18
	s_delay_alu instid0(VALU_DEP_1) | instskip(NEXT) | instid1(VALU_DEP_1)
	v_fmac_f32_e32 v24, v23, v39
	v_and_b32_e32 v23, 0x7f800000, v24
	s_delay_alu instid0(VALU_DEP_1) | instskip(NEXT) | instid1(VALU_DEP_1)
	v_cmp_ne_u32_e64 s2, 0x7f800000, v23
                                        ; implicit-def: $vgpr23
	s_and_saveexec_b32 s3, s2
	s_delay_alu instid0(SALU_CYCLE_1)
	s_xor_b32 s2, exec_lo, s3
; %bb.107:
	v_bfe_u32 v23, v24, 16, 1
	s_delay_alu instid0(VALU_DEP_1)
	v_add3_u32 v23, v24, v23, 0x7fff
                                        ; implicit-def: $vgpr24
; %bb.108:
	s_and_not1_saveexec_b32 s3, s2
; %bb.109:
	v_and_b32_e32 v23, 0xffff, v24
	v_or_b32_e32 v27, 0x10000, v24
	s_delay_alu instid0(VALU_DEP_2) | instskip(NEXT) | instid1(VALU_DEP_1)
	v_cmp_eq_u32_e64 s2, 0, v23
	v_cndmask_b32_e64 v23, v27, v24, s2
; %bb.110:
	s_or_b32 exec_lo, exec_lo, s3
	v_and_b32_e32 v24, 0xffff0000, v17
	v_and_b32_e32 v17, 0xffff0000, v18
	s_delay_alu instid0(VALU_DEP_1) | instskip(NEXT) | instid1(VALU_DEP_1)
	v_fmac_f32_e32 v24, v17, v38
	v_and_b32_e32 v17, 0x7f800000, v24
	s_delay_alu instid0(VALU_DEP_1) | instskip(NEXT) | instid1(VALU_DEP_1)
	v_cmp_ne_u32_e64 s2, 0x7f800000, v17
                                        ; implicit-def: $vgpr17
	s_and_saveexec_b32 s3, s2
	s_delay_alu instid0(SALU_CYCLE_1)
	s_xor_b32 s2, exec_lo, s3
; %bb.111:
	v_bfe_u32 v17, v24, 16, 1
	s_delay_alu instid0(VALU_DEP_1)
	v_add3_u32 v17, v24, v17, 0x7fff
                                        ; implicit-def: $vgpr24
; %bb.112:
	s_and_not1_saveexec_b32 s3, s2
; %bb.113:
	v_and_b32_e32 v17, 0xffff, v24
	v_or_b32_e32 v18, 0x10000, v24
	s_delay_alu instid0(VALU_DEP_2) | instskip(NEXT) | instid1(VALU_DEP_1)
	v_cmp_eq_u32_e64 s2, 0, v17
	v_cndmask_b32_e64 v17, v18, v24, s2
; %bb.114:
	s_or_b32 exec_lo, exec_lo, s3
	v_and_b32_e32 v23, 0xffff0000, v23
	v_lshlrev_b32_e32 v18, 16, v19
	s_delay_alu instid0(VALU_DEP_1) | instskip(NEXT) | instid1(VALU_DEP_1)
	v_fmac_f32_e32 v23, v18, v37
	v_and_b32_e32 v18, 0x7f800000, v23
	s_delay_alu instid0(VALU_DEP_1) | instskip(NEXT) | instid1(VALU_DEP_1)
	v_cmp_ne_u32_e64 s2, 0x7f800000, v18
                                        ; implicit-def: $vgpr18
	s_and_saveexec_b32 s3, s2
	s_delay_alu instid0(SALU_CYCLE_1)
	s_xor_b32 s2, exec_lo, s3
; %bb.115:
	v_bfe_u32 v18, v23, 16, 1
	s_delay_alu instid0(VALU_DEP_1)
	v_add3_u32 v18, v23, v18, 0x7fff
                                        ; implicit-def: $vgpr23
; %bb.116:
	s_and_not1_saveexec_b32 s3, s2
; %bb.117:
	v_and_b32_e32 v18, 0xffff, v23
	v_or_b32_e32 v24, 0x10000, v23
	s_delay_alu instid0(VALU_DEP_2) | instskip(NEXT) | instid1(VALU_DEP_1)
	v_cmp_eq_u32_e64 s2, 0, v18
	v_cndmask_b32_e64 v18, v24, v23, s2
; %bb.118:
	s_or_b32 exec_lo, exec_lo, s3
	v_and_b32_e32 v17, 0xffff0000, v17
	v_and_b32_e32 v19, 0xffff0000, v19
	s_delay_alu instid0(VALU_DEP_1) | instskip(NEXT) | instid1(VALU_DEP_1)
	v_fmac_f32_e32 v17, v19, v36
	v_and_b32_e32 v19, 0x7f800000, v17
	s_delay_alu instid0(VALU_DEP_1) | instskip(NEXT) | instid1(VALU_DEP_1)
	v_cmp_ne_u32_e64 s2, 0x7f800000, v19
                                        ; implicit-def: $vgpr19
	s_and_saveexec_b32 s3, s2
	s_delay_alu instid0(SALU_CYCLE_1)
	s_xor_b32 s2, exec_lo, s3
; %bb.119:
	v_bfe_u32 v19, v17, 16, 1
	s_delay_alu instid0(VALU_DEP_1)
	v_add3_u32 v19, v17, v19, 0x7fff
                                        ; implicit-def: $vgpr17
; %bb.120:
	s_and_not1_saveexec_b32 s3, s2
; %bb.121:
	v_and_b32_e32 v19, 0xffff, v17
	v_or_b32_e32 v23, 0x10000, v17
	s_delay_alu instid0(VALU_DEP_2) | instskip(NEXT) | instid1(VALU_DEP_1)
	v_cmp_eq_u32_e64 s2, 0, v19
	v_cndmask_b32_e64 v19, v23, v17, s2
; %bb.122:
	s_or_b32 exec_lo, exec_lo, s3
	v_and_b32_e32 v18, 0xffff0000, v18
	v_lshlrev_b32_e32 v17, 16, v20
	s_delay_alu instid0(VALU_DEP_1) | instskip(NEXT) | instid1(VALU_DEP_1)
	v_fmac_f32_e32 v18, v17, v35
	v_and_b32_e32 v17, 0x7f800000, v18
	s_delay_alu instid0(VALU_DEP_1) | instskip(NEXT) | instid1(VALU_DEP_1)
	v_cmp_ne_u32_e64 s2, 0x7f800000, v17
                                        ; implicit-def: $vgpr17
	s_and_saveexec_b32 s3, s2
	s_delay_alu instid0(SALU_CYCLE_1)
	s_xor_b32 s2, exec_lo, s3
; %bb.123:
	v_bfe_u32 v17, v18, 16, 1
	s_delay_alu instid0(VALU_DEP_1)
	v_add3_u32 v17, v18, v17, 0x7fff
                                        ; implicit-def: $vgpr18
; %bb.124:
	s_and_not1_saveexec_b32 s3, s2
; %bb.125:
	v_and_b32_e32 v17, 0xffff, v18
	v_or_b32_e32 v23, 0x10000, v18
	s_delay_alu instid0(VALU_DEP_2) | instskip(NEXT) | instid1(VALU_DEP_1)
	v_cmp_eq_u32_e64 s2, 0, v17
	v_cndmask_b32_e64 v17, v23, v18, s2
; %bb.126:
	s_or_b32 exec_lo, exec_lo, s3
	v_and_b32_e32 v19, 0xffff0000, v19
	v_and_b32_e32 v18, 0xffff0000, v20
	s_delay_alu instid0(VALU_DEP_1) | instskip(NEXT) | instid1(VALU_DEP_1)
	v_fmac_f32_e32 v19, v18, v34
	v_and_b32_e32 v18, 0x7f800000, v19
	s_delay_alu instid0(VALU_DEP_1) | instskip(NEXT) | instid1(VALU_DEP_1)
	v_cmp_ne_u32_e64 s2, 0x7f800000, v18
                                        ; implicit-def: $vgpr18
	s_and_saveexec_b32 s3, s2
	s_delay_alu instid0(SALU_CYCLE_1)
	s_xor_b32 s2, exec_lo, s3
; %bb.127:
	v_bfe_u32 v18, v19, 16, 1
	s_delay_alu instid0(VALU_DEP_1)
	v_add3_u32 v18, v19, v18, 0x7fff
                                        ; implicit-def: $vgpr19
; %bb.128:
	s_and_not1_saveexec_b32 s3, s2
; %bb.129:
	v_and_b32_e32 v18, 0xffff, v19
	v_or_b32_e32 v20, 0x10000, v19
	s_delay_alu instid0(VALU_DEP_2) | instskip(NEXT) | instid1(VALU_DEP_1)
	v_cmp_eq_u32_e64 s2, 0, v18
	v_cndmask_b32_e64 v18, v20, v19, s2
; %bb.130:
	s_or_b32 exec_lo, exec_lo, s3
	s_waitcnt vmcnt(3)
	v_lshlrev_b32_e32 v19, 16, v13
	s_delay_alu instid0(VALU_DEP_1) | instskip(NEXT) | instid1(VALU_DEP_1)
	v_mul_f32_e32 v20, v41, v19
	v_and_b32_e32 v19, 0x7f800000, v20
	s_delay_alu instid0(VALU_DEP_1) | instskip(NEXT) | instid1(VALU_DEP_1)
	v_cmp_ne_u32_e64 s2, 0x7f800000, v19
                                        ; implicit-def: $vgpr19
	s_and_saveexec_b32 s3, s2
	s_delay_alu instid0(SALU_CYCLE_1)
	s_xor_b32 s2, exec_lo, s3
; %bb.131:
	v_bfe_u32 v19, v20, 16, 1
	s_delay_alu instid0(VALU_DEP_1)
	v_add3_u32 v19, v20, v19, 0x7fff
                                        ; implicit-def: $vgpr20
; %bb.132:
	s_and_not1_saveexec_b32 s3, s2
; %bb.133:
	v_and_b32_e32 v19, 0xffff, v20
	v_or_b32_e32 v23, 0x10000, v20
	s_delay_alu instid0(VALU_DEP_2) | instskip(NEXT) | instid1(VALU_DEP_1)
	v_cmp_eq_u32_e64 s2, 0, v19
	v_cndmask_b32_e64 v19, v23, v20, s2
; %bb.134:
	s_or_b32 exec_lo, exec_lo, s3
	v_and_b32_e32 v13, 0xffff0000, v13
	s_delay_alu instid0(VALU_DEP_1) | instskip(NEXT) | instid1(VALU_DEP_1)
	v_mul_f32_e32 v20, v40, v13
	v_and_b32_e32 v13, 0x7f800000, v20
	s_delay_alu instid0(VALU_DEP_1) | instskip(NEXT) | instid1(VALU_DEP_1)
	v_cmp_ne_u32_e64 s2, 0x7f800000, v13
                                        ; implicit-def: $vgpr13
	s_and_saveexec_b32 s3, s2
	s_delay_alu instid0(SALU_CYCLE_1)
	s_xor_b32 s2, exec_lo, s3
; %bb.135:
	v_bfe_u32 v13, v20, 16, 1
	s_delay_alu instid0(VALU_DEP_1)
	v_add3_u32 v13, v20, v13, 0x7fff
                                        ; implicit-def: $vgpr20
; %bb.136:
	s_and_not1_saveexec_b32 s3, s2
; %bb.137:
	v_and_b32_e32 v13, 0xffff, v20
	v_or_b32_e32 v23, 0x10000, v20
	s_delay_alu instid0(VALU_DEP_2) | instskip(NEXT) | instid1(VALU_DEP_1)
	v_cmp_eq_u32_e64 s2, 0, v13
	v_cndmask_b32_e64 v13, v23, v20, s2
; %bb.138:
	s_or_b32 exec_lo, exec_lo, s3
	v_and_b32_e32 v20, 0xffff0000, v19
	v_lshlrev_b32_e32 v19, 16, v14
	s_delay_alu instid0(VALU_DEP_1) | instskip(NEXT) | instid1(VALU_DEP_1)
	v_fmac_f32_e32 v20, v19, v39
	v_and_b32_e32 v19, 0x7f800000, v20
	s_delay_alu instid0(VALU_DEP_1) | instskip(NEXT) | instid1(VALU_DEP_1)
	v_cmp_ne_u32_e64 s2, 0x7f800000, v19
                                        ; implicit-def: $vgpr19
	s_and_saveexec_b32 s3, s2
	s_delay_alu instid0(SALU_CYCLE_1)
	s_xor_b32 s2, exec_lo, s3
; %bb.139:
	v_bfe_u32 v19, v20, 16, 1
	s_delay_alu instid0(VALU_DEP_1)
	v_add3_u32 v19, v20, v19, 0x7fff
                                        ; implicit-def: $vgpr20
; %bb.140:
	s_and_not1_saveexec_b32 s3, s2
; %bb.141:
	v_and_b32_e32 v19, 0xffff, v20
	v_or_b32_e32 v23, 0x10000, v20
	s_delay_alu instid0(VALU_DEP_2) | instskip(NEXT) | instid1(VALU_DEP_1)
	v_cmp_eq_u32_e64 s2, 0, v19
	v_cndmask_b32_e64 v19, v23, v20, s2
; %bb.142:
	s_or_b32 exec_lo, exec_lo, s3
	v_and_b32_e32 v20, 0xffff0000, v13
	v_and_b32_e32 v13, 0xffff0000, v14
	s_delay_alu instid0(VALU_DEP_1) | instskip(NEXT) | instid1(VALU_DEP_1)
	v_fmac_f32_e32 v20, v13, v38
	v_and_b32_e32 v13, 0x7f800000, v20
	s_delay_alu instid0(VALU_DEP_1) | instskip(NEXT) | instid1(VALU_DEP_1)
	v_cmp_ne_u32_e64 s2, 0x7f800000, v13
                                        ; implicit-def: $vgpr13
	s_and_saveexec_b32 s3, s2
	s_delay_alu instid0(SALU_CYCLE_1)
	s_xor_b32 s2, exec_lo, s3
; %bb.143:
	v_bfe_u32 v13, v20, 16, 1
	s_delay_alu instid0(VALU_DEP_1)
	v_add3_u32 v13, v20, v13, 0x7fff
                                        ; implicit-def: $vgpr20
; %bb.144:
	s_and_not1_saveexec_b32 s3, s2
; %bb.145:
	v_and_b32_e32 v13, 0xffff, v20
	v_or_b32_e32 v14, 0x10000, v20
	s_delay_alu instid0(VALU_DEP_2) | instskip(NEXT) | instid1(VALU_DEP_1)
	v_cmp_eq_u32_e64 s2, 0, v13
	v_cndmask_b32_e64 v13, v14, v20, s2
; %bb.146:
	s_or_b32 exec_lo, exec_lo, s3
	v_and_b32_e32 v19, 0xffff0000, v19
	v_lshlrev_b32_e32 v14, 16, v15
	s_delay_alu instid0(VALU_DEP_1) | instskip(NEXT) | instid1(VALU_DEP_1)
	v_fmac_f32_e32 v19, v14, v37
	v_and_b32_e32 v14, 0x7f800000, v19
	s_delay_alu instid0(VALU_DEP_1) | instskip(NEXT) | instid1(VALU_DEP_1)
	v_cmp_ne_u32_e64 s2, 0x7f800000, v14
                                        ; implicit-def: $vgpr14
	s_and_saveexec_b32 s3, s2
	s_delay_alu instid0(SALU_CYCLE_1)
	s_xor_b32 s2, exec_lo, s3
; %bb.147:
	v_bfe_u32 v14, v19, 16, 1
	s_delay_alu instid0(VALU_DEP_1)
	v_add3_u32 v14, v19, v14, 0x7fff
                                        ; implicit-def: $vgpr19
; %bb.148:
	s_and_not1_saveexec_b32 s3, s2
; %bb.149:
	v_and_b32_e32 v14, 0xffff, v19
	v_or_b32_e32 v20, 0x10000, v19
	s_delay_alu instid0(VALU_DEP_2) | instskip(NEXT) | instid1(VALU_DEP_1)
	v_cmp_eq_u32_e64 s2, 0, v14
	v_cndmask_b32_e64 v14, v20, v19, s2
; %bb.150:
	s_or_b32 exec_lo, exec_lo, s3
	v_and_b32_e32 v13, 0xffff0000, v13
	v_and_b32_e32 v15, 0xffff0000, v15
	s_delay_alu instid0(VALU_DEP_1) | instskip(NEXT) | instid1(VALU_DEP_1)
	v_fmac_f32_e32 v13, v15, v36
	v_and_b32_e32 v15, 0x7f800000, v13
	s_delay_alu instid0(VALU_DEP_1) | instskip(NEXT) | instid1(VALU_DEP_1)
	v_cmp_ne_u32_e64 s2, 0x7f800000, v15
                                        ; implicit-def: $vgpr15
	s_and_saveexec_b32 s3, s2
	s_delay_alu instid0(SALU_CYCLE_1)
	s_xor_b32 s2, exec_lo, s3
; %bb.151:
	v_bfe_u32 v15, v13, 16, 1
	s_delay_alu instid0(VALU_DEP_1)
	v_add3_u32 v15, v13, v15, 0x7fff
                                        ; implicit-def: $vgpr13
; %bb.152:
	s_and_not1_saveexec_b32 s3, s2
; %bb.153:
	v_and_b32_e32 v15, 0xffff, v13
	v_or_b32_e32 v19, 0x10000, v13
	s_delay_alu instid0(VALU_DEP_2) | instskip(NEXT) | instid1(VALU_DEP_1)
	v_cmp_eq_u32_e64 s2, 0, v15
	v_cndmask_b32_e64 v15, v19, v13, s2
; %bb.154:
	s_or_b32 exec_lo, exec_lo, s3
	v_and_b32_e32 v14, 0xffff0000, v14
	v_lshlrev_b32_e32 v13, 16, v16
	s_delay_alu instid0(VALU_DEP_1) | instskip(NEXT) | instid1(VALU_DEP_1)
	v_fmac_f32_e32 v14, v13, v35
	v_and_b32_e32 v13, 0x7f800000, v14
	s_delay_alu instid0(VALU_DEP_1) | instskip(NEXT) | instid1(VALU_DEP_1)
	v_cmp_ne_u32_e64 s2, 0x7f800000, v13
                                        ; implicit-def: $vgpr13
	s_and_saveexec_b32 s3, s2
	s_delay_alu instid0(SALU_CYCLE_1)
	s_xor_b32 s2, exec_lo, s3
; %bb.155:
	v_bfe_u32 v13, v14, 16, 1
	s_delay_alu instid0(VALU_DEP_1)
	v_add3_u32 v13, v14, v13, 0x7fff
                                        ; implicit-def: $vgpr14
; %bb.156:
	s_and_not1_saveexec_b32 s3, s2
; %bb.157:
	v_and_b32_e32 v13, 0xffff, v14
	v_or_b32_e32 v19, 0x10000, v14
	s_delay_alu instid0(VALU_DEP_2) | instskip(NEXT) | instid1(VALU_DEP_1)
	v_cmp_eq_u32_e64 s2, 0, v13
	v_cndmask_b32_e64 v13, v19, v14, s2
; %bb.158:
	s_or_b32 exec_lo, exec_lo, s3
	v_and_b32_e32 v15, 0xffff0000, v15
	v_and_b32_e32 v14, 0xffff0000, v16
	s_delay_alu instid0(VALU_DEP_1) | instskip(NEXT) | instid1(VALU_DEP_1)
	v_fmac_f32_e32 v15, v14, v34
	v_and_b32_e32 v14, 0x7f800000, v15
	s_delay_alu instid0(VALU_DEP_1) | instskip(NEXT) | instid1(VALU_DEP_1)
	v_cmp_ne_u32_e64 s2, 0x7f800000, v14
                                        ; implicit-def: $vgpr14
	s_and_saveexec_b32 s3, s2
	s_delay_alu instid0(SALU_CYCLE_1)
	s_xor_b32 s2, exec_lo, s3
; %bb.159:
	v_bfe_u32 v14, v15, 16, 1
	s_delay_alu instid0(VALU_DEP_1)
	v_add3_u32 v14, v15, v14, 0x7fff
                                        ; implicit-def: $vgpr15
; %bb.160:
	s_and_not1_saveexec_b32 s3, s2
; %bb.161:
	v_and_b32_e32 v14, 0xffff, v15
	v_or_b32_e32 v16, 0x10000, v15
	s_delay_alu instid0(VALU_DEP_2) | instskip(NEXT) | instid1(VALU_DEP_1)
	v_cmp_eq_u32_e64 s2, 0, v14
	v_cndmask_b32_e64 v14, v16, v15, s2
; %bb.162:
	s_or_b32 exec_lo, exec_lo, s3
	s_waitcnt vmcnt(2)
	v_lshlrev_b32_e32 v15, 16, v9
	s_delay_alu instid0(VALU_DEP_1) | instskip(NEXT) | instid1(VALU_DEP_1)
	v_mul_f32_e32 v16, v41, v15
	v_and_b32_e32 v15, 0x7f800000, v16
	s_delay_alu instid0(VALU_DEP_1) | instskip(NEXT) | instid1(VALU_DEP_1)
	v_cmp_ne_u32_e64 s2, 0x7f800000, v15
                                        ; implicit-def: $vgpr15
	s_and_saveexec_b32 s3, s2
	s_delay_alu instid0(SALU_CYCLE_1)
	s_xor_b32 s2, exec_lo, s3
; %bb.163:
	v_bfe_u32 v15, v16, 16, 1
	s_delay_alu instid0(VALU_DEP_1)
	v_add3_u32 v15, v16, v15, 0x7fff
                                        ; implicit-def: $vgpr16
; %bb.164:
	s_and_not1_saveexec_b32 s3, s2
; %bb.165:
	v_and_b32_e32 v15, 0xffff, v16
	v_or_b32_e32 v19, 0x10000, v16
	s_delay_alu instid0(VALU_DEP_2) | instskip(NEXT) | instid1(VALU_DEP_1)
	v_cmp_eq_u32_e64 s2, 0, v15
	v_cndmask_b32_e64 v15, v19, v16, s2
; %bb.166:
	s_or_b32 exec_lo, exec_lo, s3
	v_and_b32_e32 v9, 0xffff0000, v9
	s_delay_alu instid0(VALU_DEP_1) | instskip(NEXT) | instid1(VALU_DEP_1)
	v_mul_f32_e32 v16, v40, v9
	v_and_b32_e32 v9, 0x7f800000, v16
	s_delay_alu instid0(VALU_DEP_1) | instskip(NEXT) | instid1(VALU_DEP_1)
	v_cmp_ne_u32_e64 s2, 0x7f800000, v9
                                        ; implicit-def: $vgpr9
	s_and_saveexec_b32 s3, s2
	s_delay_alu instid0(SALU_CYCLE_1)
	s_xor_b32 s2, exec_lo, s3
; %bb.167:
	v_bfe_u32 v9, v16, 16, 1
	s_delay_alu instid0(VALU_DEP_1)
	v_add3_u32 v9, v16, v9, 0x7fff
                                        ; implicit-def: $vgpr16
; %bb.168:
	s_and_not1_saveexec_b32 s3, s2
; %bb.169:
	v_and_b32_e32 v9, 0xffff, v16
	v_or_b32_e32 v19, 0x10000, v16
	s_delay_alu instid0(VALU_DEP_2) | instskip(NEXT) | instid1(VALU_DEP_1)
	v_cmp_eq_u32_e64 s2, 0, v9
	v_cndmask_b32_e64 v9, v19, v16, s2
; %bb.170:
	s_or_b32 exec_lo, exec_lo, s3
	v_and_b32_e32 v16, 0xffff0000, v15
	v_lshlrev_b32_e32 v15, 16, v10
	s_delay_alu instid0(VALU_DEP_1) | instskip(NEXT) | instid1(VALU_DEP_1)
	v_fmac_f32_e32 v16, v15, v39
	v_and_b32_e32 v15, 0x7f800000, v16
	s_delay_alu instid0(VALU_DEP_1) | instskip(NEXT) | instid1(VALU_DEP_1)
	v_cmp_ne_u32_e64 s2, 0x7f800000, v15
                                        ; implicit-def: $vgpr15
	s_and_saveexec_b32 s3, s2
	s_delay_alu instid0(SALU_CYCLE_1)
	s_xor_b32 s2, exec_lo, s3
; %bb.171:
	v_bfe_u32 v15, v16, 16, 1
	s_delay_alu instid0(VALU_DEP_1)
	v_add3_u32 v15, v16, v15, 0x7fff
                                        ; implicit-def: $vgpr16
; %bb.172:
	s_and_not1_saveexec_b32 s3, s2
; %bb.173:
	v_and_b32_e32 v15, 0xffff, v16
	v_or_b32_e32 v19, 0x10000, v16
	s_delay_alu instid0(VALU_DEP_2) | instskip(NEXT) | instid1(VALU_DEP_1)
	v_cmp_eq_u32_e64 s2, 0, v15
	v_cndmask_b32_e64 v15, v19, v16, s2
; %bb.174:
	s_or_b32 exec_lo, exec_lo, s3
	v_and_b32_e32 v16, 0xffff0000, v9
	v_and_b32_e32 v9, 0xffff0000, v10
	s_delay_alu instid0(VALU_DEP_1) | instskip(NEXT) | instid1(VALU_DEP_1)
	v_fmac_f32_e32 v16, v9, v38
	v_and_b32_e32 v9, 0x7f800000, v16
	s_delay_alu instid0(VALU_DEP_1) | instskip(NEXT) | instid1(VALU_DEP_1)
	v_cmp_ne_u32_e64 s2, 0x7f800000, v9
                                        ; implicit-def: $vgpr9
	s_and_saveexec_b32 s3, s2
	s_delay_alu instid0(SALU_CYCLE_1)
	s_xor_b32 s2, exec_lo, s3
; %bb.175:
	v_bfe_u32 v9, v16, 16, 1
	s_delay_alu instid0(VALU_DEP_1)
	v_add3_u32 v9, v16, v9, 0x7fff
                                        ; implicit-def: $vgpr16
; %bb.176:
	s_and_not1_saveexec_b32 s3, s2
; %bb.177:
	v_and_b32_e32 v9, 0xffff, v16
	v_or_b32_e32 v10, 0x10000, v16
	s_delay_alu instid0(VALU_DEP_2) | instskip(NEXT) | instid1(VALU_DEP_1)
	v_cmp_eq_u32_e64 s2, 0, v9
	v_cndmask_b32_e64 v9, v10, v16, s2
; %bb.178:
	s_or_b32 exec_lo, exec_lo, s3
	v_and_b32_e32 v15, 0xffff0000, v15
	v_lshlrev_b32_e32 v10, 16, v11
	s_delay_alu instid0(VALU_DEP_1) | instskip(NEXT) | instid1(VALU_DEP_1)
	v_fmac_f32_e32 v15, v10, v37
	v_and_b32_e32 v10, 0x7f800000, v15
	s_delay_alu instid0(VALU_DEP_1) | instskip(NEXT) | instid1(VALU_DEP_1)
	v_cmp_ne_u32_e64 s2, 0x7f800000, v10
                                        ; implicit-def: $vgpr10
	s_and_saveexec_b32 s3, s2
	s_delay_alu instid0(SALU_CYCLE_1)
	s_xor_b32 s2, exec_lo, s3
; %bb.179:
	v_bfe_u32 v10, v15, 16, 1
	s_delay_alu instid0(VALU_DEP_1)
	v_add3_u32 v10, v15, v10, 0x7fff
                                        ; implicit-def: $vgpr15
; %bb.180:
	s_and_not1_saveexec_b32 s3, s2
; %bb.181:
	v_and_b32_e32 v10, 0xffff, v15
	v_or_b32_e32 v16, 0x10000, v15
	s_delay_alu instid0(VALU_DEP_2) | instskip(NEXT) | instid1(VALU_DEP_1)
	v_cmp_eq_u32_e64 s2, 0, v10
	v_cndmask_b32_e64 v10, v16, v15, s2
; %bb.182:
	s_or_b32 exec_lo, exec_lo, s3
	v_and_b32_e32 v9, 0xffff0000, v9
	v_and_b32_e32 v11, 0xffff0000, v11
	s_delay_alu instid0(VALU_DEP_1) | instskip(NEXT) | instid1(VALU_DEP_1)
	v_fmac_f32_e32 v9, v11, v36
	v_and_b32_e32 v11, 0x7f800000, v9
	s_delay_alu instid0(VALU_DEP_1) | instskip(NEXT) | instid1(VALU_DEP_1)
	v_cmp_ne_u32_e64 s2, 0x7f800000, v11
                                        ; implicit-def: $vgpr11
	s_and_saveexec_b32 s3, s2
	s_delay_alu instid0(SALU_CYCLE_1)
	s_xor_b32 s2, exec_lo, s3
; %bb.183:
	v_bfe_u32 v11, v9, 16, 1
	s_delay_alu instid0(VALU_DEP_1)
	v_add3_u32 v11, v9, v11, 0x7fff
                                        ; implicit-def: $vgpr9
; %bb.184:
	s_and_not1_saveexec_b32 s3, s2
; %bb.185:
	v_and_b32_e32 v11, 0xffff, v9
	v_or_b32_e32 v15, 0x10000, v9
	s_delay_alu instid0(VALU_DEP_2) | instskip(NEXT) | instid1(VALU_DEP_1)
	v_cmp_eq_u32_e64 s2, 0, v11
	v_cndmask_b32_e64 v11, v15, v9, s2
; %bb.186:
	s_or_b32 exec_lo, exec_lo, s3
	v_and_b32_e32 v10, 0xffff0000, v10
	v_lshlrev_b32_e32 v9, 16, v12
	s_delay_alu instid0(VALU_DEP_1) | instskip(NEXT) | instid1(VALU_DEP_1)
	v_fmac_f32_e32 v10, v9, v35
	v_and_b32_e32 v9, 0x7f800000, v10
	s_delay_alu instid0(VALU_DEP_1) | instskip(NEXT) | instid1(VALU_DEP_1)
	v_cmp_ne_u32_e64 s2, 0x7f800000, v9
                                        ; implicit-def: $vgpr9
	s_and_saveexec_b32 s3, s2
	s_delay_alu instid0(SALU_CYCLE_1)
	s_xor_b32 s2, exec_lo, s3
; %bb.187:
	v_bfe_u32 v9, v10, 16, 1
	s_delay_alu instid0(VALU_DEP_1)
	v_add3_u32 v9, v10, v9, 0x7fff
                                        ; implicit-def: $vgpr10
; %bb.188:
	s_and_not1_saveexec_b32 s3, s2
; %bb.189:
	v_and_b32_e32 v9, 0xffff, v10
	v_or_b32_e32 v15, 0x10000, v10
	s_delay_alu instid0(VALU_DEP_2) | instskip(NEXT) | instid1(VALU_DEP_1)
	v_cmp_eq_u32_e64 s2, 0, v9
	v_cndmask_b32_e64 v9, v15, v10, s2
; %bb.190:
	s_or_b32 exec_lo, exec_lo, s3
	v_and_b32_e32 v11, 0xffff0000, v11
	v_and_b32_e32 v10, 0xffff0000, v12
	s_delay_alu instid0(VALU_DEP_1) | instskip(NEXT) | instid1(VALU_DEP_1)
	v_fmac_f32_e32 v11, v10, v34
	v_and_b32_e32 v10, 0x7f800000, v11
	s_delay_alu instid0(VALU_DEP_1) | instskip(NEXT) | instid1(VALU_DEP_1)
	v_cmp_ne_u32_e64 s2, 0x7f800000, v10
                                        ; implicit-def: $vgpr10
	s_and_saveexec_b32 s3, s2
	s_delay_alu instid0(SALU_CYCLE_1)
	s_xor_b32 s2, exec_lo, s3
; %bb.191:
	v_bfe_u32 v10, v11, 16, 1
	s_delay_alu instid0(VALU_DEP_1)
	v_add3_u32 v10, v11, v10, 0x7fff
                                        ; implicit-def: $vgpr11
; %bb.192:
	s_and_not1_saveexec_b32 s3, s2
; %bb.193:
	v_and_b32_e32 v10, 0xffff, v11
	v_or_b32_e32 v12, 0x10000, v11
	s_delay_alu instid0(VALU_DEP_2) | instskip(NEXT) | instid1(VALU_DEP_1)
	v_cmp_eq_u32_e64 s2, 0, v10
	v_cndmask_b32_e64 v10, v12, v11, s2
; %bb.194:
	s_or_b32 exec_lo, exec_lo, s3
	s_waitcnt vmcnt(1)
	v_lshlrev_b32_e32 v11, 16, v5
	s_delay_alu instid0(VALU_DEP_1) | instskip(NEXT) | instid1(VALU_DEP_1)
	v_mul_f32_e32 v12, v41, v11
	v_and_b32_e32 v11, 0x7f800000, v12
	s_delay_alu instid0(VALU_DEP_1) | instskip(NEXT) | instid1(VALU_DEP_1)
	v_cmp_ne_u32_e64 s2, 0x7f800000, v11
                                        ; implicit-def: $vgpr11
	s_and_saveexec_b32 s3, s2
	s_delay_alu instid0(SALU_CYCLE_1)
	s_xor_b32 s2, exec_lo, s3
; %bb.195:
	v_bfe_u32 v11, v12, 16, 1
	s_delay_alu instid0(VALU_DEP_1)
	v_add3_u32 v11, v12, v11, 0x7fff
                                        ; implicit-def: $vgpr12
; %bb.196:
	s_and_not1_saveexec_b32 s3, s2
; %bb.197:
	v_and_b32_e32 v11, 0xffff, v12
	v_or_b32_e32 v15, 0x10000, v12
	s_delay_alu instid0(VALU_DEP_2) | instskip(NEXT) | instid1(VALU_DEP_1)
	v_cmp_eq_u32_e64 s2, 0, v11
	v_cndmask_b32_e64 v11, v15, v12, s2
; %bb.198:
	s_or_b32 exec_lo, exec_lo, s3
	v_and_b32_e32 v5, 0xffff0000, v5
	s_delay_alu instid0(VALU_DEP_1) | instskip(NEXT) | instid1(VALU_DEP_1)
	v_mul_f32_e32 v12, v40, v5
	v_and_b32_e32 v5, 0x7f800000, v12
	s_delay_alu instid0(VALU_DEP_1) | instskip(NEXT) | instid1(VALU_DEP_1)
	v_cmp_ne_u32_e64 s2, 0x7f800000, v5
                                        ; implicit-def: $vgpr5
	s_and_saveexec_b32 s3, s2
	s_delay_alu instid0(SALU_CYCLE_1)
	s_xor_b32 s2, exec_lo, s3
; %bb.199:
	v_bfe_u32 v5, v12, 16, 1
	s_delay_alu instid0(VALU_DEP_1)
	v_add3_u32 v5, v12, v5, 0x7fff
                                        ; implicit-def: $vgpr12
; %bb.200:
	s_and_not1_saveexec_b32 s3, s2
; %bb.201:
	v_and_b32_e32 v5, 0xffff, v12
	v_or_b32_e32 v15, 0x10000, v12
	s_delay_alu instid0(VALU_DEP_2) | instskip(NEXT) | instid1(VALU_DEP_1)
	v_cmp_eq_u32_e64 s2, 0, v5
	v_cndmask_b32_e64 v5, v15, v12, s2
; %bb.202:
	s_or_b32 exec_lo, exec_lo, s3
	v_and_b32_e32 v12, 0xffff0000, v11
	v_lshlrev_b32_e32 v11, 16, v6
	s_delay_alu instid0(VALU_DEP_1) | instskip(NEXT) | instid1(VALU_DEP_1)
	v_fmac_f32_e32 v12, v11, v39
	v_and_b32_e32 v11, 0x7f800000, v12
	s_delay_alu instid0(VALU_DEP_1) | instskip(NEXT) | instid1(VALU_DEP_1)
	v_cmp_ne_u32_e64 s2, 0x7f800000, v11
                                        ; implicit-def: $vgpr11
	s_and_saveexec_b32 s3, s2
	s_delay_alu instid0(SALU_CYCLE_1)
	s_xor_b32 s2, exec_lo, s3
; %bb.203:
	v_bfe_u32 v11, v12, 16, 1
	s_delay_alu instid0(VALU_DEP_1)
	v_add3_u32 v11, v12, v11, 0x7fff
                                        ; implicit-def: $vgpr12
; %bb.204:
	s_and_not1_saveexec_b32 s3, s2
; %bb.205:
	v_and_b32_e32 v11, 0xffff, v12
	v_or_b32_e32 v15, 0x10000, v12
	s_delay_alu instid0(VALU_DEP_2) | instskip(NEXT) | instid1(VALU_DEP_1)
	v_cmp_eq_u32_e64 s2, 0, v11
	v_cndmask_b32_e64 v11, v15, v12, s2
; %bb.206:
	s_or_b32 exec_lo, exec_lo, s3
	v_and_b32_e32 v12, 0xffff0000, v5
	v_and_b32_e32 v5, 0xffff0000, v6
	s_delay_alu instid0(VALU_DEP_1) | instskip(NEXT) | instid1(VALU_DEP_1)
	v_fmac_f32_e32 v12, v5, v38
	v_and_b32_e32 v5, 0x7f800000, v12
	s_delay_alu instid0(VALU_DEP_1) | instskip(NEXT) | instid1(VALU_DEP_1)
	v_cmp_ne_u32_e64 s2, 0x7f800000, v5
                                        ; implicit-def: $vgpr5
	s_and_saveexec_b32 s3, s2
	s_delay_alu instid0(SALU_CYCLE_1)
	s_xor_b32 s2, exec_lo, s3
; %bb.207:
	v_bfe_u32 v5, v12, 16, 1
	s_delay_alu instid0(VALU_DEP_1)
	v_add3_u32 v5, v12, v5, 0x7fff
                                        ; implicit-def: $vgpr12
; %bb.208:
	s_and_not1_saveexec_b32 s3, s2
; %bb.209:
	v_and_b32_e32 v5, 0xffff, v12
	v_or_b32_e32 v6, 0x10000, v12
	s_delay_alu instid0(VALU_DEP_2) | instskip(NEXT) | instid1(VALU_DEP_1)
	v_cmp_eq_u32_e64 s2, 0, v5
	v_cndmask_b32_e64 v5, v6, v12, s2
; %bb.210:
	s_or_b32 exec_lo, exec_lo, s3
	v_and_b32_e32 v11, 0xffff0000, v11
	v_lshlrev_b32_e32 v6, 16, v7
	s_delay_alu instid0(VALU_DEP_1) | instskip(NEXT) | instid1(VALU_DEP_1)
	v_fmac_f32_e32 v11, v6, v37
	v_and_b32_e32 v6, 0x7f800000, v11
	s_delay_alu instid0(VALU_DEP_1) | instskip(NEXT) | instid1(VALU_DEP_1)
	v_cmp_ne_u32_e64 s2, 0x7f800000, v6
                                        ; implicit-def: $vgpr6
	s_and_saveexec_b32 s3, s2
	s_delay_alu instid0(SALU_CYCLE_1)
	s_xor_b32 s2, exec_lo, s3
; %bb.211:
	v_bfe_u32 v6, v11, 16, 1
	s_delay_alu instid0(VALU_DEP_1)
	v_add3_u32 v6, v11, v6, 0x7fff
                                        ; implicit-def: $vgpr11
; %bb.212:
	s_and_not1_saveexec_b32 s3, s2
; %bb.213:
	v_and_b32_e32 v6, 0xffff, v11
	v_or_b32_e32 v12, 0x10000, v11
	s_delay_alu instid0(VALU_DEP_2) | instskip(NEXT) | instid1(VALU_DEP_1)
	v_cmp_eq_u32_e64 s2, 0, v6
	v_cndmask_b32_e64 v6, v12, v11, s2
; %bb.214:
	s_or_b32 exec_lo, exec_lo, s3
	v_and_b32_e32 v5, 0xffff0000, v5
	v_and_b32_e32 v7, 0xffff0000, v7
	s_delay_alu instid0(VALU_DEP_1) | instskip(NEXT) | instid1(VALU_DEP_1)
	v_fmac_f32_e32 v5, v7, v36
	v_and_b32_e32 v7, 0x7f800000, v5
	s_delay_alu instid0(VALU_DEP_1) | instskip(NEXT) | instid1(VALU_DEP_1)
	v_cmp_ne_u32_e64 s2, 0x7f800000, v7
                                        ; implicit-def: $vgpr7
	s_and_saveexec_b32 s3, s2
	s_delay_alu instid0(SALU_CYCLE_1)
	s_xor_b32 s2, exec_lo, s3
; %bb.215:
	v_bfe_u32 v7, v5, 16, 1
	s_delay_alu instid0(VALU_DEP_1)
	v_add3_u32 v7, v5, v7, 0x7fff
                                        ; implicit-def: $vgpr5
; %bb.216:
	s_and_not1_saveexec_b32 s3, s2
; %bb.217:
	v_and_b32_e32 v7, 0xffff, v5
	v_or_b32_e32 v11, 0x10000, v5
	s_delay_alu instid0(VALU_DEP_2) | instskip(NEXT) | instid1(VALU_DEP_1)
	v_cmp_eq_u32_e64 s2, 0, v7
	v_cndmask_b32_e64 v7, v11, v5, s2
; %bb.218:
	s_or_b32 exec_lo, exec_lo, s3
	v_and_b32_e32 v6, 0xffff0000, v6
	v_lshlrev_b32_e32 v5, 16, v8
	s_delay_alu instid0(VALU_DEP_1) | instskip(NEXT) | instid1(VALU_DEP_1)
	v_fmac_f32_e32 v6, v5, v35
	v_and_b32_e32 v5, 0x7f800000, v6
	s_delay_alu instid0(VALU_DEP_1) | instskip(NEXT) | instid1(VALU_DEP_1)
	v_cmp_ne_u32_e64 s2, 0x7f800000, v5
                                        ; implicit-def: $vgpr5
	s_and_saveexec_b32 s3, s2
	s_delay_alu instid0(SALU_CYCLE_1)
	s_xor_b32 s2, exec_lo, s3
; %bb.219:
	v_bfe_u32 v5, v6, 16, 1
	s_delay_alu instid0(VALU_DEP_1)
	v_add3_u32 v5, v6, v5, 0x7fff
                                        ; implicit-def: $vgpr6
; %bb.220:
	s_and_not1_saveexec_b32 s3, s2
; %bb.221:
	v_and_b32_e32 v5, 0xffff, v6
	v_or_b32_e32 v11, 0x10000, v6
	s_delay_alu instid0(VALU_DEP_2) | instskip(NEXT) | instid1(VALU_DEP_1)
	v_cmp_eq_u32_e64 s2, 0, v5
	v_cndmask_b32_e64 v5, v11, v6, s2
; %bb.222:
	s_or_b32 exec_lo, exec_lo, s3
	v_and_b32_e32 v7, 0xffff0000, v7
	v_and_b32_e32 v6, 0xffff0000, v8
	s_delay_alu instid0(VALU_DEP_1) | instskip(NEXT) | instid1(VALU_DEP_1)
	v_fmac_f32_e32 v7, v6, v34
	v_and_b32_e32 v6, 0x7f800000, v7
	s_delay_alu instid0(VALU_DEP_1) | instskip(NEXT) | instid1(VALU_DEP_1)
	v_cmp_ne_u32_e64 s2, 0x7f800000, v6
                                        ; implicit-def: $vgpr6
	s_and_saveexec_b32 s3, s2
	s_delay_alu instid0(SALU_CYCLE_1)
	s_xor_b32 s2, exec_lo, s3
; %bb.223:
	v_bfe_u32 v6, v7, 16, 1
	s_delay_alu instid0(VALU_DEP_1)
	v_add3_u32 v6, v7, v6, 0x7fff
                                        ; implicit-def: $vgpr7
; %bb.224:
	s_and_not1_saveexec_b32 s3, s2
; %bb.225:
	v_and_b32_e32 v6, 0xffff, v7
	v_or_b32_e32 v8, 0x10000, v7
	s_delay_alu instid0(VALU_DEP_2) | instskip(NEXT) | instid1(VALU_DEP_1)
	v_cmp_eq_u32_e64 s2, 0, v6
	v_cndmask_b32_e64 v6, v8, v7, s2
; %bb.226:
	s_or_b32 exec_lo, exec_lo, s3
	s_waitcnt vmcnt(0)
	v_lshlrev_b32_e32 v7, 16, v1
	s_delay_alu instid0(VALU_DEP_1) | instskip(NEXT) | instid1(VALU_DEP_1)
	v_mul_f32_e32 v8, v41, v7
	v_and_b32_e32 v7, 0x7f800000, v8
	s_delay_alu instid0(VALU_DEP_1) | instskip(NEXT) | instid1(VALU_DEP_1)
	v_cmp_ne_u32_e64 s2, 0x7f800000, v7
                                        ; implicit-def: $vgpr7
	s_and_saveexec_b32 s3, s2
	s_delay_alu instid0(SALU_CYCLE_1)
	s_xor_b32 s2, exec_lo, s3
; %bb.227:
	v_bfe_u32 v7, v8, 16, 1
	s_delay_alu instid0(VALU_DEP_1)
	v_add3_u32 v7, v8, v7, 0x7fff
                                        ; implicit-def: $vgpr8
; %bb.228:
	s_and_not1_saveexec_b32 s3, s2
; %bb.229:
	v_and_b32_e32 v7, 0xffff, v8
	v_or_b32_e32 v11, 0x10000, v8
	s_delay_alu instid0(VALU_DEP_2) | instskip(NEXT) | instid1(VALU_DEP_1)
	v_cmp_eq_u32_e64 s2, 0, v7
	v_cndmask_b32_e64 v7, v11, v8, s2
; %bb.230:
	s_or_b32 exec_lo, exec_lo, s3
	v_and_b32_e32 v1, 0xffff0000, v1
	s_delay_alu instid0(VALU_DEP_1) | instskip(NEXT) | instid1(VALU_DEP_1)
	v_mul_f32_e32 v8, v40, v1
	v_and_b32_e32 v1, 0x7f800000, v8
	s_delay_alu instid0(VALU_DEP_1) | instskip(NEXT) | instid1(VALU_DEP_1)
	v_cmp_ne_u32_e64 s2, 0x7f800000, v1
                                        ; implicit-def: $vgpr1
	s_and_saveexec_b32 s3, s2
	s_delay_alu instid0(SALU_CYCLE_1)
	s_xor_b32 s2, exec_lo, s3
; %bb.231:
	v_bfe_u32 v1, v8, 16, 1
	s_delay_alu instid0(VALU_DEP_1)
	v_add3_u32 v1, v8, v1, 0x7fff
                                        ; implicit-def: $vgpr8
; %bb.232:
	s_and_not1_saveexec_b32 s3, s2
; %bb.233:
	v_and_b32_e32 v1, 0xffff, v8
	v_or_b32_e32 v11, 0x10000, v8
	s_delay_alu instid0(VALU_DEP_2) | instskip(NEXT) | instid1(VALU_DEP_1)
	v_cmp_eq_u32_e64 s2, 0, v1
	v_cndmask_b32_e64 v1, v11, v8, s2
; %bb.234:
	s_or_b32 exec_lo, exec_lo, s3
	v_and_b32_e32 v8, 0xffff0000, v7
	v_lshlrev_b32_e32 v7, 16, v2
	s_delay_alu instid0(VALU_DEP_1) | instskip(NEXT) | instid1(VALU_DEP_1)
	v_fmac_f32_e32 v8, v7, v39
	v_and_b32_e32 v7, 0x7f800000, v8
	s_delay_alu instid0(VALU_DEP_1) | instskip(NEXT) | instid1(VALU_DEP_1)
	v_cmp_ne_u32_e64 s2, 0x7f800000, v7
                                        ; implicit-def: $vgpr7
	s_and_saveexec_b32 s3, s2
	s_delay_alu instid0(SALU_CYCLE_1)
	s_xor_b32 s2, exec_lo, s3
; %bb.235:
	v_bfe_u32 v7, v8, 16, 1
	s_delay_alu instid0(VALU_DEP_1)
	v_add3_u32 v7, v8, v7, 0x7fff
                                        ; implicit-def: $vgpr8
; %bb.236:
	s_and_not1_saveexec_b32 s3, s2
; %bb.237:
	v_and_b32_e32 v7, 0xffff, v8
	v_or_b32_e32 v11, 0x10000, v8
	s_delay_alu instid0(VALU_DEP_2) | instskip(NEXT) | instid1(VALU_DEP_1)
	v_cmp_eq_u32_e64 s2, 0, v7
	v_cndmask_b32_e64 v7, v11, v8, s2
; %bb.238:
	s_or_b32 exec_lo, exec_lo, s3
	v_and_b32_e32 v8, 0xffff0000, v1
	v_and_b32_e32 v1, 0xffff0000, v2
	s_delay_alu instid0(VALU_DEP_1) | instskip(NEXT) | instid1(VALU_DEP_1)
	v_fmac_f32_e32 v8, v1, v38
	v_and_b32_e32 v1, 0x7f800000, v8
	s_delay_alu instid0(VALU_DEP_1) | instskip(NEXT) | instid1(VALU_DEP_1)
	v_cmp_ne_u32_e64 s2, 0x7f800000, v1
                                        ; implicit-def: $vgpr1
	s_and_saveexec_b32 s3, s2
	s_delay_alu instid0(SALU_CYCLE_1)
	s_xor_b32 s2, exec_lo, s3
; %bb.239:
	v_bfe_u32 v1, v8, 16, 1
	s_delay_alu instid0(VALU_DEP_1)
	v_add3_u32 v1, v8, v1, 0x7fff
                                        ; implicit-def: $vgpr8
; %bb.240:
	s_and_not1_saveexec_b32 s3, s2
; %bb.241:
	v_and_b32_e32 v1, 0xffff, v8
	v_or_b32_e32 v2, 0x10000, v8
	s_delay_alu instid0(VALU_DEP_2) | instskip(NEXT) | instid1(VALU_DEP_1)
	v_cmp_eq_u32_e64 s2, 0, v1
	v_cndmask_b32_e64 v1, v2, v8, s2
; %bb.242:
	s_or_b32 exec_lo, exec_lo, s3
	v_and_b32_e32 v7, 0xffff0000, v7
	v_lshlrev_b32_e32 v2, 16, v3
	s_delay_alu instid0(VALU_DEP_1) | instskip(NEXT) | instid1(VALU_DEP_1)
	v_fmac_f32_e32 v7, v2, v37
	v_and_b32_e32 v2, 0x7f800000, v7
	s_delay_alu instid0(VALU_DEP_1) | instskip(NEXT) | instid1(VALU_DEP_1)
	v_cmp_ne_u32_e64 s2, 0x7f800000, v2
                                        ; implicit-def: $vgpr2
	s_and_saveexec_b32 s3, s2
	s_delay_alu instid0(SALU_CYCLE_1)
	s_xor_b32 s2, exec_lo, s3
; %bb.243:
	v_bfe_u32 v2, v7, 16, 1
	s_delay_alu instid0(VALU_DEP_1)
	v_add3_u32 v2, v7, v2, 0x7fff
                                        ; implicit-def: $vgpr7
; %bb.244:
	s_and_not1_saveexec_b32 s3, s2
; %bb.245:
	v_and_b32_e32 v2, 0xffff, v7
	v_or_b32_e32 v8, 0x10000, v7
	s_delay_alu instid0(VALU_DEP_2) | instskip(NEXT) | instid1(VALU_DEP_1)
	v_cmp_eq_u32_e64 s2, 0, v2
	v_cndmask_b32_e64 v2, v8, v7, s2
; %bb.246:
	s_or_b32 exec_lo, exec_lo, s3
	v_and_b32_e32 v1, 0xffff0000, v1
	v_and_b32_e32 v3, 0xffff0000, v3
	s_delay_alu instid0(VALU_DEP_1) | instskip(NEXT) | instid1(VALU_DEP_1)
	v_fmac_f32_e32 v1, v3, v36
	v_and_b32_e32 v3, 0x7f800000, v1
	s_delay_alu instid0(VALU_DEP_1) | instskip(NEXT) | instid1(VALU_DEP_1)
	v_cmp_ne_u32_e64 s2, 0x7f800000, v3
                                        ; implicit-def: $vgpr3
	s_and_saveexec_b32 s3, s2
	s_delay_alu instid0(SALU_CYCLE_1)
	s_xor_b32 s2, exec_lo, s3
; %bb.247:
	v_bfe_u32 v3, v1, 16, 1
	s_delay_alu instid0(VALU_DEP_1)
	v_add3_u32 v3, v1, v3, 0x7fff
                                        ; implicit-def: $vgpr1
; %bb.248:
	s_and_not1_saveexec_b32 s3, s2
; %bb.249:
	v_and_b32_e32 v3, 0xffff, v1
	v_or_b32_e32 v7, 0x10000, v1
	s_delay_alu instid0(VALU_DEP_2) | instskip(NEXT) | instid1(VALU_DEP_1)
	v_cmp_eq_u32_e64 s2, 0, v3
	v_cndmask_b32_e64 v3, v7, v1, s2
; %bb.250:
	s_or_b32 exec_lo, exec_lo, s3
	v_and_b32_e32 v2, 0xffff0000, v2
	v_lshlrev_b32_e32 v1, 16, v4
	s_delay_alu instid0(VALU_DEP_1) | instskip(NEXT) | instid1(VALU_DEP_1)
	v_fmac_f32_e32 v2, v1, v35
	v_and_b32_e32 v1, 0x7f800000, v2
	s_delay_alu instid0(VALU_DEP_1) | instskip(NEXT) | instid1(VALU_DEP_1)
	v_cmp_ne_u32_e64 s2, 0x7f800000, v1
                                        ; implicit-def: $vgpr1
	s_and_saveexec_b32 s3, s2
	s_delay_alu instid0(SALU_CYCLE_1)
	s_xor_b32 s2, exec_lo, s3
; %bb.251:
	v_bfe_u32 v1, v2, 16, 1
	s_delay_alu instid0(VALU_DEP_1)
	v_add3_u32 v1, v2, v1, 0x7fff
                                        ; implicit-def: $vgpr2
; %bb.252:
	s_and_not1_saveexec_b32 s3, s2
; %bb.253:
	v_and_b32_e32 v1, 0xffff, v2
	v_or_b32_e32 v7, 0x10000, v2
	s_delay_alu instid0(VALU_DEP_2) | instskip(NEXT) | instid1(VALU_DEP_1)
	v_cmp_eq_u32_e64 s2, 0, v1
	v_cndmask_b32_e64 v1, v7, v2, s2
; %bb.254:
	s_or_b32 exec_lo, exec_lo, s3
	v_and_b32_e32 v3, 0xffff0000, v3
	v_and_b32_e32 v2, 0xffff0000, v4
	s_delay_alu instid0(VALU_DEP_1) | instskip(NEXT) | instid1(VALU_DEP_1)
	v_fmac_f32_e32 v3, v2, v34
	v_and_b32_e32 v2, 0x7f800000, v3
	s_delay_alu instid0(VALU_DEP_1) | instskip(NEXT) | instid1(VALU_DEP_1)
	v_cmp_ne_u32_e64 s2, 0x7f800000, v2
                                        ; implicit-def: $vgpr2
	s_and_saveexec_b32 s3, s2
	s_delay_alu instid0(SALU_CYCLE_1)
	s_xor_b32 s2, exec_lo, s3
; %bb.255:
	v_bfe_u32 v2, v3, 16, 1
	s_delay_alu instid0(VALU_DEP_1)
	v_add3_u32 v2, v3, v2, 0x7fff
                                        ; implicit-def: $vgpr3
; %bb.256:
	s_and_not1_saveexec_b32 s3, s2
; %bb.257:
	v_and_b32_e32 v2, 0xffff, v3
	v_or_b32_e32 v4, 0x10000, v3
	s_delay_alu instid0(VALU_DEP_2) | instskip(NEXT) | instid1(VALU_DEP_1)
	v_cmp_eq_u32_e64 s2, 0, v2
	v_cndmask_b32_e64 v2, v4, v3, s2
; %bb.258:
	s_or_b32 exec_lo, exec_lo, s3
	v_and_b32_e32 v8, 0xffff0000, v14
	v_and_b32_e32 v12, 0xffff0000, v25
	;; [unrolled: 1-line block ×5, first 2 shown]
	s_delay_alu instid0(VALU_DEP_3) | instskip(SKIP_4) | instid1(VALU_DEP_2)
	v_dual_add_f32 v12, v12, v14 :: v_dual_and_b32 v1, 0xffff0000, v1
	v_and_b32_e32 v4, 0xffff0000, v6
	v_and_b32_e32 v6, 0xffff0000, v10
	;; [unrolled: 1-line block ×4, first 2 shown]
	v_dual_add_f32 v3, v3, v4 :: v_dual_and_b32 v10, 0xffff0000, v30
	s_delay_alu instid0(VALU_DEP_1) | instskip(SKIP_2) | instid1(VALU_DEP_3)
	v_dual_add_f32 v4, v5, v6 :: v_dual_cndmask_b32 v3, 0, v3
	v_add_f32_e32 v5, v7, v8
	v_mbcnt_lo_u32_b32 v8, -1, 0
	v_dual_cndmask_b32 v4, 0, v4 :: v_dual_and_b32 v7, 0xffff0000, v18
	s_delay_alu instid0(VALU_DEP_2)
	v_xor_b32_e32 v13, 16, v8
	v_xor_b32_e32 v19, 8, v8
	v_and_b32_e32 v2, 0xffff0000, v2
	v_and_b32_e32 v9, 0xffff0000, v29
	v_xor_b32_e32 v20, 4, v8
	v_cmp_gt_i32_e64 s2, 32, v13
	s_delay_alu instid0(VALU_DEP_4) | instskip(NEXT) | instid1(VALU_DEP_4)
	v_add_f32_e32 v2, v1, v2
	v_dual_add_f32 v9, v9, v10 :: v_dual_and_b32 v6, 0xffff0000, v17
	s_delay_alu instid0(VALU_DEP_3) | instskip(SKIP_1) | instid1(VALU_DEP_2)
	v_cndmask_b32_e64 v10, v8, v13, s2
	s_mov_b32 s2, exec_lo
	v_cndmask_b32_e32 v9, 0, v9, vcc_lo
	s_delay_alu instid0(VALU_DEP_2)
	v_dual_cndmask_b32 v10, 0, v12 :: v_dual_lshlrev_b32 v1, 2, v10
	v_dual_cndmask_b32 v5, 0, v5 :: v_dual_add_f32 v6, v6, v7
	v_and_b32_e32 v7, 0xffff0000, v21
	ds_bpermute_b32 v16, v1, v4
	ds_bpermute_b32 v12, v1, v10
	v_xor_b32_e32 v21, 2, v8
	v_cndmask_b32_e32 v6, 0, v6, vcc_lo
	s_waitcnt lgkmcnt(0)
	v_dual_add_f32 v10, v10, v12 :: v_dual_add_f32 v7, v7, v11
	v_dual_cndmask_b32 v11, 0, v2 :: v_dual_add_f32 v12, v4, v16
	ds_bpermute_b32 v2, v1, v9
	ds_bpermute_b32 v14, v1, v6
	v_cndmask_b32_e32 v7, 0, v7, vcc_lo
	ds_bpermute_b32 v15, v1, v5
	v_cmp_gt_i32_e32 vcc_lo, 32, v19
	ds_bpermute_b32 v17, v1, v3
	ds_bpermute_b32 v13, v1, v7
	v_cndmask_b32_e32 v19, v8, v19, vcc_lo
	v_cmp_gt_i32_e32 vcc_lo, 32, v20
	v_cndmask_b32_e32 v20, v8, v20, vcc_lo
	v_cmp_gt_i32_e32 vcc_lo, 32, v21
	s_waitcnt lgkmcnt(4)
	v_add_f32_e32 v9, v9, v2
	s_waitcnt lgkmcnt(3)
	v_add_f32_e32 v6, v6, v14
	v_lshlrev_b32_e32 v2, 2, v19
	s_waitcnt lgkmcnt(2)
	v_add_f32_e32 v5, v5, v15
	ds_bpermute_b32 v18, v1, v11
	s_waitcnt lgkmcnt(2)
	v_add_f32_e32 v3, v3, v17
	v_cndmask_b32_e32 v21, v8, v21, vcc_lo
	ds_bpermute_b32 v15, v2, v6
	s_waitcnt lgkmcnt(2)
	v_add_f32_e32 v7, v7, v13
	ds_bpermute_b32 v13, v2, v10
	ds_bpermute_b32 v4, v2, v9
	;; [unrolled: 1-line block ×3, first 2 shown]
	s_waitcnt lgkmcnt(3)
	v_dual_add_f32 v11, v11, v18 :: v_dual_add_f32 v6, v6, v15
	ds_bpermute_b32 v14, v2, v7
	s_waitcnt lgkmcnt(3)
	v_add_f32_e32 v10, v10, v13
	ds_bpermute_b32 v16, v2, v5
	s_waitcnt lgkmcnt(2)
	v_dual_add_f32 v12, v12, v17 :: v_dual_add_f32 v9, v9, v4
	v_lshlrev_b32_e32 v4, 2, v20
	ds_bpermute_b32 v19, v2, v11
	ds_bpermute_b32 v18, v2, v3
	s_waitcnt lgkmcnt(2)
	v_add_f32_e32 v13, v5, v16
	ds_bpermute_b32 v16, v4, v6
	v_add_f32_e32 v7, v7, v14
	ds_bpermute_b32 v14, v4, v10
	s_waitcnt lgkmcnt(0)
	v_add_f32_e32 v10, v10, v14
	v_add_f32_e32 v14, v6, v16
	v_xor_b32_e32 v6, 1, v8
	ds_bpermute_b32 v5, v4, v9
	v_add_f32_e32 v3, v3, v18
	ds_bpermute_b32 v15, v4, v7
	ds_bpermute_b32 v18, v4, v12
	v_cmp_gt_i32_e32 vcc_lo, 32, v6
	v_dual_cndmask_b32 v6, v8, v6 :: v_dual_add_f32 v11, v11, v19
	ds_bpermute_b32 v17, v4, v13
	v_lshlrev_b32_e32 v6, 2, v6
	ds_bpermute_b32 v20, v4, v11
	s_waitcnt lgkmcnt(4)
	v_add_f32_e32 v9, v9, v5
	s_waitcnt lgkmcnt(0)
	v_dual_add_f32 v13, v13, v17 :: v_dual_add_f32 v16, v11, v20
	v_lshlrev_b32_e32 v5, 2, v21
	ds_bpermute_b32 v24, v5, v16
	v_add_f32_e32 v7, v7, v15
	v_add_f32_e32 v15, v12, v18
	ds_bpermute_b32 v12, v5, v10
	ds_bpermute_b32 v22, v5, v15
	s_waitcnt lgkmcnt(2)
	v_add_f32_e32 v8, v16, v24
	s_waitcnt lgkmcnt(1)
	v_add_f32_e32 v18, v10, v12
	ds_bpermute_b32 v19, v4, v3
	s_waitcnt lgkmcnt(1)
	v_add_f32_e32 v10, v15, v22
	ds_bpermute_b32 v20, v5, v14
	ds_bpermute_b32 v21, v5, v13
	;; [unrolled: 1-line block ×4, first 2 shown]
	s_waitcnt lgkmcnt(4)
	v_add_f32_e32 v3, v3, v19
	ds_bpermute_b32 v19, v5, v7
	s_waitcnt lgkmcnt(4)
	v_add_f32_e32 v12, v14, v20
	ds_bpermute_b32 v11, v5, v9
	ds_bpermute_b32 v23, v5, v3
	;; [unrolled: 1-line block ×3, first 2 shown]
	s_waitcnt lgkmcnt(3)
	v_add_f32_e32 v19, v7, v19
	v_and_b32_e32 v7, 31, v0
	s_waitcnt lgkmcnt(2)
	v_add_f32_e32 v17, v9, v11
	v_add_f32_e32 v11, v13, v21
	s_waitcnt lgkmcnt(1)
	v_add_f32_e32 v9, v3, v23
	ds_bpermute_b32 v23, v6, v19
	ds_bpermute_b32 v13, v6, v8
	;; [unrolled: 1-line block ×5, first 2 shown]
	v_lshrrev_b32_e32 v3, 5, v0
	v_cmpx_gt_u32_e32 8, v7
	s_cbranch_execz .LBB6_260
; %bb.259:
	s_waitcnt lgkmcnt(2)
	v_dual_add_f32 v17, v17, v21 :: v_dual_add_f32 v18, v18, v22
	v_cmp_eq_u32_e32 vcc_lo, 1, v7
	v_dual_add_f32 v19, v19, v23 :: v_dual_add_f32 v12, v12, v20
	s_waitcnt lgkmcnt(1)
	v_dual_add_f32 v10, v10, v15 :: v_dual_add_f32 v11, v11, v16
	v_dual_add_f32 v8, v8, v13 :: v_dual_cndmask_b32 v17, v17, v18
	v_cmp_eq_u32_e32 vcc_lo, 2, v7
	s_waitcnt lgkmcnt(0)
	v_add_f32_e32 v9, v9, v14
	s_delay_alu instid0(VALU_DEP_3) | instskip(SKIP_1) | instid1(VALU_DEP_2)
	v_cndmask_b32_e32 v17, v17, v19, vcc_lo
	v_cmp_eq_u32_e32 vcc_lo, 3, v7
	v_cndmask_b32_e32 v12, v17, v12, vcc_lo
	v_cmp_eq_u32_e32 vcc_lo, 4, v7
	s_delay_alu instid0(VALU_DEP_2) | instskip(SKIP_1) | instid1(VALU_DEP_2)
	v_cndmask_b32_e32 v11, v12, v11, vcc_lo
	v_cmp_eq_u32_e32 vcc_lo, 5, v7
	v_cndmask_b32_e32 v10, v11, v10, vcc_lo
	v_cmp_eq_u32_e32 vcc_lo, 6, v7
	v_lshlrev_b32_e32 v11, 2, v3
	s_delay_alu instid0(VALU_DEP_3) | instskip(SKIP_1) | instid1(VALU_DEP_3)
	v_cndmask_b32_e32 v9, v10, v9, vcc_lo
	v_cmp_eq_u32_e32 vcc_lo, 7, v7
	v_lshl_or_b32 v10, v7, 7, v11
	s_delay_alu instid0(VALU_DEP_3)
	v_cndmask_b32_e32 v8, v9, v8, vcc_lo
	ds_store_b32 v10, v8
.LBB6_260:
	s_or_b32 exec_lo, exec_lo, s2
	s_waitcnt lgkmcnt(0)
	s_barrier
	buffer_gl0_inv
	s_mov_b32 s2, exec_lo
	v_cmpx_gt_u32_e32 0x80, v0
	s_cbranch_execz .LBB6_273
; %bb.261:
	s_load_b32 s0, s[0:1], 0x2c
	v_and_b32_e32 v8, 15, v0
	v_mov_b32_e32 v0, 0
	s_waitcnt lgkmcnt(0)
	s_and_b32 s0, 0xffff, s0
	s_delay_alu instid0(SALU_CYCLE_1) | instskip(NEXT) | instid1(SALU_CYCLE_1)
	s_lshr_b32 s0, s0, 5
	v_cmp_gt_u32_e32 vcc_lo, s0, v8
	s_and_saveexec_b32 s0, vcc_lo
	s_cbranch_execz .LBB6_263
; %bb.262:
	v_lshlrev_b32_e32 v0, 2, v8
	s_delay_alu instid0(VALU_DEP_1)
	v_and_or_b32 v0, 0x1f80, v33, v0
	ds_load_b32 v0, v0
.LBB6_263:
	s_or_b32 exec_lo, exec_lo, s0
	s_waitcnt lgkmcnt(0)
	ds_bpermute_b32 v2, v2, v0
	v_cmp_eq_u32_e32 vcc_lo, 0, v7
	s_waitcnt lgkmcnt(0)
	v_add_f32_e32 v0, v0, v2
	ds_bpermute_b32 v2, v4, v0
	s_waitcnt lgkmcnt(0)
	v_add_f32_e32 v0, v0, v2
	ds_bpermute_b32 v2, v5, v0
	;; [unrolled: 3-line block ×4, first 2 shown]
	s_and_b32 exec_lo, exec_lo, vcc_lo
	s_cbranch_execz .LBB6_273
; %bb.264:
	v_and_b32_e32 v0, 0x7f800000, v2
	s_delay_alu instid0(VALU_DEP_1) | instskip(SKIP_1) | instid1(SALU_CYCLE_1)
	v_cmp_ne_u32_e32 vcc_lo, 0x7f800000, v0
                                        ; implicit-def: $vgpr0
	s_and_saveexec_b32 s0, vcc_lo
	s_xor_b32 s0, exec_lo, s0
; %bb.265:
	v_bfe_u32 v0, v2, 16, 1
	s_delay_alu instid0(VALU_DEP_1)
	v_add3_u32 v0, v2, v0, 0x7fff
                                        ; implicit-def: $vgpr2
; %bb.266:
	s_and_not1_saveexec_b32 s0, s0
; %bb.267:
	v_and_b32_e32 v0, 0xffff, v2
	v_or_b32_e32 v4, 0x10000, v2
	s_delay_alu instid0(VALU_DEP_2) | instskip(NEXT) | instid1(VALU_DEP_2)
	v_cmp_eq_u32_e32 vcc_lo, 0, v0
	v_cndmask_b32_e32 v0, v4, v2, vcc_lo
; %bb.268:
	s_or_b32 exec_lo, exec_lo, s0
	s_waitcnt lgkmcnt(0)
	v_and_b32_e32 v2, 0x7f800000, v1
	s_delay_alu instid0(VALU_DEP_1) | instskip(SKIP_1) | instid1(SALU_CYCLE_1)
	v_cmp_ne_u32_e32 vcc_lo, 0x7f800000, v2
                                        ; implicit-def: $vgpr2
	s_and_saveexec_b32 s0, vcc_lo
	s_xor_b32 s0, exec_lo, s0
; %bb.269:
	v_bfe_u32 v2, v1, 16, 1
	s_delay_alu instid0(VALU_DEP_1)
	v_add3_u32 v2, v1, v2, 0x7fff
                                        ; implicit-def: $vgpr1
; %bb.270:
	s_and_not1_saveexec_b32 s0, s0
; %bb.271:
	v_and_b32_e32 v2, 0xffff, v1
	v_or_b32_e32 v4, 0x10000, v1
	s_delay_alu instid0(VALU_DEP_2) | instskip(NEXT) | instid1(VALU_DEP_2)
	v_cmp_eq_u32_e32 vcc_lo, 0, v2
	v_cndmask_b32_e32 v2, v4, v1, vcc_lo
; %bb.272:
	s_or_b32 exec_lo, exec_lo, s0
	s_lshl_b32 s0, s15, 2
	v_mov_b32_e32 v4, 0
	v_and_or_b32 v3, 0x7ffffffc, s0, v3
	v_perm_b32 v0, v2, v0, 0x7060302
	s_delay_alu instid0(VALU_DEP_2) | instskip(NEXT) | instid1(VALU_DEP_1)
	v_lshlrev_b64 v[3:4], 2, v[3:4]
	v_add_co_u32 v3, vcc_lo, s8, v3
	s_delay_alu instid0(VALU_DEP_2)
	v_add_co_ci_u32_e32 v4, vcc_lo, s9, v4, vcc_lo
	global_store_b32 v[3:4], v0, off
.LBB6_273:
	s_nop 0
	s_sendmsg sendmsg(MSG_DEALLOC_VGPRS)
	s_endpgm
	.section	.rodata,"a",@progbits
	.p2align	6, 0x0
	.amdhsa_kernel _Z14LLGemm1_kernelIN3c108BFloat16ELi8EEvPKT_S4_PS2_i
		.amdhsa_group_segment_fixed_size 1024
		.amdhsa_private_segment_fixed_size 0
		.amdhsa_kernarg_size 288
		.amdhsa_user_sgpr_count 15
		.amdhsa_user_sgpr_dispatch_ptr 0
		.amdhsa_user_sgpr_queue_ptr 0
		.amdhsa_user_sgpr_kernarg_segment_ptr 1
		.amdhsa_user_sgpr_dispatch_id 0
		.amdhsa_user_sgpr_private_segment_size 0
		.amdhsa_wavefront_size32 1
		.amdhsa_uses_dynamic_stack 0
		.amdhsa_enable_private_segment 0
		.amdhsa_system_sgpr_workgroup_id_x 1
		.amdhsa_system_sgpr_workgroup_id_y 0
		.amdhsa_system_sgpr_workgroup_id_z 0
		.amdhsa_system_sgpr_workgroup_info 0
		.amdhsa_system_vgpr_workitem_id 0
		.amdhsa_next_free_vgpr 45
		.amdhsa_next_free_sgpr 16
		.amdhsa_reserve_vcc 1
		.amdhsa_float_round_mode_32 0
		.amdhsa_float_round_mode_16_64 0
		.amdhsa_float_denorm_mode_32 3
		.amdhsa_float_denorm_mode_16_64 3
		.amdhsa_dx10_clamp 1
		.amdhsa_ieee_mode 1
		.amdhsa_fp16_overflow 0
		.amdhsa_workgroup_processor_mode 1
		.amdhsa_memory_ordered 1
		.amdhsa_forward_progress 0
		.amdhsa_shared_vgpr_count 0
		.amdhsa_exception_fp_ieee_invalid_op 0
		.amdhsa_exception_fp_denorm_src 0
		.amdhsa_exception_fp_ieee_div_zero 0
		.amdhsa_exception_fp_ieee_overflow 0
		.amdhsa_exception_fp_ieee_underflow 0
		.amdhsa_exception_fp_ieee_inexact 0
		.amdhsa_exception_int_div_zero 0
	.end_amdhsa_kernel
	.section	.text._Z14LLGemm1_kernelIN3c108BFloat16ELi8EEvPKT_S4_PS2_i,"axG",@progbits,_Z14LLGemm1_kernelIN3c108BFloat16ELi8EEvPKT_S4_PS2_i,comdat
.Lfunc_end6:
	.size	_Z14LLGemm1_kernelIN3c108BFloat16ELi8EEvPKT_S4_PS2_i, .Lfunc_end6-_Z14LLGemm1_kernelIN3c108BFloat16ELi8EEvPKT_S4_PS2_i
                                        ; -- End function
	.section	.AMDGPU.csdata,"",@progbits
; Kernel info:
; codeLenInByte = 9920
; NumSgprs: 18
; NumVgprs: 45
; ScratchSize: 0
; MemoryBound: 0
; FloatMode: 240
; IeeeMode: 1
; LDSByteSize: 1024 bytes/workgroup (compile time only)
; SGPRBlocks: 2
; VGPRBlocks: 5
; NumSGPRsForWavesPerEU: 18
; NumVGPRsForWavesPerEU: 45
; Occupancy: 16
; WaveLimiterHint : 0
; COMPUTE_PGM_RSRC2:SCRATCH_EN: 0
; COMPUTE_PGM_RSRC2:USER_SGPR: 15
; COMPUTE_PGM_RSRC2:TRAP_HANDLER: 0
; COMPUTE_PGM_RSRC2:TGID_X_EN: 1
; COMPUTE_PGM_RSRC2:TGID_Y_EN: 0
; COMPUTE_PGM_RSRC2:TGID_Z_EN: 0
; COMPUTE_PGM_RSRC2:TIDIG_COMP_CNT: 0
	.section	.text._Z14LLGemm1_kernelIN3c108BFloat16ELi16EEvPKT_S4_PS2_i,"axG",@progbits,_Z14LLGemm1_kernelIN3c108BFloat16ELi16EEvPKT_S4_PS2_i,comdat
	.protected	_Z14LLGemm1_kernelIN3c108BFloat16ELi16EEvPKT_S4_PS2_i ; -- Begin function _Z14LLGemm1_kernelIN3c108BFloat16ELi16EEvPKT_S4_PS2_i
	.globl	_Z14LLGemm1_kernelIN3c108BFloat16ELi16EEvPKT_S4_PS2_i
	.p2align	8
	.type	_Z14LLGemm1_kernelIN3c108BFloat16ELi16EEvPKT_S4_PS2_i,@function
_Z14LLGemm1_kernelIN3c108BFloat16ELi16EEvPKT_S4_PS2_i: ; @_Z14LLGemm1_kernelIN3c108BFloat16ELi16EEvPKT_S4_PS2_i
; %bb.0:
	s_clause 0x2
	s_load_b32 s12, s[0:1], 0x18
	s_load_b128 s[4:7], s[0:1], 0x0
	s_load_b64 s[8:9], s[0:1], 0x10
	v_dual_mov_b32 v70, 0 :: v_dual_lshlrev_b32 v65, 3, v0
	v_dual_mov_b32 v66, 0 :: v_dual_mov_b32 v67, 0
	v_dual_mov_b32 v69, 0 :: v_dual_mov_b32 v68, 0
	;; [unrolled: 1-line block ×3, first 2 shown]
	v_mov_b32_e32 v73, 0
	s_mov_b32 s11, 0
                                        ; implicit-def: $vgpr1
                                        ; implicit-def: $vgpr5
                                        ; implicit-def: $vgpr9
                                        ; implicit-def: $vgpr13
                                        ; implicit-def: $vgpr17
                                        ; implicit-def: $vgpr21
                                        ; implicit-def: $vgpr25
                                        ; implicit-def: $vgpr29
                                        ; implicit-def: $vgpr33
                                        ; implicit-def: $vgpr37
                                        ; implicit-def: $vgpr41
                                        ; implicit-def: $vgpr45
                                        ; implicit-def: $vgpr49
                                        ; implicit-def: $vgpr53
                                        ; implicit-def: $vgpr57
                                        ; implicit-def: $vgpr61
	s_waitcnt lgkmcnt(0)
	v_cmp_gt_i32_e32 vcc_lo, s12, v65
	s_and_saveexec_b32 s3, vcc_lo
	s_cbranch_execz .LBB7_2
; %bb.1:
	s_mul_i32 s2, s15, s12
	s_lshr_b32 s10, s12, 3
	s_lshl_b32 s2, s2, 1
	s_lshl_b64 s[16:17], s[10:11], 4
	s_and_b32 s2, s2, 0x1ffffffe
	s_delay_alu instid0(SALU_CYCLE_1) | instskip(NEXT) | instid1(VALU_DEP_1)
	v_dual_mov_b32 v2, 0 :: v_dual_add_nc_u32 v1, s2, v0
	v_mov_b32_e32 v17, v2
	s_delay_alu instid0(VALU_DEP_2) | instskip(SKIP_1) | instid1(VALU_DEP_2)
	v_add3_u32 v3, s10, s10, v1
	v_lshlrev_b64 v[5:6], 4, v[1:2]
	v_dual_mov_b32 v4, v2 :: v_dual_add_nc_u32 v7, s10, v3
	v_mov_b32_e32 v8, v2
	s_delay_alu instid0(VALU_DEP_2) | instskip(NEXT) | instid1(VALU_DEP_4)
	v_lshlrev_b64 v[9:10], 4, v[3:4]
	v_add_co_u32 v3, s2, s4, v5
	s_delay_alu instid0(VALU_DEP_4) | instskip(SKIP_2) | instid1(VALU_DEP_4)
	v_add_nc_u32_e32 v13, s10, v7
	v_add_co_ci_u32_e64 v4, s2, s5, v6, s2
	v_lshlrev_b64 v[5:6], 4, v[7:8]
	v_add_co_u32 v11, s2, v3, s16
	s_delay_alu instid0(VALU_DEP_1) | instskip(SKIP_3) | instid1(VALU_DEP_1)
	v_add_co_ci_u32_e64 v12, s2, s17, v4, s2
	v_add_nc_u32_e32 v16, s10, v13
	v_mov_b32_e32 v14, v2
	v_add_co_u32 v8, s2, s4, v9
	v_add_co_ci_u32_e64 v9, s2, s5, v10, s2
	s_delay_alu instid0(VALU_DEP_4)
	v_add_nc_u32_e32 v7, s10, v16
	v_add_co_u32 v5, s2, s4, v5
	v_lshlrev_b64 v[14:15], 4, v[13:14]
	v_add_co_ci_u32_e64 v6, s2, s5, v6, s2
	s_clause 0x3
	global_load_b128 v[61:64], v[3:4], off slc dlc
	global_load_b128 v[57:60], v[11:12], off slc dlc
	global_load_b128 v[53:56], v[8:9], off slc dlc
	global_load_b128 v[49:52], v[5:6], off slc dlc
	v_lshlrev_b64 v[3:4], 4, v[16:17]
	v_dual_mov_b32 v8, v2 :: v_dual_add_nc_u32 v9, s10, v7
	v_add_co_u32 v5, s2, s4, v14
	s_delay_alu instid0(VALU_DEP_1) | instskip(NEXT) | instid1(VALU_DEP_4)
	v_add_co_ci_u32_e64 v6, s2, s5, v15, s2
	v_add_co_u32 v3, s2, s4, v3
	s_delay_alu instid0(VALU_DEP_1) | instskip(SKIP_2) | instid1(SALU_CYCLE_1)
	v_add_co_ci_u32_e64 v4, s2, s5, v4, s2
	v_lshlrev_b64 v[7:8], 4, v[7:8]
	s_and_b32 s2, s12, -8
	v_dual_mov_b32 v10, v2 :: v_dual_add_nc_u32 v1, s2, v1
	s_clause 0x1
	global_load_b128 v[45:48], v[5:6], off slc dlc
	global_load_b128 v[41:44], v[3:4], off slc dlc
	v_lshlrev_b32_e32 v13, 4, v0
	v_add_co_u32 v5, s2, s4, v7
	v_lshlrev_b64 v[3:4], 4, v[9:10]
	v_add_co_ci_u32_e64 v6, s2, s5, v8, s2
	v_lshlrev_b64 v[7:8], 4, v[1:2]
	v_lshl_add_u32 v1, s10, 1, v9
	s_delay_alu instid0(VALU_DEP_4) | instskip(NEXT) | instid1(VALU_DEP_1)
	v_add_co_u32 v3, s2, s4, v3
	v_add_co_ci_u32_e64 v4, s2, s5, v4, s2
	s_delay_alu instid0(VALU_DEP_3) | instskip(SKIP_2) | instid1(VALU_DEP_1)
	v_lshlrev_b64 v[9:10], 4, v[1:2]
	v_add_nc_u32_e32 v1, s10, v1
	v_add_co_u32 v7, s2, s4, v7
	v_add_co_ci_u32_e64 v8, s2, s5, v8, s2
	s_delay_alu instid0(VALU_DEP_3) | instskip(SKIP_2) | instid1(VALU_DEP_1)
	v_lshlrev_b64 v[11:12], 4, v[1:2]
	v_add_nc_u32_e32 v1, s10, v1
	v_add_co_u32 v9, s2, s4, v9
	v_add_co_ci_u32_e64 v10, s2, s5, v10, s2
	s_clause 0x3
	global_load_b128 v[37:40], v[5:6], off slc dlc
	global_load_b128 v[33:36], v[3:4], off slc dlc
	;; [unrolled: 1-line block ×4, first 2 shown]
	v_lshlrev_b64 v[3:4], 4, v[1:2]
	v_add_nc_u32_e32 v1, s10, v1
	v_add_co_u32 v5, s2, s4, v11
	s_delay_alu instid0(VALU_DEP_1) | instskip(NEXT) | instid1(VALU_DEP_3)
	v_add_co_ci_u32_e64 v6, s2, s5, v12, s2
	v_lshlrev_b64 v[7:8], 4, v[1:2]
	v_add_nc_u32_e32 v1, s10, v1
	v_add_co_u32 v3, s2, s4, v3
	s_delay_alu instid0(VALU_DEP_1) | instskip(NEXT) | instid1(VALU_DEP_3)
	v_add_co_ci_u32_e64 v4, s2, s5, v4, s2
	;; [unrolled: 5-line block ×4, first 2 shown]
	v_lshlrev_b64 v[1:2], 4, v[1:2]
	v_add_co_u32 v66, s2, s4, v11
	s_delay_alu instid0(VALU_DEP_1) | instskip(SKIP_2) | instid1(VALU_DEP_1)
	v_add_co_ci_u32_e64 v67, s2, s5, v12, s2
	global_load_b128 v[73:76], v13, s[6:7]
	v_add_co_u32 v1, s2, s4, v1
	v_add_co_ci_u32_e64 v2, s2, s5, v2, s2
	s_clause 0x5
	global_load_b128 v[21:24], v[5:6], off slc dlc
	global_load_b128 v[17:20], v[3:4], off slc dlc
	;; [unrolled: 1-line block ×6, first 2 shown]
	s_waitcnt vmcnt(6)
	v_and_b32_e32 v72, 0xffff0000, v73
	v_lshlrev_b32_e32 v73, 16, v73
	v_and_b32_e32 v70, 0xffff0000, v74
	v_lshlrev_b32_e32 v71, 16, v74
	;; [unrolled: 2-line block ×4, first 2 shown]
.LBB7_2:
	s_or_b32 exec_lo, exec_lo, s3
	v_lshlrev_b32_e32 v74, 16, v61
	s_delay_alu instid0(VALU_DEP_1) | instskip(NEXT) | instid1(VALU_DEP_1)
	v_mul_f32_e32 v75, v73, v74
	v_and_b32_e32 v74, 0x7f800000, v75
	s_delay_alu instid0(VALU_DEP_1) | instskip(NEXT) | instid1(VALU_DEP_1)
	v_cmp_ne_u32_e64 s2, 0x7f800000, v74
                                        ; implicit-def: $vgpr74
	s_and_saveexec_b32 s3, s2
	s_delay_alu instid0(SALU_CYCLE_1)
	s_xor_b32 s2, exec_lo, s3
; %bb.3:
	v_bfe_u32 v74, v75, 16, 1
	s_delay_alu instid0(VALU_DEP_1)
	v_add3_u32 v74, v75, v74, 0x7fff
                                        ; implicit-def: $vgpr75
; %bb.4:
	s_and_not1_saveexec_b32 s3, s2
; %bb.5:
	v_and_b32_e32 v74, 0xffff, v75
	v_or_b32_e32 v76, 0x10000, v75
	s_delay_alu instid0(VALU_DEP_2) | instskip(NEXT) | instid1(VALU_DEP_1)
	v_cmp_eq_u32_e64 s2, 0, v74
	v_cndmask_b32_e64 v74, v76, v75, s2
; %bb.6:
	s_or_b32 exec_lo, exec_lo, s3
	v_and_b32_e32 v61, 0xffff0000, v61
	s_delay_alu instid0(VALU_DEP_1) | instskip(NEXT) | instid1(VALU_DEP_1)
	v_mul_f32_e32 v75, v72, v61
	v_and_b32_e32 v61, 0x7f800000, v75
	s_delay_alu instid0(VALU_DEP_1) | instskip(NEXT) | instid1(VALU_DEP_1)
	v_cmp_ne_u32_e64 s2, 0x7f800000, v61
                                        ; implicit-def: $vgpr61
	s_and_saveexec_b32 s3, s2
	s_delay_alu instid0(SALU_CYCLE_1)
	s_xor_b32 s2, exec_lo, s3
; %bb.7:
	v_bfe_u32 v61, v75, 16, 1
	s_delay_alu instid0(VALU_DEP_1)
	v_add3_u32 v61, v75, v61, 0x7fff
                                        ; implicit-def: $vgpr75
; %bb.8:
	s_and_not1_saveexec_b32 s3, s2
; %bb.9:
	v_and_b32_e32 v61, 0xffff, v75
	v_or_b32_e32 v76, 0x10000, v75
	s_delay_alu instid0(VALU_DEP_2) | instskip(NEXT) | instid1(VALU_DEP_1)
	v_cmp_eq_u32_e64 s2, 0, v61
	v_cndmask_b32_e64 v61, v76, v75, s2
; %bb.10:
	s_or_b32 exec_lo, exec_lo, s3
	v_and_b32_e32 v75, 0xffff0000, v74
	v_lshlrev_b32_e32 v74, 16, v62
	s_delay_alu instid0(VALU_DEP_1) | instskip(NEXT) | instid1(VALU_DEP_1)
	v_fmac_f32_e32 v75, v74, v71
	v_and_b32_e32 v74, 0x7f800000, v75
	s_delay_alu instid0(VALU_DEP_1) | instskip(NEXT) | instid1(VALU_DEP_1)
	v_cmp_ne_u32_e64 s2, 0x7f800000, v74
                                        ; implicit-def: $vgpr74
	s_and_saveexec_b32 s3, s2
	s_delay_alu instid0(SALU_CYCLE_1)
	s_xor_b32 s2, exec_lo, s3
; %bb.11:
	v_bfe_u32 v74, v75, 16, 1
	s_delay_alu instid0(VALU_DEP_1)
	v_add3_u32 v74, v75, v74, 0x7fff
                                        ; implicit-def: $vgpr75
; %bb.12:
	s_and_not1_saveexec_b32 s3, s2
; %bb.13:
	v_and_b32_e32 v74, 0xffff, v75
	v_or_b32_e32 v76, 0x10000, v75
	s_delay_alu instid0(VALU_DEP_2) | instskip(NEXT) | instid1(VALU_DEP_1)
	v_cmp_eq_u32_e64 s2, 0, v74
	v_cndmask_b32_e64 v74, v76, v75, s2
; %bb.14:
	s_or_b32 exec_lo, exec_lo, s3
	v_and_b32_e32 v75, 0xffff0000, v61
	v_and_b32_e32 v61, 0xffff0000, v62
	s_delay_alu instid0(VALU_DEP_1) | instskip(NEXT) | instid1(VALU_DEP_1)
	v_fmac_f32_e32 v75, v61, v70
	v_and_b32_e32 v61, 0x7f800000, v75
	s_delay_alu instid0(VALU_DEP_1) | instskip(NEXT) | instid1(VALU_DEP_1)
	v_cmp_ne_u32_e64 s2, 0x7f800000, v61
                                        ; implicit-def: $vgpr61
	s_and_saveexec_b32 s3, s2
	s_delay_alu instid0(SALU_CYCLE_1)
	s_xor_b32 s2, exec_lo, s3
; %bb.15:
	v_bfe_u32 v61, v75, 16, 1
	s_delay_alu instid0(VALU_DEP_1)
	v_add3_u32 v61, v75, v61, 0x7fff
                                        ; implicit-def: $vgpr75
; %bb.16:
	s_and_not1_saveexec_b32 s3, s2
; %bb.17:
	v_and_b32_e32 v61, 0xffff, v75
	v_or_b32_e32 v62, 0x10000, v75
	s_delay_alu instid0(VALU_DEP_2) | instskip(NEXT) | instid1(VALU_DEP_1)
	v_cmp_eq_u32_e64 s2, 0, v61
	v_cndmask_b32_e64 v61, v62, v75, s2
; %bb.18:
	s_or_b32 exec_lo, exec_lo, s3
	v_and_b32_e32 v74, 0xffff0000, v74
	v_lshlrev_b32_e32 v62, 16, v63
	s_delay_alu instid0(VALU_DEP_1) | instskip(NEXT) | instid1(VALU_DEP_1)
	v_fmac_f32_e32 v74, v62, v69
	v_and_b32_e32 v62, 0x7f800000, v74
	s_delay_alu instid0(VALU_DEP_1) | instskip(NEXT) | instid1(VALU_DEP_1)
	v_cmp_ne_u32_e64 s2, 0x7f800000, v62
                                        ; implicit-def: $vgpr62
	s_and_saveexec_b32 s3, s2
	s_delay_alu instid0(SALU_CYCLE_1)
	s_xor_b32 s2, exec_lo, s3
; %bb.19:
	v_bfe_u32 v62, v74, 16, 1
	s_delay_alu instid0(VALU_DEP_1)
	v_add3_u32 v62, v74, v62, 0x7fff
                                        ; implicit-def: $vgpr74
; %bb.20:
	s_and_not1_saveexec_b32 s3, s2
; %bb.21:
	v_and_b32_e32 v62, 0xffff, v74
	v_or_b32_e32 v75, 0x10000, v74
	s_delay_alu instid0(VALU_DEP_2) | instskip(NEXT) | instid1(VALU_DEP_1)
	v_cmp_eq_u32_e64 s2, 0, v62
	v_cndmask_b32_e64 v62, v75, v74, s2
; %bb.22:
	s_or_b32 exec_lo, exec_lo, s3
	v_and_b32_e32 v61, 0xffff0000, v61
	v_and_b32_e32 v63, 0xffff0000, v63
	s_delay_alu instid0(VALU_DEP_1) | instskip(NEXT) | instid1(VALU_DEP_1)
	v_fmac_f32_e32 v61, v63, v68
	v_and_b32_e32 v63, 0x7f800000, v61
	s_delay_alu instid0(VALU_DEP_1) | instskip(NEXT) | instid1(VALU_DEP_1)
	v_cmp_ne_u32_e64 s2, 0x7f800000, v63
                                        ; implicit-def: $vgpr63
	s_and_saveexec_b32 s3, s2
	s_delay_alu instid0(SALU_CYCLE_1)
	s_xor_b32 s2, exec_lo, s3
; %bb.23:
	v_bfe_u32 v63, v61, 16, 1
	s_delay_alu instid0(VALU_DEP_1)
	v_add3_u32 v63, v61, v63, 0x7fff
                                        ; implicit-def: $vgpr61
; %bb.24:
	s_and_not1_saveexec_b32 s3, s2
; %bb.25:
	v_and_b32_e32 v63, 0xffff, v61
	v_or_b32_e32 v74, 0x10000, v61
	s_delay_alu instid0(VALU_DEP_2) | instskip(NEXT) | instid1(VALU_DEP_1)
	v_cmp_eq_u32_e64 s2, 0, v63
	v_cndmask_b32_e64 v63, v74, v61, s2
; %bb.26:
	s_or_b32 exec_lo, exec_lo, s3
	v_and_b32_e32 v62, 0xffff0000, v62
	v_lshlrev_b32_e32 v61, 16, v64
	s_delay_alu instid0(VALU_DEP_1) | instskip(NEXT) | instid1(VALU_DEP_1)
	v_fmac_f32_e32 v62, v61, v66
	v_and_b32_e32 v61, 0x7f800000, v62
	s_delay_alu instid0(VALU_DEP_1) | instskip(NEXT) | instid1(VALU_DEP_1)
	v_cmp_ne_u32_e64 s2, 0x7f800000, v61
                                        ; implicit-def: $vgpr61
	s_and_saveexec_b32 s3, s2
	s_delay_alu instid0(SALU_CYCLE_1)
	s_xor_b32 s2, exec_lo, s3
; %bb.27:
	v_bfe_u32 v61, v62, 16, 1
	s_delay_alu instid0(VALU_DEP_1)
	v_add3_u32 v61, v62, v61, 0x7fff
                                        ; implicit-def: $vgpr62
; %bb.28:
	s_and_not1_saveexec_b32 s3, s2
; %bb.29:
	v_and_b32_e32 v61, 0xffff, v62
	v_or_b32_e32 v74, 0x10000, v62
	s_delay_alu instid0(VALU_DEP_2) | instskip(NEXT) | instid1(VALU_DEP_1)
	v_cmp_eq_u32_e64 s2, 0, v61
	v_cndmask_b32_e64 v61, v74, v62, s2
; %bb.30:
	s_or_b32 exec_lo, exec_lo, s3
	v_and_b32_e32 v63, 0xffff0000, v63
	v_and_b32_e32 v62, 0xffff0000, v64
	s_delay_alu instid0(VALU_DEP_1) | instskip(NEXT) | instid1(VALU_DEP_1)
	v_fmac_f32_e32 v63, v62, v67
	v_and_b32_e32 v62, 0x7f800000, v63
	s_delay_alu instid0(VALU_DEP_1) | instskip(NEXT) | instid1(VALU_DEP_1)
	v_cmp_ne_u32_e64 s2, 0x7f800000, v62
                                        ; implicit-def: $vgpr62
	s_and_saveexec_b32 s3, s2
	s_delay_alu instid0(SALU_CYCLE_1)
	s_xor_b32 s2, exec_lo, s3
; %bb.31:
	v_bfe_u32 v62, v63, 16, 1
	s_delay_alu instid0(VALU_DEP_1)
	v_add3_u32 v62, v63, v62, 0x7fff
                                        ; implicit-def: $vgpr63
; %bb.32:
	s_and_not1_saveexec_b32 s3, s2
; %bb.33:
	v_and_b32_e32 v62, 0xffff, v63
	v_or_b32_e32 v64, 0x10000, v63
	s_delay_alu instid0(VALU_DEP_2) | instskip(NEXT) | instid1(VALU_DEP_1)
	v_cmp_eq_u32_e64 s2, 0, v62
	v_cndmask_b32_e64 v62, v64, v63, s2
; %bb.34:
	s_or_b32 exec_lo, exec_lo, s3
	v_lshlrev_b32_e32 v63, 16, v57
	s_delay_alu instid0(VALU_DEP_1) | instskip(NEXT) | instid1(VALU_DEP_1)
	v_mul_f32_e32 v64, v73, v63
	v_and_b32_e32 v63, 0x7f800000, v64
	s_delay_alu instid0(VALU_DEP_1) | instskip(NEXT) | instid1(VALU_DEP_1)
	v_cmp_ne_u32_e64 s2, 0x7f800000, v63
                                        ; implicit-def: $vgpr63
	s_and_saveexec_b32 s3, s2
	s_delay_alu instid0(SALU_CYCLE_1)
	s_xor_b32 s2, exec_lo, s3
; %bb.35:
	v_bfe_u32 v63, v64, 16, 1
	s_delay_alu instid0(VALU_DEP_1)
	v_add3_u32 v63, v64, v63, 0x7fff
                                        ; implicit-def: $vgpr64
; %bb.36:
	s_and_not1_saveexec_b32 s3, s2
; %bb.37:
	v_and_b32_e32 v63, 0xffff, v64
	v_or_b32_e32 v74, 0x10000, v64
	s_delay_alu instid0(VALU_DEP_2) | instskip(NEXT) | instid1(VALU_DEP_1)
	v_cmp_eq_u32_e64 s2, 0, v63
	v_cndmask_b32_e64 v63, v74, v64, s2
; %bb.38:
	s_or_b32 exec_lo, exec_lo, s3
	v_and_b32_e32 v57, 0xffff0000, v57
	s_delay_alu instid0(VALU_DEP_1) | instskip(NEXT) | instid1(VALU_DEP_1)
	v_mul_f32_e32 v64, v72, v57
	v_and_b32_e32 v57, 0x7f800000, v64
	s_delay_alu instid0(VALU_DEP_1) | instskip(NEXT) | instid1(VALU_DEP_1)
	v_cmp_ne_u32_e64 s2, 0x7f800000, v57
                                        ; implicit-def: $vgpr57
	s_and_saveexec_b32 s3, s2
	s_delay_alu instid0(SALU_CYCLE_1)
	s_xor_b32 s2, exec_lo, s3
; %bb.39:
	v_bfe_u32 v57, v64, 16, 1
	s_delay_alu instid0(VALU_DEP_1)
	v_add3_u32 v57, v64, v57, 0x7fff
                                        ; implicit-def: $vgpr64
; %bb.40:
	s_and_not1_saveexec_b32 s3, s2
; %bb.41:
	v_and_b32_e32 v57, 0xffff, v64
	v_or_b32_e32 v74, 0x10000, v64
	s_delay_alu instid0(VALU_DEP_2) | instskip(NEXT) | instid1(VALU_DEP_1)
	v_cmp_eq_u32_e64 s2, 0, v57
	v_cndmask_b32_e64 v57, v74, v64, s2
; %bb.42:
	s_or_b32 exec_lo, exec_lo, s3
	v_and_b32_e32 v64, 0xffff0000, v63
	v_lshlrev_b32_e32 v63, 16, v58
	s_delay_alu instid0(VALU_DEP_1) | instskip(NEXT) | instid1(VALU_DEP_1)
	v_fmac_f32_e32 v64, v63, v71
	v_and_b32_e32 v63, 0x7f800000, v64
	s_delay_alu instid0(VALU_DEP_1) | instskip(NEXT) | instid1(VALU_DEP_1)
	v_cmp_ne_u32_e64 s2, 0x7f800000, v63
                                        ; implicit-def: $vgpr63
	s_and_saveexec_b32 s3, s2
	s_delay_alu instid0(SALU_CYCLE_1)
	s_xor_b32 s2, exec_lo, s3
; %bb.43:
	v_bfe_u32 v63, v64, 16, 1
	s_delay_alu instid0(VALU_DEP_1)
	v_add3_u32 v63, v64, v63, 0x7fff
                                        ; implicit-def: $vgpr64
; %bb.44:
	s_and_not1_saveexec_b32 s3, s2
; %bb.45:
	v_and_b32_e32 v63, 0xffff, v64
	v_or_b32_e32 v74, 0x10000, v64
	s_delay_alu instid0(VALU_DEP_2) | instskip(NEXT) | instid1(VALU_DEP_1)
	v_cmp_eq_u32_e64 s2, 0, v63
	v_cndmask_b32_e64 v63, v74, v64, s2
; %bb.46:
	s_or_b32 exec_lo, exec_lo, s3
	v_and_b32_e32 v64, 0xffff0000, v57
	v_and_b32_e32 v57, 0xffff0000, v58
	s_delay_alu instid0(VALU_DEP_1) | instskip(NEXT) | instid1(VALU_DEP_1)
	v_fmac_f32_e32 v64, v57, v70
	v_and_b32_e32 v57, 0x7f800000, v64
	s_delay_alu instid0(VALU_DEP_1) | instskip(NEXT) | instid1(VALU_DEP_1)
	v_cmp_ne_u32_e64 s2, 0x7f800000, v57
                                        ; implicit-def: $vgpr57
	s_and_saveexec_b32 s3, s2
	s_delay_alu instid0(SALU_CYCLE_1)
	s_xor_b32 s2, exec_lo, s3
; %bb.47:
	v_bfe_u32 v57, v64, 16, 1
	s_delay_alu instid0(VALU_DEP_1)
	v_add3_u32 v57, v64, v57, 0x7fff
                                        ; implicit-def: $vgpr64
; %bb.48:
	s_and_not1_saveexec_b32 s3, s2
; %bb.49:
	v_and_b32_e32 v57, 0xffff, v64
	v_or_b32_e32 v58, 0x10000, v64
	s_delay_alu instid0(VALU_DEP_2) | instskip(NEXT) | instid1(VALU_DEP_1)
	v_cmp_eq_u32_e64 s2, 0, v57
	v_cndmask_b32_e64 v57, v58, v64, s2
; %bb.50:
	s_or_b32 exec_lo, exec_lo, s3
	v_and_b32_e32 v63, 0xffff0000, v63
	v_lshlrev_b32_e32 v58, 16, v59
	s_delay_alu instid0(VALU_DEP_1) | instskip(NEXT) | instid1(VALU_DEP_1)
	v_fmac_f32_e32 v63, v58, v69
	v_and_b32_e32 v58, 0x7f800000, v63
	s_delay_alu instid0(VALU_DEP_1) | instskip(NEXT) | instid1(VALU_DEP_1)
	v_cmp_ne_u32_e64 s2, 0x7f800000, v58
                                        ; implicit-def: $vgpr58
	s_and_saveexec_b32 s3, s2
	s_delay_alu instid0(SALU_CYCLE_1)
	s_xor_b32 s2, exec_lo, s3
; %bb.51:
	v_bfe_u32 v58, v63, 16, 1
	s_delay_alu instid0(VALU_DEP_1)
	v_add3_u32 v58, v63, v58, 0x7fff
                                        ; implicit-def: $vgpr63
; %bb.52:
	s_and_not1_saveexec_b32 s3, s2
; %bb.53:
	v_and_b32_e32 v58, 0xffff, v63
	v_or_b32_e32 v64, 0x10000, v63
	s_delay_alu instid0(VALU_DEP_2) | instskip(NEXT) | instid1(VALU_DEP_1)
	v_cmp_eq_u32_e64 s2, 0, v58
	v_cndmask_b32_e64 v58, v64, v63, s2
; %bb.54:
	s_or_b32 exec_lo, exec_lo, s3
	v_and_b32_e32 v57, 0xffff0000, v57
	v_and_b32_e32 v59, 0xffff0000, v59
	s_delay_alu instid0(VALU_DEP_1) | instskip(NEXT) | instid1(VALU_DEP_1)
	v_fmac_f32_e32 v57, v59, v68
	v_and_b32_e32 v59, 0x7f800000, v57
	s_delay_alu instid0(VALU_DEP_1) | instskip(NEXT) | instid1(VALU_DEP_1)
	v_cmp_ne_u32_e64 s2, 0x7f800000, v59
                                        ; implicit-def: $vgpr59
	s_and_saveexec_b32 s3, s2
	s_delay_alu instid0(SALU_CYCLE_1)
	s_xor_b32 s2, exec_lo, s3
; %bb.55:
	v_bfe_u32 v59, v57, 16, 1
	s_delay_alu instid0(VALU_DEP_1)
	v_add3_u32 v59, v57, v59, 0x7fff
                                        ; implicit-def: $vgpr57
; %bb.56:
	s_and_not1_saveexec_b32 s3, s2
; %bb.57:
	v_and_b32_e32 v59, 0xffff, v57
	v_or_b32_e32 v63, 0x10000, v57
	s_delay_alu instid0(VALU_DEP_2) | instskip(NEXT) | instid1(VALU_DEP_1)
	v_cmp_eq_u32_e64 s2, 0, v59
	v_cndmask_b32_e64 v59, v63, v57, s2
; %bb.58:
	s_or_b32 exec_lo, exec_lo, s3
	v_and_b32_e32 v58, 0xffff0000, v58
	v_lshlrev_b32_e32 v57, 16, v60
	s_delay_alu instid0(VALU_DEP_1) | instskip(NEXT) | instid1(VALU_DEP_1)
	v_fmac_f32_e32 v58, v57, v66
	v_and_b32_e32 v57, 0x7f800000, v58
	s_delay_alu instid0(VALU_DEP_1) | instskip(NEXT) | instid1(VALU_DEP_1)
	v_cmp_ne_u32_e64 s2, 0x7f800000, v57
                                        ; implicit-def: $vgpr57
	s_and_saveexec_b32 s3, s2
	s_delay_alu instid0(SALU_CYCLE_1)
	s_xor_b32 s2, exec_lo, s3
; %bb.59:
	v_bfe_u32 v57, v58, 16, 1
	s_delay_alu instid0(VALU_DEP_1)
	v_add3_u32 v57, v58, v57, 0x7fff
                                        ; implicit-def: $vgpr58
; %bb.60:
	s_and_not1_saveexec_b32 s3, s2
; %bb.61:
	v_and_b32_e32 v57, 0xffff, v58
	v_or_b32_e32 v63, 0x10000, v58
	s_delay_alu instid0(VALU_DEP_2) | instskip(NEXT) | instid1(VALU_DEP_1)
	v_cmp_eq_u32_e64 s2, 0, v57
	v_cndmask_b32_e64 v57, v63, v58, s2
; %bb.62:
	s_or_b32 exec_lo, exec_lo, s3
	v_and_b32_e32 v59, 0xffff0000, v59
	v_and_b32_e32 v58, 0xffff0000, v60
	s_delay_alu instid0(VALU_DEP_1) | instskip(NEXT) | instid1(VALU_DEP_1)
	v_fmac_f32_e32 v59, v58, v67
	v_and_b32_e32 v58, 0x7f800000, v59
	s_delay_alu instid0(VALU_DEP_1) | instskip(NEXT) | instid1(VALU_DEP_1)
	v_cmp_ne_u32_e64 s2, 0x7f800000, v58
                                        ; implicit-def: $vgpr58
	s_and_saveexec_b32 s3, s2
	s_delay_alu instid0(SALU_CYCLE_1)
	s_xor_b32 s2, exec_lo, s3
; %bb.63:
	v_bfe_u32 v58, v59, 16, 1
	s_delay_alu instid0(VALU_DEP_1)
	v_add3_u32 v58, v59, v58, 0x7fff
                                        ; implicit-def: $vgpr59
; %bb.64:
	s_and_not1_saveexec_b32 s3, s2
; %bb.65:
	v_and_b32_e32 v58, 0xffff, v59
	v_or_b32_e32 v60, 0x10000, v59
	s_delay_alu instid0(VALU_DEP_2) | instskip(NEXT) | instid1(VALU_DEP_1)
	v_cmp_eq_u32_e64 s2, 0, v58
	v_cndmask_b32_e64 v58, v60, v59, s2
; %bb.66:
	s_or_b32 exec_lo, exec_lo, s3
	v_lshlrev_b32_e32 v59, 16, v53
	s_delay_alu instid0(VALU_DEP_1) | instskip(NEXT) | instid1(VALU_DEP_1)
	v_mul_f32_e32 v60, v73, v59
	v_and_b32_e32 v59, 0x7f800000, v60
	s_delay_alu instid0(VALU_DEP_1) | instskip(NEXT) | instid1(VALU_DEP_1)
	v_cmp_ne_u32_e64 s2, 0x7f800000, v59
                                        ; implicit-def: $vgpr59
	s_and_saveexec_b32 s3, s2
	s_delay_alu instid0(SALU_CYCLE_1)
	s_xor_b32 s2, exec_lo, s3
; %bb.67:
	v_bfe_u32 v59, v60, 16, 1
	s_delay_alu instid0(VALU_DEP_1)
	v_add3_u32 v59, v60, v59, 0x7fff
                                        ; implicit-def: $vgpr60
; %bb.68:
	s_and_not1_saveexec_b32 s3, s2
; %bb.69:
	v_and_b32_e32 v59, 0xffff, v60
	v_or_b32_e32 v63, 0x10000, v60
	s_delay_alu instid0(VALU_DEP_2) | instskip(NEXT) | instid1(VALU_DEP_1)
	v_cmp_eq_u32_e64 s2, 0, v59
	v_cndmask_b32_e64 v59, v63, v60, s2
; %bb.70:
	s_or_b32 exec_lo, exec_lo, s3
	v_and_b32_e32 v53, 0xffff0000, v53
	s_delay_alu instid0(VALU_DEP_1) | instskip(NEXT) | instid1(VALU_DEP_1)
	v_mul_f32_e32 v60, v72, v53
	v_and_b32_e32 v53, 0x7f800000, v60
	s_delay_alu instid0(VALU_DEP_1) | instskip(NEXT) | instid1(VALU_DEP_1)
	v_cmp_ne_u32_e64 s2, 0x7f800000, v53
                                        ; implicit-def: $vgpr53
	s_and_saveexec_b32 s3, s2
	s_delay_alu instid0(SALU_CYCLE_1)
	s_xor_b32 s2, exec_lo, s3
; %bb.71:
	v_bfe_u32 v53, v60, 16, 1
	s_delay_alu instid0(VALU_DEP_1)
	v_add3_u32 v53, v60, v53, 0x7fff
                                        ; implicit-def: $vgpr60
; %bb.72:
	s_and_not1_saveexec_b32 s3, s2
; %bb.73:
	v_and_b32_e32 v53, 0xffff, v60
	v_or_b32_e32 v63, 0x10000, v60
	s_delay_alu instid0(VALU_DEP_2) | instskip(NEXT) | instid1(VALU_DEP_1)
	v_cmp_eq_u32_e64 s2, 0, v53
	v_cndmask_b32_e64 v53, v63, v60, s2
; %bb.74:
	s_or_b32 exec_lo, exec_lo, s3
	v_and_b32_e32 v60, 0xffff0000, v59
	v_lshlrev_b32_e32 v59, 16, v54
	s_delay_alu instid0(VALU_DEP_1) | instskip(NEXT) | instid1(VALU_DEP_1)
	v_fmac_f32_e32 v60, v59, v71
	v_and_b32_e32 v59, 0x7f800000, v60
	s_delay_alu instid0(VALU_DEP_1) | instskip(NEXT) | instid1(VALU_DEP_1)
	v_cmp_ne_u32_e64 s2, 0x7f800000, v59
                                        ; implicit-def: $vgpr59
	s_and_saveexec_b32 s3, s2
	s_delay_alu instid0(SALU_CYCLE_1)
	s_xor_b32 s2, exec_lo, s3
; %bb.75:
	v_bfe_u32 v59, v60, 16, 1
	s_delay_alu instid0(VALU_DEP_1)
	v_add3_u32 v59, v60, v59, 0x7fff
                                        ; implicit-def: $vgpr60
; %bb.76:
	s_and_not1_saveexec_b32 s3, s2
; %bb.77:
	v_and_b32_e32 v59, 0xffff, v60
	v_or_b32_e32 v63, 0x10000, v60
	s_delay_alu instid0(VALU_DEP_2) | instskip(NEXT) | instid1(VALU_DEP_1)
	v_cmp_eq_u32_e64 s2, 0, v59
	v_cndmask_b32_e64 v59, v63, v60, s2
; %bb.78:
	s_or_b32 exec_lo, exec_lo, s3
	v_and_b32_e32 v60, 0xffff0000, v53
	v_and_b32_e32 v53, 0xffff0000, v54
	s_delay_alu instid0(VALU_DEP_1) | instskip(NEXT) | instid1(VALU_DEP_1)
	v_fmac_f32_e32 v60, v53, v70
	v_and_b32_e32 v53, 0x7f800000, v60
	s_delay_alu instid0(VALU_DEP_1) | instskip(NEXT) | instid1(VALU_DEP_1)
	v_cmp_ne_u32_e64 s2, 0x7f800000, v53
                                        ; implicit-def: $vgpr53
	s_and_saveexec_b32 s3, s2
	s_delay_alu instid0(SALU_CYCLE_1)
	s_xor_b32 s2, exec_lo, s3
; %bb.79:
	v_bfe_u32 v53, v60, 16, 1
	s_delay_alu instid0(VALU_DEP_1)
	v_add3_u32 v53, v60, v53, 0x7fff
                                        ; implicit-def: $vgpr60
; %bb.80:
	s_and_not1_saveexec_b32 s3, s2
; %bb.81:
	v_and_b32_e32 v53, 0xffff, v60
	v_or_b32_e32 v54, 0x10000, v60
	s_delay_alu instid0(VALU_DEP_2) | instskip(NEXT) | instid1(VALU_DEP_1)
	v_cmp_eq_u32_e64 s2, 0, v53
	v_cndmask_b32_e64 v53, v54, v60, s2
; %bb.82:
	s_or_b32 exec_lo, exec_lo, s3
	v_and_b32_e32 v59, 0xffff0000, v59
	v_lshlrev_b32_e32 v54, 16, v55
	s_delay_alu instid0(VALU_DEP_1) | instskip(NEXT) | instid1(VALU_DEP_1)
	v_fmac_f32_e32 v59, v54, v69
	v_and_b32_e32 v54, 0x7f800000, v59
	s_delay_alu instid0(VALU_DEP_1) | instskip(NEXT) | instid1(VALU_DEP_1)
	v_cmp_ne_u32_e64 s2, 0x7f800000, v54
                                        ; implicit-def: $vgpr54
	s_and_saveexec_b32 s3, s2
	s_delay_alu instid0(SALU_CYCLE_1)
	s_xor_b32 s2, exec_lo, s3
; %bb.83:
	v_bfe_u32 v54, v59, 16, 1
	s_delay_alu instid0(VALU_DEP_1)
	v_add3_u32 v54, v59, v54, 0x7fff
                                        ; implicit-def: $vgpr59
; %bb.84:
	s_and_not1_saveexec_b32 s3, s2
; %bb.85:
	v_and_b32_e32 v54, 0xffff, v59
	v_or_b32_e32 v60, 0x10000, v59
	s_delay_alu instid0(VALU_DEP_2) | instskip(NEXT) | instid1(VALU_DEP_1)
	v_cmp_eq_u32_e64 s2, 0, v54
	v_cndmask_b32_e64 v54, v60, v59, s2
; %bb.86:
	s_or_b32 exec_lo, exec_lo, s3
	v_and_b32_e32 v53, 0xffff0000, v53
	v_and_b32_e32 v55, 0xffff0000, v55
	s_delay_alu instid0(VALU_DEP_1) | instskip(NEXT) | instid1(VALU_DEP_1)
	v_fmac_f32_e32 v53, v55, v68
	v_and_b32_e32 v55, 0x7f800000, v53
	s_delay_alu instid0(VALU_DEP_1) | instskip(NEXT) | instid1(VALU_DEP_1)
	v_cmp_ne_u32_e64 s2, 0x7f800000, v55
                                        ; implicit-def: $vgpr55
	s_and_saveexec_b32 s3, s2
	s_delay_alu instid0(SALU_CYCLE_1)
	s_xor_b32 s2, exec_lo, s3
; %bb.87:
	v_bfe_u32 v55, v53, 16, 1
	s_delay_alu instid0(VALU_DEP_1)
	v_add3_u32 v55, v53, v55, 0x7fff
                                        ; implicit-def: $vgpr53
; %bb.88:
	s_and_not1_saveexec_b32 s3, s2
; %bb.89:
	v_and_b32_e32 v55, 0xffff, v53
	v_or_b32_e32 v59, 0x10000, v53
	s_delay_alu instid0(VALU_DEP_2) | instskip(NEXT) | instid1(VALU_DEP_1)
	v_cmp_eq_u32_e64 s2, 0, v55
	v_cndmask_b32_e64 v55, v59, v53, s2
; %bb.90:
	s_or_b32 exec_lo, exec_lo, s3
	v_and_b32_e32 v54, 0xffff0000, v54
	v_lshlrev_b32_e32 v53, 16, v56
	s_delay_alu instid0(VALU_DEP_1) | instskip(NEXT) | instid1(VALU_DEP_1)
	v_fmac_f32_e32 v54, v53, v66
	v_and_b32_e32 v53, 0x7f800000, v54
	s_delay_alu instid0(VALU_DEP_1) | instskip(NEXT) | instid1(VALU_DEP_1)
	v_cmp_ne_u32_e64 s2, 0x7f800000, v53
                                        ; implicit-def: $vgpr53
	s_and_saveexec_b32 s3, s2
	s_delay_alu instid0(SALU_CYCLE_1)
	s_xor_b32 s2, exec_lo, s3
; %bb.91:
	v_bfe_u32 v53, v54, 16, 1
	s_delay_alu instid0(VALU_DEP_1)
	v_add3_u32 v53, v54, v53, 0x7fff
                                        ; implicit-def: $vgpr54
; %bb.92:
	s_and_not1_saveexec_b32 s3, s2
; %bb.93:
	v_and_b32_e32 v53, 0xffff, v54
	v_or_b32_e32 v59, 0x10000, v54
	s_delay_alu instid0(VALU_DEP_2) | instskip(NEXT) | instid1(VALU_DEP_1)
	v_cmp_eq_u32_e64 s2, 0, v53
	v_cndmask_b32_e64 v53, v59, v54, s2
; %bb.94:
	s_or_b32 exec_lo, exec_lo, s3
	v_and_b32_e32 v55, 0xffff0000, v55
	v_and_b32_e32 v54, 0xffff0000, v56
	s_delay_alu instid0(VALU_DEP_1) | instskip(NEXT) | instid1(VALU_DEP_1)
	v_fmac_f32_e32 v55, v54, v67
	v_and_b32_e32 v54, 0x7f800000, v55
	s_delay_alu instid0(VALU_DEP_1) | instskip(NEXT) | instid1(VALU_DEP_1)
	v_cmp_ne_u32_e64 s2, 0x7f800000, v54
                                        ; implicit-def: $vgpr54
	s_and_saveexec_b32 s3, s2
	s_delay_alu instid0(SALU_CYCLE_1)
	s_xor_b32 s2, exec_lo, s3
; %bb.95:
	v_bfe_u32 v54, v55, 16, 1
	s_delay_alu instid0(VALU_DEP_1)
	v_add3_u32 v54, v55, v54, 0x7fff
                                        ; implicit-def: $vgpr55
; %bb.96:
	s_and_not1_saveexec_b32 s3, s2
; %bb.97:
	v_and_b32_e32 v54, 0xffff, v55
	v_or_b32_e32 v56, 0x10000, v55
	s_delay_alu instid0(VALU_DEP_2) | instskip(NEXT) | instid1(VALU_DEP_1)
	v_cmp_eq_u32_e64 s2, 0, v54
	v_cndmask_b32_e64 v54, v56, v55, s2
; %bb.98:
	s_or_b32 exec_lo, exec_lo, s3
	v_lshlrev_b32_e32 v55, 16, v49
	s_delay_alu instid0(VALU_DEP_1) | instskip(NEXT) | instid1(VALU_DEP_1)
	v_mul_f32_e32 v56, v73, v55
	v_and_b32_e32 v55, 0x7f800000, v56
	s_delay_alu instid0(VALU_DEP_1) | instskip(NEXT) | instid1(VALU_DEP_1)
	v_cmp_ne_u32_e64 s2, 0x7f800000, v55
                                        ; implicit-def: $vgpr55
	s_and_saveexec_b32 s3, s2
	s_delay_alu instid0(SALU_CYCLE_1)
	s_xor_b32 s2, exec_lo, s3
; %bb.99:
	v_bfe_u32 v55, v56, 16, 1
	s_delay_alu instid0(VALU_DEP_1)
	v_add3_u32 v55, v56, v55, 0x7fff
                                        ; implicit-def: $vgpr56
; %bb.100:
	s_and_not1_saveexec_b32 s3, s2
; %bb.101:
	v_and_b32_e32 v55, 0xffff, v56
	v_or_b32_e32 v59, 0x10000, v56
	s_delay_alu instid0(VALU_DEP_2) | instskip(NEXT) | instid1(VALU_DEP_1)
	v_cmp_eq_u32_e64 s2, 0, v55
	v_cndmask_b32_e64 v55, v59, v56, s2
; %bb.102:
	s_or_b32 exec_lo, exec_lo, s3
	v_and_b32_e32 v49, 0xffff0000, v49
	s_delay_alu instid0(VALU_DEP_1) | instskip(NEXT) | instid1(VALU_DEP_1)
	v_mul_f32_e32 v56, v72, v49
	v_and_b32_e32 v49, 0x7f800000, v56
	s_delay_alu instid0(VALU_DEP_1) | instskip(NEXT) | instid1(VALU_DEP_1)
	v_cmp_ne_u32_e64 s2, 0x7f800000, v49
                                        ; implicit-def: $vgpr49
	s_and_saveexec_b32 s3, s2
	s_delay_alu instid0(SALU_CYCLE_1)
	s_xor_b32 s2, exec_lo, s3
; %bb.103:
	v_bfe_u32 v49, v56, 16, 1
	s_delay_alu instid0(VALU_DEP_1)
	v_add3_u32 v49, v56, v49, 0x7fff
                                        ; implicit-def: $vgpr56
; %bb.104:
	s_and_not1_saveexec_b32 s3, s2
; %bb.105:
	v_and_b32_e32 v49, 0xffff, v56
	v_or_b32_e32 v59, 0x10000, v56
	s_delay_alu instid0(VALU_DEP_2) | instskip(NEXT) | instid1(VALU_DEP_1)
	v_cmp_eq_u32_e64 s2, 0, v49
	v_cndmask_b32_e64 v49, v59, v56, s2
; %bb.106:
	s_or_b32 exec_lo, exec_lo, s3
	v_and_b32_e32 v56, 0xffff0000, v55
	v_lshlrev_b32_e32 v55, 16, v50
	s_delay_alu instid0(VALU_DEP_1) | instskip(NEXT) | instid1(VALU_DEP_1)
	v_fmac_f32_e32 v56, v55, v71
	v_and_b32_e32 v55, 0x7f800000, v56
	s_delay_alu instid0(VALU_DEP_1) | instskip(NEXT) | instid1(VALU_DEP_1)
	v_cmp_ne_u32_e64 s2, 0x7f800000, v55
                                        ; implicit-def: $vgpr55
	s_and_saveexec_b32 s3, s2
	s_delay_alu instid0(SALU_CYCLE_1)
	s_xor_b32 s2, exec_lo, s3
; %bb.107:
	v_bfe_u32 v55, v56, 16, 1
	s_delay_alu instid0(VALU_DEP_1)
	v_add3_u32 v55, v56, v55, 0x7fff
                                        ; implicit-def: $vgpr56
; %bb.108:
	s_and_not1_saveexec_b32 s3, s2
; %bb.109:
	v_and_b32_e32 v55, 0xffff, v56
	v_or_b32_e32 v59, 0x10000, v56
	s_delay_alu instid0(VALU_DEP_2) | instskip(NEXT) | instid1(VALU_DEP_1)
	v_cmp_eq_u32_e64 s2, 0, v55
	v_cndmask_b32_e64 v55, v59, v56, s2
; %bb.110:
	s_or_b32 exec_lo, exec_lo, s3
	v_and_b32_e32 v56, 0xffff0000, v49
	v_and_b32_e32 v49, 0xffff0000, v50
	s_delay_alu instid0(VALU_DEP_1) | instskip(NEXT) | instid1(VALU_DEP_1)
	v_fmac_f32_e32 v56, v49, v70
	v_and_b32_e32 v49, 0x7f800000, v56
	s_delay_alu instid0(VALU_DEP_1) | instskip(NEXT) | instid1(VALU_DEP_1)
	v_cmp_ne_u32_e64 s2, 0x7f800000, v49
                                        ; implicit-def: $vgpr49
	s_and_saveexec_b32 s3, s2
	s_delay_alu instid0(SALU_CYCLE_1)
	s_xor_b32 s2, exec_lo, s3
; %bb.111:
	v_bfe_u32 v49, v56, 16, 1
	s_delay_alu instid0(VALU_DEP_1)
	v_add3_u32 v49, v56, v49, 0x7fff
                                        ; implicit-def: $vgpr56
; %bb.112:
	s_and_not1_saveexec_b32 s3, s2
; %bb.113:
	v_and_b32_e32 v49, 0xffff, v56
	v_or_b32_e32 v50, 0x10000, v56
	s_delay_alu instid0(VALU_DEP_2) | instskip(NEXT) | instid1(VALU_DEP_1)
	v_cmp_eq_u32_e64 s2, 0, v49
	v_cndmask_b32_e64 v49, v50, v56, s2
; %bb.114:
	s_or_b32 exec_lo, exec_lo, s3
	v_and_b32_e32 v55, 0xffff0000, v55
	v_lshlrev_b32_e32 v50, 16, v51
	s_delay_alu instid0(VALU_DEP_1) | instskip(NEXT) | instid1(VALU_DEP_1)
	v_fmac_f32_e32 v55, v50, v69
	v_and_b32_e32 v50, 0x7f800000, v55
	s_delay_alu instid0(VALU_DEP_1) | instskip(NEXT) | instid1(VALU_DEP_1)
	v_cmp_ne_u32_e64 s2, 0x7f800000, v50
                                        ; implicit-def: $vgpr50
	s_and_saveexec_b32 s3, s2
	s_delay_alu instid0(SALU_CYCLE_1)
	s_xor_b32 s2, exec_lo, s3
; %bb.115:
	v_bfe_u32 v50, v55, 16, 1
	s_delay_alu instid0(VALU_DEP_1)
	v_add3_u32 v50, v55, v50, 0x7fff
                                        ; implicit-def: $vgpr55
; %bb.116:
	s_and_not1_saveexec_b32 s3, s2
; %bb.117:
	v_and_b32_e32 v50, 0xffff, v55
	v_or_b32_e32 v56, 0x10000, v55
	s_delay_alu instid0(VALU_DEP_2) | instskip(NEXT) | instid1(VALU_DEP_1)
	v_cmp_eq_u32_e64 s2, 0, v50
	v_cndmask_b32_e64 v50, v56, v55, s2
; %bb.118:
	s_or_b32 exec_lo, exec_lo, s3
	v_and_b32_e32 v49, 0xffff0000, v49
	v_and_b32_e32 v51, 0xffff0000, v51
	s_delay_alu instid0(VALU_DEP_1) | instskip(NEXT) | instid1(VALU_DEP_1)
	v_fmac_f32_e32 v49, v51, v68
	v_and_b32_e32 v51, 0x7f800000, v49
	s_delay_alu instid0(VALU_DEP_1) | instskip(NEXT) | instid1(VALU_DEP_1)
	v_cmp_ne_u32_e64 s2, 0x7f800000, v51
                                        ; implicit-def: $vgpr51
	s_and_saveexec_b32 s3, s2
	s_delay_alu instid0(SALU_CYCLE_1)
	s_xor_b32 s2, exec_lo, s3
; %bb.119:
	v_bfe_u32 v51, v49, 16, 1
	s_delay_alu instid0(VALU_DEP_1)
	v_add3_u32 v51, v49, v51, 0x7fff
                                        ; implicit-def: $vgpr49
; %bb.120:
	s_and_not1_saveexec_b32 s3, s2
; %bb.121:
	v_and_b32_e32 v51, 0xffff, v49
	v_or_b32_e32 v55, 0x10000, v49
	s_delay_alu instid0(VALU_DEP_2) | instskip(NEXT) | instid1(VALU_DEP_1)
	v_cmp_eq_u32_e64 s2, 0, v51
	v_cndmask_b32_e64 v51, v55, v49, s2
; %bb.122:
	s_or_b32 exec_lo, exec_lo, s3
	v_and_b32_e32 v50, 0xffff0000, v50
	v_lshlrev_b32_e32 v49, 16, v52
	s_delay_alu instid0(VALU_DEP_1) | instskip(NEXT) | instid1(VALU_DEP_1)
	v_fmac_f32_e32 v50, v49, v66
	v_and_b32_e32 v49, 0x7f800000, v50
	s_delay_alu instid0(VALU_DEP_1) | instskip(NEXT) | instid1(VALU_DEP_1)
	v_cmp_ne_u32_e64 s2, 0x7f800000, v49
                                        ; implicit-def: $vgpr49
	s_and_saveexec_b32 s3, s2
	s_delay_alu instid0(SALU_CYCLE_1)
	s_xor_b32 s2, exec_lo, s3
; %bb.123:
	v_bfe_u32 v49, v50, 16, 1
	s_delay_alu instid0(VALU_DEP_1)
	v_add3_u32 v49, v50, v49, 0x7fff
                                        ; implicit-def: $vgpr50
; %bb.124:
	s_and_not1_saveexec_b32 s3, s2
; %bb.125:
	v_and_b32_e32 v49, 0xffff, v50
	v_or_b32_e32 v55, 0x10000, v50
	s_delay_alu instid0(VALU_DEP_2) | instskip(NEXT) | instid1(VALU_DEP_1)
	v_cmp_eq_u32_e64 s2, 0, v49
	v_cndmask_b32_e64 v49, v55, v50, s2
; %bb.126:
	s_or_b32 exec_lo, exec_lo, s3
	v_and_b32_e32 v51, 0xffff0000, v51
	v_and_b32_e32 v50, 0xffff0000, v52
	s_delay_alu instid0(VALU_DEP_1) | instskip(NEXT) | instid1(VALU_DEP_1)
	v_fmac_f32_e32 v51, v50, v67
	v_and_b32_e32 v50, 0x7f800000, v51
	s_delay_alu instid0(VALU_DEP_1) | instskip(NEXT) | instid1(VALU_DEP_1)
	v_cmp_ne_u32_e64 s2, 0x7f800000, v50
                                        ; implicit-def: $vgpr50
	s_and_saveexec_b32 s3, s2
	s_delay_alu instid0(SALU_CYCLE_1)
	s_xor_b32 s2, exec_lo, s3
; %bb.127:
	v_bfe_u32 v50, v51, 16, 1
	s_delay_alu instid0(VALU_DEP_1)
	v_add3_u32 v50, v51, v50, 0x7fff
                                        ; implicit-def: $vgpr51
; %bb.128:
	s_and_not1_saveexec_b32 s3, s2
; %bb.129:
	v_and_b32_e32 v50, 0xffff, v51
	v_or_b32_e32 v52, 0x10000, v51
	s_delay_alu instid0(VALU_DEP_2) | instskip(NEXT) | instid1(VALU_DEP_1)
	v_cmp_eq_u32_e64 s2, 0, v50
	v_cndmask_b32_e64 v50, v52, v51, s2
; %bb.130:
	s_or_b32 exec_lo, exec_lo, s3
	v_lshlrev_b32_e32 v51, 16, v45
	s_delay_alu instid0(VALU_DEP_1) | instskip(NEXT) | instid1(VALU_DEP_1)
	v_mul_f32_e32 v52, v73, v51
	v_and_b32_e32 v51, 0x7f800000, v52
	s_delay_alu instid0(VALU_DEP_1) | instskip(NEXT) | instid1(VALU_DEP_1)
	v_cmp_ne_u32_e64 s2, 0x7f800000, v51
                                        ; implicit-def: $vgpr51
	s_and_saveexec_b32 s3, s2
	s_delay_alu instid0(SALU_CYCLE_1)
	s_xor_b32 s2, exec_lo, s3
; %bb.131:
	v_bfe_u32 v51, v52, 16, 1
	s_delay_alu instid0(VALU_DEP_1)
	v_add3_u32 v51, v52, v51, 0x7fff
                                        ; implicit-def: $vgpr52
; %bb.132:
	s_and_not1_saveexec_b32 s3, s2
; %bb.133:
	v_and_b32_e32 v51, 0xffff, v52
	v_or_b32_e32 v55, 0x10000, v52
	s_delay_alu instid0(VALU_DEP_2) | instskip(NEXT) | instid1(VALU_DEP_1)
	v_cmp_eq_u32_e64 s2, 0, v51
	v_cndmask_b32_e64 v51, v55, v52, s2
; %bb.134:
	s_or_b32 exec_lo, exec_lo, s3
	v_and_b32_e32 v45, 0xffff0000, v45
	s_delay_alu instid0(VALU_DEP_1) | instskip(NEXT) | instid1(VALU_DEP_1)
	v_mul_f32_e32 v52, v72, v45
	v_and_b32_e32 v45, 0x7f800000, v52
	s_delay_alu instid0(VALU_DEP_1) | instskip(NEXT) | instid1(VALU_DEP_1)
	v_cmp_ne_u32_e64 s2, 0x7f800000, v45
                                        ; implicit-def: $vgpr45
	s_and_saveexec_b32 s3, s2
	s_delay_alu instid0(SALU_CYCLE_1)
	s_xor_b32 s2, exec_lo, s3
; %bb.135:
	v_bfe_u32 v45, v52, 16, 1
	s_delay_alu instid0(VALU_DEP_1)
	v_add3_u32 v45, v52, v45, 0x7fff
                                        ; implicit-def: $vgpr52
; %bb.136:
	s_and_not1_saveexec_b32 s3, s2
; %bb.137:
	v_and_b32_e32 v45, 0xffff, v52
	v_or_b32_e32 v55, 0x10000, v52
	s_delay_alu instid0(VALU_DEP_2) | instskip(NEXT) | instid1(VALU_DEP_1)
	v_cmp_eq_u32_e64 s2, 0, v45
	v_cndmask_b32_e64 v45, v55, v52, s2
; %bb.138:
	s_or_b32 exec_lo, exec_lo, s3
	v_and_b32_e32 v52, 0xffff0000, v51
	v_lshlrev_b32_e32 v51, 16, v46
	s_delay_alu instid0(VALU_DEP_1) | instskip(NEXT) | instid1(VALU_DEP_1)
	v_fmac_f32_e32 v52, v51, v71
	v_and_b32_e32 v51, 0x7f800000, v52
	s_delay_alu instid0(VALU_DEP_1) | instskip(NEXT) | instid1(VALU_DEP_1)
	v_cmp_ne_u32_e64 s2, 0x7f800000, v51
                                        ; implicit-def: $vgpr51
	s_and_saveexec_b32 s3, s2
	s_delay_alu instid0(SALU_CYCLE_1)
	s_xor_b32 s2, exec_lo, s3
; %bb.139:
	v_bfe_u32 v51, v52, 16, 1
	s_delay_alu instid0(VALU_DEP_1)
	v_add3_u32 v51, v52, v51, 0x7fff
                                        ; implicit-def: $vgpr52
; %bb.140:
	s_and_not1_saveexec_b32 s3, s2
; %bb.141:
	v_and_b32_e32 v51, 0xffff, v52
	v_or_b32_e32 v55, 0x10000, v52
	s_delay_alu instid0(VALU_DEP_2) | instskip(NEXT) | instid1(VALU_DEP_1)
	v_cmp_eq_u32_e64 s2, 0, v51
	v_cndmask_b32_e64 v51, v55, v52, s2
; %bb.142:
	s_or_b32 exec_lo, exec_lo, s3
	v_and_b32_e32 v52, 0xffff0000, v45
	v_and_b32_e32 v45, 0xffff0000, v46
	s_delay_alu instid0(VALU_DEP_1) | instskip(NEXT) | instid1(VALU_DEP_1)
	v_fmac_f32_e32 v52, v45, v70
	v_and_b32_e32 v45, 0x7f800000, v52
	s_delay_alu instid0(VALU_DEP_1) | instskip(NEXT) | instid1(VALU_DEP_1)
	v_cmp_ne_u32_e64 s2, 0x7f800000, v45
                                        ; implicit-def: $vgpr45
	s_and_saveexec_b32 s3, s2
	s_delay_alu instid0(SALU_CYCLE_1)
	s_xor_b32 s2, exec_lo, s3
; %bb.143:
	v_bfe_u32 v45, v52, 16, 1
	s_delay_alu instid0(VALU_DEP_1)
	v_add3_u32 v45, v52, v45, 0x7fff
                                        ; implicit-def: $vgpr52
; %bb.144:
	s_and_not1_saveexec_b32 s3, s2
; %bb.145:
	v_and_b32_e32 v45, 0xffff, v52
	v_or_b32_e32 v46, 0x10000, v52
	s_delay_alu instid0(VALU_DEP_2) | instskip(NEXT) | instid1(VALU_DEP_1)
	v_cmp_eq_u32_e64 s2, 0, v45
	v_cndmask_b32_e64 v45, v46, v52, s2
; %bb.146:
	s_or_b32 exec_lo, exec_lo, s3
	v_and_b32_e32 v51, 0xffff0000, v51
	v_lshlrev_b32_e32 v46, 16, v47
	s_delay_alu instid0(VALU_DEP_1) | instskip(NEXT) | instid1(VALU_DEP_1)
	v_fmac_f32_e32 v51, v46, v69
	v_and_b32_e32 v46, 0x7f800000, v51
	s_delay_alu instid0(VALU_DEP_1) | instskip(NEXT) | instid1(VALU_DEP_1)
	v_cmp_ne_u32_e64 s2, 0x7f800000, v46
                                        ; implicit-def: $vgpr46
	s_and_saveexec_b32 s3, s2
	s_delay_alu instid0(SALU_CYCLE_1)
	s_xor_b32 s2, exec_lo, s3
; %bb.147:
	v_bfe_u32 v46, v51, 16, 1
	s_delay_alu instid0(VALU_DEP_1)
	v_add3_u32 v46, v51, v46, 0x7fff
                                        ; implicit-def: $vgpr51
; %bb.148:
	s_and_not1_saveexec_b32 s3, s2
; %bb.149:
	v_and_b32_e32 v46, 0xffff, v51
	v_or_b32_e32 v52, 0x10000, v51
	s_delay_alu instid0(VALU_DEP_2) | instskip(NEXT) | instid1(VALU_DEP_1)
	v_cmp_eq_u32_e64 s2, 0, v46
	v_cndmask_b32_e64 v46, v52, v51, s2
; %bb.150:
	s_or_b32 exec_lo, exec_lo, s3
	v_and_b32_e32 v45, 0xffff0000, v45
	v_and_b32_e32 v47, 0xffff0000, v47
	s_delay_alu instid0(VALU_DEP_1) | instskip(NEXT) | instid1(VALU_DEP_1)
	v_fmac_f32_e32 v45, v47, v68
	v_and_b32_e32 v47, 0x7f800000, v45
	s_delay_alu instid0(VALU_DEP_1) | instskip(NEXT) | instid1(VALU_DEP_1)
	v_cmp_ne_u32_e64 s2, 0x7f800000, v47
                                        ; implicit-def: $vgpr47
	s_and_saveexec_b32 s3, s2
	s_delay_alu instid0(SALU_CYCLE_1)
	s_xor_b32 s2, exec_lo, s3
; %bb.151:
	v_bfe_u32 v47, v45, 16, 1
	s_delay_alu instid0(VALU_DEP_1)
	v_add3_u32 v47, v45, v47, 0x7fff
                                        ; implicit-def: $vgpr45
; %bb.152:
	s_and_not1_saveexec_b32 s3, s2
; %bb.153:
	v_and_b32_e32 v47, 0xffff, v45
	v_or_b32_e32 v51, 0x10000, v45
	s_delay_alu instid0(VALU_DEP_2) | instskip(NEXT) | instid1(VALU_DEP_1)
	v_cmp_eq_u32_e64 s2, 0, v47
	v_cndmask_b32_e64 v47, v51, v45, s2
; %bb.154:
	s_or_b32 exec_lo, exec_lo, s3
	v_and_b32_e32 v46, 0xffff0000, v46
	v_lshlrev_b32_e32 v45, 16, v48
	s_delay_alu instid0(VALU_DEP_1) | instskip(NEXT) | instid1(VALU_DEP_1)
	v_fmac_f32_e32 v46, v45, v66
	v_and_b32_e32 v45, 0x7f800000, v46
	s_delay_alu instid0(VALU_DEP_1) | instskip(NEXT) | instid1(VALU_DEP_1)
	v_cmp_ne_u32_e64 s2, 0x7f800000, v45
                                        ; implicit-def: $vgpr45
	s_and_saveexec_b32 s3, s2
	s_delay_alu instid0(SALU_CYCLE_1)
	s_xor_b32 s2, exec_lo, s3
; %bb.155:
	v_bfe_u32 v45, v46, 16, 1
	s_delay_alu instid0(VALU_DEP_1)
	v_add3_u32 v45, v46, v45, 0x7fff
                                        ; implicit-def: $vgpr46
; %bb.156:
	s_and_not1_saveexec_b32 s3, s2
; %bb.157:
	v_and_b32_e32 v45, 0xffff, v46
	v_or_b32_e32 v51, 0x10000, v46
	s_delay_alu instid0(VALU_DEP_2) | instskip(NEXT) | instid1(VALU_DEP_1)
	v_cmp_eq_u32_e64 s2, 0, v45
	v_cndmask_b32_e64 v45, v51, v46, s2
; %bb.158:
	s_or_b32 exec_lo, exec_lo, s3
	v_and_b32_e32 v47, 0xffff0000, v47
	v_and_b32_e32 v46, 0xffff0000, v48
	s_delay_alu instid0(VALU_DEP_1) | instskip(NEXT) | instid1(VALU_DEP_1)
	v_fmac_f32_e32 v47, v46, v67
	v_and_b32_e32 v46, 0x7f800000, v47
	s_delay_alu instid0(VALU_DEP_1) | instskip(NEXT) | instid1(VALU_DEP_1)
	v_cmp_ne_u32_e64 s2, 0x7f800000, v46
                                        ; implicit-def: $vgpr46
	s_and_saveexec_b32 s3, s2
	s_delay_alu instid0(SALU_CYCLE_1)
	s_xor_b32 s2, exec_lo, s3
; %bb.159:
	v_bfe_u32 v46, v47, 16, 1
	s_delay_alu instid0(VALU_DEP_1)
	v_add3_u32 v46, v47, v46, 0x7fff
                                        ; implicit-def: $vgpr47
; %bb.160:
	s_and_not1_saveexec_b32 s3, s2
; %bb.161:
	v_and_b32_e32 v46, 0xffff, v47
	v_or_b32_e32 v48, 0x10000, v47
	s_delay_alu instid0(VALU_DEP_2) | instskip(NEXT) | instid1(VALU_DEP_1)
	v_cmp_eq_u32_e64 s2, 0, v46
	v_cndmask_b32_e64 v46, v48, v47, s2
; %bb.162:
	s_or_b32 exec_lo, exec_lo, s3
	v_lshlrev_b32_e32 v47, 16, v41
	s_delay_alu instid0(VALU_DEP_1) | instskip(NEXT) | instid1(VALU_DEP_1)
	v_mul_f32_e32 v48, v73, v47
	v_and_b32_e32 v47, 0x7f800000, v48
	s_delay_alu instid0(VALU_DEP_1) | instskip(NEXT) | instid1(VALU_DEP_1)
	v_cmp_ne_u32_e64 s2, 0x7f800000, v47
                                        ; implicit-def: $vgpr47
	s_and_saveexec_b32 s3, s2
	s_delay_alu instid0(SALU_CYCLE_1)
	s_xor_b32 s2, exec_lo, s3
; %bb.163:
	v_bfe_u32 v47, v48, 16, 1
	s_delay_alu instid0(VALU_DEP_1)
	v_add3_u32 v47, v48, v47, 0x7fff
                                        ; implicit-def: $vgpr48
; %bb.164:
	s_and_not1_saveexec_b32 s3, s2
; %bb.165:
	v_and_b32_e32 v47, 0xffff, v48
	v_or_b32_e32 v51, 0x10000, v48
	s_delay_alu instid0(VALU_DEP_2) | instskip(NEXT) | instid1(VALU_DEP_1)
	v_cmp_eq_u32_e64 s2, 0, v47
	v_cndmask_b32_e64 v47, v51, v48, s2
; %bb.166:
	s_or_b32 exec_lo, exec_lo, s3
	v_and_b32_e32 v41, 0xffff0000, v41
	s_delay_alu instid0(VALU_DEP_1) | instskip(NEXT) | instid1(VALU_DEP_1)
	v_mul_f32_e32 v48, v72, v41
	v_and_b32_e32 v41, 0x7f800000, v48
	s_delay_alu instid0(VALU_DEP_1) | instskip(NEXT) | instid1(VALU_DEP_1)
	v_cmp_ne_u32_e64 s2, 0x7f800000, v41
                                        ; implicit-def: $vgpr41
	s_and_saveexec_b32 s3, s2
	s_delay_alu instid0(SALU_CYCLE_1)
	s_xor_b32 s2, exec_lo, s3
; %bb.167:
	v_bfe_u32 v41, v48, 16, 1
	s_delay_alu instid0(VALU_DEP_1)
	v_add3_u32 v41, v48, v41, 0x7fff
                                        ; implicit-def: $vgpr48
; %bb.168:
	s_and_not1_saveexec_b32 s3, s2
; %bb.169:
	v_and_b32_e32 v41, 0xffff, v48
	v_or_b32_e32 v51, 0x10000, v48
	s_delay_alu instid0(VALU_DEP_2) | instskip(NEXT) | instid1(VALU_DEP_1)
	v_cmp_eq_u32_e64 s2, 0, v41
	v_cndmask_b32_e64 v41, v51, v48, s2
; %bb.170:
	s_or_b32 exec_lo, exec_lo, s3
	v_and_b32_e32 v48, 0xffff0000, v47
	v_lshlrev_b32_e32 v47, 16, v42
	s_delay_alu instid0(VALU_DEP_1) | instskip(NEXT) | instid1(VALU_DEP_1)
	v_fmac_f32_e32 v48, v47, v71
	v_and_b32_e32 v47, 0x7f800000, v48
	s_delay_alu instid0(VALU_DEP_1) | instskip(NEXT) | instid1(VALU_DEP_1)
	v_cmp_ne_u32_e64 s2, 0x7f800000, v47
                                        ; implicit-def: $vgpr47
	s_and_saveexec_b32 s3, s2
	s_delay_alu instid0(SALU_CYCLE_1)
	s_xor_b32 s2, exec_lo, s3
; %bb.171:
	v_bfe_u32 v47, v48, 16, 1
	s_delay_alu instid0(VALU_DEP_1)
	v_add3_u32 v47, v48, v47, 0x7fff
                                        ; implicit-def: $vgpr48
; %bb.172:
	s_and_not1_saveexec_b32 s3, s2
; %bb.173:
	v_and_b32_e32 v47, 0xffff, v48
	v_or_b32_e32 v51, 0x10000, v48
	s_delay_alu instid0(VALU_DEP_2) | instskip(NEXT) | instid1(VALU_DEP_1)
	v_cmp_eq_u32_e64 s2, 0, v47
	v_cndmask_b32_e64 v47, v51, v48, s2
; %bb.174:
	s_or_b32 exec_lo, exec_lo, s3
	v_and_b32_e32 v48, 0xffff0000, v41
	v_and_b32_e32 v41, 0xffff0000, v42
	s_delay_alu instid0(VALU_DEP_1) | instskip(NEXT) | instid1(VALU_DEP_1)
	v_fmac_f32_e32 v48, v41, v70
	v_and_b32_e32 v41, 0x7f800000, v48
	s_delay_alu instid0(VALU_DEP_1) | instskip(NEXT) | instid1(VALU_DEP_1)
	v_cmp_ne_u32_e64 s2, 0x7f800000, v41
                                        ; implicit-def: $vgpr41
	s_and_saveexec_b32 s3, s2
	s_delay_alu instid0(SALU_CYCLE_1)
	s_xor_b32 s2, exec_lo, s3
; %bb.175:
	v_bfe_u32 v41, v48, 16, 1
	s_delay_alu instid0(VALU_DEP_1)
	v_add3_u32 v41, v48, v41, 0x7fff
                                        ; implicit-def: $vgpr48
; %bb.176:
	s_and_not1_saveexec_b32 s3, s2
; %bb.177:
	v_and_b32_e32 v41, 0xffff, v48
	v_or_b32_e32 v42, 0x10000, v48
	s_delay_alu instid0(VALU_DEP_2) | instskip(NEXT) | instid1(VALU_DEP_1)
	v_cmp_eq_u32_e64 s2, 0, v41
	v_cndmask_b32_e64 v41, v42, v48, s2
; %bb.178:
	s_or_b32 exec_lo, exec_lo, s3
	v_and_b32_e32 v47, 0xffff0000, v47
	v_lshlrev_b32_e32 v42, 16, v43
	s_delay_alu instid0(VALU_DEP_1) | instskip(NEXT) | instid1(VALU_DEP_1)
	v_fmac_f32_e32 v47, v42, v69
	v_and_b32_e32 v42, 0x7f800000, v47
	s_delay_alu instid0(VALU_DEP_1) | instskip(NEXT) | instid1(VALU_DEP_1)
	v_cmp_ne_u32_e64 s2, 0x7f800000, v42
                                        ; implicit-def: $vgpr42
	s_and_saveexec_b32 s3, s2
	s_delay_alu instid0(SALU_CYCLE_1)
	s_xor_b32 s2, exec_lo, s3
; %bb.179:
	v_bfe_u32 v42, v47, 16, 1
	s_delay_alu instid0(VALU_DEP_1)
	v_add3_u32 v42, v47, v42, 0x7fff
                                        ; implicit-def: $vgpr47
; %bb.180:
	s_and_not1_saveexec_b32 s3, s2
; %bb.181:
	v_and_b32_e32 v42, 0xffff, v47
	v_or_b32_e32 v48, 0x10000, v47
	s_delay_alu instid0(VALU_DEP_2) | instskip(NEXT) | instid1(VALU_DEP_1)
	v_cmp_eq_u32_e64 s2, 0, v42
	v_cndmask_b32_e64 v42, v48, v47, s2
; %bb.182:
	s_or_b32 exec_lo, exec_lo, s3
	v_and_b32_e32 v41, 0xffff0000, v41
	v_and_b32_e32 v43, 0xffff0000, v43
	s_delay_alu instid0(VALU_DEP_1) | instskip(NEXT) | instid1(VALU_DEP_1)
	v_fmac_f32_e32 v41, v43, v68
	v_and_b32_e32 v43, 0x7f800000, v41
	s_delay_alu instid0(VALU_DEP_1) | instskip(NEXT) | instid1(VALU_DEP_1)
	v_cmp_ne_u32_e64 s2, 0x7f800000, v43
                                        ; implicit-def: $vgpr43
	s_and_saveexec_b32 s3, s2
	s_delay_alu instid0(SALU_CYCLE_1)
	s_xor_b32 s2, exec_lo, s3
; %bb.183:
	v_bfe_u32 v43, v41, 16, 1
	s_delay_alu instid0(VALU_DEP_1)
	v_add3_u32 v43, v41, v43, 0x7fff
                                        ; implicit-def: $vgpr41
; %bb.184:
	s_and_not1_saveexec_b32 s3, s2
; %bb.185:
	v_and_b32_e32 v43, 0xffff, v41
	v_or_b32_e32 v47, 0x10000, v41
	s_delay_alu instid0(VALU_DEP_2) | instskip(NEXT) | instid1(VALU_DEP_1)
	v_cmp_eq_u32_e64 s2, 0, v43
	v_cndmask_b32_e64 v43, v47, v41, s2
; %bb.186:
	s_or_b32 exec_lo, exec_lo, s3
	v_and_b32_e32 v42, 0xffff0000, v42
	v_lshlrev_b32_e32 v41, 16, v44
	s_delay_alu instid0(VALU_DEP_1) | instskip(NEXT) | instid1(VALU_DEP_1)
	v_fmac_f32_e32 v42, v41, v66
	v_and_b32_e32 v41, 0x7f800000, v42
	s_delay_alu instid0(VALU_DEP_1) | instskip(NEXT) | instid1(VALU_DEP_1)
	v_cmp_ne_u32_e64 s2, 0x7f800000, v41
                                        ; implicit-def: $vgpr41
	s_and_saveexec_b32 s3, s2
	s_delay_alu instid0(SALU_CYCLE_1)
	s_xor_b32 s2, exec_lo, s3
; %bb.187:
	v_bfe_u32 v41, v42, 16, 1
	s_delay_alu instid0(VALU_DEP_1)
	v_add3_u32 v41, v42, v41, 0x7fff
                                        ; implicit-def: $vgpr42
; %bb.188:
	s_and_not1_saveexec_b32 s3, s2
; %bb.189:
	v_and_b32_e32 v41, 0xffff, v42
	v_or_b32_e32 v47, 0x10000, v42
	s_delay_alu instid0(VALU_DEP_2) | instskip(NEXT) | instid1(VALU_DEP_1)
	v_cmp_eq_u32_e64 s2, 0, v41
	v_cndmask_b32_e64 v41, v47, v42, s2
; %bb.190:
	s_or_b32 exec_lo, exec_lo, s3
	v_and_b32_e32 v43, 0xffff0000, v43
	v_and_b32_e32 v42, 0xffff0000, v44
	s_delay_alu instid0(VALU_DEP_1) | instskip(NEXT) | instid1(VALU_DEP_1)
	v_fmac_f32_e32 v43, v42, v67
	v_and_b32_e32 v42, 0x7f800000, v43
	s_delay_alu instid0(VALU_DEP_1) | instskip(NEXT) | instid1(VALU_DEP_1)
	v_cmp_ne_u32_e64 s2, 0x7f800000, v42
                                        ; implicit-def: $vgpr42
	s_and_saveexec_b32 s3, s2
	s_delay_alu instid0(SALU_CYCLE_1)
	s_xor_b32 s2, exec_lo, s3
; %bb.191:
	v_bfe_u32 v42, v43, 16, 1
	s_delay_alu instid0(VALU_DEP_1)
	v_add3_u32 v42, v43, v42, 0x7fff
                                        ; implicit-def: $vgpr43
; %bb.192:
	s_and_not1_saveexec_b32 s3, s2
; %bb.193:
	v_and_b32_e32 v42, 0xffff, v43
	v_or_b32_e32 v44, 0x10000, v43
	s_delay_alu instid0(VALU_DEP_2) | instskip(NEXT) | instid1(VALU_DEP_1)
	v_cmp_eq_u32_e64 s2, 0, v42
	v_cndmask_b32_e64 v42, v44, v43, s2
; %bb.194:
	s_or_b32 exec_lo, exec_lo, s3
	v_lshlrev_b32_e32 v43, 16, v37
	s_delay_alu instid0(VALU_DEP_1) | instskip(NEXT) | instid1(VALU_DEP_1)
	v_mul_f32_e32 v44, v73, v43
	v_and_b32_e32 v43, 0x7f800000, v44
	s_delay_alu instid0(VALU_DEP_1) | instskip(NEXT) | instid1(VALU_DEP_1)
	v_cmp_ne_u32_e64 s2, 0x7f800000, v43
                                        ; implicit-def: $vgpr43
	s_and_saveexec_b32 s3, s2
	s_delay_alu instid0(SALU_CYCLE_1)
	s_xor_b32 s2, exec_lo, s3
; %bb.195:
	v_bfe_u32 v43, v44, 16, 1
	s_delay_alu instid0(VALU_DEP_1)
	v_add3_u32 v43, v44, v43, 0x7fff
                                        ; implicit-def: $vgpr44
; %bb.196:
	s_and_not1_saveexec_b32 s3, s2
; %bb.197:
	v_and_b32_e32 v43, 0xffff, v44
	v_or_b32_e32 v47, 0x10000, v44
	s_delay_alu instid0(VALU_DEP_2) | instskip(NEXT) | instid1(VALU_DEP_1)
	v_cmp_eq_u32_e64 s2, 0, v43
	v_cndmask_b32_e64 v43, v47, v44, s2
; %bb.198:
	s_or_b32 exec_lo, exec_lo, s3
	v_and_b32_e32 v37, 0xffff0000, v37
	s_delay_alu instid0(VALU_DEP_1) | instskip(NEXT) | instid1(VALU_DEP_1)
	v_mul_f32_e32 v44, v72, v37
	v_and_b32_e32 v37, 0x7f800000, v44
	s_delay_alu instid0(VALU_DEP_1) | instskip(NEXT) | instid1(VALU_DEP_1)
	v_cmp_ne_u32_e64 s2, 0x7f800000, v37
                                        ; implicit-def: $vgpr37
	s_and_saveexec_b32 s3, s2
	s_delay_alu instid0(SALU_CYCLE_1)
	s_xor_b32 s2, exec_lo, s3
; %bb.199:
	v_bfe_u32 v37, v44, 16, 1
	s_delay_alu instid0(VALU_DEP_1)
	v_add3_u32 v37, v44, v37, 0x7fff
                                        ; implicit-def: $vgpr44
; %bb.200:
	s_and_not1_saveexec_b32 s3, s2
; %bb.201:
	v_and_b32_e32 v37, 0xffff, v44
	v_or_b32_e32 v47, 0x10000, v44
	s_delay_alu instid0(VALU_DEP_2) | instskip(NEXT) | instid1(VALU_DEP_1)
	v_cmp_eq_u32_e64 s2, 0, v37
	v_cndmask_b32_e64 v37, v47, v44, s2
; %bb.202:
	s_or_b32 exec_lo, exec_lo, s3
	v_and_b32_e32 v44, 0xffff0000, v43
	v_lshlrev_b32_e32 v43, 16, v38
	s_delay_alu instid0(VALU_DEP_1) | instskip(NEXT) | instid1(VALU_DEP_1)
	v_fmac_f32_e32 v44, v43, v71
	v_and_b32_e32 v43, 0x7f800000, v44
	s_delay_alu instid0(VALU_DEP_1) | instskip(NEXT) | instid1(VALU_DEP_1)
	v_cmp_ne_u32_e64 s2, 0x7f800000, v43
                                        ; implicit-def: $vgpr43
	s_and_saveexec_b32 s3, s2
	s_delay_alu instid0(SALU_CYCLE_1)
	s_xor_b32 s2, exec_lo, s3
; %bb.203:
	v_bfe_u32 v43, v44, 16, 1
	s_delay_alu instid0(VALU_DEP_1)
	v_add3_u32 v43, v44, v43, 0x7fff
                                        ; implicit-def: $vgpr44
; %bb.204:
	s_and_not1_saveexec_b32 s3, s2
; %bb.205:
	v_and_b32_e32 v43, 0xffff, v44
	v_or_b32_e32 v47, 0x10000, v44
	s_delay_alu instid0(VALU_DEP_2) | instskip(NEXT) | instid1(VALU_DEP_1)
	v_cmp_eq_u32_e64 s2, 0, v43
	v_cndmask_b32_e64 v43, v47, v44, s2
; %bb.206:
	s_or_b32 exec_lo, exec_lo, s3
	v_and_b32_e32 v44, 0xffff0000, v37
	v_and_b32_e32 v37, 0xffff0000, v38
	s_delay_alu instid0(VALU_DEP_1) | instskip(NEXT) | instid1(VALU_DEP_1)
	v_fmac_f32_e32 v44, v37, v70
	v_and_b32_e32 v37, 0x7f800000, v44
	s_delay_alu instid0(VALU_DEP_1) | instskip(NEXT) | instid1(VALU_DEP_1)
	v_cmp_ne_u32_e64 s2, 0x7f800000, v37
                                        ; implicit-def: $vgpr37
	s_and_saveexec_b32 s3, s2
	s_delay_alu instid0(SALU_CYCLE_1)
	s_xor_b32 s2, exec_lo, s3
; %bb.207:
	v_bfe_u32 v37, v44, 16, 1
	s_delay_alu instid0(VALU_DEP_1)
	v_add3_u32 v37, v44, v37, 0x7fff
                                        ; implicit-def: $vgpr44
; %bb.208:
	s_and_not1_saveexec_b32 s3, s2
; %bb.209:
	v_and_b32_e32 v37, 0xffff, v44
	v_or_b32_e32 v38, 0x10000, v44
	s_delay_alu instid0(VALU_DEP_2) | instskip(NEXT) | instid1(VALU_DEP_1)
	v_cmp_eq_u32_e64 s2, 0, v37
	v_cndmask_b32_e64 v37, v38, v44, s2
; %bb.210:
	s_or_b32 exec_lo, exec_lo, s3
	v_and_b32_e32 v43, 0xffff0000, v43
	v_lshlrev_b32_e32 v38, 16, v39
	s_delay_alu instid0(VALU_DEP_1) | instskip(NEXT) | instid1(VALU_DEP_1)
	v_fmac_f32_e32 v43, v38, v69
	v_and_b32_e32 v38, 0x7f800000, v43
	s_delay_alu instid0(VALU_DEP_1) | instskip(NEXT) | instid1(VALU_DEP_1)
	v_cmp_ne_u32_e64 s2, 0x7f800000, v38
                                        ; implicit-def: $vgpr38
	s_and_saveexec_b32 s3, s2
	s_delay_alu instid0(SALU_CYCLE_1)
	s_xor_b32 s2, exec_lo, s3
; %bb.211:
	v_bfe_u32 v38, v43, 16, 1
	s_delay_alu instid0(VALU_DEP_1)
	v_add3_u32 v38, v43, v38, 0x7fff
                                        ; implicit-def: $vgpr43
; %bb.212:
	s_and_not1_saveexec_b32 s3, s2
; %bb.213:
	v_and_b32_e32 v38, 0xffff, v43
	v_or_b32_e32 v44, 0x10000, v43
	s_delay_alu instid0(VALU_DEP_2) | instskip(NEXT) | instid1(VALU_DEP_1)
	v_cmp_eq_u32_e64 s2, 0, v38
	v_cndmask_b32_e64 v38, v44, v43, s2
; %bb.214:
	s_or_b32 exec_lo, exec_lo, s3
	v_and_b32_e32 v37, 0xffff0000, v37
	v_and_b32_e32 v39, 0xffff0000, v39
	s_delay_alu instid0(VALU_DEP_1) | instskip(NEXT) | instid1(VALU_DEP_1)
	v_fmac_f32_e32 v37, v39, v68
	v_and_b32_e32 v39, 0x7f800000, v37
	s_delay_alu instid0(VALU_DEP_1) | instskip(NEXT) | instid1(VALU_DEP_1)
	v_cmp_ne_u32_e64 s2, 0x7f800000, v39
                                        ; implicit-def: $vgpr39
	s_and_saveexec_b32 s3, s2
	s_delay_alu instid0(SALU_CYCLE_1)
	s_xor_b32 s2, exec_lo, s3
; %bb.215:
	v_bfe_u32 v39, v37, 16, 1
	s_delay_alu instid0(VALU_DEP_1)
	v_add3_u32 v39, v37, v39, 0x7fff
                                        ; implicit-def: $vgpr37
; %bb.216:
	s_and_not1_saveexec_b32 s3, s2
; %bb.217:
	v_and_b32_e32 v39, 0xffff, v37
	v_or_b32_e32 v43, 0x10000, v37
	s_delay_alu instid0(VALU_DEP_2) | instskip(NEXT) | instid1(VALU_DEP_1)
	v_cmp_eq_u32_e64 s2, 0, v39
	v_cndmask_b32_e64 v39, v43, v37, s2
; %bb.218:
	s_or_b32 exec_lo, exec_lo, s3
	v_and_b32_e32 v38, 0xffff0000, v38
	v_lshlrev_b32_e32 v37, 16, v40
	s_delay_alu instid0(VALU_DEP_1) | instskip(NEXT) | instid1(VALU_DEP_1)
	v_fmac_f32_e32 v38, v37, v66
	v_and_b32_e32 v37, 0x7f800000, v38
	s_delay_alu instid0(VALU_DEP_1) | instskip(NEXT) | instid1(VALU_DEP_1)
	v_cmp_ne_u32_e64 s2, 0x7f800000, v37
                                        ; implicit-def: $vgpr37
	s_and_saveexec_b32 s3, s2
	s_delay_alu instid0(SALU_CYCLE_1)
	s_xor_b32 s2, exec_lo, s3
; %bb.219:
	v_bfe_u32 v37, v38, 16, 1
	s_delay_alu instid0(VALU_DEP_1)
	v_add3_u32 v37, v38, v37, 0x7fff
                                        ; implicit-def: $vgpr38
; %bb.220:
	s_and_not1_saveexec_b32 s3, s2
; %bb.221:
	v_and_b32_e32 v37, 0xffff, v38
	v_or_b32_e32 v43, 0x10000, v38
	s_delay_alu instid0(VALU_DEP_2) | instskip(NEXT) | instid1(VALU_DEP_1)
	v_cmp_eq_u32_e64 s2, 0, v37
	v_cndmask_b32_e64 v37, v43, v38, s2
; %bb.222:
	s_or_b32 exec_lo, exec_lo, s3
	v_and_b32_e32 v39, 0xffff0000, v39
	v_and_b32_e32 v38, 0xffff0000, v40
	s_delay_alu instid0(VALU_DEP_1) | instskip(NEXT) | instid1(VALU_DEP_1)
	v_fmac_f32_e32 v39, v38, v67
	v_and_b32_e32 v38, 0x7f800000, v39
	s_delay_alu instid0(VALU_DEP_1) | instskip(NEXT) | instid1(VALU_DEP_1)
	v_cmp_ne_u32_e64 s2, 0x7f800000, v38
                                        ; implicit-def: $vgpr38
	s_and_saveexec_b32 s3, s2
	s_delay_alu instid0(SALU_CYCLE_1)
	s_xor_b32 s2, exec_lo, s3
; %bb.223:
	v_bfe_u32 v38, v39, 16, 1
	s_delay_alu instid0(VALU_DEP_1)
	v_add3_u32 v38, v39, v38, 0x7fff
                                        ; implicit-def: $vgpr39
; %bb.224:
	s_and_not1_saveexec_b32 s3, s2
; %bb.225:
	v_and_b32_e32 v38, 0xffff, v39
	v_or_b32_e32 v40, 0x10000, v39
	s_delay_alu instid0(VALU_DEP_2) | instskip(NEXT) | instid1(VALU_DEP_1)
	v_cmp_eq_u32_e64 s2, 0, v38
	v_cndmask_b32_e64 v38, v40, v39, s2
; %bb.226:
	s_or_b32 exec_lo, exec_lo, s3
	v_lshlrev_b32_e32 v39, 16, v33
	s_delay_alu instid0(VALU_DEP_1) | instskip(NEXT) | instid1(VALU_DEP_1)
	v_mul_f32_e32 v40, v73, v39
	v_and_b32_e32 v39, 0x7f800000, v40
	s_delay_alu instid0(VALU_DEP_1) | instskip(NEXT) | instid1(VALU_DEP_1)
	v_cmp_ne_u32_e64 s2, 0x7f800000, v39
                                        ; implicit-def: $vgpr39
	s_and_saveexec_b32 s3, s2
	s_delay_alu instid0(SALU_CYCLE_1)
	s_xor_b32 s2, exec_lo, s3
; %bb.227:
	v_bfe_u32 v39, v40, 16, 1
	s_delay_alu instid0(VALU_DEP_1)
	v_add3_u32 v39, v40, v39, 0x7fff
                                        ; implicit-def: $vgpr40
; %bb.228:
	s_and_not1_saveexec_b32 s3, s2
; %bb.229:
	v_and_b32_e32 v39, 0xffff, v40
	v_or_b32_e32 v43, 0x10000, v40
	s_delay_alu instid0(VALU_DEP_2) | instskip(NEXT) | instid1(VALU_DEP_1)
	v_cmp_eq_u32_e64 s2, 0, v39
	v_cndmask_b32_e64 v39, v43, v40, s2
; %bb.230:
	s_or_b32 exec_lo, exec_lo, s3
	v_and_b32_e32 v33, 0xffff0000, v33
	s_delay_alu instid0(VALU_DEP_1) | instskip(NEXT) | instid1(VALU_DEP_1)
	v_mul_f32_e32 v40, v72, v33
	v_and_b32_e32 v33, 0x7f800000, v40
	s_delay_alu instid0(VALU_DEP_1) | instskip(NEXT) | instid1(VALU_DEP_1)
	v_cmp_ne_u32_e64 s2, 0x7f800000, v33
                                        ; implicit-def: $vgpr33
	s_and_saveexec_b32 s3, s2
	s_delay_alu instid0(SALU_CYCLE_1)
	s_xor_b32 s2, exec_lo, s3
; %bb.231:
	v_bfe_u32 v33, v40, 16, 1
	s_delay_alu instid0(VALU_DEP_1)
	v_add3_u32 v33, v40, v33, 0x7fff
                                        ; implicit-def: $vgpr40
; %bb.232:
	s_and_not1_saveexec_b32 s3, s2
; %bb.233:
	v_and_b32_e32 v33, 0xffff, v40
	v_or_b32_e32 v43, 0x10000, v40
	s_delay_alu instid0(VALU_DEP_2) | instskip(NEXT) | instid1(VALU_DEP_1)
	v_cmp_eq_u32_e64 s2, 0, v33
	v_cndmask_b32_e64 v33, v43, v40, s2
; %bb.234:
	s_or_b32 exec_lo, exec_lo, s3
	v_and_b32_e32 v40, 0xffff0000, v39
	v_lshlrev_b32_e32 v39, 16, v34
	s_delay_alu instid0(VALU_DEP_1) | instskip(NEXT) | instid1(VALU_DEP_1)
	v_fmac_f32_e32 v40, v39, v71
	v_and_b32_e32 v39, 0x7f800000, v40
	s_delay_alu instid0(VALU_DEP_1) | instskip(NEXT) | instid1(VALU_DEP_1)
	v_cmp_ne_u32_e64 s2, 0x7f800000, v39
                                        ; implicit-def: $vgpr39
	s_and_saveexec_b32 s3, s2
	s_delay_alu instid0(SALU_CYCLE_1)
	s_xor_b32 s2, exec_lo, s3
; %bb.235:
	v_bfe_u32 v39, v40, 16, 1
	s_delay_alu instid0(VALU_DEP_1)
	v_add3_u32 v39, v40, v39, 0x7fff
                                        ; implicit-def: $vgpr40
; %bb.236:
	s_and_not1_saveexec_b32 s3, s2
; %bb.237:
	v_and_b32_e32 v39, 0xffff, v40
	v_or_b32_e32 v43, 0x10000, v40
	s_delay_alu instid0(VALU_DEP_2) | instskip(NEXT) | instid1(VALU_DEP_1)
	v_cmp_eq_u32_e64 s2, 0, v39
	v_cndmask_b32_e64 v39, v43, v40, s2
; %bb.238:
	s_or_b32 exec_lo, exec_lo, s3
	v_and_b32_e32 v40, 0xffff0000, v33
	v_and_b32_e32 v33, 0xffff0000, v34
	s_delay_alu instid0(VALU_DEP_1) | instskip(NEXT) | instid1(VALU_DEP_1)
	v_fmac_f32_e32 v40, v33, v70
	v_and_b32_e32 v33, 0x7f800000, v40
	s_delay_alu instid0(VALU_DEP_1) | instskip(NEXT) | instid1(VALU_DEP_1)
	v_cmp_ne_u32_e64 s2, 0x7f800000, v33
                                        ; implicit-def: $vgpr33
	s_and_saveexec_b32 s3, s2
	s_delay_alu instid0(SALU_CYCLE_1)
	s_xor_b32 s2, exec_lo, s3
; %bb.239:
	v_bfe_u32 v33, v40, 16, 1
	s_delay_alu instid0(VALU_DEP_1)
	v_add3_u32 v33, v40, v33, 0x7fff
                                        ; implicit-def: $vgpr40
; %bb.240:
	s_and_not1_saveexec_b32 s3, s2
; %bb.241:
	v_and_b32_e32 v33, 0xffff, v40
	v_or_b32_e32 v34, 0x10000, v40
	s_delay_alu instid0(VALU_DEP_2) | instskip(NEXT) | instid1(VALU_DEP_1)
	v_cmp_eq_u32_e64 s2, 0, v33
	v_cndmask_b32_e64 v33, v34, v40, s2
; %bb.242:
	s_or_b32 exec_lo, exec_lo, s3
	v_and_b32_e32 v39, 0xffff0000, v39
	v_lshlrev_b32_e32 v34, 16, v35
	s_delay_alu instid0(VALU_DEP_1) | instskip(NEXT) | instid1(VALU_DEP_1)
	v_fmac_f32_e32 v39, v34, v69
	v_and_b32_e32 v34, 0x7f800000, v39
	s_delay_alu instid0(VALU_DEP_1) | instskip(NEXT) | instid1(VALU_DEP_1)
	v_cmp_ne_u32_e64 s2, 0x7f800000, v34
                                        ; implicit-def: $vgpr34
	s_and_saveexec_b32 s3, s2
	s_delay_alu instid0(SALU_CYCLE_1)
	s_xor_b32 s2, exec_lo, s3
; %bb.243:
	v_bfe_u32 v34, v39, 16, 1
	s_delay_alu instid0(VALU_DEP_1)
	v_add3_u32 v34, v39, v34, 0x7fff
                                        ; implicit-def: $vgpr39
; %bb.244:
	s_and_not1_saveexec_b32 s3, s2
; %bb.245:
	v_and_b32_e32 v34, 0xffff, v39
	v_or_b32_e32 v40, 0x10000, v39
	s_delay_alu instid0(VALU_DEP_2) | instskip(NEXT) | instid1(VALU_DEP_1)
	v_cmp_eq_u32_e64 s2, 0, v34
	v_cndmask_b32_e64 v34, v40, v39, s2
; %bb.246:
	s_or_b32 exec_lo, exec_lo, s3
	v_and_b32_e32 v33, 0xffff0000, v33
	v_and_b32_e32 v35, 0xffff0000, v35
	s_delay_alu instid0(VALU_DEP_1) | instskip(NEXT) | instid1(VALU_DEP_1)
	v_fmac_f32_e32 v33, v35, v68
	v_and_b32_e32 v35, 0x7f800000, v33
	s_delay_alu instid0(VALU_DEP_1) | instskip(NEXT) | instid1(VALU_DEP_1)
	v_cmp_ne_u32_e64 s2, 0x7f800000, v35
                                        ; implicit-def: $vgpr35
	s_and_saveexec_b32 s3, s2
	s_delay_alu instid0(SALU_CYCLE_1)
	s_xor_b32 s2, exec_lo, s3
; %bb.247:
	v_bfe_u32 v35, v33, 16, 1
	s_delay_alu instid0(VALU_DEP_1)
	v_add3_u32 v35, v33, v35, 0x7fff
                                        ; implicit-def: $vgpr33
; %bb.248:
	s_and_not1_saveexec_b32 s3, s2
; %bb.249:
	v_and_b32_e32 v35, 0xffff, v33
	v_or_b32_e32 v39, 0x10000, v33
	s_delay_alu instid0(VALU_DEP_2) | instskip(NEXT) | instid1(VALU_DEP_1)
	v_cmp_eq_u32_e64 s2, 0, v35
	v_cndmask_b32_e64 v35, v39, v33, s2
; %bb.250:
	s_or_b32 exec_lo, exec_lo, s3
	v_and_b32_e32 v34, 0xffff0000, v34
	v_lshlrev_b32_e32 v33, 16, v36
	s_delay_alu instid0(VALU_DEP_1) | instskip(NEXT) | instid1(VALU_DEP_1)
	v_fmac_f32_e32 v34, v33, v66
	v_and_b32_e32 v33, 0x7f800000, v34
	s_delay_alu instid0(VALU_DEP_1) | instskip(NEXT) | instid1(VALU_DEP_1)
	v_cmp_ne_u32_e64 s2, 0x7f800000, v33
                                        ; implicit-def: $vgpr33
	s_and_saveexec_b32 s3, s2
	s_delay_alu instid0(SALU_CYCLE_1)
	s_xor_b32 s2, exec_lo, s3
; %bb.251:
	v_bfe_u32 v33, v34, 16, 1
	s_delay_alu instid0(VALU_DEP_1)
	v_add3_u32 v33, v34, v33, 0x7fff
                                        ; implicit-def: $vgpr34
; %bb.252:
	s_and_not1_saveexec_b32 s3, s2
; %bb.253:
	v_and_b32_e32 v33, 0xffff, v34
	v_or_b32_e32 v39, 0x10000, v34
	s_delay_alu instid0(VALU_DEP_2) | instskip(NEXT) | instid1(VALU_DEP_1)
	v_cmp_eq_u32_e64 s2, 0, v33
	v_cndmask_b32_e64 v33, v39, v34, s2
; %bb.254:
	s_or_b32 exec_lo, exec_lo, s3
	v_and_b32_e32 v35, 0xffff0000, v35
	v_and_b32_e32 v34, 0xffff0000, v36
	s_delay_alu instid0(VALU_DEP_1) | instskip(NEXT) | instid1(VALU_DEP_1)
	v_fmac_f32_e32 v35, v34, v67
	v_and_b32_e32 v34, 0x7f800000, v35
	s_delay_alu instid0(VALU_DEP_1) | instskip(NEXT) | instid1(VALU_DEP_1)
	v_cmp_ne_u32_e64 s2, 0x7f800000, v34
                                        ; implicit-def: $vgpr34
	s_and_saveexec_b32 s3, s2
	s_delay_alu instid0(SALU_CYCLE_1)
	s_xor_b32 s2, exec_lo, s3
; %bb.255:
	v_bfe_u32 v34, v35, 16, 1
	s_delay_alu instid0(VALU_DEP_1)
	v_add3_u32 v34, v35, v34, 0x7fff
                                        ; implicit-def: $vgpr35
; %bb.256:
	s_and_not1_saveexec_b32 s3, s2
; %bb.257:
	v_and_b32_e32 v34, 0xffff, v35
	v_or_b32_e32 v36, 0x10000, v35
	s_delay_alu instid0(VALU_DEP_2) | instskip(NEXT) | instid1(VALU_DEP_1)
	v_cmp_eq_u32_e64 s2, 0, v34
	v_cndmask_b32_e64 v34, v36, v35, s2
; %bb.258:
	s_or_b32 exec_lo, exec_lo, s3
	v_lshlrev_b32_e32 v35, 16, v29
	s_delay_alu instid0(VALU_DEP_1) | instskip(NEXT) | instid1(VALU_DEP_1)
	v_mul_f32_e32 v36, v73, v35
	v_and_b32_e32 v35, 0x7f800000, v36
	s_delay_alu instid0(VALU_DEP_1) | instskip(NEXT) | instid1(VALU_DEP_1)
	v_cmp_ne_u32_e64 s2, 0x7f800000, v35
                                        ; implicit-def: $vgpr35
	s_and_saveexec_b32 s3, s2
	s_delay_alu instid0(SALU_CYCLE_1)
	s_xor_b32 s2, exec_lo, s3
; %bb.259:
	v_bfe_u32 v35, v36, 16, 1
	s_delay_alu instid0(VALU_DEP_1)
	v_add3_u32 v35, v36, v35, 0x7fff
                                        ; implicit-def: $vgpr36
; %bb.260:
	s_and_not1_saveexec_b32 s3, s2
; %bb.261:
	v_and_b32_e32 v35, 0xffff, v36
	v_or_b32_e32 v39, 0x10000, v36
	s_delay_alu instid0(VALU_DEP_2) | instskip(NEXT) | instid1(VALU_DEP_1)
	v_cmp_eq_u32_e64 s2, 0, v35
	v_cndmask_b32_e64 v35, v39, v36, s2
; %bb.262:
	s_or_b32 exec_lo, exec_lo, s3
	v_and_b32_e32 v29, 0xffff0000, v29
	s_delay_alu instid0(VALU_DEP_1) | instskip(NEXT) | instid1(VALU_DEP_1)
	v_mul_f32_e32 v36, v72, v29
	v_and_b32_e32 v29, 0x7f800000, v36
	s_delay_alu instid0(VALU_DEP_1) | instskip(NEXT) | instid1(VALU_DEP_1)
	v_cmp_ne_u32_e64 s2, 0x7f800000, v29
                                        ; implicit-def: $vgpr29
	s_and_saveexec_b32 s3, s2
	s_delay_alu instid0(SALU_CYCLE_1)
	s_xor_b32 s2, exec_lo, s3
; %bb.263:
	v_bfe_u32 v29, v36, 16, 1
	s_delay_alu instid0(VALU_DEP_1)
	v_add3_u32 v29, v36, v29, 0x7fff
                                        ; implicit-def: $vgpr36
; %bb.264:
	s_and_not1_saveexec_b32 s3, s2
; %bb.265:
	v_and_b32_e32 v29, 0xffff, v36
	v_or_b32_e32 v39, 0x10000, v36
	s_delay_alu instid0(VALU_DEP_2) | instskip(NEXT) | instid1(VALU_DEP_1)
	v_cmp_eq_u32_e64 s2, 0, v29
	v_cndmask_b32_e64 v29, v39, v36, s2
; %bb.266:
	s_or_b32 exec_lo, exec_lo, s3
	v_and_b32_e32 v36, 0xffff0000, v35
	v_lshlrev_b32_e32 v35, 16, v30
	s_delay_alu instid0(VALU_DEP_1) | instskip(NEXT) | instid1(VALU_DEP_1)
	v_fmac_f32_e32 v36, v35, v71
	v_and_b32_e32 v35, 0x7f800000, v36
	s_delay_alu instid0(VALU_DEP_1) | instskip(NEXT) | instid1(VALU_DEP_1)
	v_cmp_ne_u32_e64 s2, 0x7f800000, v35
                                        ; implicit-def: $vgpr35
	s_and_saveexec_b32 s3, s2
	s_delay_alu instid0(SALU_CYCLE_1)
	s_xor_b32 s2, exec_lo, s3
; %bb.267:
	v_bfe_u32 v35, v36, 16, 1
	s_delay_alu instid0(VALU_DEP_1)
	v_add3_u32 v35, v36, v35, 0x7fff
                                        ; implicit-def: $vgpr36
; %bb.268:
	s_and_not1_saveexec_b32 s3, s2
; %bb.269:
	v_and_b32_e32 v35, 0xffff, v36
	v_or_b32_e32 v39, 0x10000, v36
	s_delay_alu instid0(VALU_DEP_2) | instskip(NEXT) | instid1(VALU_DEP_1)
	v_cmp_eq_u32_e64 s2, 0, v35
	v_cndmask_b32_e64 v35, v39, v36, s2
; %bb.270:
	s_or_b32 exec_lo, exec_lo, s3
	v_and_b32_e32 v36, 0xffff0000, v29
	v_and_b32_e32 v29, 0xffff0000, v30
	s_delay_alu instid0(VALU_DEP_1) | instskip(NEXT) | instid1(VALU_DEP_1)
	v_fmac_f32_e32 v36, v29, v70
	v_and_b32_e32 v29, 0x7f800000, v36
	s_delay_alu instid0(VALU_DEP_1) | instskip(NEXT) | instid1(VALU_DEP_1)
	v_cmp_ne_u32_e64 s2, 0x7f800000, v29
                                        ; implicit-def: $vgpr29
	s_and_saveexec_b32 s3, s2
	s_delay_alu instid0(SALU_CYCLE_1)
	s_xor_b32 s2, exec_lo, s3
; %bb.271:
	v_bfe_u32 v29, v36, 16, 1
	s_delay_alu instid0(VALU_DEP_1)
	v_add3_u32 v29, v36, v29, 0x7fff
                                        ; implicit-def: $vgpr36
; %bb.272:
	s_and_not1_saveexec_b32 s3, s2
; %bb.273:
	v_and_b32_e32 v29, 0xffff, v36
	v_or_b32_e32 v30, 0x10000, v36
	s_delay_alu instid0(VALU_DEP_2) | instskip(NEXT) | instid1(VALU_DEP_1)
	v_cmp_eq_u32_e64 s2, 0, v29
	v_cndmask_b32_e64 v29, v30, v36, s2
; %bb.274:
	s_or_b32 exec_lo, exec_lo, s3
	v_and_b32_e32 v35, 0xffff0000, v35
	v_lshlrev_b32_e32 v30, 16, v31
	s_delay_alu instid0(VALU_DEP_1) | instskip(NEXT) | instid1(VALU_DEP_1)
	v_fmac_f32_e32 v35, v30, v69
	v_and_b32_e32 v30, 0x7f800000, v35
	s_delay_alu instid0(VALU_DEP_1) | instskip(NEXT) | instid1(VALU_DEP_1)
	v_cmp_ne_u32_e64 s2, 0x7f800000, v30
                                        ; implicit-def: $vgpr30
	s_and_saveexec_b32 s3, s2
	s_delay_alu instid0(SALU_CYCLE_1)
	s_xor_b32 s2, exec_lo, s3
; %bb.275:
	v_bfe_u32 v30, v35, 16, 1
	s_delay_alu instid0(VALU_DEP_1)
	v_add3_u32 v30, v35, v30, 0x7fff
                                        ; implicit-def: $vgpr35
; %bb.276:
	s_and_not1_saveexec_b32 s3, s2
; %bb.277:
	v_and_b32_e32 v30, 0xffff, v35
	v_or_b32_e32 v36, 0x10000, v35
	s_delay_alu instid0(VALU_DEP_2) | instskip(NEXT) | instid1(VALU_DEP_1)
	v_cmp_eq_u32_e64 s2, 0, v30
	v_cndmask_b32_e64 v30, v36, v35, s2
; %bb.278:
	s_or_b32 exec_lo, exec_lo, s3
	v_and_b32_e32 v29, 0xffff0000, v29
	v_and_b32_e32 v31, 0xffff0000, v31
	s_delay_alu instid0(VALU_DEP_1) | instskip(NEXT) | instid1(VALU_DEP_1)
	v_fmac_f32_e32 v29, v31, v68
	v_and_b32_e32 v31, 0x7f800000, v29
	s_delay_alu instid0(VALU_DEP_1) | instskip(NEXT) | instid1(VALU_DEP_1)
	v_cmp_ne_u32_e64 s2, 0x7f800000, v31
                                        ; implicit-def: $vgpr31
	s_and_saveexec_b32 s3, s2
	s_delay_alu instid0(SALU_CYCLE_1)
	s_xor_b32 s2, exec_lo, s3
; %bb.279:
	v_bfe_u32 v31, v29, 16, 1
	s_delay_alu instid0(VALU_DEP_1)
	v_add3_u32 v31, v29, v31, 0x7fff
                                        ; implicit-def: $vgpr29
; %bb.280:
	s_and_not1_saveexec_b32 s3, s2
; %bb.281:
	v_and_b32_e32 v31, 0xffff, v29
	v_or_b32_e32 v35, 0x10000, v29
	s_delay_alu instid0(VALU_DEP_2) | instskip(NEXT) | instid1(VALU_DEP_1)
	v_cmp_eq_u32_e64 s2, 0, v31
	v_cndmask_b32_e64 v31, v35, v29, s2
; %bb.282:
	s_or_b32 exec_lo, exec_lo, s3
	v_and_b32_e32 v30, 0xffff0000, v30
	v_lshlrev_b32_e32 v29, 16, v32
	s_delay_alu instid0(VALU_DEP_1) | instskip(NEXT) | instid1(VALU_DEP_1)
	v_fmac_f32_e32 v30, v29, v66
	v_and_b32_e32 v29, 0x7f800000, v30
	s_delay_alu instid0(VALU_DEP_1) | instskip(NEXT) | instid1(VALU_DEP_1)
	v_cmp_ne_u32_e64 s2, 0x7f800000, v29
                                        ; implicit-def: $vgpr29
	s_and_saveexec_b32 s3, s2
	s_delay_alu instid0(SALU_CYCLE_1)
	s_xor_b32 s2, exec_lo, s3
; %bb.283:
	v_bfe_u32 v29, v30, 16, 1
	s_delay_alu instid0(VALU_DEP_1)
	v_add3_u32 v29, v30, v29, 0x7fff
                                        ; implicit-def: $vgpr30
; %bb.284:
	s_and_not1_saveexec_b32 s3, s2
; %bb.285:
	v_and_b32_e32 v29, 0xffff, v30
	v_or_b32_e32 v35, 0x10000, v30
	s_delay_alu instid0(VALU_DEP_2) | instskip(NEXT) | instid1(VALU_DEP_1)
	v_cmp_eq_u32_e64 s2, 0, v29
	v_cndmask_b32_e64 v29, v35, v30, s2
; %bb.286:
	s_or_b32 exec_lo, exec_lo, s3
	v_and_b32_e32 v31, 0xffff0000, v31
	v_and_b32_e32 v30, 0xffff0000, v32
	s_delay_alu instid0(VALU_DEP_1) | instskip(NEXT) | instid1(VALU_DEP_1)
	v_fmac_f32_e32 v31, v30, v67
	v_and_b32_e32 v30, 0x7f800000, v31
	s_delay_alu instid0(VALU_DEP_1) | instskip(NEXT) | instid1(VALU_DEP_1)
	v_cmp_ne_u32_e64 s2, 0x7f800000, v30
                                        ; implicit-def: $vgpr30
	s_and_saveexec_b32 s3, s2
	s_delay_alu instid0(SALU_CYCLE_1)
	s_xor_b32 s2, exec_lo, s3
; %bb.287:
	v_bfe_u32 v30, v31, 16, 1
	s_delay_alu instid0(VALU_DEP_1)
	v_add3_u32 v30, v31, v30, 0x7fff
                                        ; implicit-def: $vgpr31
; %bb.288:
	s_and_not1_saveexec_b32 s3, s2
; %bb.289:
	v_and_b32_e32 v30, 0xffff, v31
	v_or_b32_e32 v32, 0x10000, v31
	s_delay_alu instid0(VALU_DEP_2) | instskip(NEXT) | instid1(VALU_DEP_1)
	v_cmp_eq_u32_e64 s2, 0, v30
	v_cndmask_b32_e64 v30, v32, v31, s2
; %bb.290:
	s_or_b32 exec_lo, exec_lo, s3
	v_lshlrev_b32_e32 v31, 16, v25
	s_delay_alu instid0(VALU_DEP_1) | instskip(NEXT) | instid1(VALU_DEP_1)
	v_mul_f32_e32 v32, v73, v31
	v_and_b32_e32 v31, 0x7f800000, v32
	s_delay_alu instid0(VALU_DEP_1) | instskip(NEXT) | instid1(VALU_DEP_1)
	v_cmp_ne_u32_e64 s2, 0x7f800000, v31
                                        ; implicit-def: $vgpr31
	s_and_saveexec_b32 s3, s2
	s_delay_alu instid0(SALU_CYCLE_1)
	s_xor_b32 s2, exec_lo, s3
; %bb.291:
	v_bfe_u32 v31, v32, 16, 1
	s_delay_alu instid0(VALU_DEP_1)
	v_add3_u32 v31, v32, v31, 0x7fff
                                        ; implicit-def: $vgpr32
; %bb.292:
	s_and_not1_saveexec_b32 s3, s2
; %bb.293:
	v_and_b32_e32 v31, 0xffff, v32
	v_or_b32_e32 v35, 0x10000, v32
	s_delay_alu instid0(VALU_DEP_2) | instskip(NEXT) | instid1(VALU_DEP_1)
	v_cmp_eq_u32_e64 s2, 0, v31
	v_cndmask_b32_e64 v31, v35, v32, s2
; %bb.294:
	s_or_b32 exec_lo, exec_lo, s3
	v_and_b32_e32 v25, 0xffff0000, v25
	s_delay_alu instid0(VALU_DEP_1) | instskip(NEXT) | instid1(VALU_DEP_1)
	v_mul_f32_e32 v32, v72, v25
	v_and_b32_e32 v25, 0x7f800000, v32
	s_delay_alu instid0(VALU_DEP_1) | instskip(NEXT) | instid1(VALU_DEP_1)
	v_cmp_ne_u32_e64 s2, 0x7f800000, v25
                                        ; implicit-def: $vgpr25
	s_and_saveexec_b32 s3, s2
	s_delay_alu instid0(SALU_CYCLE_1)
	s_xor_b32 s2, exec_lo, s3
; %bb.295:
	v_bfe_u32 v25, v32, 16, 1
	s_delay_alu instid0(VALU_DEP_1)
	v_add3_u32 v25, v32, v25, 0x7fff
                                        ; implicit-def: $vgpr32
; %bb.296:
	s_and_not1_saveexec_b32 s3, s2
; %bb.297:
	v_and_b32_e32 v25, 0xffff, v32
	v_or_b32_e32 v35, 0x10000, v32
	s_delay_alu instid0(VALU_DEP_2) | instskip(NEXT) | instid1(VALU_DEP_1)
	v_cmp_eq_u32_e64 s2, 0, v25
	v_cndmask_b32_e64 v25, v35, v32, s2
; %bb.298:
	s_or_b32 exec_lo, exec_lo, s3
	v_and_b32_e32 v32, 0xffff0000, v31
	v_lshlrev_b32_e32 v31, 16, v26
	s_delay_alu instid0(VALU_DEP_1) | instskip(NEXT) | instid1(VALU_DEP_1)
	v_fmac_f32_e32 v32, v31, v71
	v_and_b32_e32 v31, 0x7f800000, v32
	s_delay_alu instid0(VALU_DEP_1) | instskip(NEXT) | instid1(VALU_DEP_1)
	v_cmp_ne_u32_e64 s2, 0x7f800000, v31
                                        ; implicit-def: $vgpr31
	s_and_saveexec_b32 s3, s2
	s_delay_alu instid0(SALU_CYCLE_1)
	s_xor_b32 s2, exec_lo, s3
; %bb.299:
	v_bfe_u32 v31, v32, 16, 1
	s_delay_alu instid0(VALU_DEP_1)
	v_add3_u32 v31, v32, v31, 0x7fff
                                        ; implicit-def: $vgpr32
; %bb.300:
	s_and_not1_saveexec_b32 s3, s2
; %bb.301:
	v_and_b32_e32 v31, 0xffff, v32
	v_or_b32_e32 v35, 0x10000, v32
	s_delay_alu instid0(VALU_DEP_2) | instskip(NEXT) | instid1(VALU_DEP_1)
	v_cmp_eq_u32_e64 s2, 0, v31
	v_cndmask_b32_e64 v31, v35, v32, s2
; %bb.302:
	s_or_b32 exec_lo, exec_lo, s3
	v_and_b32_e32 v32, 0xffff0000, v25
	v_and_b32_e32 v25, 0xffff0000, v26
	s_delay_alu instid0(VALU_DEP_1) | instskip(NEXT) | instid1(VALU_DEP_1)
	v_fmac_f32_e32 v32, v25, v70
	v_and_b32_e32 v25, 0x7f800000, v32
	s_delay_alu instid0(VALU_DEP_1) | instskip(NEXT) | instid1(VALU_DEP_1)
	v_cmp_ne_u32_e64 s2, 0x7f800000, v25
                                        ; implicit-def: $vgpr25
	s_and_saveexec_b32 s3, s2
	s_delay_alu instid0(SALU_CYCLE_1)
	s_xor_b32 s2, exec_lo, s3
; %bb.303:
	v_bfe_u32 v25, v32, 16, 1
	s_delay_alu instid0(VALU_DEP_1)
	v_add3_u32 v25, v32, v25, 0x7fff
                                        ; implicit-def: $vgpr32
; %bb.304:
	s_and_not1_saveexec_b32 s3, s2
; %bb.305:
	v_and_b32_e32 v25, 0xffff, v32
	v_or_b32_e32 v26, 0x10000, v32
	s_delay_alu instid0(VALU_DEP_2) | instskip(NEXT) | instid1(VALU_DEP_1)
	v_cmp_eq_u32_e64 s2, 0, v25
	v_cndmask_b32_e64 v25, v26, v32, s2
; %bb.306:
	s_or_b32 exec_lo, exec_lo, s3
	v_and_b32_e32 v31, 0xffff0000, v31
	v_lshlrev_b32_e32 v26, 16, v27
	s_delay_alu instid0(VALU_DEP_1) | instskip(NEXT) | instid1(VALU_DEP_1)
	v_fmac_f32_e32 v31, v26, v69
	v_and_b32_e32 v26, 0x7f800000, v31
	s_delay_alu instid0(VALU_DEP_1) | instskip(NEXT) | instid1(VALU_DEP_1)
	v_cmp_ne_u32_e64 s2, 0x7f800000, v26
                                        ; implicit-def: $vgpr26
	s_and_saveexec_b32 s3, s2
	s_delay_alu instid0(SALU_CYCLE_1)
	s_xor_b32 s2, exec_lo, s3
; %bb.307:
	v_bfe_u32 v26, v31, 16, 1
	s_delay_alu instid0(VALU_DEP_1)
	v_add3_u32 v26, v31, v26, 0x7fff
                                        ; implicit-def: $vgpr31
; %bb.308:
	s_and_not1_saveexec_b32 s3, s2
; %bb.309:
	v_and_b32_e32 v26, 0xffff, v31
	v_or_b32_e32 v32, 0x10000, v31
	s_delay_alu instid0(VALU_DEP_2) | instskip(NEXT) | instid1(VALU_DEP_1)
	v_cmp_eq_u32_e64 s2, 0, v26
	v_cndmask_b32_e64 v26, v32, v31, s2
; %bb.310:
	s_or_b32 exec_lo, exec_lo, s3
	v_and_b32_e32 v25, 0xffff0000, v25
	v_and_b32_e32 v27, 0xffff0000, v27
	s_delay_alu instid0(VALU_DEP_1) | instskip(NEXT) | instid1(VALU_DEP_1)
	v_fmac_f32_e32 v25, v27, v68
	v_and_b32_e32 v27, 0x7f800000, v25
	s_delay_alu instid0(VALU_DEP_1) | instskip(NEXT) | instid1(VALU_DEP_1)
	v_cmp_ne_u32_e64 s2, 0x7f800000, v27
                                        ; implicit-def: $vgpr27
	s_and_saveexec_b32 s3, s2
	s_delay_alu instid0(SALU_CYCLE_1)
	s_xor_b32 s2, exec_lo, s3
; %bb.311:
	v_bfe_u32 v27, v25, 16, 1
	s_delay_alu instid0(VALU_DEP_1)
	v_add3_u32 v27, v25, v27, 0x7fff
                                        ; implicit-def: $vgpr25
; %bb.312:
	s_and_not1_saveexec_b32 s3, s2
; %bb.313:
	v_and_b32_e32 v27, 0xffff, v25
	v_or_b32_e32 v31, 0x10000, v25
	s_delay_alu instid0(VALU_DEP_2) | instskip(NEXT) | instid1(VALU_DEP_1)
	v_cmp_eq_u32_e64 s2, 0, v27
	v_cndmask_b32_e64 v27, v31, v25, s2
; %bb.314:
	s_or_b32 exec_lo, exec_lo, s3
	v_and_b32_e32 v26, 0xffff0000, v26
	v_lshlrev_b32_e32 v25, 16, v28
	s_delay_alu instid0(VALU_DEP_1) | instskip(NEXT) | instid1(VALU_DEP_1)
	v_fmac_f32_e32 v26, v25, v66
	v_and_b32_e32 v25, 0x7f800000, v26
	s_delay_alu instid0(VALU_DEP_1) | instskip(NEXT) | instid1(VALU_DEP_1)
	v_cmp_ne_u32_e64 s2, 0x7f800000, v25
                                        ; implicit-def: $vgpr25
	s_and_saveexec_b32 s3, s2
	s_delay_alu instid0(SALU_CYCLE_1)
	s_xor_b32 s2, exec_lo, s3
; %bb.315:
	v_bfe_u32 v25, v26, 16, 1
	s_delay_alu instid0(VALU_DEP_1)
	v_add3_u32 v25, v26, v25, 0x7fff
                                        ; implicit-def: $vgpr26
; %bb.316:
	s_and_not1_saveexec_b32 s3, s2
; %bb.317:
	v_and_b32_e32 v25, 0xffff, v26
	v_or_b32_e32 v31, 0x10000, v26
	s_delay_alu instid0(VALU_DEP_2) | instskip(NEXT) | instid1(VALU_DEP_1)
	v_cmp_eq_u32_e64 s2, 0, v25
	v_cndmask_b32_e64 v25, v31, v26, s2
; %bb.318:
	s_or_b32 exec_lo, exec_lo, s3
	v_and_b32_e32 v27, 0xffff0000, v27
	v_and_b32_e32 v26, 0xffff0000, v28
	s_delay_alu instid0(VALU_DEP_1) | instskip(NEXT) | instid1(VALU_DEP_1)
	v_fmac_f32_e32 v27, v26, v67
	v_and_b32_e32 v26, 0x7f800000, v27
	s_delay_alu instid0(VALU_DEP_1) | instskip(NEXT) | instid1(VALU_DEP_1)
	v_cmp_ne_u32_e64 s2, 0x7f800000, v26
                                        ; implicit-def: $vgpr26
	s_and_saveexec_b32 s3, s2
	s_delay_alu instid0(SALU_CYCLE_1)
	s_xor_b32 s2, exec_lo, s3
; %bb.319:
	v_bfe_u32 v26, v27, 16, 1
	s_delay_alu instid0(VALU_DEP_1)
	v_add3_u32 v26, v27, v26, 0x7fff
                                        ; implicit-def: $vgpr27
; %bb.320:
	s_and_not1_saveexec_b32 s3, s2
; %bb.321:
	v_and_b32_e32 v26, 0xffff, v27
	v_or_b32_e32 v28, 0x10000, v27
	s_delay_alu instid0(VALU_DEP_2) | instskip(NEXT) | instid1(VALU_DEP_1)
	v_cmp_eq_u32_e64 s2, 0, v26
	v_cndmask_b32_e64 v26, v28, v27, s2
; %bb.322:
	s_or_b32 exec_lo, exec_lo, s3
	s_waitcnt vmcnt(5)
	v_lshlrev_b32_e32 v27, 16, v21
	s_delay_alu instid0(VALU_DEP_1) | instskip(NEXT) | instid1(VALU_DEP_1)
	v_mul_f32_e32 v28, v73, v27
	v_and_b32_e32 v27, 0x7f800000, v28
	s_delay_alu instid0(VALU_DEP_1) | instskip(NEXT) | instid1(VALU_DEP_1)
	v_cmp_ne_u32_e64 s2, 0x7f800000, v27
                                        ; implicit-def: $vgpr27
	s_and_saveexec_b32 s3, s2
	s_delay_alu instid0(SALU_CYCLE_1)
	s_xor_b32 s2, exec_lo, s3
; %bb.323:
	v_bfe_u32 v27, v28, 16, 1
	s_delay_alu instid0(VALU_DEP_1)
	v_add3_u32 v27, v28, v27, 0x7fff
                                        ; implicit-def: $vgpr28
; %bb.324:
	s_and_not1_saveexec_b32 s3, s2
; %bb.325:
	v_and_b32_e32 v27, 0xffff, v28
	v_or_b32_e32 v31, 0x10000, v28
	s_delay_alu instid0(VALU_DEP_2) | instskip(NEXT) | instid1(VALU_DEP_1)
	v_cmp_eq_u32_e64 s2, 0, v27
	v_cndmask_b32_e64 v27, v31, v28, s2
; %bb.326:
	s_or_b32 exec_lo, exec_lo, s3
	v_and_b32_e32 v21, 0xffff0000, v21
	s_delay_alu instid0(VALU_DEP_1) | instskip(NEXT) | instid1(VALU_DEP_1)
	v_mul_f32_e32 v28, v72, v21
	v_and_b32_e32 v21, 0x7f800000, v28
	s_delay_alu instid0(VALU_DEP_1) | instskip(NEXT) | instid1(VALU_DEP_1)
	v_cmp_ne_u32_e64 s2, 0x7f800000, v21
                                        ; implicit-def: $vgpr21
	s_and_saveexec_b32 s3, s2
	s_delay_alu instid0(SALU_CYCLE_1)
	s_xor_b32 s2, exec_lo, s3
; %bb.327:
	v_bfe_u32 v21, v28, 16, 1
	s_delay_alu instid0(VALU_DEP_1)
	v_add3_u32 v21, v28, v21, 0x7fff
                                        ; implicit-def: $vgpr28
; %bb.328:
	s_and_not1_saveexec_b32 s3, s2
; %bb.329:
	v_and_b32_e32 v21, 0xffff, v28
	v_or_b32_e32 v31, 0x10000, v28
	s_delay_alu instid0(VALU_DEP_2) | instskip(NEXT) | instid1(VALU_DEP_1)
	v_cmp_eq_u32_e64 s2, 0, v21
	v_cndmask_b32_e64 v21, v31, v28, s2
; %bb.330:
	s_or_b32 exec_lo, exec_lo, s3
	v_and_b32_e32 v28, 0xffff0000, v27
	v_lshlrev_b32_e32 v27, 16, v22
	s_delay_alu instid0(VALU_DEP_1) | instskip(NEXT) | instid1(VALU_DEP_1)
	v_fmac_f32_e32 v28, v27, v71
	v_and_b32_e32 v27, 0x7f800000, v28
	s_delay_alu instid0(VALU_DEP_1) | instskip(NEXT) | instid1(VALU_DEP_1)
	v_cmp_ne_u32_e64 s2, 0x7f800000, v27
                                        ; implicit-def: $vgpr27
	s_and_saveexec_b32 s3, s2
	s_delay_alu instid0(SALU_CYCLE_1)
	s_xor_b32 s2, exec_lo, s3
; %bb.331:
	v_bfe_u32 v27, v28, 16, 1
	s_delay_alu instid0(VALU_DEP_1)
	v_add3_u32 v27, v28, v27, 0x7fff
                                        ; implicit-def: $vgpr28
; %bb.332:
	s_and_not1_saveexec_b32 s3, s2
; %bb.333:
	v_and_b32_e32 v27, 0xffff, v28
	v_or_b32_e32 v31, 0x10000, v28
	s_delay_alu instid0(VALU_DEP_2) | instskip(NEXT) | instid1(VALU_DEP_1)
	v_cmp_eq_u32_e64 s2, 0, v27
	v_cndmask_b32_e64 v27, v31, v28, s2
; %bb.334:
	s_or_b32 exec_lo, exec_lo, s3
	v_and_b32_e32 v28, 0xffff0000, v21
	v_and_b32_e32 v21, 0xffff0000, v22
	s_delay_alu instid0(VALU_DEP_1) | instskip(NEXT) | instid1(VALU_DEP_1)
	v_fmac_f32_e32 v28, v21, v70
	v_and_b32_e32 v21, 0x7f800000, v28
	s_delay_alu instid0(VALU_DEP_1) | instskip(NEXT) | instid1(VALU_DEP_1)
	v_cmp_ne_u32_e64 s2, 0x7f800000, v21
                                        ; implicit-def: $vgpr21
	s_and_saveexec_b32 s3, s2
	s_delay_alu instid0(SALU_CYCLE_1)
	s_xor_b32 s2, exec_lo, s3
; %bb.335:
	v_bfe_u32 v21, v28, 16, 1
	s_delay_alu instid0(VALU_DEP_1)
	v_add3_u32 v21, v28, v21, 0x7fff
                                        ; implicit-def: $vgpr28
; %bb.336:
	s_and_not1_saveexec_b32 s3, s2
; %bb.337:
	v_and_b32_e32 v21, 0xffff, v28
	v_or_b32_e32 v22, 0x10000, v28
	s_delay_alu instid0(VALU_DEP_2) | instskip(NEXT) | instid1(VALU_DEP_1)
	v_cmp_eq_u32_e64 s2, 0, v21
	v_cndmask_b32_e64 v21, v22, v28, s2
; %bb.338:
	s_or_b32 exec_lo, exec_lo, s3
	v_and_b32_e32 v27, 0xffff0000, v27
	v_lshlrev_b32_e32 v22, 16, v23
	s_delay_alu instid0(VALU_DEP_1) | instskip(NEXT) | instid1(VALU_DEP_1)
	v_fmac_f32_e32 v27, v22, v69
	v_and_b32_e32 v22, 0x7f800000, v27
	s_delay_alu instid0(VALU_DEP_1) | instskip(NEXT) | instid1(VALU_DEP_1)
	v_cmp_ne_u32_e64 s2, 0x7f800000, v22
                                        ; implicit-def: $vgpr22
	s_and_saveexec_b32 s3, s2
	s_delay_alu instid0(SALU_CYCLE_1)
	s_xor_b32 s2, exec_lo, s3
; %bb.339:
	v_bfe_u32 v22, v27, 16, 1
	s_delay_alu instid0(VALU_DEP_1)
	v_add3_u32 v22, v27, v22, 0x7fff
                                        ; implicit-def: $vgpr27
; %bb.340:
	s_and_not1_saveexec_b32 s3, s2
; %bb.341:
	v_and_b32_e32 v22, 0xffff, v27
	v_or_b32_e32 v28, 0x10000, v27
	s_delay_alu instid0(VALU_DEP_2) | instskip(NEXT) | instid1(VALU_DEP_1)
	v_cmp_eq_u32_e64 s2, 0, v22
	v_cndmask_b32_e64 v22, v28, v27, s2
; %bb.342:
	s_or_b32 exec_lo, exec_lo, s3
	v_and_b32_e32 v21, 0xffff0000, v21
	v_and_b32_e32 v23, 0xffff0000, v23
	s_delay_alu instid0(VALU_DEP_1) | instskip(NEXT) | instid1(VALU_DEP_1)
	v_fmac_f32_e32 v21, v23, v68
	v_and_b32_e32 v23, 0x7f800000, v21
	s_delay_alu instid0(VALU_DEP_1) | instskip(NEXT) | instid1(VALU_DEP_1)
	v_cmp_ne_u32_e64 s2, 0x7f800000, v23
                                        ; implicit-def: $vgpr23
	s_and_saveexec_b32 s3, s2
	s_delay_alu instid0(SALU_CYCLE_1)
	s_xor_b32 s2, exec_lo, s3
; %bb.343:
	v_bfe_u32 v23, v21, 16, 1
	s_delay_alu instid0(VALU_DEP_1)
	v_add3_u32 v23, v21, v23, 0x7fff
                                        ; implicit-def: $vgpr21
; %bb.344:
	s_and_not1_saveexec_b32 s3, s2
; %bb.345:
	v_and_b32_e32 v23, 0xffff, v21
	v_or_b32_e32 v27, 0x10000, v21
	s_delay_alu instid0(VALU_DEP_2) | instskip(NEXT) | instid1(VALU_DEP_1)
	v_cmp_eq_u32_e64 s2, 0, v23
	v_cndmask_b32_e64 v23, v27, v21, s2
; %bb.346:
	s_or_b32 exec_lo, exec_lo, s3
	v_and_b32_e32 v22, 0xffff0000, v22
	v_lshlrev_b32_e32 v21, 16, v24
	s_delay_alu instid0(VALU_DEP_1) | instskip(NEXT) | instid1(VALU_DEP_1)
	v_fmac_f32_e32 v22, v21, v66
	v_and_b32_e32 v21, 0x7f800000, v22
	s_delay_alu instid0(VALU_DEP_1) | instskip(NEXT) | instid1(VALU_DEP_1)
	v_cmp_ne_u32_e64 s2, 0x7f800000, v21
                                        ; implicit-def: $vgpr21
	s_and_saveexec_b32 s3, s2
	s_delay_alu instid0(SALU_CYCLE_1)
	s_xor_b32 s2, exec_lo, s3
; %bb.347:
	v_bfe_u32 v21, v22, 16, 1
	s_delay_alu instid0(VALU_DEP_1)
	v_add3_u32 v21, v22, v21, 0x7fff
                                        ; implicit-def: $vgpr22
; %bb.348:
	s_and_not1_saveexec_b32 s3, s2
; %bb.349:
	v_and_b32_e32 v21, 0xffff, v22
	v_or_b32_e32 v27, 0x10000, v22
	s_delay_alu instid0(VALU_DEP_2) | instskip(NEXT) | instid1(VALU_DEP_1)
	v_cmp_eq_u32_e64 s2, 0, v21
	v_cndmask_b32_e64 v21, v27, v22, s2
; %bb.350:
	s_or_b32 exec_lo, exec_lo, s3
	v_and_b32_e32 v23, 0xffff0000, v23
	v_and_b32_e32 v22, 0xffff0000, v24
	s_delay_alu instid0(VALU_DEP_1) | instskip(NEXT) | instid1(VALU_DEP_1)
	v_fmac_f32_e32 v23, v22, v67
	v_and_b32_e32 v22, 0x7f800000, v23
	s_delay_alu instid0(VALU_DEP_1) | instskip(NEXT) | instid1(VALU_DEP_1)
	v_cmp_ne_u32_e64 s2, 0x7f800000, v22
                                        ; implicit-def: $vgpr22
	s_and_saveexec_b32 s3, s2
	s_delay_alu instid0(SALU_CYCLE_1)
	s_xor_b32 s2, exec_lo, s3
; %bb.351:
	v_bfe_u32 v22, v23, 16, 1
	s_delay_alu instid0(VALU_DEP_1)
	v_add3_u32 v22, v23, v22, 0x7fff
                                        ; implicit-def: $vgpr23
; %bb.352:
	s_and_not1_saveexec_b32 s3, s2
; %bb.353:
	v_and_b32_e32 v22, 0xffff, v23
	v_or_b32_e32 v24, 0x10000, v23
	s_delay_alu instid0(VALU_DEP_2) | instskip(NEXT) | instid1(VALU_DEP_1)
	v_cmp_eq_u32_e64 s2, 0, v22
	v_cndmask_b32_e64 v22, v24, v23, s2
; %bb.354:
	s_or_b32 exec_lo, exec_lo, s3
	s_waitcnt vmcnt(4)
	v_lshlrev_b32_e32 v23, 16, v17
	s_delay_alu instid0(VALU_DEP_1) | instskip(NEXT) | instid1(VALU_DEP_1)
	v_mul_f32_e32 v24, v73, v23
	v_and_b32_e32 v23, 0x7f800000, v24
	s_delay_alu instid0(VALU_DEP_1) | instskip(NEXT) | instid1(VALU_DEP_1)
	v_cmp_ne_u32_e64 s2, 0x7f800000, v23
                                        ; implicit-def: $vgpr23
	s_and_saveexec_b32 s3, s2
	s_delay_alu instid0(SALU_CYCLE_1)
	s_xor_b32 s2, exec_lo, s3
; %bb.355:
	v_bfe_u32 v23, v24, 16, 1
	s_delay_alu instid0(VALU_DEP_1)
	v_add3_u32 v23, v24, v23, 0x7fff
                                        ; implicit-def: $vgpr24
; %bb.356:
	s_and_not1_saveexec_b32 s3, s2
; %bb.357:
	v_and_b32_e32 v23, 0xffff, v24
	v_or_b32_e32 v27, 0x10000, v24
	s_delay_alu instid0(VALU_DEP_2) | instskip(NEXT) | instid1(VALU_DEP_1)
	v_cmp_eq_u32_e64 s2, 0, v23
	v_cndmask_b32_e64 v23, v27, v24, s2
; %bb.358:
	s_or_b32 exec_lo, exec_lo, s3
	v_and_b32_e32 v17, 0xffff0000, v17
	s_delay_alu instid0(VALU_DEP_1) | instskip(NEXT) | instid1(VALU_DEP_1)
	v_mul_f32_e32 v24, v72, v17
	v_and_b32_e32 v17, 0x7f800000, v24
	s_delay_alu instid0(VALU_DEP_1) | instskip(NEXT) | instid1(VALU_DEP_1)
	v_cmp_ne_u32_e64 s2, 0x7f800000, v17
                                        ; implicit-def: $vgpr17
	s_and_saveexec_b32 s3, s2
	s_delay_alu instid0(SALU_CYCLE_1)
	s_xor_b32 s2, exec_lo, s3
; %bb.359:
	v_bfe_u32 v17, v24, 16, 1
	s_delay_alu instid0(VALU_DEP_1)
	v_add3_u32 v17, v24, v17, 0x7fff
                                        ; implicit-def: $vgpr24
; %bb.360:
	s_and_not1_saveexec_b32 s3, s2
; %bb.361:
	v_and_b32_e32 v17, 0xffff, v24
	v_or_b32_e32 v27, 0x10000, v24
	s_delay_alu instid0(VALU_DEP_2) | instskip(NEXT) | instid1(VALU_DEP_1)
	v_cmp_eq_u32_e64 s2, 0, v17
	v_cndmask_b32_e64 v17, v27, v24, s2
; %bb.362:
	s_or_b32 exec_lo, exec_lo, s3
	v_and_b32_e32 v24, 0xffff0000, v23
	v_lshlrev_b32_e32 v23, 16, v18
	s_delay_alu instid0(VALU_DEP_1) | instskip(NEXT) | instid1(VALU_DEP_1)
	v_fmac_f32_e32 v24, v23, v71
	v_and_b32_e32 v23, 0x7f800000, v24
	s_delay_alu instid0(VALU_DEP_1) | instskip(NEXT) | instid1(VALU_DEP_1)
	v_cmp_ne_u32_e64 s2, 0x7f800000, v23
                                        ; implicit-def: $vgpr23
	s_and_saveexec_b32 s3, s2
	s_delay_alu instid0(SALU_CYCLE_1)
	s_xor_b32 s2, exec_lo, s3
; %bb.363:
	v_bfe_u32 v23, v24, 16, 1
	s_delay_alu instid0(VALU_DEP_1)
	v_add3_u32 v23, v24, v23, 0x7fff
                                        ; implicit-def: $vgpr24
; %bb.364:
	s_and_not1_saveexec_b32 s3, s2
; %bb.365:
	v_and_b32_e32 v23, 0xffff, v24
	v_or_b32_e32 v27, 0x10000, v24
	s_delay_alu instid0(VALU_DEP_2) | instskip(NEXT) | instid1(VALU_DEP_1)
	v_cmp_eq_u32_e64 s2, 0, v23
	v_cndmask_b32_e64 v23, v27, v24, s2
; %bb.366:
	s_or_b32 exec_lo, exec_lo, s3
	v_and_b32_e32 v24, 0xffff0000, v17
	v_and_b32_e32 v17, 0xffff0000, v18
	s_delay_alu instid0(VALU_DEP_1) | instskip(NEXT) | instid1(VALU_DEP_1)
	v_fmac_f32_e32 v24, v17, v70
	v_and_b32_e32 v17, 0x7f800000, v24
	s_delay_alu instid0(VALU_DEP_1) | instskip(NEXT) | instid1(VALU_DEP_1)
	v_cmp_ne_u32_e64 s2, 0x7f800000, v17
                                        ; implicit-def: $vgpr17
	s_and_saveexec_b32 s3, s2
	s_delay_alu instid0(SALU_CYCLE_1)
	s_xor_b32 s2, exec_lo, s3
; %bb.367:
	v_bfe_u32 v17, v24, 16, 1
	s_delay_alu instid0(VALU_DEP_1)
	v_add3_u32 v17, v24, v17, 0x7fff
                                        ; implicit-def: $vgpr24
; %bb.368:
	s_and_not1_saveexec_b32 s3, s2
; %bb.369:
	v_and_b32_e32 v17, 0xffff, v24
	v_or_b32_e32 v18, 0x10000, v24
	s_delay_alu instid0(VALU_DEP_2) | instskip(NEXT) | instid1(VALU_DEP_1)
	v_cmp_eq_u32_e64 s2, 0, v17
	v_cndmask_b32_e64 v17, v18, v24, s2
; %bb.370:
	s_or_b32 exec_lo, exec_lo, s3
	v_and_b32_e32 v23, 0xffff0000, v23
	v_lshlrev_b32_e32 v18, 16, v19
	s_delay_alu instid0(VALU_DEP_1) | instskip(NEXT) | instid1(VALU_DEP_1)
	v_fmac_f32_e32 v23, v18, v69
	v_and_b32_e32 v18, 0x7f800000, v23
	s_delay_alu instid0(VALU_DEP_1) | instskip(NEXT) | instid1(VALU_DEP_1)
	v_cmp_ne_u32_e64 s2, 0x7f800000, v18
                                        ; implicit-def: $vgpr18
	s_and_saveexec_b32 s3, s2
	s_delay_alu instid0(SALU_CYCLE_1)
	s_xor_b32 s2, exec_lo, s3
; %bb.371:
	v_bfe_u32 v18, v23, 16, 1
	s_delay_alu instid0(VALU_DEP_1)
	v_add3_u32 v18, v23, v18, 0x7fff
                                        ; implicit-def: $vgpr23
; %bb.372:
	s_and_not1_saveexec_b32 s3, s2
; %bb.373:
	v_and_b32_e32 v18, 0xffff, v23
	v_or_b32_e32 v24, 0x10000, v23
	s_delay_alu instid0(VALU_DEP_2) | instskip(NEXT) | instid1(VALU_DEP_1)
	v_cmp_eq_u32_e64 s2, 0, v18
	v_cndmask_b32_e64 v18, v24, v23, s2
; %bb.374:
	s_or_b32 exec_lo, exec_lo, s3
	v_and_b32_e32 v17, 0xffff0000, v17
	v_and_b32_e32 v19, 0xffff0000, v19
	s_delay_alu instid0(VALU_DEP_1) | instskip(NEXT) | instid1(VALU_DEP_1)
	v_fmac_f32_e32 v17, v19, v68
	v_and_b32_e32 v19, 0x7f800000, v17
	s_delay_alu instid0(VALU_DEP_1) | instskip(NEXT) | instid1(VALU_DEP_1)
	v_cmp_ne_u32_e64 s2, 0x7f800000, v19
                                        ; implicit-def: $vgpr19
	s_and_saveexec_b32 s3, s2
	s_delay_alu instid0(SALU_CYCLE_1)
	s_xor_b32 s2, exec_lo, s3
; %bb.375:
	v_bfe_u32 v19, v17, 16, 1
	s_delay_alu instid0(VALU_DEP_1)
	v_add3_u32 v19, v17, v19, 0x7fff
                                        ; implicit-def: $vgpr17
; %bb.376:
	s_and_not1_saveexec_b32 s3, s2
; %bb.377:
	v_and_b32_e32 v19, 0xffff, v17
	v_or_b32_e32 v23, 0x10000, v17
	s_delay_alu instid0(VALU_DEP_2) | instskip(NEXT) | instid1(VALU_DEP_1)
	v_cmp_eq_u32_e64 s2, 0, v19
	v_cndmask_b32_e64 v19, v23, v17, s2
; %bb.378:
	s_or_b32 exec_lo, exec_lo, s3
	v_and_b32_e32 v18, 0xffff0000, v18
	v_lshlrev_b32_e32 v17, 16, v20
	s_delay_alu instid0(VALU_DEP_1) | instskip(NEXT) | instid1(VALU_DEP_1)
	v_fmac_f32_e32 v18, v17, v66
	v_and_b32_e32 v17, 0x7f800000, v18
	s_delay_alu instid0(VALU_DEP_1) | instskip(NEXT) | instid1(VALU_DEP_1)
	v_cmp_ne_u32_e64 s2, 0x7f800000, v17
                                        ; implicit-def: $vgpr17
	s_and_saveexec_b32 s3, s2
	s_delay_alu instid0(SALU_CYCLE_1)
	s_xor_b32 s2, exec_lo, s3
; %bb.379:
	v_bfe_u32 v17, v18, 16, 1
	s_delay_alu instid0(VALU_DEP_1)
	v_add3_u32 v17, v18, v17, 0x7fff
                                        ; implicit-def: $vgpr18
; %bb.380:
	s_and_not1_saveexec_b32 s3, s2
; %bb.381:
	v_and_b32_e32 v17, 0xffff, v18
	v_or_b32_e32 v23, 0x10000, v18
	s_delay_alu instid0(VALU_DEP_2) | instskip(NEXT) | instid1(VALU_DEP_1)
	v_cmp_eq_u32_e64 s2, 0, v17
	v_cndmask_b32_e64 v17, v23, v18, s2
; %bb.382:
	s_or_b32 exec_lo, exec_lo, s3
	v_and_b32_e32 v19, 0xffff0000, v19
	v_and_b32_e32 v18, 0xffff0000, v20
	s_delay_alu instid0(VALU_DEP_1) | instskip(NEXT) | instid1(VALU_DEP_1)
	v_fmac_f32_e32 v19, v18, v67
	v_and_b32_e32 v18, 0x7f800000, v19
	s_delay_alu instid0(VALU_DEP_1) | instskip(NEXT) | instid1(VALU_DEP_1)
	v_cmp_ne_u32_e64 s2, 0x7f800000, v18
                                        ; implicit-def: $vgpr18
	s_and_saveexec_b32 s3, s2
	s_delay_alu instid0(SALU_CYCLE_1)
	s_xor_b32 s2, exec_lo, s3
; %bb.383:
	v_bfe_u32 v18, v19, 16, 1
	s_delay_alu instid0(VALU_DEP_1)
	v_add3_u32 v18, v19, v18, 0x7fff
                                        ; implicit-def: $vgpr19
; %bb.384:
	s_and_not1_saveexec_b32 s3, s2
; %bb.385:
	v_and_b32_e32 v18, 0xffff, v19
	v_or_b32_e32 v20, 0x10000, v19
	s_delay_alu instid0(VALU_DEP_2) | instskip(NEXT) | instid1(VALU_DEP_1)
	v_cmp_eq_u32_e64 s2, 0, v18
	v_cndmask_b32_e64 v18, v20, v19, s2
; %bb.386:
	s_or_b32 exec_lo, exec_lo, s3
	s_waitcnt vmcnt(3)
	v_lshlrev_b32_e32 v19, 16, v13
	s_delay_alu instid0(VALU_DEP_1) | instskip(NEXT) | instid1(VALU_DEP_1)
	v_mul_f32_e32 v20, v73, v19
	v_and_b32_e32 v19, 0x7f800000, v20
	s_delay_alu instid0(VALU_DEP_1) | instskip(NEXT) | instid1(VALU_DEP_1)
	v_cmp_ne_u32_e64 s2, 0x7f800000, v19
                                        ; implicit-def: $vgpr19
	s_and_saveexec_b32 s3, s2
	s_delay_alu instid0(SALU_CYCLE_1)
	s_xor_b32 s2, exec_lo, s3
; %bb.387:
	v_bfe_u32 v19, v20, 16, 1
	s_delay_alu instid0(VALU_DEP_1)
	v_add3_u32 v19, v20, v19, 0x7fff
                                        ; implicit-def: $vgpr20
; %bb.388:
	s_and_not1_saveexec_b32 s3, s2
; %bb.389:
	v_and_b32_e32 v19, 0xffff, v20
	v_or_b32_e32 v23, 0x10000, v20
	s_delay_alu instid0(VALU_DEP_2) | instskip(NEXT) | instid1(VALU_DEP_1)
	v_cmp_eq_u32_e64 s2, 0, v19
	v_cndmask_b32_e64 v19, v23, v20, s2
; %bb.390:
	s_or_b32 exec_lo, exec_lo, s3
	v_and_b32_e32 v13, 0xffff0000, v13
	s_delay_alu instid0(VALU_DEP_1) | instskip(NEXT) | instid1(VALU_DEP_1)
	v_mul_f32_e32 v20, v72, v13
	v_and_b32_e32 v13, 0x7f800000, v20
	s_delay_alu instid0(VALU_DEP_1) | instskip(NEXT) | instid1(VALU_DEP_1)
	v_cmp_ne_u32_e64 s2, 0x7f800000, v13
                                        ; implicit-def: $vgpr13
	s_and_saveexec_b32 s3, s2
	s_delay_alu instid0(SALU_CYCLE_1)
	s_xor_b32 s2, exec_lo, s3
; %bb.391:
	v_bfe_u32 v13, v20, 16, 1
	s_delay_alu instid0(VALU_DEP_1)
	v_add3_u32 v13, v20, v13, 0x7fff
                                        ; implicit-def: $vgpr20
; %bb.392:
	s_and_not1_saveexec_b32 s3, s2
; %bb.393:
	v_and_b32_e32 v13, 0xffff, v20
	v_or_b32_e32 v23, 0x10000, v20
	s_delay_alu instid0(VALU_DEP_2) | instskip(NEXT) | instid1(VALU_DEP_1)
	v_cmp_eq_u32_e64 s2, 0, v13
	v_cndmask_b32_e64 v13, v23, v20, s2
; %bb.394:
	s_or_b32 exec_lo, exec_lo, s3
	v_and_b32_e32 v20, 0xffff0000, v19
	v_lshlrev_b32_e32 v19, 16, v14
	s_delay_alu instid0(VALU_DEP_1) | instskip(NEXT) | instid1(VALU_DEP_1)
	v_fmac_f32_e32 v20, v19, v71
	v_and_b32_e32 v19, 0x7f800000, v20
	s_delay_alu instid0(VALU_DEP_1) | instskip(NEXT) | instid1(VALU_DEP_1)
	v_cmp_ne_u32_e64 s2, 0x7f800000, v19
                                        ; implicit-def: $vgpr19
	s_and_saveexec_b32 s3, s2
	s_delay_alu instid0(SALU_CYCLE_1)
	s_xor_b32 s2, exec_lo, s3
; %bb.395:
	v_bfe_u32 v19, v20, 16, 1
	s_delay_alu instid0(VALU_DEP_1)
	v_add3_u32 v19, v20, v19, 0x7fff
                                        ; implicit-def: $vgpr20
; %bb.396:
	s_and_not1_saveexec_b32 s3, s2
; %bb.397:
	v_and_b32_e32 v19, 0xffff, v20
	v_or_b32_e32 v23, 0x10000, v20
	s_delay_alu instid0(VALU_DEP_2) | instskip(NEXT) | instid1(VALU_DEP_1)
	v_cmp_eq_u32_e64 s2, 0, v19
	v_cndmask_b32_e64 v19, v23, v20, s2
; %bb.398:
	s_or_b32 exec_lo, exec_lo, s3
	v_and_b32_e32 v20, 0xffff0000, v13
	v_and_b32_e32 v13, 0xffff0000, v14
	s_delay_alu instid0(VALU_DEP_1) | instskip(NEXT) | instid1(VALU_DEP_1)
	v_fmac_f32_e32 v20, v13, v70
	v_and_b32_e32 v13, 0x7f800000, v20
	s_delay_alu instid0(VALU_DEP_1) | instskip(NEXT) | instid1(VALU_DEP_1)
	v_cmp_ne_u32_e64 s2, 0x7f800000, v13
                                        ; implicit-def: $vgpr13
	s_and_saveexec_b32 s3, s2
	s_delay_alu instid0(SALU_CYCLE_1)
	s_xor_b32 s2, exec_lo, s3
; %bb.399:
	v_bfe_u32 v13, v20, 16, 1
	s_delay_alu instid0(VALU_DEP_1)
	v_add3_u32 v13, v20, v13, 0x7fff
                                        ; implicit-def: $vgpr20
; %bb.400:
	s_and_not1_saveexec_b32 s3, s2
; %bb.401:
	v_and_b32_e32 v13, 0xffff, v20
	v_or_b32_e32 v14, 0x10000, v20
	s_delay_alu instid0(VALU_DEP_2) | instskip(NEXT) | instid1(VALU_DEP_1)
	v_cmp_eq_u32_e64 s2, 0, v13
	v_cndmask_b32_e64 v13, v14, v20, s2
; %bb.402:
	s_or_b32 exec_lo, exec_lo, s3
	v_and_b32_e32 v19, 0xffff0000, v19
	v_lshlrev_b32_e32 v14, 16, v15
	s_delay_alu instid0(VALU_DEP_1) | instskip(NEXT) | instid1(VALU_DEP_1)
	v_fmac_f32_e32 v19, v14, v69
	v_and_b32_e32 v14, 0x7f800000, v19
	s_delay_alu instid0(VALU_DEP_1) | instskip(NEXT) | instid1(VALU_DEP_1)
	v_cmp_ne_u32_e64 s2, 0x7f800000, v14
                                        ; implicit-def: $vgpr14
	s_and_saveexec_b32 s3, s2
	s_delay_alu instid0(SALU_CYCLE_1)
	s_xor_b32 s2, exec_lo, s3
; %bb.403:
	v_bfe_u32 v14, v19, 16, 1
	s_delay_alu instid0(VALU_DEP_1)
	v_add3_u32 v14, v19, v14, 0x7fff
                                        ; implicit-def: $vgpr19
; %bb.404:
	s_and_not1_saveexec_b32 s3, s2
; %bb.405:
	v_and_b32_e32 v14, 0xffff, v19
	v_or_b32_e32 v20, 0x10000, v19
	s_delay_alu instid0(VALU_DEP_2) | instskip(NEXT) | instid1(VALU_DEP_1)
	v_cmp_eq_u32_e64 s2, 0, v14
	v_cndmask_b32_e64 v14, v20, v19, s2
; %bb.406:
	s_or_b32 exec_lo, exec_lo, s3
	v_and_b32_e32 v13, 0xffff0000, v13
	v_and_b32_e32 v15, 0xffff0000, v15
	s_delay_alu instid0(VALU_DEP_1) | instskip(NEXT) | instid1(VALU_DEP_1)
	v_fmac_f32_e32 v13, v15, v68
	v_and_b32_e32 v15, 0x7f800000, v13
	s_delay_alu instid0(VALU_DEP_1) | instskip(NEXT) | instid1(VALU_DEP_1)
	v_cmp_ne_u32_e64 s2, 0x7f800000, v15
                                        ; implicit-def: $vgpr15
	s_and_saveexec_b32 s3, s2
	s_delay_alu instid0(SALU_CYCLE_1)
	s_xor_b32 s2, exec_lo, s3
; %bb.407:
	v_bfe_u32 v15, v13, 16, 1
	s_delay_alu instid0(VALU_DEP_1)
	v_add3_u32 v15, v13, v15, 0x7fff
                                        ; implicit-def: $vgpr13
; %bb.408:
	s_and_not1_saveexec_b32 s3, s2
; %bb.409:
	v_and_b32_e32 v15, 0xffff, v13
	v_or_b32_e32 v19, 0x10000, v13
	s_delay_alu instid0(VALU_DEP_2) | instskip(NEXT) | instid1(VALU_DEP_1)
	v_cmp_eq_u32_e64 s2, 0, v15
	v_cndmask_b32_e64 v15, v19, v13, s2
; %bb.410:
	s_or_b32 exec_lo, exec_lo, s3
	v_and_b32_e32 v14, 0xffff0000, v14
	v_lshlrev_b32_e32 v13, 16, v16
	s_delay_alu instid0(VALU_DEP_1) | instskip(NEXT) | instid1(VALU_DEP_1)
	v_fmac_f32_e32 v14, v13, v66
	v_and_b32_e32 v13, 0x7f800000, v14
	s_delay_alu instid0(VALU_DEP_1) | instskip(NEXT) | instid1(VALU_DEP_1)
	v_cmp_ne_u32_e64 s2, 0x7f800000, v13
                                        ; implicit-def: $vgpr13
	s_and_saveexec_b32 s3, s2
	s_delay_alu instid0(SALU_CYCLE_1)
	s_xor_b32 s2, exec_lo, s3
; %bb.411:
	v_bfe_u32 v13, v14, 16, 1
	s_delay_alu instid0(VALU_DEP_1)
	v_add3_u32 v13, v14, v13, 0x7fff
                                        ; implicit-def: $vgpr14
; %bb.412:
	s_and_not1_saveexec_b32 s3, s2
; %bb.413:
	v_and_b32_e32 v13, 0xffff, v14
	v_or_b32_e32 v19, 0x10000, v14
	s_delay_alu instid0(VALU_DEP_2) | instskip(NEXT) | instid1(VALU_DEP_1)
	v_cmp_eq_u32_e64 s2, 0, v13
	v_cndmask_b32_e64 v13, v19, v14, s2
; %bb.414:
	s_or_b32 exec_lo, exec_lo, s3
	v_and_b32_e32 v15, 0xffff0000, v15
	v_and_b32_e32 v14, 0xffff0000, v16
	s_delay_alu instid0(VALU_DEP_1) | instskip(NEXT) | instid1(VALU_DEP_1)
	v_fmac_f32_e32 v15, v14, v67
	v_and_b32_e32 v14, 0x7f800000, v15
	s_delay_alu instid0(VALU_DEP_1) | instskip(NEXT) | instid1(VALU_DEP_1)
	v_cmp_ne_u32_e64 s2, 0x7f800000, v14
                                        ; implicit-def: $vgpr14
	s_and_saveexec_b32 s3, s2
	s_delay_alu instid0(SALU_CYCLE_1)
	s_xor_b32 s2, exec_lo, s3
; %bb.415:
	v_bfe_u32 v14, v15, 16, 1
	s_delay_alu instid0(VALU_DEP_1)
	v_add3_u32 v14, v15, v14, 0x7fff
                                        ; implicit-def: $vgpr15
; %bb.416:
	s_and_not1_saveexec_b32 s3, s2
; %bb.417:
	v_and_b32_e32 v14, 0xffff, v15
	v_or_b32_e32 v16, 0x10000, v15
	s_delay_alu instid0(VALU_DEP_2) | instskip(NEXT) | instid1(VALU_DEP_1)
	v_cmp_eq_u32_e64 s2, 0, v14
	v_cndmask_b32_e64 v14, v16, v15, s2
; %bb.418:
	s_or_b32 exec_lo, exec_lo, s3
	s_waitcnt vmcnt(2)
	v_lshlrev_b32_e32 v15, 16, v9
	s_delay_alu instid0(VALU_DEP_1) | instskip(NEXT) | instid1(VALU_DEP_1)
	v_mul_f32_e32 v16, v73, v15
	v_and_b32_e32 v15, 0x7f800000, v16
	s_delay_alu instid0(VALU_DEP_1) | instskip(NEXT) | instid1(VALU_DEP_1)
	v_cmp_ne_u32_e64 s2, 0x7f800000, v15
                                        ; implicit-def: $vgpr15
	s_and_saveexec_b32 s3, s2
	s_delay_alu instid0(SALU_CYCLE_1)
	s_xor_b32 s2, exec_lo, s3
; %bb.419:
	v_bfe_u32 v15, v16, 16, 1
	s_delay_alu instid0(VALU_DEP_1)
	v_add3_u32 v15, v16, v15, 0x7fff
                                        ; implicit-def: $vgpr16
; %bb.420:
	s_and_not1_saveexec_b32 s3, s2
; %bb.421:
	v_and_b32_e32 v15, 0xffff, v16
	v_or_b32_e32 v19, 0x10000, v16
	s_delay_alu instid0(VALU_DEP_2) | instskip(NEXT) | instid1(VALU_DEP_1)
	v_cmp_eq_u32_e64 s2, 0, v15
	v_cndmask_b32_e64 v15, v19, v16, s2
; %bb.422:
	s_or_b32 exec_lo, exec_lo, s3
	v_and_b32_e32 v9, 0xffff0000, v9
	s_delay_alu instid0(VALU_DEP_1) | instskip(NEXT) | instid1(VALU_DEP_1)
	v_mul_f32_e32 v16, v72, v9
	v_and_b32_e32 v9, 0x7f800000, v16
	s_delay_alu instid0(VALU_DEP_1) | instskip(NEXT) | instid1(VALU_DEP_1)
	v_cmp_ne_u32_e64 s2, 0x7f800000, v9
                                        ; implicit-def: $vgpr9
	s_and_saveexec_b32 s3, s2
	s_delay_alu instid0(SALU_CYCLE_1)
	s_xor_b32 s2, exec_lo, s3
; %bb.423:
	v_bfe_u32 v9, v16, 16, 1
	s_delay_alu instid0(VALU_DEP_1)
	v_add3_u32 v9, v16, v9, 0x7fff
                                        ; implicit-def: $vgpr16
; %bb.424:
	s_and_not1_saveexec_b32 s3, s2
; %bb.425:
	v_and_b32_e32 v9, 0xffff, v16
	v_or_b32_e32 v19, 0x10000, v16
	s_delay_alu instid0(VALU_DEP_2) | instskip(NEXT) | instid1(VALU_DEP_1)
	v_cmp_eq_u32_e64 s2, 0, v9
	v_cndmask_b32_e64 v9, v19, v16, s2
; %bb.426:
	s_or_b32 exec_lo, exec_lo, s3
	v_and_b32_e32 v16, 0xffff0000, v15
	v_lshlrev_b32_e32 v15, 16, v10
	s_delay_alu instid0(VALU_DEP_1) | instskip(NEXT) | instid1(VALU_DEP_1)
	v_fmac_f32_e32 v16, v15, v71
	v_and_b32_e32 v15, 0x7f800000, v16
	s_delay_alu instid0(VALU_DEP_1) | instskip(NEXT) | instid1(VALU_DEP_1)
	v_cmp_ne_u32_e64 s2, 0x7f800000, v15
                                        ; implicit-def: $vgpr15
	s_and_saveexec_b32 s3, s2
	s_delay_alu instid0(SALU_CYCLE_1)
	s_xor_b32 s2, exec_lo, s3
; %bb.427:
	v_bfe_u32 v15, v16, 16, 1
	s_delay_alu instid0(VALU_DEP_1)
	v_add3_u32 v15, v16, v15, 0x7fff
                                        ; implicit-def: $vgpr16
; %bb.428:
	s_and_not1_saveexec_b32 s3, s2
; %bb.429:
	v_and_b32_e32 v15, 0xffff, v16
	v_or_b32_e32 v19, 0x10000, v16
	s_delay_alu instid0(VALU_DEP_2) | instskip(NEXT) | instid1(VALU_DEP_1)
	v_cmp_eq_u32_e64 s2, 0, v15
	v_cndmask_b32_e64 v15, v19, v16, s2
; %bb.430:
	s_or_b32 exec_lo, exec_lo, s3
	v_and_b32_e32 v16, 0xffff0000, v9
	v_and_b32_e32 v9, 0xffff0000, v10
	s_delay_alu instid0(VALU_DEP_1) | instskip(NEXT) | instid1(VALU_DEP_1)
	v_fmac_f32_e32 v16, v9, v70
	v_and_b32_e32 v9, 0x7f800000, v16
	s_delay_alu instid0(VALU_DEP_1) | instskip(NEXT) | instid1(VALU_DEP_1)
	v_cmp_ne_u32_e64 s2, 0x7f800000, v9
                                        ; implicit-def: $vgpr9
	s_and_saveexec_b32 s3, s2
	s_delay_alu instid0(SALU_CYCLE_1)
	s_xor_b32 s2, exec_lo, s3
; %bb.431:
	v_bfe_u32 v9, v16, 16, 1
	s_delay_alu instid0(VALU_DEP_1)
	v_add3_u32 v9, v16, v9, 0x7fff
                                        ; implicit-def: $vgpr16
; %bb.432:
	s_and_not1_saveexec_b32 s3, s2
; %bb.433:
	v_and_b32_e32 v9, 0xffff, v16
	v_or_b32_e32 v10, 0x10000, v16
	s_delay_alu instid0(VALU_DEP_2) | instskip(NEXT) | instid1(VALU_DEP_1)
	v_cmp_eq_u32_e64 s2, 0, v9
	v_cndmask_b32_e64 v9, v10, v16, s2
; %bb.434:
	s_or_b32 exec_lo, exec_lo, s3
	v_and_b32_e32 v15, 0xffff0000, v15
	v_lshlrev_b32_e32 v10, 16, v11
	s_delay_alu instid0(VALU_DEP_1) | instskip(NEXT) | instid1(VALU_DEP_1)
	v_fmac_f32_e32 v15, v10, v69
	v_and_b32_e32 v10, 0x7f800000, v15
	s_delay_alu instid0(VALU_DEP_1) | instskip(NEXT) | instid1(VALU_DEP_1)
	v_cmp_ne_u32_e64 s2, 0x7f800000, v10
                                        ; implicit-def: $vgpr10
	s_and_saveexec_b32 s3, s2
	s_delay_alu instid0(SALU_CYCLE_1)
	s_xor_b32 s2, exec_lo, s3
; %bb.435:
	v_bfe_u32 v10, v15, 16, 1
	s_delay_alu instid0(VALU_DEP_1)
	v_add3_u32 v10, v15, v10, 0x7fff
                                        ; implicit-def: $vgpr15
; %bb.436:
	s_and_not1_saveexec_b32 s3, s2
; %bb.437:
	v_and_b32_e32 v10, 0xffff, v15
	v_or_b32_e32 v16, 0x10000, v15
	s_delay_alu instid0(VALU_DEP_2) | instskip(NEXT) | instid1(VALU_DEP_1)
	v_cmp_eq_u32_e64 s2, 0, v10
	v_cndmask_b32_e64 v10, v16, v15, s2
; %bb.438:
	s_or_b32 exec_lo, exec_lo, s3
	v_and_b32_e32 v9, 0xffff0000, v9
	v_and_b32_e32 v11, 0xffff0000, v11
	s_delay_alu instid0(VALU_DEP_1) | instskip(NEXT) | instid1(VALU_DEP_1)
	v_fmac_f32_e32 v9, v11, v68
	v_and_b32_e32 v11, 0x7f800000, v9
	s_delay_alu instid0(VALU_DEP_1) | instskip(NEXT) | instid1(VALU_DEP_1)
	v_cmp_ne_u32_e64 s2, 0x7f800000, v11
                                        ; implicit-def: $vgpr11
	s_and_saveexec_b32 s3, s2
	s_delay_alu instid0(SALU_CYCLE_1)
	s_xor_b32 s2, exec_lo, s3
; %bb.439:
	v_bfe_u32 v11, v9, 16, 1
	s_delay_alu instid0(VALU_DEP_1)
	v_add3_u32 v11, v9, v11, 0x7fff
                                        ; implicit-def: $vgpr9
; %bb.440:
	s_and_not1_saveexec_b32 s3, s2
; %bb.441:
	v_and_b32_e32 v11, 0xffff, v9
	v_or_b32_e32 v15, 0x10000, v9
	s_delay_alu instid0(VALU_DEP_2) | instskip(NEXT) | instid1(VALU_DEP_1)
	v_cmp_eq_u32_e64 s2, 0, v11
	v_cndmask_b32_e64 v11, v15, v9, s2
; %bb.442:
	s_or_b32 exec_lo, exec_lo, s3
	v_and_b32_e32 v10, 0xffff0000, v10
	v_lshlrev_b32_e32 v9, 16, v12
	s_delay_alu instid0(VALU_DEP_1) | instskip(NEXT) | instid1(VALU_DEP_1)
	v_fmac_f32_e32 v10, v9, v66
	v_and_b32_e32 v9, 0x7f800000, v10
	s_delay_alu instid0(VALU_DEP_1) | instskip(NEXT) | instid1(VALU_DEP_1)
	v_cmp_ne_u32_e64 s2, 0x7f800000, v9
                                        ; implicit-def: $vgpr9
	s_and_saveexec_b32 s3, s2
	s_delay_alu instid0(SALU_CYCLE_1)
	s_xor_b32 s2, exec_lo, s3
; %bb.443:
	v_bfe_u32 v9, v10, 16, 1
	s_delay_alu instid0(VALU_DEP_1)
	v_add3_u32 v9, v10, v9, 0x7fff
                                        ; implicit-def: $vgpr10
; %bb.444:
	s_and_not1_saveexec_b32 s3, s2
; %bb.445:
	v_and_b32_e32 v9, 0xffff, v10
	v_or_b32_e32 v15, 0x10000, v10
	s_delay_alu instid0(VALU_DEP_2) | instskip(NEXT) | instid1(VALU_DEP_1)
	v_cmp_eq_u32_e64 s2, 0, v9
	v_cndmask_b32_e64 v9, v15, v10, s2
; %bb.446:
	s_or_b32 exec_lo, exec_lo, s3
	v_and_b32_e32 v11, 0xffff0000, v11
	v_and_b32_e32 v10, 0xffff0000, v12
	s_delay_alu instid0(VALU_DEP_1) | instskip(NEXT) | instid1(VALU_DEP_1)
	v_fmac_f32_e32 v11, v10, v67
	v_and_b32_e32 v10, 0x7f800000, v11
	s_delay_alu instid0(VALU_DEP_1) | instskip(NEXT) | instid1(VALU_DEP_1)
	v_cmp_ne_u32_e64 s2, 0x7f800000, v10
                                        ; implicit-def: $vgpr10
	s_and_saveexec_b32 s3, s2
	s_delay_alu instid0(SALU_CYCLE_1)
	s_xor_b32 s2, exec_lo, s3
; %bb.447:
	v_bfe_u32 v10, v11, 16, 1
	s_delay_alu instid0(VALU_DEP_1)
	v_add3_u32 v10, v11, v10, 0x7fff
                                        ; implicit-def: $vgpr11
; %bb.448:
	s_and_not1_saveexec_b32 s3, s2
; %bb.449:
	v_and_b32_e32 v10, 0xffff, v11
	v_or_b32_e32 v12, 0x10000, v11
	s_delay_alu instid0(VALU_DEP_2) | instskip(NEXT) | instid1(VALU_DEP_1)
	v_cmp_eq_u32_e64 s2, 0, v10
	v_cndmask_b32_e64 v10, v12, v11, s2
; %bb.450:
	s_or_b32 exec_lo, exec_lo, s3
	s_waitcnt vmcnt(1)
	v_lshlrev_b32_e32 v11, 16, v5
	s_delay_alu instid0(VALU_DEP_1) | instskip(NEXT) | instid1(VALU_DEP_1)
	v_mul_f32_e32 v12, v73, v11
	v_and_b32_e32 v11, 0x7f800000, v12
	s_delay_alu instid0(VALU_DEP_1) | instskip(NEXT) | instid1(VALU_DEP_1)
	v_cmp_ne_u32_e64 s2, 0x7f800000, v11
                                        ; implicit-def: $vgpr11
	s_and_saveexec_b32 s3, s2
	s_delay_alu instid0(SALU_CYCLE_1)
	s_xor_b32 s2, exec_lo, s3
; %bb.451:
	v_bfe_u32 v11, v12, 16, 1
	s_delay_alu instid0(VALU_DEP_1)
	v_add3_u32 v11, v12, v11, 0x7fff
                                        ; implicit-def: $vgpr12
; %bb.452:
	s_and_not1_saveexec_b32 s3, s2
; %bb.453:
	v_and_b32_e32 v11, 0xffff, v12
	v_or_b32_e32 v15, 0x10000, v12
	s_delay_alu instid0(VALU_DEP_2) | instskip(NEXT) | instid1(VALU_DEP_1)
	v_cmp_eq_u32_e64 s2, 0, v11
	v_cndmask_b32_e64 v11, v15, v12, s2
; %bb.454:
	s_or_b32 exec_lo, exec_lo, s3
	v_and_b32_e32 v5, 0xffff0000, v5
	s_delay_alu instid0(VALU_DEP_1) | instskip(NEXT) | instid1(VALU_DEP_1)
	v_mul_f32_e32 v12, v72, v5
	v_and_b32_e32 v5, 0x7f800000, v12
	s_delay_alu instid0(VALU_DEP_1) | instskip(NEXT) | instid1(VALU_DEP_1)
	v_cmp_ne_u32_e64 s2, 0x7f800000, v5
                                        ; implicit-def: $vgpr5
	s_and_saveexec_b32 s3, s2
	s_delay_alu instid0(SALU_CYCLE_1)
	s_xor_b32 s2, exec_lo, s3
; %bb.455:
	v_bfe_u32 v5, v12, 16, 1
	s_delay_alu instid0(VALU_DEP_1)
	v_add3_u32 v5, v12, v5, 0x7fff
                                        ; implicit-def: $vgpr12
; %bb.456:
	s_and_not1_saveexec_b32 s3, s2
; %bb.457:
	v_and_b32_e32 v5, 0xffff, v12
	v_or_b32_e32 v15, 0x10000, v12
	s_delay_alu instid0(VALU_DEP_2) | instskip(NEXT) | instid1(VALU_DEP_1)
	v_cmp_eq_u32_e64 s2, 0, v5
	v_cndmask_b32_e64 v5, v15, v12, s2
; %bb.458:
	s_or_b32 exec_lo, exec_lo, s3
	v_and_b32_e32 v12, 0xffff0000, v11
	v_lshlrev_b32_e32 v11, 16, v6
	s_delay_alu instid0(VALU_DEP_1) | instskip(NEXT) | instid1(VALU_DEP_1)
	v_fmac_f32_e32 v12, v11, v71
	v_and_b32_e32 v11, 0x7f800000, v12
	s_delay_alu instid0(VALU_DEP_1) | instskip(NEXT) | instid1(VALU_DEP_1)
	v_cmp_ne_u32_e64 s2, 0x7f800000, v11
                                        ; implicit-def: $vgpr11
	s_and_saveexec_b32 s3, s2
	s_delay_alu instid0(SALU_CYCLE_1)
	s_xor_b32 s2, exec_lo, s3
; %bb.459:
	v_bfe_u32 v11, v12, 16, 1
	s_delay_alu instid0(VALU_DEP_1)
	v_add3_u32 v11, v12, v11, 0x7fff
                                        ; implicit-def: $vgpr12
; %bb.460:
	s_and_not1_saveexec_b32 s3, s2
; %bb.461:
	v_and_b32_e32 v11, 0xffff, v12
	v_or_b32_e32 v15, 0x10000, v12
	s_delay_alu instid0(VALU_DEP_2) | instskip(NEXT) | instid1(VALU_DEP_1)
	v_cmp_eq_u32_e64 s2, 0, v11
	v_cndmask_b32_e64 v11, v15, v12, s2
; %bb.462:
	s_or_b32 exec_lo, exec_lo, s3
	v_and_b32_e32 v12, 0xffff0000, v5
	v_and_b32_e32 v5, 0xffff0000, v6
	s_delay_alu instid0(VALU_DEP_1) | instskip(NEXT) | instid1(VALU_DEP_1)
	v_fmac_f32_e32 v12, v5, v70
	v_and_b32_e32 v5, 0x7f800000, v12
	s_delay_alu instid0(VALU_DEP_1) | instskip(NEXT) | instid1(VALU_DEP_1)
	v_cmp_ne_u32_e64 s2, 0x7f800000, v5
                                        ; implicit-def: $vgpr5
	s_and_saveexec_b32 s3, s2
	s_delay_alu instid0(SALU_CYCLE_1)
	s_xor_b32 s2, exec_lo, s3
; %bb.463:
	v_bfe_u32 v5, v12, 16, 1
	s_delay_alu instid0(VALU_DEP_1)
	v_add3_u32 v5, v12, v5, 0x7fff
                                        ; implicit-def: $vgpr12
; %bb.464:
	s_and_not1_saveexec_b32 s3, s2
; %bb.465:
	v_and_b32_e32 v5, 0xffff, v12
	v_or_b32_e32 v6, 0x10000, v12
	s_delay_alu instid0(VALU_DEP_2) | instskip(NEXT) | instid1(VALU_DEP_1)
	v_cmp_eq_u32_e64 s2, 0, v5
	v_cndmask_b32_e64 v5, v6, v12, s2
; %bb.466:
	s_or_b32 exec_lo, exec_lo, s3
	v_and_b32_e32 v11, 0xffff0000, v11
	v_lshlrev_b32_e32 v6, 16, v7
	s_delay_alu instid0(VALU_DEP_1) | instskip(NEXT) | instid1(VALU_DEP_1)
	v_fmac_f32_e32 v11, v6, v69
	v_and_b32_e32 v6, 0x7f800000, v11
	s_delay_alu instid0(VALU_DEP_1) | instskip(NEXT) | instid1(VALU_DEP_1)
	v_cmp_ne_u32_e64 s2, 0x7f800000, v6
                                        ; implicit-def: $vgpr6
	s_and_saveexec_b32 s3, s2
	s_delay_alu instid0(SALU_CYCLE_1)
	s_xor_b32 s2, exec_lo, s3
; %bb.467:
	v_bfe_u32 v6, v11, 16, 1
	s_delay_alu instid0(VALU_DEP_1)
	v_add3_u32 v6, v11, v6, 0x7fff
                                        ; implicit-def: $vgpr11
; %bb.468:
	s_and_not1_saveexec_b32 s3, s2
; %bb.469:
	v_and_b32_e32 v6, 0xffff, v11
	v_or_b32_e32 v12, 0x10000, v11
	s_delay_alu instid0(VALU_DEP_2) | instskip(NEXT) | instid1(VALU_DEP_1)
	v_cmp_eq_u32_e64 s2, 0, v6
	v_cndmask_b32_e64 v6, v12, v11, s2
; %bb.470:
	s_or_b32 exec_lo, exec_lo, s3
	v_and_b32_e32 v5, 0xffff0000, v5
	v_and_b32_e32 v7, 0xffff0000, v7
	s_delay_alu instid0(VALU_DEP_1) | instskip(NEXT) | instid1(VALU_DEP_1)
	v_fmac_f32_e32 v5, v7, v68
	v_and_b32_e32 v7, 0x7f800000, v5
	s_delay_alu instid0(VALU_DEP_1) | instskip(NEXT) | instid1(VALU_DEP_1)
	v_cmp_ne_u32_e64 s2, 0x7f800000, v7
                                        ; implicit-def: $vgpr7
	s_and_saveexec_b32 s3, s2
	s_delay_alu instid0(SALU_CYCLE_1)
	s_xor_b32 s2, exec_lo, s3
; %bb.471:
	v_bfe_u32 v7, v5, 16, 1
	s_delay_alu instid0(VALU_DEP_1)
	v_add3_u32 v7, v5, v7, 0x7fff
                                        ; implicit-def: $vgpr5
; %bb.472:
	s_and_not1_saveexec_b32 s3, s2
; %bb.473:
	v_and_b32_e32 v7, 0xffff, v5
	v_or_b32_e32 v11, 0x10000, v5
	s_delay_alu instid0(VALU_DEP_2) | instskip(NEXT) | instid1(VALU_DEP_1)
	v_cmp_eq_u32_e64 s2, 0, v7
	v_cndmask_b32_e64 v7, v11, v5, s2
; %bb.474:
	s_or_b32 exec_lo, exec_lo, s3
	v_and_b32_e32 v6, 0xffff0000, v6
	v_lshlrev_b32_e32 v5, 16, v8
	s_delay_alu instid0(VALU_DEP_1) | instskip(NEXT) | instid1(VALU_DEP_1)
	v_fmac_f32_e32 v6, v5, v66
	v_and_b32_e32 v5, 0x7f800000, v6
	s_delay_alu instid0(VALU_DEP_1) | instskip(NEXT) | instid1(VALU_DEP_1)
	v_cmp_ne_u32_e64 s2, 0x7f800000, v5
                                        ; implicit-def: $vgpr5
	s_and_saveexec_b32 s3, s2
	s_delay_alu instid0(SALU_CYCLE_1)
	s_xor_b32 s2, exec_lo, s3
; %bb.475:
	v_bfe_u32 v5, v6, 16, 1
	s_delay_alu instid0(VALU_DEP_1)
	v_add3_u32 v5, v6, v5, 0x7fff
                                        ; implicit-def: $vgpr6
; %bb.476:
	s_and_not1_saveexec_b32 s3, s2
; %bb.477:
	v_and_b32_e32 v5, 0xffff, v6
	v_or_b32_e32 v11, 0x10000, v6
	s_delay_alu instid0(VALU_DEP_2) | instskip(NEXT) | instid1(VALU_DEP_1)
	v_cmp_eq_u32_e64 s2, 0, v5
	v_cndmask_b32_e64 v5, v11, v6, s2
; %bb.478:
	s_or_b32 exec_lo, exec_lo, s3
	v_and_b32_e32 v7, 0xffff0000, v7
	v_and_b32_e32 v6, 0xffff0000, v8
	s_delay_alu instid0(VALU_DEP_1) | instskip(NEXT) | instid1(VALU_DEP_1)
	v_fmac_f32_e32 v7, v6, v67
	v_and_b32_e32 v6, 0x7f800000, v7
	s_delay_alu instid0(VALU_DEP_1) | instskip(NEXT) | instid1(VALU_DEP_1)
	v_cmp_ne_u32_e64 s2, 0x7f800000, v6
                                        ; implicit-def: $vgpr6
	s_and_saveexec_b32 s3, s2
	s_delay_alu instid0(SALU_CYCLE_1)
	s_xor_b32 s2, exec_lo, s3
; %bb.479:
	v_bfe_u32 v6, v7, 16, 1
	s_delay_alu instid0(VALU_DEP_1)
	v_add3_u32 v6, v7, v6, 0x7fff
                                        ; implicit-def: $vgpr7
; %bb.480:
	s_and_not1_saveexec_b32 s3, s2
; %bb.481:
	v_and_b32_e32 v6, 0xffff, v7
	v_or_b32_e32 v8, 0x10000, v7
	s_delay_alu instid0(VALU_DEP_2) | instskip(NEXT) | instid1(VALU_DEP_1)
	v_cmp_eq_u32_e64 s2, 0, v6
	v_cndmask_b32_e64 v6, v8, v7, s2
; %bb.482:
	s_or_b32 exec_lo, exec_lo, s3
	s_waitcnt vmcnt(0)
	v_lshlrev_b32_e32 v7, 16, v1
	s_delay_alu instid0(VALU_DEP_1) | instskip(NEXT) | instid1(VALU_DEP_1)
	v_mul_f32_e32 v8, v73, v7
	v_and_b32_e32 v7, 0x7f800000, v8
	s_delay_alu instid0(VALU_DEP_1) | instskip(NEXT) | instid1(VALU_DEP_1)
	v_cmp_ne_u32_e64 s2, 0x7f800000, v7
                                        ; implicit-def: $vgpr7
	s_and_saveexec_b32 s3, s2
	s_delay_alu instid0(SALU_CYCLE_1)
	s_xor_b32 s2, exec_lo, s3
; %bb.483:
	v_bfe_u32 v7, v8, 16, 1
	s_delay_alu instid0(VALU_DEP_1)
	v_add3_u32 v7, v8, v7, 0x7fff
                                        ; implicit-def: $vgpr8
; %bb.484:
	s_and_not1_saveexec_b32 s3, s2
; %bb.485:
	v_and_b32_e32 v7, 0xffff, v8
	v_or_b32_e32 v11, 0x10000, v8
	s_delay_alu instid0(VALU_DEP_2) | instskip(NEXT) | instid1(VALU_DEP_1)
	v_cmp_eq_u32_e64 s2, 0, v7
	v_cndmask_b32_e64 v7, v11, v8, s2
; %bb.486:
	s_or_b32 exec_lo, exec_lo, s3
	v_and_b32_e32 v1, 0xffff0000, v1
	s_delay_alu instid0(VALU_DEP_1) | instskip(NEXT) | instid1(VALU_DEP_1)
	v_mul_f32_e32 v8, v72, v1
	v_and_b32_e32 v1, 0x7f800000, v8
	s_delay_alu instid0(VALU_DEP_1) | instskip(NEXT) | instid1(VALU_DEP_1)
	v_cmp_ne_u32_e64 s2, 0x7f800000, v1
                                        ; implicit-def: $vgpr1
	s_and_saveexec_b32 s3, s2
	s_delay_alu instid0(SALU_CYCLE_1)
	s_xor_b32 s2, exec_lo, s3
; %bb.487:
	v_bfe_u32 v1, v8, 16, 1
	s_delay_alu instid0(VALU_DEP_1)
	v_add3_u32 v1, v8, v1, 0x7fff
                                        ; implicit-def: $vgpr8
; %bb.488:
	s_and_not1_saveexec_b32 s3, s2
; %bb.489:
	v_and_b32_e32 v1, 0xffff, v8
	v_or_b32_e32 v11, 0x10000, v8
	s_delay_alu instid0(VALU_DEP_2) | instskip(NEXT) | instid1(VALU_DEP_1)
	v_cmp_eq_u32_e64 s2, 0, v1
	v_cndmask_b32_e64 v1, v11, v8, s2
; %bb.490:
	s_or_b32 exec_lo, exec_lo, s3
	v_and_b32_e32 v8, 0xffff0000, v7
	v_lshlrev_b32_e32 v7, 16, v2
	s_delay_alu instid0(VALU_DEP_1) | instskip(NEXT) | instid1(VALU_DEP_1)
	v_fmac_f32_e32 v8, v7, v71
	v_and_b32_e32 v7, 0x7f800000, v8
	s_delay_alu instid0(VALU_DEP_1) | instskip(NEXT) | instid1(VALU_DEP_1)
	v_cmp_ne_u32_e64 s2, 0x7f800000, v7
                                        ; implicit-def: $vgpr7
	s_and_saveexec_b32 s3, s2
	s_delay_alu instid0(SALU_CYCLE_1)
	s_xor_b32 s2, exec_lo, s3
; %bb.491:
	v_bfe_u32 v7, v8, 16, 1
	s_delay_alu instid0(VALU_DEP_1)
	v_add3_u32 v7, v8, v7, 0x7fff
                                        ; implicit-def: $vgpr8
; %bb.492:
	s_and_not1_saveexec_b32 s3, s2
; %bb.493:
	v_and_b32_e32 v7, 0xffff, v8
	v_or_b32_e32 v11, 0x10000, v8
	s_delay_alu instid0(VALU_DEP_2) | instskip(NEXT) | instid1(VALU_DEP_1)
	v_cmp_eq_u32_e64 s2, 0, v7
	v_cndmask_b32_e64 v7, v11, v8, s2
; %bb.494:
	s_or_b32 exec_lo, exec_lo, s3
	v_and_b32_e32 v8, 0xffff0000, v1
	v_and_b32_e32 v1, 0xffff0000, v2
	s_delay_alu instid0(VALU_DEP_1) | instskip(NEXT) | instid1(VALU_DEP_1)
	v_fmac_f32_e32 v8, v1, v70
	v_and_b32_e32 v1, 0x7f800000, v8
	s_delay_alu instid0(VALU_DEP_1) | instskip(NEXT) | instid1(VALU_DEP_1)
	v_cmp_ne_u32_e64 s2, 0x7f800000, v1
                                        ; implicit-def: $vgpr1
	s_and_saveexec_b32 s3, s2
	s_delay_alu instid0(SALU_CYCLE_1)
	s_xor_b32 s2, exec_lo, s3
; %bb.495:
	v_bfe_u32 v1, v8, 16, 1
	s_delay_alu instid0(VALU_DEP_1)
	v_add3_u32 v1, v8, v1, 0x7fff
                                        ; implicit-def: $vgpr8
; %bb.496:
	s_and_not1_saveexec_b32 s3, s2
; %bb.497:
	v_and_b32_e32 v1, 0xffff, v8
	v_or_b32_e32 v2, 0x10000, v8
	s_delay_alu instid0(VALU_DEP_2) | instskip(NEXT) | instid1(VALU_DEP_1)
	v_cmp_eq_u32_e64 s2, 0, v1
	v_cndmask_b32_e64 v1, v2, v8, s2
; %bb.498:
	s_or_b32 exec_lo, exec_lo, s3
	v_and_b32_e32 v7, 0xffff0000, v7
	v_lshlrev_b32_e32 v2, 16, v3
	s_delay_alu instid0(VALU_DEP_1) | instskip(NEXT) | instid1(VALU_DEP_1)
	v_fmac_f32_e32 v7, v2, v69
	v_and_b32_e32 v2, 0x7f800000, v7
	s_delay_alu instid0(VALU_DEP_1) | instskip(NEXT) | instid1(VALU_DEP_1)
	v_cmp_ne_u32_e64 s2, 0x7f800000, v2
                                        ; implicit-def: $vgpr2
	s_and_saveexec_b32 s3, s2
	s_delay_alu instid0(SALU_CYCLE_1)
	s_xor_b32 s2, exec_lo, s3
; %bb.499:
	v_bfe_u32 v2, v7, 16, 1
	s_delay_alu instid0(VALU_DEP_1)
	v_add3_u32 v2, v7, v2, 0x7fff
                                        ; implicit-def: $vgpr7
; %bb.500:
	s_and_not1_saveexec_b32 s3, s2
; %bb.501:
	v_and_b32_e32 v2, 0xffff, v7
	v_or_b32_e32 v8, 0x10000, v7
	s_delay_alu instid0(VALU_DEP_2) | instskip(NEXT) | instid1(VALU_DEP_1)
	v_cmp_eq_u32_e64 s2, 0, v2
	v_cndmask_b32_e64 v2, v8, v7, s2
; %bb.502:
	s_or_b32 exec_lo, exec_lo, s3
	v_and_b32_e32 v1, 0xffff0000, v1
	v_and_b32_e32 v3, 0xffff0000, v3
	s_delay_alu instid0(VALU_DEP_1) | instskip(NEXT) | instid1(VALU_DEP_1)
	v_fmac_f32_e32 v1, v3, v68
	v_and_b32_e32 v3, 0x7f800000, v1
	s_delay_alu instid0(VALU_DEP_1) | instskip(NEXT) | instid1(VALU_DEP_1)
	v_cmp_ne_u32_e64 s2, 0x7f800000, v3
                                        ; implicit-def: $vgpr3
	s_and_saveexec_b32 s3, s2
	s_delay_alu instid0(SALU_CYCLE_1)
	s_xor_b32 s2, exec_lo, s3
; %bb.503:
	v_bfe_u32 v3, v1, 16, 1
	s_delay_alu instid0(VALU_DEP_1)
	v_add3_u32 v3, v1, v3, 0x7fff
                                        ; implicit-def: $vgpr1
; %bb.504:
	s_and_not1_saveexec_b32 s3, s2
; %bb.505:
	v_and_b32_e32 v3, 0xffff, v1
	v_or_b32_e32 v7, 0x10000, v1
	s_delay_alu instid0(VALU_DEP_2) | instskip(NEXT) | instid1(VALU_DEP_1)
	v_cmp_eq_u32_e64 s2, 0, v3
	v_cndmask_b32_e64 v3, v7, v1, s2
; %bb.506:
	s_or_b32 exec_lo, exec_lo, s3
	v_and_b32_e32 v2, 0xffff0000, v2
	v_lshlrev_b32_e32 v1, 16, v4
	s_delay_alu instid0(VALU_DEP_1) | instskip(NEXT) | instid1(VALU_DEP_1)
	v_fmac_f32_e32 v2, v1, v66
	v_and_b32_e32 v1, 0x7f800000, v2
	s_delay_alu instid0(VALU_DEP_1) | instskip(NEXT) | instid1(VALU_DEP_1)
	v_cmp_ne_u32_e64 s2, 0x7f800000, v1
                                        ; implicit-def: $vgpr1
	s_and_saveexec_b32 s3, s2
	s_delay_alu instid0(SALU_CYCLE_1)
	s_xor_b32 s2, exec_lo, s3
; %bb.507:
	v_bfe_u32 v1, v2, 16, 1
	s_delay_alu instid0(VALU_DEP_1)
	v_add3_u32 v1, v2, v1, 0x7fff
                                        ; implicit-def: $vgpr2
; %bb.508:
	s_and_not1_saveexec_b32 s3, s2
; %bb.509:
	v_and_b32_e32 v1, 0xffff, v2
	v_or_b32_e32 v7, 0x10000, v2
	s_delay_alu instid0(VALU_DEP_2) | instskip(NEXT) | instid1(VALU_DEP_1)
	v_cmp_eq_u32_e64 s2, 0, v1
	v_cndmask_b32_e64 v1, v7, v2, s2
; %bb.510:
	s_or_b32 exec_lo, exec_lo, s3
	v_and_b32_e32 v3, 0xffff0000, v3
	v_and_b32_e32 v2, 0xffff0000, v4
	s_delay_alu instid0(VALU_DEP_1) | instskip(NEXT) | instid1(VALU_DEP_1)
	v_fmac_f32_e32 v3, v2, v67
	v_and_b32_e32 v2, 0x7f800000, v3
	s_delay_alu instid0(VALU_DEP_1) | instskip(NEXT) | instid1(VALU_DEP_1)
	v_cmp_ne_u32_e64 s2, 0x7f800000, v2
                                        ; implicit-def: $vgpr2
	s_and_saveexec_b32 s3, s2
	s_delay_alu instid0(SALU_CYCLE_1)
	s_xor_b32 s2, exec_lo, s3
; %bb.511:
	v_bfe_u32 v2, v3, 16, 1
	s_delay_alu instid0(VALU_DEP_1)
	v_add3_u32 v2, v3, v2, 0x7fff
                                        ; implicit-def: $vgpr3
; %bb.512:
	s_and_not1_saveexec_b32 s3, s2
; %bb.513:
	v_and_b32_e32 v2, 0xffff, v3
	v_or_b32_e32 v4, 0x10000, v3
	s_delay_alu instid0(VALU_DEP_2) | instskip(NEXT) | instid1(VALU_DEP_1)
	v_cmp_eq_u32_e64 s2, 0, v2
	v_cndmask_b32_e64 v2, v4, v3, s2
; %bb.514:
	s_or_b32 exec_lo, exec_lo, s3
	v_and_b32_e32 v4, 0xffff0000, v6
	v_and_b32_e32 v6, 0xffff0000, v10
	;; [unrolled: 1-line block ×7, first 2 shown]
	s_delay_alu instid0(VALU_DEP_4)
	v_dual_add_f32 v3, v3, v4 :: v_dual_add_f32 v4, v5, v6
	v_and_b32_e32 v5, 0xffff0000, v13
	v_and_b32_e32 v6, 0xffff0000, v14
	;; [unrolled: 1-line block ×6, first 2 shown]
	v_dual_add_f32 v5, v5, v6 :: v_dual_add_f32 v6, v7, v8
	v_dual_add_f32 v7, v9, v10 :: v_dual_and_b32 v8, 0xffff0000, v25
	v_and_b32_e32 v10, 0xffff0000, v29
	v_and_b32_e32 v9, 0xffff0000, v26
	;; [unrolled: 1-line block ×5, first 2 shown]
	s_delay_alu instid0(VALU_DEP_4) | instskip(NEXT) | instid1(VALU_DEP_4)
	v_dual_add_f32 v8, v8, v9 :: v_dual_and_b32 v15, 0xffff0000, v42
	v_dual_add_f32 v9, v10, v11 :: v_dual_and_b32 v10, 0xffff0000, v33
	v_and_b32_e32 v11, 0xffff0000, v34
	v_mbcnt_lo_u32_b32 v18, -1, 0
	s_delay_alu instid0(VALU_DEP_3) | instskip(SKIP_1) | instid1(VALU_DEP_4)
	v_dual_cndmask_b32 v9, 0, v9 :: v_dual_and_b32 v2, 0xffff0000, v2
	v_cndmask_b32_e32 v3, 0, v3, vcc_lo
	v_dual_add_f32 v10, v10, v11 :: v_dual_add_f32 v11, v12, v13
	v_dual_add_f32 v12, v14, v15 :: v_dual_and_b32 v15, 0xffff0000, v49
	v_xor_b32_e32 v20, 16, v18
	s_delay_alu instid0(VALU_DEP_3) | instskip(SKIP_1) | instid1(VALU_DEP_4)
	v_cndmask_b32_e32 v10, 0, v10, vcc_lo
	v_cndmask_b32_e32 v4, 0, v4, vcc_lo
	;; [unrolled: 1-line block ×3, first 2 shown]
	v_add_f32_e32 v15, v15, v16
	v_and_b32_e32 v19, 0xffff0000, v62
	v_cmp_gt_i32_e64 s2, 32, v20
	v_dual_cndmask_b32 v5, 0, v5 :: v_dual_cndmask_b32 v6, 0, v6
	s_delay_alu instid0(VALU_DEP_4) | instskip(SKIP_3) | instid1(VALU_DEP_4)
	v_dual_cndmask_b32 v15, 0, v15 :: v_dual_and_b32 v16, 0xffff0000, v61
	v_and_b32_e32 v13, 0xffff0000, v45
	v_dual_cndmask_b32 v7, 0, v7 :: v_dual_cndmask_b32 v8, 0, v8
	v_cndmask_b32_e32 v11, 0, v11, vcc_lo
	v_add_f32_e32 v16, v16, v19
	v_cndmask_b32_e64 v19, v18, v20, s2
	v_and_b32_e32 v20, 0xffff0000, v1
	s_mov_b32 s2, exec_lo
	s_delay_alu instid0(VALU_DEP_2)
	v_dual_cndmask_b32 v16, 0, v16 :: v_dual_lshlrev_b32 v1, 2, v19
	ds_bpermute_b32 v27, v1, v10
	ds_bpermute_b32 v19, v1, v16
	s_waitcnt lgkmcnt(1)
	v_dual_add_f32 v10, v10, v27 :: v_dual_and_b32 v21, 0xffff0000, v58
	v_and_b32_e32 v14, 0xffff0000, v46
	s_waitcnt lgkmcnt(0)
	s_delay_alu instid0(VALU_DEP_1) | instskip(SKIP_1) | instid1(VALU_DEP_2)
	v_dual_add_f32 v16, v16, v19 :: v_dual_add_f32 v13, v13, v14
	v_and_b32_e32 v14, 0xffff0000, v53
	v_cndmask_b32_e32 v13, 0, v13, vcc_lo
	s_delay_alu instid0(VALU_DEP_2) | instskip(NEXT) | instid1(VALU_DEP_1)
	v_add_f32_e32 v14, v14, v17
	v_cndmask_b32_e32 v14, 0, v14, vcc_lo
	ds_bpermute_b32 v24, v1, v13
	ds_bpermute_b32 v28, v1, v9
	;; [unrolled: 1-line block ×12, first 2 shown]
	s_waitcnt lgkmcnt(11)
	v_add_f32_e32 v13, v13, v24
	v_dual_add_f32 v2, v20, v2 :: v_dual_and_b32 v17, 0xffff0000, v57
	s_waitcnt lgkmcnt(7)
	v_dual_add_f32 v15, v15, v23 :: v_dual_add_f32 v14, v14, v22
	s_waitcnt lgkmcnt(5)
	v_dual_add_f32 v12, v12, v25 :: v_dual_add_f32 v5, v5, v32
	v_dual_add_f32 v17, v17, v21 :: v_dual_cndmask_b32 v20, 0, v2
	v_xor_b32_e32 v2, 8, v18
	s_waitcnt lgkmcnt(1)
	v_dual_add_f32 v7, v7, v30 :: v_dual_add_f32 v6, v6, v31
	s_delay_alu instid0(VALU_DEP_3)
	v_cndmask_b32_e32 v17, 0, v17, vcc_lo
	ds_bpermute_b32 v34, v1, v20
	v_cmp_gt_i32_e32 vcc_lo, 32, v2
	v_dual_add_f32 v9, v9, v28 :: v_dual_add_f32 v4, v4, v33
	v_add_f32_e32 v19, v3, v19
	ds_bpermute_b32 v21, v1, v17
	v_cndmask_b32_e32 v2, v18, v2, vcc_lo
	v_xor_b32_e32 v3, 4, v18
	s_waitcnt lgkmcnt(2)
	v_dual_add_f32 v11, v11, v26 :: v_dual_add_f32 v8, v8, v29
	s_delay_alu instid0(VALU_DEP_2)
	v_cmp_gt_i32_e32 vcc_lo, 32, v3
	s_waitcnt lgkmcnt(1)
	v_dual_cndmask_b32 v3, v18, v3 :: v_dual_add_f32 v20, v20, v34
	s_waitcnt lgkmcnt(0)
	v_dual_add_f32 v17, v17, v21 :: v_dual_lshlrev_b32 v2, 2, v2
	ds_bpermute_b32 v21, v2, v16
	ds_bpermute_b32 v22, v2, v17
	;; [unrolled: 1-line block ×8, first 2 shown]
	v_lshlrev_b32_e32 v3, 2, v3
	ds_bpermute_b32 v27, v2, v11
	ds_bpermute_b32 v31, v2, v5
	ds_bpermute_b32 v33, v2, v19
	ds_bpermute_b32 v29, v2, v9
	ds_bpermute_b32 v30, v2, v6
	s_waitcnt lgkmcnt(11)
	v_dual_add_f32 v16, v16, v21 :: v_dual_add_f32 v17, v17, v22
	ds_bpermute_b32 v22, v2, v7
	ds_bpermute_b32 v21, v2, v8
	s_waitcnt lgkmcnt(11)
	v_dual_add_f32 v14, v14, v23 :: v_dual_add_f32 v15, v15, v24
	s_waitcnt lgkmcnt(8)
	v_dual_add_f32 v13, v13, v25 :: v_dual_add_f32 v12, v12, v26
	ds_bpermute_b32 v23, v2, v20
	v_add_f32_e32 v10, v10, v28
	ds_bpermute_b32 v24, v3, v16
	ds_bpermute_b32 v25, v3, v17
	s_waitcnt lgkmcnt(9)
	v_dual_add_f32 v4, v4, v32 :: v_dual_add_f32 v11, v11, v27
	ds_bpermute_b32 v26, v3, v14
	s_waitcnt lgkmcnt(9)
	v_add_f32_e32 v27, v5, v31
	s_waitcnt lgkmcnt(8)
	v_add_f32_e32 v19, v19, v33
	ds_bpermute_b32 v5, v3, v12
	s_waitcnt lgkmcnt(7)
	v_dual_add_f32 v9, v9, v29 :: v_dual_add_f32 v6, v6, v30
	ds_bpermute_b32 v29, v3, v10
	s_waitcnt lgkmcnt(7)
	v_add_f32_e32 v7, v7, v22
	ds_bpermute_b32 v22, v3, v13
	s_waitcnt lgkmcnt(7)
	v_add_f32_e32 v8, v8, v21
	ds_bpermute_b32 v21, v3, v15
	ds_bpermute_b32 v28, v3, v11
	;; [unrolled: 1-line block ×3, first 2 shown]
	s_waitcnt lgkmcnt(9)
	v_add_f32_e32 v20, v20, v23
	ds_bpermute_b32 v23, v3, v8
	s_waitcnt lgkmcnt(9)
	v_add_f32_e32 v16, v16, v24
	ds_bpermute_b32 v24, v3, v4
	ds_bpermute_b32 v33, v3, v27
	s_waitcnt lgkmcnt(9)
	v_dual_add_f32 v17, v17, v25 :: v_dual_add_f32 v14, v14, v26
	v_xor_b32_e32 v25, 2, v18
	ds_bpermute_b32 v31, v3, v7
	s_waitcnt lgkmcnt(9)
	v_add_f32_e32 v12, v12, v5
	ds_bpermute_b32 v32, v3, v6
	v_cmp_gt_i32_e32 vcc_lo, 32, v25
	s_waitcnt lgkmcnt(8)
	v_dual_add_f32 v10, v10, v29 :: v_dual_add_f32 v13, v13, v22
	ds_bpermute_b32 v22, v3, v20
	v_cndmask_b32_e32 v25, v18, v25, vcc_lo
	s_waitcnt lgkmcnt(8)
	v_add_f32_e32 v15, v15, v21
	ds_bpermute_b32 v21, v3, v19
	s_waitcnt lgkmcnt(6)
	v_dual_add_f32 v11, v11, v28 :: v_dual_add_f32 v8, v8, v23
	s_waitcnt lgkmcnt(5)
	v_dual_add_f32 v9, v9, v30 :: v_dual_add_f32 v4, v4, v24
	s_waitcnt lgkmcnt(2)
	v_dual_add_f32 v6, v6, v32 :: v_dual_lshlrev_b32 v5, 2, v25
	s_waitcnt lgkmcnt(1)
	v_add_f32_e32 v20, v20, v22
	ds_bpermute_b32 v24, v5, v13
	v_add_f32_e32 v23, v27, v33
	ds_bpermute_b32 v27, v5, v14
	ds_bpermute_b32 v26, v5, v17
	;; [unrolled: 1-line block ×5, first 2 shown]
	v_add_f32_e32 v7, v7, v31
	ds_bpermute_b32 v25, v5, v16
	ds_bpermute_b32 v29, v5, v12
	ds_bpermute_b32 v30, v5, v11
	ds_bpermute_b32 v36, v5, v9
	ds_bpermute_b32 v39, v5, v6
	ds_bpermute_b32 v41, v5, v4
	ds_bpermute_b32 v43, v5, v20
	s_waitcnt lgkmcnt(12)
	v_add_f32_e32 v22, v13, v24
	ds_bpermute_b32 v40, v5, v23
	s_waitcnt lgkmcnt(12)
	v_add_f32_e32 v33, v14, v27
	v_xor_b32_e32 v14, 1, v18
	s_waitcnt lgkmcnt(11)
	v_add_f32_e32 v32, v17, v26
	ds_bpermute_b32 v38, v5, v7
	v_cmp_gt_i32_e32 vcc_lo, 32, v14
	v_add_f32_e32 v35, v19, v21
	s_waitcnt lgkmcnt(11)
	v_add_f32_e32 v21, v15, v28
	s_waitcnt lgkmcnt(10)
	;; [unrolled: 2-line block ×3, first 2 shown]
	v_dual_add_f32 v31, v16, v25 :: v_dual_add_f32 v16, v9, v36
	v_cndmask_b32_e32 v10, v18, v14, vcc_lo
	ds_bpermute_b32 v42, v5, v35
	v_add_f32_e32 v19, v12, v29
	v_dual_add_f32 v17, v11, v30 :: v_dual_add_f32 v14, v8, v37
	s_waitcnt lgkmcnt(5)
	v_add_f32_e32 v12, v6, v39
	v_lshlrev_b32_e32 v6, 2, v10
	s_waitcnt lgkmcnt(2)
	v_dual_add_f32 v10, v4, v41 :: v_dual_add_f32 v11, v23, v40
	v_add_f32_e32 v8, v20, v43
	v_lshrrev_b32_e32 v4, 5, v0
	s_waitcnt lgkmcnt(1)
	v_add_f32_e32 v13, v7, v38
	ds_bpermute_b32 v37, v6, v31
	ds_bpermute_b32 v38, v6, v32
	ds_bpermute_b32 v39, v6, v33
	ds_bpermute_b32 v36, v6, v21
	ds_bpermute_b32 v34, v6, v19
	ds_bpermute_b32 v30, v6, v17
	ds_bpermute_b32 v29, v6, v15
	ds_bpermute_b32 v28, v6, v16
	ds_bpermute_b32 v27, v6, v14
	s_waitcnt lgkmcnt(9)
	v_add_f32_e32 v9, v35, v42
	ds_bpermute_b32 v35, v6, v22
	ds_bpermute_b32 v26, v6, v13
	;; [unrolled: 1-line block ×7, first 2 shown]
	v_and_b32_e32 v7, 31, v0
	s_delay_alu instid0(VALU_DEP_1)
	v_cmpx_gt_u32_e32 16, v7
	s_cbranch_execz .LBB7_516
; %bb.515:
	s_waitcnt lgkmcnt(14)
	v_dual_add_f32 v31, v31, v37 :: v_dual_add_f32 v32, v32, v38
	v_cmp_eq_u32_e32 vcc_lo, 1, v7
	s_waitcnt lgkmcnt(8)
	v_dual_add_f32 v33, v33, v39 :: v_dual_add_f32 v16, v16, v28
	s_waitcnt lgkmcnt(7)
	v_dual_add_f32 v21, v21, v36 :: v_dual_add_f32 v14, v14, v27
	s_waitcnt lgkmcnt(6)
	v_dual_cndmask_b32 v31, v31, v32 :: v_dual_add_f32 v22, v22, v35
	v_cmp_eq_u32_e32 vcc_lo, 2, v7
	s_waitcnt lgkmcnt(4)
	v_dual_add_f32 v19, v19, v34 :: v_dual_add_f32 v12, v12, v25
	v_add_f32_e32 v17, v17, v30
	s_waitcnt lgkmcnt(0)
	v_dual_add_f32 v15, v15, v29 :: v_dual_add_f32 v8, v8, v18
	v_cndmask_b32_e32 v31, v31, v33, vcc_lo
	v_cmp_eq_u32_e32 vcc_lo, 3, v7
	v_dual_add_f32 v10, v10, v23 :: v_dual_add_f32 v13, v13, v26
	v_add_f32_e32 v11, v11, v24
	v_add_f32_e32 v9, v9, v20
	v_cndmask_b32_e32 v21, v31, v21, vcc_lo
	v_cmp_eq_u32_e32 vcc_lo, 4, v7
	s_delay_alu instid0(VALU_DEP_2) | instskip(SKIP_1) | instid1(VALU_DEP_2)
	v_cndmask_b32_e32 v21, v21, v22, vcc_lo
	v_cmp_eq_u32_e32 vcc_lo, 5, v7
	v_cndmask_b32_e32 v19, v21, v19, vcc_lo
	v_cmp_eq_u32_e32 vcc_lo, 6, v7
	s_delay_alu instid0(VALU_DEP_2) | instskip(SKIP_1) | instid1(VALU_DEP_2)
	v_cndmask_b32_e32 v17, v19, v17, vcc_lo
	v_cmp_eq_u32_e32 vcc_lo, 7, v7
	;; [unrolled: 5-line block ×5, first 2 shown]
	v_cndmask_b32_e32 v10, v11, v10, vcc_lo
	v_cmp_eq_u32_e32 vcc_lo, 14, v7
	v_lshlrev_b32_e32 v11, 2, v4
	s_delay_alu instid0(VALU_DEP_3) | instskip(SKIP_1) | instid1(VALU_DEP_3)
	v_cndmask_b32_e32 v9, v10, v9, vcc_lo
	v_cmp_eq_u32_e32 vcc_lo, 15, v7
	v_lshl_or_b32 v10, v7, 7, v11
	s_delay_alu instid0(VALU_DEP_3)
	v_cndmask_b32_e32 v8, v9, v8, vcc_lo
	ds_store_b32 v10, v8
.LBB7_516:
	s_or_b32 exec_lo, exec_lo, s2
	s_waitcnt lgkmcnt(0)
	s_barrier
	buffer_gl0_inv
	s_mov_b32 s2, exec_lo
	v_cmpx_gt_u32_e32 0x100, v0
	s_cbranch_execz .LBB7_529
; %bb.517:
	s_load_b32 s0, s[0:1], 0x2c
	v_and_b32_e32 v8, 15, v0
	v_mov_b32_e32 v0, 0
	s_waitcnt lgkmcnt(0)
	s_and_b32 s0, 0xffff, s0
	s_delay_alu instid0(SALU_CYCLE_1) | instskip(NEXT) | instid1(SALU_CYCLE_1)
	s_lshr_b32 s0, s0, 5
	v_cmp_gt_u32_e32 vcc_lo, s0, v8
	s_and_saveexec_b32 s0, vcc_lo
	s_cbranch_execz .LBB7_519
; %bb.518:
	v_lshlrev_b32_e32 v0, 2, v8
	s_delay_alu instid0(VALU_DEP_1)
	v_and_or_b32 v0, 0x1f80, v65, v0
	ds_load_b32 v0, v0
.LBB7_519:
	s_or_b32 exec_lo, exec_lo, s0
	s_waitcnt lgkmcnt(0)
	ds_bpermute_b32 v2, v2, v0
	v_cmp_eq_u32_e32 vcc_lo, 0, v7
	s_waitcnt lgkmcnt(0)
	v_add_f32_e32 v0, v0, v2
	ds_bpermute_b32 v2, v3, v0
	s_waitcnt lgkmcnt(0)
	v_add_f32_e32 v0, v0, v2
	ds_bpermute_b32 v2, v5, v0
	;; [unrolled: 3-line block ×4, first 2 shown]
	s_and_b32 exec_lo, exec_lo, vcc_lo
	s_cbranch_execz .LBB7_529
; %bb.520:
	v_and_b32_e32 v0, 0x7f800000, v2
	s_delay_alu instid0(VALU_DEP_1) | instskip(SKIP_1) | instid1(SALU_CYCLE_1)
	v_cmp_ne_u32_e32 vcc_lo, 0x7f800000, v0
                                        ; implicit-def: $vgpr0
	s_and_saveexec_b32 s0, vcc_lo
	s_xor_b32 s0, exec_lo, s0
; %bb.521:
	v_bfe_u32 v0, v2, 16, 1
	s_delay_alu instid0(VALU_DEP_1)
	v_add3_u32 v0, v2, v0, 0x7fff
                                        ; implicit-def: $vgpr2
; %bb.522:
	s_and_not1_saveexec_b32 s0, s0
; %bb.523:
	v_and_b32_e32 v0, 0xffff, v2
	v_or_b32_e32 v3, 0x10000, v2
	s_delay_alu instid0(VALU_DEP_2) | instskip(NEXT) | instid1(VALU_DEP_2)
	v_cmp_eq_u32_e32 vcc_lo, 0, v0
	v_cndmask_b32_e32 v0, v3, v2, vcc_lo
; %bb.524:
	s_or_b32 exec_lo, exec_lo, s0
	s_waitcnt lgkmcnt(0)
	v_and_b32_e32 v2, 0x7f800000, v1
	s_delay_alu instid0(VALU_DEP_1) | instskip(SKIP_1) | instid1(SALU_CYCLE_1)
	v_cmp_ne_u32_e32 vcc_lo, 0x7f800000, v2
                                        ; implicit-def: $vgpr2
	s_and_saveexec_b32 s0, vcc_lo
	s_xor_b32 s0, exec_lo, s0
; %bb.525:
	v_bfe_u32 v2, v1, 16, 1
	s_delay_alu instid0(VALU_DEP_1)
	v_add3_u32 v2, v1, v2, 0x7fff
                                        ; implicit-def: $vgpr1
; %bb.526:
	s_and_not1_saveexec_b32 s0, s0
; %bb.527:
	v_and_b32_e32 v2, 0xffff, v1
	v_or_b32_e32 v3, 0x10000, v1
	s_delay_alu instid0(VALU_DEP_2) | instskip(NEXT) | instid1(VALU_DEP_2)
	v_cmp_eq_u32_e32 vcc_lo, 0, v2
	v_cndmask_b32_e32 v2, v3, v1, vcc_lo
; %bb.528:
	s_or_b32 exec_lo, exec_lo, s0
	s_lshl_b32 s0, s15, 3
	v_mov_b32_e32 v5, 0
	v_and_or_b32 v4, 0x7ffffff8, s0, v4
	v_perm_b32 v0, v2, v0, 0x7060302
	s_delay_alu instid0(VALU_DEP_2) | instskip(NEXT) | instid1(VALU_DEP_1)
	v_lshlrev_b64 v[3:4], 2, v[4:5]
	v_add_co_u32 v3, vcc_lo, s8, v3
	s_delay_alu instid0(VALU_DEP_2)
	v_add_co_ci_u32_e32 v4, vcc_lo, s9, v4, vcc_lo
	global_store_b32 v[3:4], v0, off
.LBB7_529:
	s_nop 0
	s_sendmsg sendmsg(MSG_DEALLOC_VGPRS)
	s_endpgm
	.section	.rodata,"a",@progbits
	.p2align	6, 0x0
	.amdhsa_kernel _Z14LLGemm1_kernelIN3c108BFloat16ELi16EEvPKT_S4_PS2_i
		.amdhsa_group_segment_fixed_size 2048
		.amdhsa_private_segment_fixed_size 0
		.amdhsa_kernarg_size 288
		.amdhsa_user_sgpr_count 15
		.amdhsa_user_sgpr_dispatch_ptr 0
		.amdhsa_user_sgpr_queue_ptr 0
		.amdhsa_user_sgpr_kernarg_segment_ptr 1
		.amdhsa_user_sgpr_dispatch_id 0
		.amdhsa_user_sgpr_private_segment_size 0
		.amdhsa_wavefront_size32 1
		.amdhsa_uses_dynamic_stack 0
		.amdhsa_enable_private_segment 0
		.amdhsa_system_sgpr_workgroup_id_x 1
		.amdhsa_system_sgpr_workgroup_id_y 0
		.amdhsa_system_sgpr_workgroup_id_z 0
		.amdhsa_system_sgpr_workgroup_info 0
		.amdhsa_system_vgpr_workitem_id 0
		.amdhsa_next_free_vgpr 77
		.amdhsa_next_free_sgpr 18
		.amdhsa_reserve_vcc 1
		.amdhsa_float_round_mode_32 0
		.amdhsa_float_round_mode_16_64 0
		.amdhsa_float_denorm_mode_32 3
		.amdhsa_float_denorm_mode_16_64 3
		.amdhsa_dx10_clamp 1
		.amdhsa_ieee_mode 1
		.amdhsa_fp16_overflow 0
		.amdhsa_workgroup_processor_mode 1
		.amdhsa_memory_ordered 1
		.amdhsa_forward_progress 0
		.amdhsa_shared_vgpr_count 0
		.amdhsa_exception_fp_ieee_invalid_op 0
		.amdhsa_exception_fp_denorm_src 0
		.amdhsa_exception_fp_ieee_div_zero 0
		.amdhsa_exception_fp_ieee_overflow 0
		.amdhsa_exception_fp_ieee_underflow 0
		.amdhsa_exception_fp_ieee_inexact 0
		.amdhsa_exception_int_div_zero 0
	.end_amdhsa_kernel
	.section	.text._Z14LLGemm1_kernelIN3c108BFloat16ELi16EEvPKT_S4_PS2_i,"axG",@progbits,_Z14LLGemm1_kernelIN3c108BFloat16ELi16EEvPKT_S4_PS2_i,comdat
.Lfunc_end7:
	.size	_Z14LLGemm1_kernelIN3c108BFloat16ELi16EEvPKT_S4_PS2_i, .Lfunc_end7-_Z14LLGemm1_kernelIN3c108BFloat16ELi16EEvPKT_S4_PS2_i
                                        ; -- End function
	.section	.AMDGPU.csdata,"",@progbits
; Kernel info:
; codeLenInByte = 19068
; NumSgprs: 20
; NumVgprs: 77
; ScratchSize: 0
; MemoryBound: 0
; FloatMode: 240
; IeeeMode: 1
; LDSByteSize: 2048 bytes/workgroup (compile time only)
; SGPRBlocks: 2
; VGPRBlocks: 9
; NumSGPRsForWavesPerEU: 20
; NumVGPRsForWavesPerEU: 77
; Occupancy: 16
; WaveLimiterHint : 0
; COMPUTE_PGM_RSRC2:SCRATCH_EN: 0
; COMPUTE_PGM_RSRC2:USER_SGPR: 15
; COMPUTE_PGM_RSRC2:TRAP_HANDLER: 0
; COMPUTE_PGM_RSRC2:TGID_X_EN: 1
; COMPUTE_PGM_RSRC2:TGID_Y_EN: 0
; COMPUTE_PGM_RSRC2:TGID_Z_EN: 0
; COMPUTE_PGM_RSRC2:TIDIG_COMP_CNT: 0
	.section	.text._Z16wvSplitK_hf_sml_I6__halfLi32ELi1ELi16ELi8ELi4ELi1EEviiiiiiPKT_S3_S3_PS1_ii,"axG",@progbits,_Z16wvSplitK_hf_sml_I6__halfLi32ELi1ELi16ELi8ELi4ELi1EEviiiiiiPKT_S3_S3_PS1_ii,comdat
	.protected	_Z16wvSplitK_hf_sml_I6__halfLi32ELi1ELi16ELi8ELi4ELi1EEviiiiiiPKT_S3_S3_PS1_ii ; -- Begin function _Z16wvSplitK_hf_sml_I6__halfLi32ELi1ELi16ELi8ELi4ELi1EEviiiiiiPKT_S3_S3_PS1_ii
	.globl	_Z16wvSplitK_hf_sml_I6__halfLi32ELi1ELi16ELi8ELi4ELi1EEviiiiiiPKT_S3_S3_PS1_ii
	.p2align	8
	.type	_Z16wvSplitK_hf_sml_I6__halfLi32ELi1ELi16ELi8ELi4ELi1EEviiiiiiPKT_S3_S3_PS1_ii,@function
_Z16wvSplitK_hf_sml_I6__halfLi32ELi1ELi16ELi8ELi4ELi1EEviiiiiiPKT_S3_S3_PS1_ii: ; @_Z16wvSplitK_hf_sml_I6__halfLi32ELi1ELi16ELi8ELi4ELi1EEviiiiiiPKT_S3_S3_PS1_ii
; %bb.0:
	s_load_b128 s[4:7], s[0:1], 0x0
	v_and_b32_e32 v1, 0x3ff, v0
	v_bfe_u32 v0, v0, 10, 10
	s_delay_alu instid0(VALU_DEP_2) | instskip(NEXT) | instid1(VALU_DEP_1)
	v_lshlrev_b32_e32 v35, 3, v1
	v_lshl_add_u32 v3, v0, 8, v35
	s_waitcnt lgkmcnt(0)
	s_min_u32 s8, s6, 0x8000
	s_mov_b32 s6, exec_lo
	s_delay_alu instid0(VALU_DEP_1)
	v_cmpx_gt_u32_e64 s8, v3
	s_cbranch_execz .LBB8_9
; %bb.1:
	s_load_b64 s[2:3], s[0:1], 0x20
	v_lshlrev_b32_e32 v2, 1, v3
	v_add_nc_u32_e32 v8, 0x1000, v3
	s_mov_b32 s9, exec_lo
	s_waitcnt lgkmcnt(0)
	global_load_b128 v[4:7], v2, s[2:3]
	s_waitcnt vmcnt(0)
	ds_store_b128 v2, v[4:7]
	v_cmpx_gt_u32_e64 s8, v8
	s_xor_b32 s9, exec_lo, s9
	s_cbranch_execz .LBB8_9
; %bb.2:
	v_add_co_u32 v4, s2, s2, v2
	s_delay_alu instid0(VALU_DEP_1) | instskip(SKIP_1) | instid1(VALU_DEP_3)
	v_add_co_ci_u32_e64 v5, null, s3, 0, s2
	v_add_nc_u32_e32 v10, 0x2000, v3
	v_add_co_u32 v6, vcc_lo, 0x2000, v4
	s_delay_alu instid0(VALU_DEP_3)
	v_add_co_ci_u32_e32 v7, vcc_lo, 0, v5, vcc_lo
	s_mov_b32 s2, exec_lo
	global_load_b128 v[6:9], v[6:7], off
	s_waitcnt vmcnt(0)
	ds_store_b128 v2, v[6:9] offset:8192
	v_cmpx_gt_u32_e64 s8, v10
	s_xor_b32 s2, exec_lo, s2
	s_cbranch_execz .LBB8_9
; %bb.3:
	v_add_co_u32 v6, vcc_lo, 0x4000, v4
	v_add_co_ci_u32_e32 v7, vcc_lo, 0, v5, vcc_lo
	v_add_nc_u32_e32 v10, 0x3000, v3
	s_mov_b32 s2, exec_lo
	global_load_b128 v[6:9], v[6:7], off
	s_waitcnt vmcnt(0)
	ds_store_b128 v2, v[6:9] offset:16384
	v_cmpx_gt_u32_e64 s8, v10
	s_xor_b32 s2, exec_lo, s2
	s_cbranch_execz .LBB8_9
; %bb.4:
	v_add_co_u32 v6, vcc_lo, 0x6000, v4
	v_add_co_ci_u32_e32 v7, vcc_lo, 0, v5, vcc_lo
	v_add_nc_u32_e32 v10, 0x4000, v3
	;; [unrolled: 11-line block ×5, first 2 shown]
	s_mov_b32 s2, exec_lo
	global_load_b128 v[6:9], v[6:7], off
	s_waitcnt vmcnt(0)
	ds_store_b128 v2, v[6:9] offset:49152
	v_cmpx_gt_u32_e64 s8, v3
	s_xor_b32 s2, exec_lo, s2
	s_cbranch_execz .LBB8_9
; %bb.8:
	v_add_co_u32 v3, vcc_lo, 0xe000, v4
	v_add_co_ci_u32_e32 v4, vcc_lo, 0, v5, vcc_lo
	global_load_b128 v[3:6], v[3:4], off
	s_waitcnt vmcnt(0)
	ds_store_b128 v2, v[3:6] offset:57344
.LBB8_9:
	s_or_b32 exec_lo, exec_lo, s6
	s_load_b64 s[12:13], s[0:1], 0x38
	s_waitcnt lgkmcnt(0)
	s_barrier
	buffer_gl0_inv
	s_mov_b32 s2, exec_lo
	v_cmpx_gt_u32_e64 s12, v0
	s_cbranch_execz .LBB8_30
; %bb.10:
	s_load_b32 s6, s[0:1], 0x10
	v_mad_u64_u32 v[32:33], null, s15, s12, v[0:1]
	s_delay_alu instid0(VALU_DEP_1)
	v_cmp_gt_u32_e32 vcc_lo, s7, v32
	s_and_b32 exec_lo, exec_lo, vcc_lo
	s_cbranch_execz .LBB8_30
; %bb.11:
	s_waitcnt lgkmcnt(0)
	v_cvt_f32_u32_e32 v0, s6
	s_clause 0x1
	s_load_b128 s[8:11], s[0:1], 0x28
	s_load_b64 s[2:3], s[0:1], 0x18
	s_cmp_lg_u32 s4, 0
	v_mbcnt_lo_u32_b32 v36, -1, 0
	v_rcp_iflag_f32_e32 v0, v0
	s_cselect_b32 s1, -1, 0
	s_add_i32 s14, s4, -8
	s_add_i32 s15, s7, -1
	v_mov_b32_e32 v34, 0
	v_xor_b32_e32 v39, 16, v36
	s_mov_b32 s17, 0
	s_mul_i32 s12, s13, s12
	s_waitcnt_depctr 0xfff
	v_dual_mul_f32 v0, 0x4f7ffffe, v0 :: v_dual_lshlrev_b32 v37, 4, v1
	s_delay_alu instid0(VALU_DEP_1) | instskip(SKIP_4) | instid1(SALU_CYCLE_1)
	v_cvt_u32_f32_e32 v0, v0
	s_waitcnt lgkmcnt(0)
	s_cmp_lg_u64 s[8:9], 0
	s_cselect_b32 s16, -1, 0
	s_sub_i32 s0, 0, s6
	v_mul_lo_u32 v2, s0, v0
	v_cmp_eq_u32_e64 s0, 31, v1
	s_delay_alu instid0(VALU_DEP_2) | instskip(NEXT) | instid1(VALU_DEP_1)
	v_mul_hi_u32 v2, v0, v2
	v_add_nc_u32_e32 v38, v0, v2
	s_branch .LBB8_14
.LBB8_12:                               ;   in Loop: Header=BB8_14 Depth=1
	s_waitcnt lgkmcnt(0)
	v_add_f32_e32 v0, v0, v1
	s_waitcnt vmcnt(0)
	v_cvt_f32_f16_e32 v1, v2
	s_delay_alu instid0(VALU_DEP_1) | instskip(SKIP_1) | instid1(VALU_DEP_2)
	v_add_f32_e32 v2, v0, v1
	v_lshlrev_b64 v[0:1], 1, v[32:33]
	v_cvt_f16_f32_e32 v2, v2
	s_delay_alu instid0(VALU_DEP_2) | instskip(NEXT) | instid1(VALU_DEP_3)
	v_add_co_u32 v0, vcc_lo, s10, v0
	v_add_co_ci_u32_e32 v1, vcc_lo, s11, v1, vcc_lo
	global_store_b16 v[0:1], v2, off
.LBB8_13:                               ;   in Loop: Header=BB8_14 Depth=1
	s_or_b32 exec_lo, exec_lo, s13
	v_add_nc_u32_e32 v32, s12, v32
	s_delay_alu instid0(VALU_DEP_1) | instskip(SKIP_1) | instid1(SALU_CYCLE_1)
	v_cmp_le_u32_e32 vcc_lo, s7, v32
	s_or_b32 s17, vcc_lo, s17
	s_and_not1_b32 exec_lo, exec_lo, s17
	s_cbranch_execz .LBB8_30
.LBB8_14:                               ; =>This Loop Header: Depth=1
                                        ;     Child Loop BB8_20 Depth 2
	v_mov_b32_e32 v40, v34
	s_and_not1_b32 vcc_lo, exec_lo, s1
	s_cbranch_vccnz .LBB8_25
; %bb.15:                               ;   in Loop: Header=BB8_14 Depth=1
	v_min_u32_e32 v0, s15, v32
	v_dual_mov_b32 v40, 0 :: v_dual_mov_b32 v43, v37
	s_mov_b32 s13, 0
	s_delay_alu instid0(VALU_DEP_2) | instskip(SKIP_1) | instid1(VALU_DEP_1)
	v_mul_lo_u32 v33, v0, s5
	s_waitcnt lgkmcnt(0)
	v_lshlrev_b64 v[0:1], 1, v[33:34]
	s_delay_alu instid0(VALU_DEP_1) | instskip(NEXT) | instid1(VALU_DEP_2)
	v_add_co_u32 v41, vcc_lo, s2, v0
	v_add_co_ci_u32_e32 v42, vcc_lo, s3, v1, vcc_lo
	s_branch .LBB8_20
.LBB8_16:                               ;   in Loop: Header=BB8_20 Depth=2
	s_or_b32 exec_lo, exec_lo, s21
.LBB8_17:                               ;   in Loop: Header=BB8_20 Depth=2
	s_delay_alu instid0(SALU_CYCLE_1)
	s_or_b32 exec_lo, exec_lo, s20
.LBB8_18:                               ;   in Loop: Header=BB8_20 Depth=2
	s_delay_alu instid0(SALU_CYCLE_1)
	s_or_b32 exec_lo, exec_lo, s19
.LBB8_19:                               ;   in Loop: Header=BB8_20 Depth=2
	s_delay_alu instid0(SALU_CYCLE_1)
	s_or_b32 exec_lo, exec_lo, s18
	s_waitcnt vmcnt(3) lgkmcnt(0)
	;;#ASMSTART
	v_dot2_f32_f16 v40, v28, v16, v40
	;;#ASMEND
	;;#ASMSTART
	v_dot2_f32_f16 v40, v29, v17, v40
	;;#ASMEND
	;; [unrolled: 3-line block ×4, first 2 shown]
	s_waitcnt vmcnt(2)
	;;#ASMSTART
	v_dot2_f32_f16 v40, v24, v12, v40
	;;#ASMEND
	;;#ASMSTART
	v_dot2_f32_f16 v40, v25, v13, v40
	;;#ASMEND
	;; [unrolled: 3-line block ×4, first 2 shown]
	s_waitcnt vmcnt(1)
	;;#ASMSTART
	v_dot2_f32_f16 v40, v20, v4, v40
	;;#ASMEND
	;;#ASMSTART
	v_dot2_f32_f16 v40, v21, v5, v40
	;;#ASMEND
	;; [unrolled: 3-line block ×3, first 2 shown]
	v_add_nc_u32_e32 v43, 0x800, v43
	;;#ASMSTART
	v_dot2_f32_f16 v40, v23, v7, v40
	;;#ASMEND
	s_addk_i32 s13, 0x400
	s_waitcnt vmcnt(0)
	;;#ASMSTART
	v_dot2_f32_f16 v40, v8, v0, v40
	;;#ASMEND
	;;#ASMSTART
	v_dot2_f32_f16 v40, v9, v1, v40
	;;#ASMEND
	s_cmp_ge_u32 s13, s4
	;;#ASMSTART
	v_dot2_f32_f16 v40, v10, v2, v40
	;;#ASMEND
	;;#ASMSTART
	v_dot2_f32_f16 v40, v11, v3, v40
	;;#ASMEND
	s_cbranch_scc1 .LBB8_25
.LBB8_20:                               ;   Parent Loop BB8_14 Depth=1
                                        ; =>  This Inner Loop Header: Depth=2
	v_dual_mov_b32 v25, 0 :: v_dual_add_nc_u32 v10, s13, v35
	v_dual_mov_b32 v26, 0 :: v_dual_mov_b32 v23, 0
	v_mov_b32_e32 v20, 0
	s_delay_alu instid0(VALU_DEP_3) | instskip(SKIP_2) | instid1(VALU_DEP_3)
	v_min_u32_e32 v33, s14, v10
	v_dual_mov_b32 v27, 0 :: v_dual_add_nc_u32 v46, 0x100, v10
	v_dual_mov_b32 v24, 0 :: v_dual_add_nc_u32 v45, 0x200, v10
	v_lshlrev_b64 v[0:1], 1, v[33:34]
	s_delay_alu instid0(VALU_DEP_3) | instskip(SKIP_2) | instid1(VALU_DEP_3)
	v_min_u32_e32 v33, s14, v46
	v_dual_mov_b32 v21, 0 :: v_dual_add_nc_u32 v44, 0x300, v10
	v_dual_mov_b32 v22, 0 :: v_dual_mov_b32 v11, 0
	v_lshlrev_b64 v[2:3], 1, v[33:34]
	v_min_u32_e32 v33, s14, v45
	v_add_co_u32 v0, vcc_lo, v41, v0
	v_add_co_ci_u32_e32 v1, vcc_lo, v42, v1, vcc_lo
	s_delay_alu instid0(VALU_DEP_3) | instskip(SKIP_3) | instid1(VALU_DEP_3)
	v_lshlrev_b64 v[4:5], 1, v[33:34]
	v_min_u32_e32 v33, s14, v44
	v_add_co_u32 v2, vcc_lo, v41, v2
	v_add_co_ci_u32_e32 v3, vcc_lo, v42, v3, vcc_lo
	v_lshlrev_b64 v[6:7], 1, v[33:34]
	v_add_co_u32 v4, vcc_lo, v41, v4
	v_add_co_ci_u32_e32 v5, vcc_lo, v42, v5, vcc_lo
	v_mov_b32_e32 v30, 0
	s_delay_alu instid0(VALU_DEP_4)
	v_add_co_u32 v8, vcc_lo, v41, v6
	v_add_co_ci_u32_e32 v9, vcc_lo, v42, v7, vcc_lo
	s_clause 0x3
	global_load_b128 v[16:19], v[0:1], off slc dlc
	global_load_b128 v[12:15], v[2:3], off slc dlc
	;; [unrolled: 1-line block ×4, first 2 shown]
	v_cmp_gt_u32_e32 vcc_lo, s4, v10
	v_dual_mov_b32 v8, 0 :: v_dual_mov_b32 v31, 0
	v_dual_mov_b32 v9, 0 :: v_dual_mov_b32 v10, 0
	;; [unrolled: 1-line block ×3, first 2 shown]
	s_and_saveexec_b32 s18, vcc_lo
	s_cbranch_execz .LBB8_19
; %bb.21:                               ;   in Loop: Header=BB8_20 Depth=2
	ds_load_b128 v[28:31], v43
	v_dual_mov_b32 v11, 0 :: v_dual_mov_b32 v10, 0
	v_dual_mov_b32 v9, 0 :: v_dual_mov_b32 v8, 0
	;; [unrolled: 1-line block ×6, first 2 shown]
	s_mov_b32 s19, exec_lo
	v_cmpx_gt_u32_e64 s4, v46
	s_cbranch_execz .LBB8_18
; %bb.22:                               ;   in Loop: Header=BB8_20 Depth=2
	ds_load_b128 v[24:27], v43 offset:512
	v_dual_mov_b32 v11, 0 :: v_dual_mov_b32 v10, 0
	v_dual_mov_b32 v9, 0 :: v_dual_mov_b32 v8, 0
	;; [unrolled: 1-line block ×4, first 2 shown]
	s_mov_b32 s20, exec_lo
	v_cmpx_gt_u32_e64 s4, v45
	s_cbranch_execz .LBB8_17
; %bb.23:                               ;   in Loop: Header=BB8_20 Depth=2
	ds_load_b128 v[20:23], v43 offset:1024
	v_dual_mov_b32 v11, 0 :: v_dual_mov_b32 v10, 0
	v_dual_mov_b32 v9, 0 :: v_dual_mov_b32 v8, 0
	s_mov_b32 s21, exec_lo
	v_cmpx_gt_u32_e64 s4, v44
	s_cbranch_execz .LBB8_16
; %bb.24:                               ;   in Loop: Header=BB8_20 Depth=2
	ds_load_b128 v[8:11], v43 offset:1536
	s_branch .LBB8_16
.LBB8_25:                               ;   in Loop: Header=BB8_14 Depth=1
	; sched_barrier mask(0x00000000)
	s_delay_alu instid0(VALU_DEP_1) | instskip(SKIP_1) | instid1(VALU_DEP_2)
	v_cvt_i32_f32_e32 v0, v40
	v_cmp_gt_i32_e32 vcc_lo, 32, v39
	v_cvt_f32_i32_dpp v0, v0 row_shr:8 row_mask:0xf bank_mask:0xf bound_ctrl:1
	v_cndmask_b32_e32 v2, v36, v39, vcc_lo
	s_delay_alu instid0(VALU_DEP_2) | instskip(SKIP_1) | instid1(VALU_DEP_1)
	v_add_f32_e32 v0, v40, v0
	s_waitcnt lgkmcnt(0)
	v_cvt_i32_f32_e32 v1, v0
	s_delay_alu instid0(VALU_DEP_1) | instskip(NEXT) | instid1(VALU_DEP_1)
	v_cvt_f32_i32_dpp v1, v1 row_shr:4 row_mask:0xf bank_mask:0xf bound_ctrl:1
	v_add_f32_e32 v0, v0, v1
	s_delay_alu instid0(VALU_DEP_1) | instskip(NEXT) | instid1(VALU_DEP_1)
	v_cvt_i32_f32_e32 v1, v0
	v_cvt_f32_i32_dpp v1, v1 row_shr:2 row_mask:0xf bank_mask:0xf bound_ctrl:1
	s_delay_alu instid0(VALU_DEP_1) | instskip(NEXT) | instid1(VALU_DEP_1)
	v_add_f32_e32 v0, v0, v1
	v_cvt_i32_f32_e32 v1, v0
	s_delay_alu instid0(VALU_DEP_1) | instskip(NEXT) | instid1(VALU_DEP_1)
	v_cvt_f32_i32_dpp v1, v1 row_shr:1 row_mask:0xf bank_mask:0xf bound_ctrl:1
	v_dual_add_f32 v0, v0, v1 :: v_dual_lshlrev_b32 v1, 2, v2
	ds_bpermute_b32 v1, v1, v0
	s_and_saveexec_b32 s13, s0
	s_cbranch_execz .LBB8_13
; %bb.26:                               ;   in Loop: Header=BB8_14 Depth=1
	s_and_b32 vcc_lo, exec_lo, s16
	s_cbranch_vccz .LBB8_28
; %bb.27:                               ;   in Loop: Header=BB8_14 Depth=1
	v_mul_hi_u32 v2, v32, v38
	s_delay_alu instid0(VALU_DEP_1) | instskip(NEXT) | instid1(VALU_DEP_1)
	v_mul_lo_u32 v2, v2, s6
	v_sub_nc_u32_e32 v2, v32, v2
	s_delay_alu instid0(VALU_DEP_1) | instskip(SKIP_1) | instid1(VALU_DEP_2)
	v_subrev_nc_u32_e32 v3, s6, v2
	v_cmp_le_u32_e32 vcc_lo, s6, v2
	v_cndmask_b32_e32 v2, v2, v3, vcc_lo
	s_delay_alu instid0(VALU_DEP_1) | instskip(SKIP_1) | instid1(VALU_DEP_2)
	v_subrev_nc_u32_e32 v3, s6, v2
	v_cmp_le_u32_e32 vcc_lo, s6, v2
	v_cndmask_b32_e32 v33, v2, v3, vcc_lo
	s_delay_alu instid0(VALU_DEP_1) | instskip(SKIP_1) | instid1(VALU_DEP_2)
	v_lshlrev_b64 v[2:3], 1, v[33:34]
	v_mov_b32_e32 v33, v34
	v_add_co_u32 v2, vcc_lo, s8, v2
	s_delay_alu instid0(VALU_DEP_3)
	v_add_co_ci_u32_e32 v3, vcc_lo, s9, v3, vcc_lo
	global_load_u16 v2, v[2:3], off
	s_cbranch_execnz .LBB8_12
	s_branch .LBB8_29
.LBB8_28:                               ;   in Loop: Header=BB8_14 Depth=1
                                        ; implicit-def: $vgpr2
.LBB8_29:                               ;   in Loop: Header=BB8_14 Depth=1
	s_waitcnt vmcnt(0)
	v_dual_mov_b32 v33, v34 :: v_dual_mov_b32 v2, 0
	s_branch .LBB8_12
.LBB8_30:
	s_nop 0
	s_sendmsg sendmsg(MSG_DEALLOC_VGPRS)
	s_endpgm
	.section	.rodata,"a",@progbits
	.p2align	6, 0x0
	.amdhsa_kernel _Z16wvSplitK_hf_sml_I6__halfLi32ELi1ELi16ELi8ELi4ELi1EEviiiiiiPKT_S3_S3_PS1_ii
		.amdhsa_group_segment_fixed_size 65536
		.amdhsa_private_segment_fixed_size 0
		.amdhsa_kernarg_size 64
		.amdhsa_user_sgpr_count 15
		.amdhsa_user_sgpr_dispatch_ptr 0
		.amdhsa_user_sgpr_queue_ptr 0
		.amdhsa_user_sgpr_kernarg_segment_ptr 1
		.amdhsa_user_sgpr_dispatch_id 0
		.amdhsa_user_sgpr_private_segment_size 0
		.amdhsa_wavefront_size32 1
		.amdhsa_uses_dynamic_stack 0
		.amdhsa_enable_private_segment 0
		.amdhsa_system_sgpr_workgroup_id_x 1
		.amdhsa_system_sgpr_workgroup_id_y 0
		.amdhsa_system_sgpr_workgroup_id_z 0
		.amdhsa_system_sgpr_workgroup_info 0
		.amdhsa_system_vgpr_workitem_id 1
		.amdhsa_next_free_vgpr 47
		.amdhsa_next_free_sgpr 22
		.amdhsa_reserve_vcc 1
		.amdhsa_float_round_mode_32 0
		.amdhsa_float_round_mode_16_64 0
		.amdhsa_float_denorm_mode_32 3
		.amdhsa_float_denorm_mode_16_64 3
		.amdhsa_dx10_clamp 1
		.amdhsa_ieee_mode 1
		.amdhsa_fp16_overflow 0
		.amdhsa_workgroup_processor_mode 1
		.amdhsa_memory_ordered 1
		.amdhsa_forward_progress 0
		.amdhsa_shared_vgpr_count 0
		.amdhsa_exception_fp_ieee_invalid_op 0
		.amdhsa_exception_fp_denorm_src 0
		.amdhsa_exception_fp_ieee_div_zero 0
		.amdhsa_exception_fp_ieee_overflow 0
		.amdhsa_exception_fp_ieee_underflow 0
		.amdhsa_exception_fp_ieee_inexact 0
		.amdhsa_exception_int_div_zero 0
	.end_amdhsa_kernel
	.section	.text._Z16wvSplitK_hf_sml_I6__halfLi32ELi1ELi16ELi8ELi4ELi1EEviiiiiiPKT_S3_S3_PS1_ii,"axG",@progbits,_Z16wvSplitK_hf_sml_I6__halfLi32ELi1ELi16ELi8ELi4ELi1EEviiiiiiPKT_S3_S3_PS1_ii,comdat
.Lfunc_end8:
	.size	_Z16wvSplitK_hf_sml_I6__halfLi32ELi1ELi16ELi8ELi4ELi1EEviiiiiiPKT_S3_S3_PS1_ii, .Lfunc_end8-_Z16wvSplitK_hf_sml_I6__halfLi32ELi1ELi16ELi8ELi4ELi1EEviiiiiiPKT_S3_S3_PS1_ii
                                        ; -- End function
	.section	.AMDGPU.csdata,"",@progbits
; Kernel info:
; codeLenInByte = 2040
; NumSgprs: 24
; NumVgprs: 47
; ScratchSize: 0
; MemoryBound: 0
; FloatMode: 240
; IeeeMode: 1
; LDSByteSize: 65536 bytes/workgroup (compile time only)
; SGPRBlocks: 2
; VGPRBlocks: 5
; NumSGPRsForWavesPerEU: 24
; NumVGPRsForWavesPerEU: 47
; Occupancy: 8
; WaveLimiterHint : 0
; COMPUTE_PGM_RSRC2:SCRATCH_EN: 0
; COMPUTE_PGM_RSRC2:USER_SGPR: 15
; COMPUTE_PGM_RSRC2:TRAP_HANDLER: 0
; COMPUTE_PGM_RSRC2:TGID_X_EN: 1
; COMPUTE_PGM_RSRC2:TGID_Y_EN: 0
; COMPUTE_PGM_RSRC2:TGID_Z_EN: 0
; COMPUTE_PGM_RSRC2:TIDIG_COMP_CNT: 1
	.section	.text._Z12wvSplitK_hf_I6__halfLi32ELi1ELi16ELi8ELi4ELi1EEviiiiiiPKT_S3_S3_PS1_ii,"axG",@progbits,_Z12wvSplitK_hf_I6__halfLi32ELi1ELi16ELi8ELi4ELi1EEviiiiiiPKT_S3_S3_PS1_ii,comdat
	.protected	_Z12wvSplitK_hf_I6__halfLi32ELi1ELi16ELi8ELi4ELi1EEviiiiiiPKT_S3_S3_PS1_ii ; -- Begin function _Z12wvSplitK_hf_I6__halfLi32ELi1ELi16ELi8ELi4ELi1EEviiiiiiPKT_S3_S3_PS1_ii
	.globl	_Z12wvSplitK_hf_I6__halfLi32ELi1ELi16ELi8ELi4ELi1EEviiiiiiPKT_S3_S3_PS1_ii
	.p2align	8
	.type	_Z12wvSplitK_hf_I6__halfLi32ELi1ELi16ELi8ELi4ELi1EEviiiiiiPKT_S3_S3_PS1_ii,@function
_Z12wvSplitK_hf_I6__halfLi32ELi1ELi16ELi8ELi4ELi1EEviiiiiiPKT_S3_S3_PS1_ii: ; @_Z12wvSplitK_hf_I6__halfLi32ELi1ELi16ELi8ELi4ELi1EEviiiiiiPKT_S3_S3_PS1_ii
; %bb.0:
	s_clause 0x1
	s_load_b64 s[16:17], s[0:1], 0x38
	s_load_b128 s[4:7], s[0:1], 0x0
	v_bfe_u32 v1, v0, 10, 10
	s_clause 0x1
	s_load_b64 s[12:13], s[0:1], 0x20
	s_load_b32 s3, s[0:1], 0x10
	v_mov_b32_e32 v40, 1
	s_waitcnt lgkmcnt(0)
	v_mad_u64_u32 v[32:33], null, s15, s16, v[1:2]
	s_delay_alu instid0(VALU_DEP_1) | instskip(SKIP_1) | instid1(VALU_DEP_2)
	v_add_nc_u32_e32 v2, 1, v32
	v_cmp_gt_u32_e32 vcc_lo, s7, v32
	v_cmp_le_u32_e64 s2, s7, v2
	s_delay_alu instid0(VALU_DEP_1) | instskip(NEXT) | instid1(SALU_CYCLE_1)
	s_and_b32 s8, vcc_lo, s2
	s_and_saveexec_b32 s2, s8
; %bb.1:
	v_subrev_nc_u32_e32 v2, s7, v32
	s_add_i32 s8, s7, -1
	s_delay_alu instid0(SALU_CYCLE_1) | instskip(NEXT) | instid1(VALU_DEP_2)
	v_mov_b32_e32 v32, s8
	v_cmp_eq_u32_e32 vcc_lo, -1, v2
	v_cndmask_b32_e64 v40, 0, 1, vcc_lo
; %bb.2:
	s_or_b32 exec_lo, exec_lo, s2
	v_and_b32_e32 v0, 0x3ff, v0
	s_min_u32 s6, s6, 0x8000
	s_mov_b32 s2, exec_lo
	s_delay_alu instid0(VALU_DEP_1) | instskip(NEXT) | instid1(VALU_DEP_1)
	v_lshlrev_b32_e32 v41, 3, v0
	v_lshl_add_u32 v3, v1, 8, v41
	s_delay_alu instid0(VALU_DEP_1)
	v_cmpx_gt_u32_e64 s6, v3
	s_cbranch_execz .LBB9_11
; %bb.3:
	v_lshlrev_b32_e32 v2, 1, v3
	v_add_nc_u32_e32 v8, 0x1000, v3
	s_mov_b32 s8, exec_lo
	global_load_b128 v[4:7], v2, s[12:13]
	s_waitcnt vmcnt(0)
	ds_store_b128 v2, v[4:7]
	v_cmpx_gt_u32_e64 s6, v8
	s_xor_b32 s8, exec_lo, s8
	s_cbranch_execz .LBB9_11
; %bb.4:
	v_add_co_u32 v4, s8, s12, v2
	s_delay_alu instid0(VALU_DEP_1) | instskip(SKIP_1) | instid1(VALU_DEP_3)
	v_add_co_ci_u32_e64 v5, null, s13, 0, s8
	v_add_nc_u32_e32 v10, 0x2000, v3
	v_add_co_u32 v6, vcc_lo, 0x2000, v4
	s_delay_alu instid0(VALU_DEP_3)
	v_add_co_ci_u32_e32 v7, vcc_lo, 0, v5, vcc_lo
	s_mov_b32 s8, exec_lo
	global_load_b128 v[6:9], v[6:7], off
	s_waitcnt vmcnt(0)
	ds_store_b128 v2, v[6:9] offset:8192
	v_cmpx_gt_u32_e64 s6, v10
	s_xor_b32 s8, exec_lo, s8
	s_cbranch_execz .LBB9_11
; %bb.5:
	v_add_co_u32 v6, vcc_lo, 0x4000, v4
	v_add_co_ci_u32_e32 v7, vcc_lo, 0, v5, vcc_lo
	v_add_nc_u32_e32 v10, 0x3000, v3
	s_mov_b32 s8, exec_lo
	global_load_b128 v[6:9], v[6:7], off
	s_waitcnt vmcnt(0)
	ds_store_b128 v2, v[6:9] offset:16384
	v_cmpx_gt_u32_e64 s6, v10
	s_xor_b32 s8, exec_lo, s8
	s_cbranch_execz .LBB9_11
; %bb.6:
	v_add_co_u32 v6, vcc_lo, 0x6000, v4
	v_add_co_ci_u32_e32 v7, vcc_lo, 0, v5, vcc_lo
	v_add_nc_u32_e32 v10, 0x4000, v3
	;; [unrolled: 11-line block ×5, first 2 shown]
	global_load_b128 v[6:9], v[6:7], off
	v_cmp_gt_u32_e32 vcc_lo, s6, v3
	s_waitcnt vmcnt(0)
	ds_store_b128 v2, v[6:9] offset:49152
	s_and_saveexec_b32 s6, vcc_lo
	s_delay_alu instid0(SALU_CYCLE_1)
	s_xor_b32 s6, exec_lo, s6
	s_cbranch_execz .LBB9_11
; %bb.10:
	v_add_co_u32 v3, vcc_lo, 0xe000, v4
	v_add_co_ci_u32_e32 v4, vcc_lo, 0, v5, vcc_lo
	global_load_b128 v[3:6], v[3:4], off
	s_waitcnt vmcnt(0)
	ds_store_b128 v2, v[3:6] offset:57344
.LBB9_11:
	s_or_b32 exec_lo, exec_lo, s2
	v_cmp_gt_u32_e32 vcc_lo, s16, v1
	v_cmp_gt_u32_e64 s2, s7, v32
	s_waitcnt lgkmcnt(0)
	s_barrier
	buffer_gl0_inv
	s_and_b32 s2, vcc_lo, s2
	s_delay_alu instid0(SALU_CYCLE_1)
	s_and_saveexec_b32 s6, s2
	s_cbranch_execz .LBB9_46
; %bb.12:
	v_cvt_f32_u32_e32 v1, s3
	s_clause 0x1
	s_load_b128 s[8:11], s[0:1], 0x28
	s_load_b64 s[14:15], s[0:1], 0x18
	s_cmp_lg_u32 s4, 0
	s_mul_i32 s16, s17, s16
	v_rcp_iflag_f32_e32 v1, v1
	s_cselect_b32 s6, -1, 0
	s_add_i32 s18, s4, -8
	s_add_i32 s19, s7, -1
	v_lshlrev_b32_e32 v42, 4, v0
	v_mbcnt_lo_u32_b32 v44, -1, 0
	s_mov_b32 s17, 0
	s_waitcnt_depctr 0xfff
	v_dual_mov_b32 v34, 0 :: v_dual_mul_f32 v1, 0x4f7ffffe, v1
	s_delay_alu instid0(VALU_DEP_1)
	v_cvt_u32_f32_e32 v1, v1
	s_waitcnt lgkmcnt(0)
	s_cmp_lg_u64 s[8:9], 0
	s_cselect_b32 s20, -1, 0
	s_sub_i32 s0, 0, s3
	s_sub_i32 s21, s16, s7
	v_mul_lo_u32 v2, s0, v1
	v_cmp_eq_u32_e64 s0, 31, v0
	s_add_i32 s21, s21, 2
	s_delay_alu instid0(VALU_DEP_2) | instskip(NEXT) | instid1(VALU_DEP_1)
	v_mul_hi_u32 v2, v1, v2
	v_add_nc_u32_e32 v43, v1, v2
	s_branch .LBB9_14
.LBB9_13:                               ;   in Loop: Header=BB9_14 Depth=1
	s_or_b32 exec_lo, exec_lo, s1
	v_add_nc_u32_e32 v0, s16, v32
	s_waitcnt lgkmcnt(0)
	s_delay_alu instid0(VALU_DEP_1) | instskip(SKIP_1) | instid1(VALU_DEP_2)
	v_add_nc_u32_e32 v1, 1, v0
	v_cmp_le_u32_e32 vcc_lo, s7, v0
	v_cmp_gt_u32_e64 s1, s7, v1
	v_add_nc_u32_e32 v1, s21, v32
	s_delay_alu instid0(VALU_DEP_2) | instskip(NEXT) | instid1(VALU_DEP_1)
	s_or_b32 vcc_lo, vcc_lo, s1
	v_cmp_eq_u32_e64 s1, 1, v1
	v_cndmask_b32_e32 v32, s19, v0, vcc_lo
	s_delay_alu instid0(VALU_DEP_2) | instskip(NEXT) | instid1(VALU_DEP_1)
	s_or_b32 vcc_lo, vcc_lo, s1
	v_cmp_le_u32_e64 s2, s7, v32
	v_cndmask_b32_e32 v40, 0, v40, vcc_lo
	s_delay_alu instid0(VALU_DEP_2) | instskip(NEXT) | instid1(SALU_CYCLE_1)
	s_or_b32 s17, s2, s17
	s_and_not1_b32 exec_lo, exec_lo, s17
	s_cbranch_execz .LBB9_46
.LBB9_14:                               ; =>This Loop Header: Depth=1
                                        ;     Child Loop BB9_21 Depth 2
	v_mov_b32_e32 v45, v34
	s_and_not1_b32 vcc_lo, exec_lo, s6
	s_cbranch_vccnz .LBB9_41
; %bb.15:                               ;   in Loop: Header=BB9_14 Depth=1
	v_min_u32_e32 v0, s19, v32
	v_dual_mov_b32 v45, 0 :: v_dual_mov_b32 v48, v42
	s_mov_b32 s1, 0
	s_delay_alu instid0(VALU_DEP_2) | instskip(NEXT) | instid1(VALU_DEP_1)
	v_mul_lo_u32 v33, v0, s5
	v_lshlrev_b64 v[0:1], 1, v[33:34]
	s_delay_alu instid0(VALU_DEP_1) | instskip(NEXT) | instid1(VALU_DEP_2)
	v_add_co_u32 v46, vcc_lo, s14, v0
	v_add_co_ci_u32_e32 v47, vcc_lo, s15, v1, vcc_lo
	s_branch .LBB9_21
.LBB9_16:                               ;   in Loop: Header=BB9_21 Depth=2
	s_or_b32 exec_lo, exec_lo, s25
.LBB9_17:                               ;   in Loop: Header=BB9_21 Depth=2
	s_delay_alu instid0(SALU_CYCLE_1)
	s_or_b32 exec_lo, exec_lo, s24
.LBB9_18:                               ;   in Loop: Header=BB9_21 Depth=2
	s_delay_alu instid0(SALU_CYCLE_1)
	s_or_b32 exec_lo, exec_lo, s23
.LBB9_19:                               ;   in Loop: Header=BB9_21 Depth=2
	s_delay_alu instid0(SALU_CYCLE_1)
	s_or_b32 exec_lo, exec_lo, s22
.LBB9_20:                               ;   in Loop: Header=BB9_21 Depth=2
	s_delay_alu instid0(SALU_CYCLE_1)
	s_or_b32 exec_lo, exec_lo, s2
	s_waitcnt vmcnt(0) lgkmcnt(0)
	;;#ASMSTART
	v_dot2_f32_f16 v45, v16, v12, v45
	;;#ASMEND
	;;#ASMSTART
	v_dot2_f32_f16 v45, v17, v13, v45
	;;#ASMEND
	;; [unrolled: 3-line block ×11, first 2 shown]
	v_add_nc_u32_e32 v48, 0x800, v48
	;;#ASMSTART
	v_dot2_f32_f16 v45, v27, v7, v45
	;;#ASMEND
	s_addk_i32 s1, 0x400
	;;#ASMSTART
	v_dot2_f32_f16 v45, v28, v0, v45
	;;#ASMEND
	;;#ASMSTART
	v_dot2_f32_f16 v45, v29, v1, v45
	;;#ASMEND
	s_cmp_lt_u32 s1, s4
	;;#ASMSTART
	v_dot2_f32_f16 v45, v30, v2, v45
	;;#ASMEND
	;;#ASMSTART
	v_dot2_f32_f16 v45, v31, v3, v45
	;;#ASMEND
	s_cbranch_scc0 .LBB9_41
.LBB9_21:                               ;   Parent Loop BB9_14 Depth=1
                                        ; =>  This Inner Loop Header: Depth=2
	v_dual_mov_b32 v31, 0 :: v_dual_add_nc_u32 v38, s1, v41
	v_dual_mov_b32 v30, 0 :: v_dual_mov_b32 v29, 0
	v_mov_b32_e32 v28, 0
	s_delay_alu instid0(VALU_DEP_3) | instskip(SKIP_3) | instid1(VALU_DEP_4)
	v_min_u32_e32 v33, s18, v38
	v_add_nc_u32_e32 v37, 0x100, v38
	v_dual_mov_b32 v19, 0 :: v_dual_add_nc_u32 v36, 0x200, v38
	v_dual_mov_b32 v18, 0 :: v_dual_add_nc_u32 v35, 0x300, v38
	v_lshlrev_b64 v[0:1], 1, v[33:34]
	s_delay_alu instid0(VALU_DEP_4) | instskip(SKIP_3) | instid1(VALU_DEP_3)
	v_min_u32_e32 v33, s18, v37
	v_dual_mov_b32 v27, 0 :: v_dual_mov_b32 v26, 0
	v_dual_mov_b32 v25, 0 :: v_dual_mov_b32 v24, 0
	s_waitcnt vmcnt(0)
	v_lshlrev_b64 v[2:3], 1, v[33:34]
	v_min_u32_e32 v33, s18, v36
	v_add_co_u32 v0, vcc_lo, v46, v0
	v_add_co_ci_u32_e32 v1, vcc_lo, v47, v1, vcc_lo
	s_delay_alu instid0(VALU_DEP_3) | instskip(SKIP_3) | instid1(VALU_DEP_3)
	v_lshlrev_b64 v[4:5], 1, v[33:34]
	v_min_u32_e32 v33, s18, v35
	v_add_co_u32 v2, vcc_lo, v46, v2
	v_add_co_ci_u32_e32 v3, vcc_lo, v47, v3, vcc_lo
	v_lshlrev_b64 v[6:7], 1, v[33:34]
	v_add_co_u32 v4, vcc_lo, v46, v4
	v_add_co_ci_u32_e32 v5, vcc_lo, v47, v5, vcc_lo
	v_dual_mov_b32 v23, 0 :: v_dual_mov_b32 v22, 0
	s_delay_alu instid0(VALU_DEP_4)
	v_add_co_u32 v16, vcc_lo, v46, v6
	v_add_co_ci_u32_e32 v17, vcc_lo, v47, v7, vcc_lo
	s_clause 0x3
	global_load_b128 v[12:15], v[0:1], off slc dlc
	global_load_b128 v[8:11], v[2:3], off slc dlc
	global_load_b128 v[4:7], v[4:5], off slc dlc
	global_load_b128 v[0:3], v[16:17], off slc dlc
	v_dual_mov_b32 v16, 0 :: v_dual_mov_b32 v17, 0
	v_dual_mov_b32 v21, 0 :: v_dual_mov_b32 v20, 0
	s_mov_b32 s2, exec_lo
	v_cmpx_gt_u32_e64 s4, v38
	s_cbranch_execz .LBB9_20
; %bb.22:                               ;   in Loop: Header=BB9_21 Depth=2
	s_mov_b32 s22, exec_lo
                                        ; implicit-def: $vgpr16
	v_cmpx_lt_u32_e32 0x7fff, v38
	s_xor_b32 s22, exec_lo, s22
	s_cbranch_execz .LBB9_24
; %bb.23:                               ;   in Loop: Header=BB9_21 Depth=2
	v_mov_b32_e32 v39, v34
	s_delay_alu instid0(VALU_DEP_1) | instskip(NEXT) | instid1(VALU_DEP_1)
	v_lshlrev_b64 v[16:17], 1, v[38:39]
	v_add_co_u32 v16, vcc_lo, s12, v16
	s_delay_alu instid0(VALU_DEP_2)
	v_add_co_ci_u32_e32 v17, vcc_lo, s13, v17, vcc_lo
	global_load_b128 v[16:19], v[16:17], off
.LBB9_24:                               ;   in Loop: Header=BB9_21 Depth=2
	s_and_not1_saveexec_b32 s22, s22
	s_cbranch_execz .LBB9_26
; %bb.25:                               ;   in Loop: Header=BB9_21 Depth=2
	s_waitcnt vmcnt(0)
	ds_load_b128 v[16:19], v48
.LBB9_26:                               ;   in Loop: Header=BB9_21 Depth=2
	s_or_b32 exec_lo, exec_lo, s22
	v_dual_mov_b32 v31, 0 :: v_dual_mov_b32 v30, 0
	v_dual_mov_b32 v29, 0 :: v_dual_mov_b32 v28, 0
	;; [unrolled: 1-line block ×6, first 2 shown]
	s_mov_b32 s22, exec_lo
	v_cmpx_gt_u32_e64 s4, v37
	s_cbranch_execz .LBB9_19
; %bb.27:                               ;   in Loop: Header=BB9_21 Depth=2
	s_mov_b32 s23, exec_lo
                                        ; implicit-def: $vgpr23
	v_cmpx_lt_u32_e32 0x7fff, v37
	s_xor_b32 s23, exec_lo, s23
	s_cbranch_execz .LBB9_29
; %bb.28:                               ;   in Loop: Header=BB9_21 Depth=2
	v_mov_b32_e32 v38, v34
	s_delay_alu instid0(VALU_DEP_1) | instskip(NEXT) | instid1(VALU_DEP_1)
	v_lshlrev_b64 v[20:21], 1, v[37:38]
	v_add_co_u32 v20, vcc_lo, s12, v20
	s_delay_alu instid0(VALU_DEP_2)
	v_add_co_ci_u32_e32 v21, vcc_lo, s13, v21, vcc_lo
	global_load_b128 v[20:23], v[20:21], off
.LBB9_29:                               ;   in Loop: Header=BB9_21 Depth=2
	s_and_not1_saveexec_b32 s23, s23
	s_cbranch_execz .LBB9_31
; %bb.30:                               ;   in Loop: Header=BB9_21 Depth=2
	s_waitcnt vmcnt(0)
	ds_load_b128 v[20:23], v48 offset:512
.LBB9_31:                               ;   in Loop: Header=BB9_21 Depth=2
	s_or_b32 exec_lo, exec_lo, s23
	v_dual_mov_b32 v31, 0 :: v_dual_mov_b32 v30, 0
	v_dual_mov_b32 v29, 0 :: v_dual_mov_b32 v28, 0
	;; [unrolled: 1-line block ×4, first 2 shown]
	s_mov_b32 s23, exec_lo
	v_cmpx_gt_u32_e64 s4, v36
	s_cbranch_execz .LBB9_18
; %bb.32:                               ;   in Loop: Header=BB9_21 Depth=2
	s_mov_b32 s24, exec_lo
                                        ; implicit-def: $vgpr27
	v_cmpx_lt_u32_e32 0x7fff, v36
	s_xor_b32 s24, exec_lo, s24
	s_cbranch_execz .LBB9_34
; %bb.33:                               ;   in Loop: Header=BB9_21 Depth=2
	v_mov_b32_e32 v37, v34
	s_delay_alu instid0(VALU_DEP_1) | instskip(NEXT) | instid1(VALU_DEP_1)
	v_lshlrev_b64 v[24:25], 1, v[36:37]
	v_add_co_u32 v24, vcc_lo, s12, v24
	s_delay_alu instid0(VALU_DEP_2)
	v_add_co_ci_u32_e32 v25, vcc_lo, s13, v25, vcc_lo
	global_load_b128 v[24:27], v[24:25], off
.LBB9_34:                               ;   in Loop: Header=BB9_21 Depth=2
	s_and_not1_saveexec_b32 s24, s24
	s_cbranch_execz .LBB9_36
; %bb.35:                               ;   in Loop: Header=BB9_21 Depth=2
	s_waitcnt vmcnt(0)
	ds_load_b128 v[24:27], v48 offset:1024
.LBB9_36:                               ;   in Loop: Header=BB9_21 Depth=2
	s_or_b32 exec_lo, exec_lo, s24
	v_dual_mov_b32 v31, 0 :: v_dual_mov_b32 v30, 0
	v_dual_mov_b32 v29, 0 :: v_dual_mov_b32 v28, 0
	s_mov_b32 s24, exec_lo
	v_cmpx_gt_u32_e64 s4, v35
	s_cbranch_execz .LBB9_17
; %bb.37:                               ;   in Loop: Header=BB9_21 Depth=2
	s_mov_b32 s25, exec_lo
                                        ; implicit-def: $vgpr31
	v_cmpx_lt_u32_e32 0x7fff, v35
	s_xor_b32 s25, exec_lo, s25
	s_cbranch_execz .LBB9_39
; %bb.38:                               ;   in Loop: Header=BB9_21 Depth=2
	v_mov_b32_e32 v36, v34
	s_delay_alu instid0(VALU_DEP_1) | instskip(NEXT) | instid1(VALU_DEP_1)
	v_lshlrev_b64 v[28:29], 1, v[35:36]
	v_add_co_u32 v28, vcc_lo, s12, v28
	s_delay_alu instid0(VALU_DEP_2)
	v_add_co_ci_u32_e32 v29, vcc_lo, s13, v29, vcc_lo
	global_load_b128 v[28:31], v[28:29], off
.LBB9_39:                               ;   in Loop: Header=BB9_21 Depth=2
	s_and_not1_saveexec_b32 s25, s25
	s_cbranch_execz .LBB9_16
; %bb.40:                               ;   in Loop: Header=BB9_21 Depth=2
	s_waitcnt vmcnt(0)
	ds_load_b128 v[28:31], v48 offset:1536
	s_branch .LBB9_16
.LBB9_41:                               ;   in Loop: Header=BB9_14 Depth=1
	s_delay_alu instid0(VALU_DEP_1) | instskip(SKIP_2) | instid1(VALU_DEP_2)
	v_cvt_i32_f32_e32 v0, v45
	s_waitcnt vmcnt(0)
	v_xor_b32_e32 v2, 16, v44
	v_cvt_f32_i32_dpp v0, v0 row_shr:8 row_mask:0xf bank_mask:0xf bound_ctrl:1
	s_delay_alu instid0(VALU_DEP_2) | instskip(SKIP_1) | instid1(VALU_DEP_3)
	v_cmp_gt_i32_e32 vcc_lo, 32, v2
	v_cndmask_b32_e32 v2, v44, v2, vcc_lo
	v_add_f32_e32 v0, v45, v0
	s_delay_alu instid0(VALU_DEP_1) | instskip(NEXT) | instid1(VALU_DEP_1)
	v_cvt_i32_f32_e32 v1, v0
	v_cvt_f32_i32_dpp v1, v1 row_shr:4 row_mask:0xf bank_mask:0xf bound_ctrl:1
	s_delay_alu instid0(VALU_DEP_1) | instskip(NEXT) | instid1(VALU_DEP_1)
	v_add_f32_e32 v0, v0, v1
	v_cvt_i32_f32_e32 v1, v0
	s_delay_alu instid0(VALU_DEP_1) | instskip(NEXT) | instid1(VALU_DEP_1)
	v_cvt_f32_i32_dpp v1, v1 row_shr:2 row_mask:0xf bank_mask:0xf bound_ctrl:1
	v_add_f32_e32 v0, v0, v1
	s_delay_alu instid0(VALU_DEP_1) | instskip(NEXT) | instid1(VALU_DEP_1)
	v_cvt_i32_f32_e32 v1, v0
	v_cvt_f32_i32_dpp v1, v1 row_shr:1 row_mask:0xf bank_mask:0xf bound_ctrl:1
	s_delay_alu instid0(VALU_DEP_1)
	v_dual_add_f32 v0, v0, v1 :: v_dual_lshlrev_b32 v1, 2, v2
	ds_bpermute_b32 v1, v1, v0
	s_and_saveexec_b32 s1, s0
	s_cbranch_execz .LBB9_13
; %bb.42:                               ;   in Loop: Header=BB9_14 Depth=1
	s_and_not1_b32 vcc_lo, exec_lo, s20
	s_cbranch_vccnz .LBB9_44
; %bb.43:                               ;   in Loop: Header=BB9_14 Depth=1
	v_mul_hi_u32 v2, v32, v43
	s_delay_alu instid0(VALU_DEP_1) | instskip(NEXT) | instid1(VALU_DEP_1)
	v_mul_lo_u32 v2, v2, s3
	v_sub_nc_u32_e32 v2, v32, v2
	s_delay_alu instid0(VALU_DEP_1) | instskip(SKIP_1) | instid1(VALU_DEP_2)
	v_subrev_nc_u32_e32 v3, s3, v2
	v_cmp_le_u32_e32 vcc_lo, s3, v2
	v_cndmask_b32_e32 v2, v2, v3, vcc_lo
	s_delay_alu instid0(VALU_DEP_1) | instskip(SKIP_1) | instid1(VALU_DEP_2)
	v_subrev_nc_u32_e32 v3, s3, v2
	v_cmp_le_u32_e32 vcc_lo, s3, v2
	v_cndmask_b32_e32 v33, v2, v3, vcc_lo
	s_delay_alu instid0(VALU_DEP_1) | instskip(NEXT) | instid1(VALU_DEP_1)
	v_lshlrev_b64 v[2:3], 1, v[33:34]
	v_add_co_u32 v2, vcc_lo, s8, v2
	s_delay_alu instid0(VALU_DEP_2)
	v_add_co_ci_u32_e32 v3, vcc_lo, s9, v3, vcc_lo
	global_load_u16 v2, v[2:3], off
	v_cmp_ne_u32_e32 vcc_lo, 0, v40
	s_and_b32 exec_lo, exec_lo, vcc_lo
	s_cbranch_execz .LBB9_13
	s_branch .LBB9_45
.LBB9_44:                               ;   in Loop: Header=BB9_14 Depth=1
	v_mov_b32_e32 v2, 0
	v_cmp_ne_u32_e32 vcc_lo, 0, v40
	s_and_b32 exec_lo, exec_lo, vcc_lo
	s_cbranch_execz .LBB9_13
.LBB9_45:                               ;   in Loop: Header=BB9_14 Depth=1
	s_waitcnt lgkmcnt(0)
	v_add_f32_e32 v3, v0, v1
	s_waitcnt vmcnt(0)
	v_cvt_f32_f16_e32 v2, v2
	s_delay_alu instid0(VALU_DEP_1) | instskip(NEXT) | instid1(VALU_DEP_1)
	v_dual_mov_b32 v33, v34 :: v_dual_add_f32 v2, v3, v2
	v_lshlrev_b64 v[0:1], 1, v[32:33]
	s_delay_alu instid0(VALU_DEP_2) | instskip(NEXT) | instid1(VALU_DEP_2)
	v_cvt_f16_f32_e32 v2, v2
	v_add_co_u32 v0, vcc_lo, s10, v0
	s_delay_alu instid0(VALU_DEP_3)
	v_add_co_ci_u32_e32 v1, vcc_lo, s11, v1, vcc_lo
	global_store_b16 v[0:1], v2, off
	s_branch .LBB9_13
.LBB9_46:
	s_nop 0
	s_sendmsg sendmsg(MSG_DEALLOC_VGPRS)
	s_endpgm
	.section	.rodata,"a",@progbits
	.p2align	6, 0x0
	.amdhsa_kernel _Z12wvSplitK_hf_I6__halfLi32ELi1ELi16ELi8ELi4ELi1EEviiiiiiPKT_S3_S3_PS1_ii
		.amdhsa_group_segment_fixed_size 65536
		.amdhsa_private_segment_fixed_size 0
		.amdhsa_kernarg_size 64
		.amdhsa_user_sgpr_count 15
		.amdhsa_user_sgpr_dispatch_ptr 0
		.amdhsa_user_sgpr_queue_ptr 0
		.amdhsa_user_sgpr_kernarg_segment_ptr 1
		.amdhsa_user_sgpr_dispatch_id 0
		.amdhsa_user_sgpr_private_segment_size 0
		.amdhsa_wavefront_size32 1
		.amdhsa_uses_dynamic_stack 0
		.amdhsa_enable_private_segment 0
		.amdhsa_system_sgpr_workgroup_id_x 1
		.amdhsa_system_sgpr_workgroup_id_y 0
		.amdhsa_system_sgpr_workgroup_id_z 0
		.amdhsa_system_sgpr_workgroup_info 0
		.amdhsa_system_vgpr_workitem_id 1
		.amdhsa_next_free_vgpr 49
		.amdhsa_next_free_sgpr 26
		.amdhsa_reserve_vcc 1
		.amdhsa_float_round_mode_32 0
		.amdhsa_float_round_mode_16_64 0
		.amdhsa_float_denorm_mode_32 3
		.amdhsa_float_denorm_mode_16_64 3
		.amdhsa_dx10_clamp 1
		.amdhsa_ieee_mode 1
		.amdhsa_fp16_overflow 0
		.amdhsa_workgroup_processor_mode 1
		.amdhsa_memory_ordered 1
		.amdhsa_forward_progress 0
		.amdhsa_shared_vgpr_count 0
		.amdhsa_exception_fp_ieee_invalid_op 0
		.amdhsa_exception_fp_denorm_src 0
		.amdhsa_exception_fp_ieee_div_zero 0
		.amdhsa_exception_fp_ieee_overflow 0
		.amdhsa_exception_fp_ieee_underflow 0
		.amdhsa_exception_fp_ieee_inexact 0
		.amdhsa_exception_int_div_zero 0
	.end_amdhsa_kernel
	.section	.text._Z12wvSplitK_hf_I6__halfLi32ELi1ELi16ELi8ELi4ELi1EEviiiiiiPKT_S3_S3_PS1_ii,"axG",@progbits,_Z12wvSplitK_hf_I6__halfLi32ELi1ELi16ELi8ELi4ELi1EEviiiiiiPKT_S3_S3_PS1_ii,comdat
.Lfunc_end9:
	.size	_Z12wvSplitK_hf_I6__halfLi32ELi1ELi16ELi8ELi4ELi1EEviiiiiiPKT_S3_S3_PS1_ii, .Lfunc_end9-_Z12wvSplitK_hf_I6__halfLi32ELi1ELi16ELi8ELi4ELi1EEviiiiiiPKT_S3_S3_PS1_ii
                                        ; -- End function
	.section	.AMDGPU.csdata,"",@progbits
; Kernel info:
; codeLenInByte = 2496
; NumSgprs: 28
; NumVgprs: 49
; ScratchSize: 0
; MemoryBound: 0
; FloatMode: 240
; IeeeMode: 1
; LDSByteSize: 65536 bytes/workgroup (compile time only)
; SGPRBlocks: 3
; VGPRBlocks: 6
; NumSGPRsForWavesPerEU: 28
; NumVGPRsForWavesPerEU: 49
; Occupancy: 8
; WaveLimiterHint : 0
; COMPUTE_PGM_RSRC2:SCRATCH_EN: 0
; COMPUTE_PGM_RSRC2:USER_SGPR: 15
; COMPUTE_PGM_RSRC2:TRAP_HANDLER: 0
; COMPUTE_PGM_RSRC2:TGID_X_EN: 1
; COMPUTE_PGM_RSRC2:TGID_Y_EN: 0
; COMPUTE_PGM_RSRC2:TGID_Z_EN: 0
; COMPUTE_PGM_RSRC2:TIDIG_COMP_CNT: 1
	.section	.text._Z16wvSplitK_hf_big_I6__halfLi32ELi1ELi16ELi8ELi4ELi1EEviiiiiiPKT_S3_S3_PS1_ii,"axG",@progbits,_Z16wvSplitK_hf_big_I6__halfLi32ELi1ELi16ELi8ELi4ELi1EEviiiiiiPKT_S3_S3_PS1_ii,comdat
	.protected	_Z16wvSplitK_hf_big_I6__halfLi32ELi1ELi16ELi8ELi4ELi1EEviiiiiiPKT_S3_S3_PS1_ii ; -- Begin function _Z16wvSplitK_hf_big_I6__halfLi32ELi1ELi16ELi8ELi4ELi1EEviiiiiiPKT_S3_S3_PS1_ii
	.globl	_Z16wvSplitK_hf_big_I6__halfLi32ELi1ELi16ELi8ELi4ELi1EEviiiiiiPKT_S3_S3_PS1_ii
	.p2align	8
	.type	_Z16wvSplitK_hf_big_I6__halfLi32ELi1ELi16ELi8ELi4ELi1EEviiiiiiPKT_S3_S3_PS1_ii,@function
_Z16wvSplitK_hf_big_I6__halfLi32ELi1ELi16ELi8ELi4ELi1EEviiiiiiPKT_S3_S3_PS1_ii: ; @_Z16wvSplitK_hf_big_I6__halfLi32ELi1ELi16ELi8ELi4ELi1EEviiiiiiPKT_S3_S3_PS1_ii
; %bb.0:
	s_load_b64 s[12:13], s[0:1], 0x38
	v_bfe_u32 v1, v0, 10, 10
	s_mov_b32 s2, exec_lo
	s_waitcnt lgkmcnt(0)
	s_delay_alu instid0(VALU_DEP_1)
	v_cmpx_gt_u32_e64 s12, v1
	s_cbranch_execz .LBB10_38
; %bb.1:
	s_load_b128 s[16:19], s[0:1], 0x0
	v_mad_u64_u32 v[32:33], null, s15, s12, v[1:2]
	s_delay_alu instid0(VALU_DEP_1) | instskip(SKIP_2) | instid1(VALU_DEP_2)
	v_dual_mov_b32 v35, 1 :: v_dual_add_nc_u32 v2, 1, v32
	s_waitcnt lgkmcnt(0)
	v_cmp_gt_u32_e32 vcc_lo, s19, v32
	v_cmp_le_u32_e64 s2, s19, v2
	s_delay_alu instid0(VALU_DEP_1) | instskip(NEXT) | instid1(SALU_CYCLE_1)
	s_and_b32 s3, vcc_lo, s2
	s_and_saveexec_b32 s2, s3
; %bb.2:
	v_subrev_nc_u32_e32 v2, s19, v32
	s_add_i32 s3, s19, -1
	s_delay_alu instid0(SALU_CYCLE_1) | instskip(NEXT) | instid1(VALU_DEP_2)
	v_mov_b32_e32 v32, s3
	v_cmp_eq_u32_e32 vcc_lo, -1, v2
	v_cndmask_b32_e64 v35, 0, 1, vcc_lo
; %bb.3:
	s_or_b32 exec_lo, exec_lo, s2
	s_abs_i32 s2, s12
	s_abs_i32 s5, s19
	v_cvt_f32_u32_e32 v2, s2
	s_sub_i32 s4, 0, s2
	s_mov_b32 s14, 0
	s_delay_alu instid0(VALU_DEP_1) | instskip(SKIP_2) | instid1(VALU_DEP_1)
	v_rcp_iflag_f32_e32 v2, v2
	s_waitcnt_depctr 0xfff
	v_mul_f32_e32 v2, 0x4f7ffffe, v2
	v_cvt_u32_f32_e32 v2, v2
	s_delay_alu instid0(VALU_DEP_1) | instskip(NEXT) | instid1(VALU_DEP_1)
	v_readfirstlane_b32 s3, v2
	s_mul_i32 s4, s4, s3
	s_delay_alu instid0(SALU_CYCLE_1) | instskip(NEXT) | instid1(SALU_CYCLE_1)
	s_mul_hi_u32 s4, s3, s4
	s_add_i32 s3, s3, s4
	s_ashr_i32 s4, s19, 31
	s_mul_hi_u32 s3, s5, s3
	s_delay_alu instid0(SALU_CYCLE_1) | instskip(NEXT) | instid1(SALU_CYCLE_1)
	s_mul_i32 s3, s3, s2
	s_sub_i32 s3, s5, s3
	s_delay_alu instid0(SALU_CYCLE_1) | instskip(SKIP_2) | instid1(SALU_CYCLE_1)
	s_sub_i32 s5, s3, s2
	s_cmp_ge_u32 s3, s2
	s_cselect_b32 s3, s5, s3
	s_sub_i32 s5, s3, s2
	s_cmp_ge_u32 s3, s2
	s_cselect_b32 s2, s5, s3
	s_add_i32 s3, s12, s19
	s_xor_b32 s2, s2, s4
	s_delay_alu instid0(SALU_CYCLE_1) | instskip(NEXT) | instid1(SALU_CYCLE_1)
	s_sub_i32 s2, s2, s4
	s_sub_i32 s3, s3, s2
	s_cmp_eq_u32 s2, 0
	s_cselect_b32 s3, s19, s3
	s_delay_alu instid0(SALU_CYCLE_1)
	v_cmp_gt_u32_e32 vcc_lo, s3, v32
	s_and_b32 exec_lo, exec_lo, vcc_lo
	s_cbranch_execz .LBB10_38
; %bb.4:
	s_clause 0x1
	s_load_b32 s15, s[0:1], 0x10
	s_load_b256 s[4:11], s[0:1], 0x18
	s_min_u32 s20, s18, 0x8000
	v_and_b32_e32 v0, 0x3ff, v0
	s_cmp_lg_u32 s16, 0
	v_mbcnt_lo_u32_b32 v36, -1, 0
	s_cselect_b32 s21, -1, 0
	s_cmp_lg_u32 s18, 0
	v_lshlrev_b32_e32 v4, 4, v0
	s_cselect_b32 s22, -1, 0
	s_lshl_b32 s23, s12, 8
	s_add_i32 s24, s16, -8
	s_add_i32 s25, s19, -1
	s_mul_i32 s13, s13, s12
	v_xor_b32_e32 v38, 16, v36
	v_lshl_add_u32 v39, v1, 9, v4
	v_lshlrev_b32_e32 v37, 3, v0
	s_waitcnt lgkmcnt(0)
	v_cvt_f32_u32_e32 v2, s15
	s_cmp_lg_u64 s[8:9], 0
	s_delay_alu instid0(VALU_DEP_2)
	v_lshl_add_u32 v40, v1, 8, v37
	s_cselect_b32 s26, -1, 0
	s_sub_i32 s0, 0, s15
	v_rcp_iflag_f32_e32 v2, v2
	s_sub_i32 s27, s13, s19
	s_lshl_b32 s12, s12, 9
	s_add_i32 s27, s27, 2
	s_waitcnt_depctr 0xfff
	v_mul_f32_e32 v2, 0x4f7ffffe, v2
	s_delay_alu instid0(VALU_DEP_1) | instskip(NEXT) | instid1(VALU_DEP_1)
	v_cvt_u32_f32_e32 v2, v2
	v_mul_lo_u32 v3, s0, v2
	v_cmp_eq_u32_e64 s0, 31, v0
	s_delay_alu instid0(VALU_DEP_2) | instskip(NEXT) | instid1(VALU_DEP_1)
	v_mul_hi_u32 v3, v2, v3
	v_dual_mov_b32 v34, 0 :: v_dual_add_nc_u32 v41, v2, v3
	s_branch .LBB10_7
.LBB10_5:                               ;   in Loop: Header=BB10_7 Depth=1
	s_or_b32 exec_lo, exec_lo, s1
.LBB10_6:                               ;   in Loop: Header=BB10_7 Depth=1
	s_delay_alu instid0(SALU_CYCLE_1) | instskip(NEXT) | instid1(VALU_DEP_1)
	s_or_b32 exec_lo, exec_lo, s2
	v_cmp_le_u32_e32 vcc_lo, s3, v0
	v_mov_b32_e32 v32, v0
	s_or_b32 s14, vcc_lo, s14
	s_delay_alu instid0(SALU_CYCLE_1)
	s_and_not1_b32 exec_lo, exec_lo, s14
	s_cbranch_execz .LBB10_38
.LBB10_7:                               ; =>This Loop Header: Depth=1
                                        ;     Child Loop BB10_14 Depth 2
                                        ;       Child Loop BB10_19 Depth 3
	s_delay_alu instid0(VALU_DEP_1)
	v_mov_b32_e32 v42, v34
	s_and_not1_b32 vcc_lo, exec_lo, s21
	s_cbranch_vccnz .LBB10_28
; %bb.8:                                ;   in Loop: Header=BB10_7 Depth=1
	v_min_u32_e32 v0, s25, v32
	v_cmp_gt_u32_e64 s1, s19, v32
	v_mov_b32_e32 v42, 0
	s_mov_b32 s28, 0
	s_mov_b32 s29, 0
	v_mul_lo_u32 v33, v0, s17
	s_delay_alu instid0(VALU_DEP_1) | instskip(NEXT) | instid1(VALU_DEP_1)
	v_lshlrev_b64 v[0:1], 1, v[33:34]
	v_add_co_u32 v43, vcc_lo, s4, v0
	s_delay_alu instid0(VALU_DEP_2)
	v_add_co_ci_u32_e32 v44, vcc_lo, s5, v1, vcc_lo
	s_branch .LBB10_14
.LBB10_9:                               ;   in Loop: Header=BB10_14 Depth=2
	s_or_b32 exec_lo, exec_lo, s34
.LBB10_10:                              ;   in Loop: Header=BB10_14 Depth=2
	s_delay_alu instid0(SALU_CYCLE_1)
	s_or_b32 exec_lo, exec_lo, s33
.LBB10_11:                              ;   in Loop: Header=BB10_14 Depth=2
	s_delay_alu instid0(SALU_CYCLE_1)
	s_or_b32 exec_lo, exec_lo, s31
.LBB10_12:                              ;   in Loop: Header=BB10_14 Depth=2
	s_delay_alu instid0(SALU_CYCLE_1)
	s_or_b32 exec_lo, exec_lo, s30
	s_waitcnt vmcnt(3) lgkmcnt(0)
	;;#ASMSTART
	v_dot2_f32_f16 v42, v28, v20, v42
	;;#ASMEND
	;;#ASMSTART
	v_dot2_f32_f16 v42, v29, v21, v42
	;;#ASMEND
	;;#ASMSTART
	v_dot2_f32_f16 v42, v30, v22, v42
	;;#ASMEND
	;;#ASMSTART
	v_dot2_f32_f16 v42, v31, v23, v42
	;;#ASMEND
	s_waitcnt vmcnt(2)
	;;#ASMSTART
	v_dot2_f32_f16 v42, v24, v12, v42
	;;#ASMEND
	;;#ASMSTART
	v_dot2_f32_f16 v42, v25, v13, v42
	;;#ASMEND
	;;#ASMSTART
	v_dot2_f32_f16 v42, v26, v14, v42
	;;#ASMEND
	;;#ASMSTART
	v_dot2_f32_f16 v42, v27, v15, v42
	;;#ASMEND
	s_waitcnt vmcnt(1)
	;; [unrolled: 13-line block ×3, first 2 shown]
	;;#ASMSTART
	v_dot2_f32_f16 v42, v8, v0, v42
	;;#ASMEND
	;;#ASMSTART
	v_dot2_f32_f16 v42, v9, v1, v42
	;;#ASMEND
	;; [unrolled: 3-line block ×4, first 2 shown]
.LBB10_13:                              ;   in Loop: Header=BB10_14 Depth=2
	s_or_b32 exec_lo, exec_lo, s2
	s_addk_i32 s29, 0x400
	s_delay_alu instid0(SALU_CYCLE_1)
	s_cmp_ge_u32 s29, s16
	s_cbranch_scc1 .LBB10_28
.LBB10_14:                              ;   Parent Loop BB10_7 Depth=1
                                        ; =>  This Loop Header: Depth=2
                                        ;       Child Loop BB10_19 Depth 3
	s_cmp_eq_u32 s29, 0
	s_cselect_b32 s30, -1, 0
	s_add_i32 s2, s28, s20
	s_delay_alu instid0(SALU_CYCLE_1) | instskip(SKIP_1) | instid1(SALU_CYCLE_1)
	s_cmp_eq_u32 s29, s2
	s_cselect_b32 s31, -1, 0
	s_or_b32 s31, s30, s31
	s_delay_alu instid0(SALU_CYCLE_1)
	s_and_not1_b32 vcc_lo, exec_lo, s31
	s_cbranch_vccz .LBB10_16
; %bb.15:                               ;   in Loop: Header=BB10_14 Depth=2
	s_and_saveexec_b32 s2, s1
	s_cbranch_execz .LBB10_13
	s_branch .LBB10_23
.LBB10_16:                              ;   in Loop: Header=BB10_14 Depth=2
	s_and_b32 s30, s30, exec_lo
	s_cselect_b32 s28, s28, s2
	s_and_not1_b32 vcc_lo, exec_lo, s22
	s_waitcnt vmcnt(0)
	s_waitcnt_vscnt null, 0x0
	s_barrier
	buffer_gl0_inv
	s_cbranch_vccnz .LBB10_22
; %bb.17:                               ;   in Loop: Header=BB10_14 Depth=2
	v_dual_mov_b32 v1, v39 :: v_dual_add_nc_u32 v0, s28, v40
	s_mov_b32 s30, 0
	s_mov_b32 s31, 0
                                        ; implicit-def: $sgpr33
	s_set_inst_prefetch_distance 0x1
	s_branch .LBB10_19
	.p2align	6
.LBB10_18:                              ;   in Loop: Header=BB10_19 Depth=3
	s_or_b32 exec_lo, exec_lo, s2
	s_delay_alu instid0(SALU_CYCLE_1) | instskip(NEXT) | instid1(SALU_CYCLE_1)
	s_and_b32 s2, exec_lo, s33
	s_or_b32 s30, s2, s30
	s_delay_alu instid0(SALU_CYCLE_1)
	s_and_not1_b32 exec_lo, exec_lo, s30
	s_cbranch_execz .LBB10_21
.LBB10_19:                              ;   Parent Loop BB10_7 Depth=1
                                        ;     Parent Loop BB10_14 Depth=2
                                        ; =>    This Inner Loop Header: Depth=3
	v_add_nc_u32_e32 v33, s31, v0
	v_add_nc_u32_e32 v2, s31, v40
	s_or_b32 s33, s33, exec_lo
	s_delay_alu instid0(VALU_DEP_2) | instskip(NEXT) | instid1(VALU_DEP_2)
	v_cmp_gt_u32_e32 vcc_lo, s18, v33
	v_cmp_gt_u32_e64 s2, s20, v2
	s_delay_alu instid0(VALU_DEP_1) | instskip(NEXT) | instid1(SALU_CYCLE_1)
	s_and_b32 s34, s2, vcc_lo
	s_and_saveexec_b32 s2, s34
	s_cbranch_execz .LBB10_18
; %bb.20:                               ;   in Loop: Header=BB10_19 Depth=3
	v_lshlrev_b64 v[2:3], 1, v[33:34]
	s_add_i32 s31, s31, s23
	s_delay_alu instid0(SALU_CYCLE_1) | instskip(SKIP_1) | instid1(VALU_DEP_1)
	s_cmp_ge_u32 s31, s20
	s_cselect_b32 s34, -1, 0
	v_add_co_u32 v2, vcc_lo, s6, v2
	s_delay_alu instid0(VALU_DEP_2) | instskip(SKIP_2) | instid1(SALU_CYCLE_1)
	v_add_co_ci_u32_e32 v3, vcc_lo, s7, v3, vcc_lo
	s_and_not1_b32 s33, s33, exec_lo
	s_and_b32 s34, s34, exec_lo
	s_or_b32 s33, s33, s34
	global_load_b128 v[2:5], v[2:3], off
	s_waitcnt vmcnt(0)
	ds_store_b128 v1, v[2:5]
	v_add_nc_u32_e32 v1, s12, v1
	s_branch .LBB10_18
.LBB10_21:                              ;   in Loop: Header=BB10_14 Depth=2
	s_set_inst_prefetch_distance 0x2
	s_or_b32 exec_lo, exec_lo, s30
.LBB10_22:                              ;   in Loop: Header=BB10_14 Depth=2
	s_waitcnt lgkmcnt(0)
	s_barrier
	buffer_gl0_inv
	s_and_saveexec_b32 s2, s1
	s_cbranch_execz .LBB10_13
.LBB10_23:                              ;   in Loop: Header=BB10_14 Depth=2
	v_dual_mov_b32 v24, 0 :: v_dual_add_nc_u32 v47, s29, v37
	v_dual_mov_b32 v16, 0 :: v_dual_mov_b32 v17, 0
	v_dual_mov_b32 v18, 0 :: v_dual_mov_b32 v19, 0
	s_delay_alu instid0(VALU_DEP_3) | instskip(SKIP_2) | instid1(VALU_DEP_3)
	v_min_u32_e32 v33, s24, v47
	v_dual_mov_b32 v25, 0 :: v_dual_add_nc_u32 v48, 0x100, v47
	v_dual_mov_b32 v27, 0 :: v_dual_add_nc_u32 v46, 0x200, v47
	v_lshlrev_b64 v[0:1], 1, v[33:34]
	s_delay_alu instid0(VALU_DEP_3) | instskip(SKIP_3) | instid1(VALU_DEP_3)
	v_min_u32_e32 v33, s24, v48
	v_dual_mov_b32 v26, 0 :: v_dual_add_nc_u32 v45, 0x300, v47
	v_dual_mov_b32 v10, 0 :: v_dual_mov_b32 v11, 0
	s_waitcnt vmcnt(0)
	v_lshlrev_b64 v[2:3], 1, v[33:34]
	v_min_u32_e32 v33, s24, v46
	v_add_co_u32 v0, vcc_lo, v43, v0
	v_add_co_ci_u32_e32 v1, vcc_lo, v44, v1, vcc_lo
	s_delay_alu instid0(VALU_DEP_3) | instskip(SKIP_3) | instid1(VALU_DEP_3)
	v_lshlrev_b64 v[4:5], 1, v[33:34]
	v_min_u32_e32 v33, s24, v45
	v_add_co_u32 v2, vcc_lo, v43, v2
	v_add_co_ci_u32_e32 v3, vcc_lo, v44, v3, vcc_lo
	v_lshlrev_b64 v[6:7], 1, v[33:34]
	v_add_co_u32 v4, vcc_lo, v43, v4
	v_add_co_ci_u32_e32 v5, vcc_lo, v44, v5, vcc_lo
	v_dual_mov_b32 v31, 0 :: v_dual_mov_b32 v30, 0
	s_delay_alu instid0(VALU_DEP_4)
	v_add_co_u32 v8, vcc_lo, v43, v6
	v_add_co_ci_u32_e32 v9, vcc_lo, v44, v7, vcc_lo
	s_clause 0x3
	global_load_b128 v[20:23], v[0:1], off slc dlc
	global_load_b128 v[12:15], v[2:3], off slc dlc
	;; [unrolled: 1-line block ×4, first 2 shown]
	v_dual_mov_b32 v8, 0 :: v_dual_mov_b32 v9, 0
	v_dual_mov_b32 v29, 0 :: v_dual_mov_b32 v28, 0
	s_mov_b32 s30, exec_lo
	v_cmpx_gt_u32_e64 s16, v47
	s_cbranch_execz .LBB10_12
; %bb.24:                               ;   in Loop: Header=BB10_14 Depth=2
	v_subrev_nc_u32_e32 v8, s28, v47
	v_mov_b32_e32 v11, 0
	v_dual_mov_b32 v9, 0 :: v_dual_mov_b32 v18, 0
	v_dual_mov_b32 v19, 0 :: v_dual_mov_b32 v16, 0
	s_delay_alu instid0(VALU_DEP_4)
	v_dual_mov_b32 v10, 0 :: v_dual_lshlrev_b32 v33, 1, v8
	v_dual_mov_b32 v8, 0 :: v_dual_mov_b32 v17, 0
	v_mov_b32_e32 v26, 0
	ds_load_b128 v[28:31], v33
	v_dual_mov_b32 v27, 0 :: v_dual_mov_b32 v24, 0
	v_mov_b32_e32 v25, 0
	s_mov_b32 s31, exec_lo
	v_cmpx_gt_u32_e64 s16, v48
	s_cbranch_execz .LBB10_11
; %bb.25:                               ;   in Loop: Header=BB10_14 Depth=2
	ds_load_b128 v[24:27], v33 offset:512
	v_dual_mov_b32 v11, 0 :: v_dual_mov_b32 v10, 0
	v_dual_mov_b32 v9, 0 :: v_dual_mov_b32 v8, 0
	;; [unrolled: 1-line block ×4, first 2 shown]
	s_mov_b32 s33, exec_lo
	v_cmpx_gt_u32_e64 s16, v46
	s_cbranch_execz .LBB10_10
; %bb.26:                               ;   in Loop: Header=BB10_14 Depth=2
	ds_load_b128 v[16:19], v33 offset:1024
	v_dual_mov_b32 v11, 0 :: v_dual_mov_b32 v10, 0
	v_dual_mov_b32 v9, 0 :: v_dual_mov_b32 v8, 0
	s_mov_b32 s34, exec_lo
	v_cmpx_gt_u32_e64 s16, v45
	s_cbranch_execz .LBB10_9
; %bb.27:                               ;   in Loop: Header=BB10_14 Depth=2
	ds_load_b128 v[8:11], v33 offset:1536
	s_branch .LBB10_9
.LBB10_28:                              ;   in Loop: Header=BB10_7 Depth=1
	s_mov_b32 s1, exec_lo
                                        ; implicit-def: $vgpr0
	v_cmpx_le_u32_e64 s19, v32
	s_xor_b32 s1, exec_lo, s1
; %bb.29:                               ;   in Loop: Header=BB10_7 Depth=1
	v_add_nc_u32_e32 v0, s13, v32
                                        ; implicit-def: $vgpr32
                                        ; implicit-def: $vgpr42
; %bb.30:                               ;   in Loop: Header=BB10_7 Depth=1
	s_and_not1_saveexec_b32 s2, s1
	s_cbranch_execz .LBB10_6
; %bb.31:                               ;   in Loop: Header=BB10_7 Depth=1
	v_cvt_i32_f32_e32 v0, v42
	v_cmp_gt_i32_e32 vcc_lo, 32, v38
	s_delay_alu instid0(VALU_DEP_2) | instskip(SKIP_2) | instid1(VALU_DEP_2)
	v_cvt_f32_i32_dpp v0, v0 row_shr:8 row_mask:0xf bank_mask:0xf bound_ctrl:1
	s_waitcnt vmcnt(0)
	v_cndmask_b32_e32 v2, v36, v38, vcc_lo
	v_add_f32_e32 v0, v42, v0
	s_delay_alu instid0(VALU_DEP_1) | instskip(NEXT) | instid1(VALU_DEP_1)
	v_cvt_i32_f32_e32 v1, v0
	v_cvt_f32_i32_dpp v1, v1 row_shr:4 row_mask:0xf bank_mask:0xf bound_ctrl:1
	s_delay_alu instid0(VALU_DEP_1) | instskip(NEXT) | instid1(VALU_DEP_1)
	v_add_f32_e32 v0, v0, v1
	v_cvt_i32_f32_e32 v1, v0
	s_delay_alu instid0(VALU_DEP_1) | instskip(NEXT) | instid1(VALU_DEP_1)
	v_cvt_f32_i32_dpp v1, v1 row_shr:2 row_mask:0xf bank_mask:0xf bound_ctrl:1
	v_add_f32_e32 v0, v0, v1
	s_delay_alu instid0(VALU_DEP_1) | instskip(NEXT) | instid1(VALU_DEP_1)
	v_cvt_i32_f32_e32 v1, v0
	v_cvt_f32_i32_dpp v1, v1 row_shr:1 row_mask:0xf bank_mask:0xf bound_ctrl:1
	s_delay_alu instid0(VALU_DEP_1)
	v_dual_add_f32 v0, v0, v1 :: v_dual_lshlrev_b32 v1, 2, v2
	ds_bpermute_b32 v1, v1, v0
	s_and_saveexec_b32 s1, s0
	s_cbranch_execz .LBB10_35
; %bb.32:                               ;   in Loop: Header=BB10_7 Depth=1
	s_and_not1_b32 vcc_lo, exec_lo, s26
	s_cbranch_vccnz .LBB10_37
; %bb.33:                               ;   in Loop: Header=BB10_7 Depth=1
	v_mul_hi_u32 v2, v32, v41
	s_delay_alu instid0(VALU_DEP_1) | instskip(NEXT) | instid1(VALU_DEP_1)
	v_mul_lo_u32 v2, v2, s15
	v_sub_nc_u32_e32 v2, v32, v2
	s_delay_alu instid0(VALU_DEP_1) | instskip(SKIP_1) | instid1(VALU_DEP_2)
	v_subrev_nc_u32_e32 v3, s15, v2
	v_cmp_le_u32_e32 vcc_lo, s15, v2
	v_cndmask_b32_e32 v2, v2, v3, vcc_lo
	s_delay_alu instid0(VALU_DEP_1) | instskip(SKIP_1) | instid1(VALU_DEP_2)
	v_subrev_nc_u32_e32 v3, s15, v2
	v_cmp_le_u32_e32 vcc_lo, s15, v2
	v_cndmask_b32_e32 v33, v2, v3, vcc_lo
	s_delay_alu instid0(VALU_DEP_1) | instskip(NEXT) | instid1(VALU_DEP_1)
	v_lshlrev_b64 v[2:3], 1, v[33:34]
	v_add_co_u32 v2, vcc_lo, s8, v2
	s_delay_alu instid0(VALU_DEP_2)
	v_add_co_ci_u32_e32 v3, vcc_lo, s9, v3, vcc_lo
	global_load_u16 v2, v[2:3], off
	v_cmp_ne_u32_e32 vcc_lo, 0, v35
	s_and_b32 exec_lo, exec_lo, vcc_lo
	s_cbranch_execz .LBB10_35
.LBB10_34:                              ;   in Loop: Header=BB10_7 Depth=1
	s_waitcnt lgkmcnt(0)
	v_add_f32_e32 v3, v0, v1
	s_waitcnt vmcnt(0)
	v_cvt_f32_f16_e32 v2, v2
	s_delay_alu instid0(VALU_DEP_1) | instskip(NEXT) | instid1(VALU_DEP_1)
	v_dual_mov_b32 v33, v34 :: v_dual_add_f32 v2, v3, v2
	v_lshlrev_b64 v[0:1], 1, v[32:33]
	s_delay_alu instid0(VALU_DEP_2) | instskip(NEXT) | instid1(VALU_DEP_2)
	v_cvt_f16_f32_e32 v2, v2
	v_add_co_u32 v0, vcc_lo, s10, v0
	s_delay_alu instid0(VALU_DEP_3)
	v_add_co_ci_u32_e32 v1, vcc_lo, s11, v1, vcc_lo
	global_store_b16 v[0:1], v2, off
.LBB10_35:                              ;   in Loop: Header=BB10_7 Depth=1
	s_or_b32 exec_lo, exec_lo, s1
	v_add_nc_u32_e32 v0, s13, v32
	s_waitcnt lgkmcnt(0)
	s_delay_alu instid0(VALU_DEP_1) | instskip(SKIP_1) | instid1(VALU_DEP_2)
	v_add_nc_u32_e32 v1, 1, v0
	v_cmp_gt_u32_e32 vcc_lo, s19, v0
	v_cmp_le_u32_e64 s1, s19, v1
	s_delay_alu instid0(VALU_DEP_1) | instskip(NEXT) | instid1(SALU_CYCLE_1)
	s_and_b32 s28, vcc_lo, s1
	s_and_saveexec_b32 s1, s28
	s_cbranch_execz .LBB10_5
; %bb.36:                               ;   in Loop: Header=BB10_7 Depth=1
	v_add_nc_u32_e32 v0, s27, v32
	s_delay_alu instid0(VALU_DEP_1)
	v_cmp_eq_u32_e32 vcc_lo, 1, v0
	v_dual_mov_b32 v0, s25 :: v_dual_cndmask_b32 v35, 0, v35
	s_branch .LBB10_5
.LBB10_37:                              ;   in Loop: Header=BB10_7 Depth=1
	v_mov_b32_e32 v2, 0
	v_cmp_ne_u32_e32 vcc_lo, 0, v35
	s_and_b32 exec_lo, exec_lo, vcc_lo
	s_cbranch_execnz .LBB10_34
	s_branch .LBB10_35
.LBB10_38:
	s_nop 0
	s_sendmsg sendmsg(MSG_DEALLOC_VGPRS)
	s_endpgm
	.section	.rodata,"a",@progbits
	.p2align	6, 0x0
	.amdhsa_kernel _Z16wvSplitK_hf_big_I6__halfLi32ELi1ELi16ELi8ELi4ELi1EEviiiiiiPKT_S3_S3_PS1_ii
		.amdhsa_group_segment_fixed_size 65536
		.amdhsa_private_segment_fixed_size 0
		.amdhsa_kernarg_size 64
		.amdhsa_user_sgpr_count 15
		.amdhsa_user_sgpr_dispatch_ptr 0
		.amdhsa_user_sgpr_queue_ptr 0
		.amdhsa_user_sgpr_kernarg_segment_ptr 1
		.amdhsa_user_sgpr_dispatch_id 0
		.amdhsa_user_sgpr_private_segment_size 0
		.amdhsa_wavefront_size32 1
		.amdhsa_uses_dynamic_stack 0
		.amdhsa_enable_private_segment 0
		.amdhsa_system_sgpr_workgroup_id_x 1
		.amdhsa_system_sgpr_workgroup_id_y 0
		.amdhsa_system_sgpr_workgroup_id_z 0
		.amdhsa_system_sgpr_workgroup_info 0
		.amdhsa_system_vgpr_workitem_id 1
		.amdhsa_next_free_vgpr 49
		.amdhsa_next_free_sgpr 35
		.amdhsa_reserve_vcc 1
		.amdhsa_float_round_mode_32 0
		.amdhsa_float_round_mode_16_64 0
		.amdhsa_float_denorm_mode_32 3
		.amdhsa_float_denorm_mode_16_64 3
		.amdhsa_dx10_clamp 1
		.amdhsa_ieee_mode 1
		.amdhsa_fp16_overflow 0
		.amdhsa_workgroup_processor_mode 1
		.amdhsa_memory_ordered 1
		.amdhsa_forward_progress 0
		.amdhsa_shared_vgpr_count 0
		.amdhsa_exception_fp_ieee_invalid_op 0
		.amdhsa_exception_fp_denorm_src 0
		.amdhsa_exception_fp_ieee_div_zero 0
		.amdhsa_exception_fp_ieee_overflow 0
		.amdhsa_exception_fp_ieee_underflow 0
		.amdhsa_exception_fp_ieee_inexact 0
		.amdhsa_exception_int_div_zero 0
	.end_amdhsa_kernel
	.section	.text._Z16wvSplitK_hf_big_I6__halfLi32ELi1ELi16ELi8ELi4ELi1EEviiiiiiPKT_S3_S3_PS1_ii,"axG",@progbits,_Z16wvSplitK_hf_big_I6__halfLi32ELi1ELi16ELi8ELi4ELi1EEviiiiiiPKT_S3_S3_PS1_ii,comdat
.Lfunc_end10:
	.size	_Z16wvSplitK_hf_big_I6__halfLi32ELi1ELi16ELi8ELi4ELi1EEviiiiiiPKT_S3_S3_PS1_ii, .Lfunc_end10-_Z16wvSplitK_hf_big_I6__halfLi32ELi1ELi16ELi8ELi4ELi1EEviiiiiiPKT_S3_S3_PS1_ii
                                        ; -- End function
	.section	.AMDGPU.csdata,"",@progbits
; Kernel info:
; codeLenInByte = 2172
; NumSgprs: 37
; NumVgprs: 49
; ScratchSize: 0
; MemoryBound: 0
; FloatMode: 240
; IeeeMode: 1
; LDSByteSize: 65536 bytes/workgroup (compile time only)
; SGPRBlocks: 4
; VGPRBlocks: 6
; NumSGPRsForWavesPerEU: 37
; NumVGPRsForWavesPerEU: 49
; Occupancy: 8
; WaveLimiterHint : 0
; COMPUTE_PGM_RSRC2:SCRATCH_EN: 0
; COMPUTE_PGM_RSRC2:USER_SGPR: 15
; COMPUTE_PGM_RSRC2:TRAP_HANDLER: 0
; COMPUTE_PGM_RSRC2:TGID_X_EN: 1
; COMPUTE_PGM_RSRC2:TGID_Y_EN: 0
; COMPUTE_PGM_RSRC2:TGID_Z_EN: 0
; COMPUTE_PGM_RSRC2:TIDIG_COMP_CNT: 1
	.section	.text._Z16wvSplitK_hf_sml_I6__halfLi32ELi2ELi16ELi8ELi2ELi1EEviiiiiiPKT_S3_S3_PS1_ii,"axG",@progbits,_Z16wvSplitK_hf_sml_I6__halfLi32ELi2ELi16ELi8ELi2ELi1EEviiiiiiPKT_S3_S3_PS1_ii,comdat
	.protected	_Z16wvSplitK_hf_sml_I6__halfLi32ELi2ELi16ELi8ELi2ELi1EEviiiiiiPKT_S3_S3_PS1_ii ; -- Begin function _Z16wvSplitK_hf_sml_I6__halfLi32ELi2ELi16ELi8ELi2ELi1EEviiiiiiPKT_S3_S3_PS1_ii
	.globl	_Z16wvSplitK_hf_sml_I6__halfLi32ELi2ELi16ELi8ELi2ELi1EEviiiiiiPKT_S3_S3_PS1_ii
	.p2align	8
	.type	_Z16wvSplitK_hf_sml_I6__halfLi32ELi2ELi16ELi8ELi2ELi1EEviiiiiiPKT_S3_S3_PS1_ii,@function
_Z16wvSplitK_hf_sml_I6__halfLi32ELi2ELi16ELi8ELi2ELi1EEviiiiiiPKT_S3_S3_PS1_ii: ; @_Z16wvSplitK_hf_sml_I6__halfLi32ELi2ELi16ELi8ELi2ELi1EEviiiiiiPKT_S3_S3_PS1_ii
; %bb.0:
	s_load_b128 s[4:7], s[0:1], 0x0
	v_and_b32_e32 v1, 0x3ff, v0
	v_bfe_u32 v0, v0, 10, 10
	s_delay_alu instid0(VALU_DEP_2) | instskip(NEXT) | instid1(VALU_DEP_1)
	v_lshlrev_b32_e32 v32, 3, v1
	v_lshl_add_u32 v3, v0, 8, v32
	s_waitcnt lgkmcnt(0)
	s_min_u32 s8, s6, 0x8000
	s_mov_b32 s6, exec_lo
	s_delay_alu instid0(VALU_DEP_1)
	v_cmpx_gt_u32_e64 s8, v3
	s_cbranch_execz .LBB11_9
; %bb.1:
	s_load_b64 s[2:3], s[0:1], 0x20
	v_lshlrev_b32_e32 v2, 1, v3
	v_add_nc_u32_e32 v8, 0x1000, v3
	s_mov_b32 s9, exec_lo
	s_waitcnt lgkmcnt(0)
	global_load_b128 v[4:7], v2, s[2:3]
	s_waitcnt vmcnt(0)
	ds_store_b128 v2, v[4:7]
	v_cmpx_gt_u32_e64 s8, v8
	s_xor_b32 s9, exec_lo, s9
	s_cbranch_execz .LBB11_9
; %bb.2:
	v_add_co_u32 v4, s2, s2, v2
	s_delay_alu instid0(VALU_DEP_1) | instskip(SKIP_1) | instid1(VALU_DEP_3)
	v_add_co_ci_u32_e64 v5, null, s3, 0, s2
	v_add_nc_u32_e32 v10, 0x2000, v3
	v_add_co_u32 v6, vcc_lo, 0x2000, v4
	s_delay_alu instid0(VALU_DEP_3)
	v_add_co_ci_u32_e32 v7, vcc_lo, 0, v5, vcc_lo
	s_mov_b32 s2, exec_lo
	global_load_b128 v[6:9], v[6:7], off
	s_waitcnt vmcnt(0)
	ds_store_b128 v2, v[6:9] offset:8192
	v_cmpx_gt_u32_e64 s8, v10
	s_xor_b32 s2, exec_lo, s2
	s_cbranch_execz .LBB11_9
; %bb.3:
	v_add_co_u32 v6, vcc_lo, 0x4000, v4
	v_add_co_ci_u32_e32 v7, vcc_lo, 0, v5, vcc_lo
	v_add_nc_u32_e32 v10, 0x3000, v3
	s_mov_b32 s2, exec_lo
	global_load_b128 v[6:9], v[6:7], off
	s_waitcnt vmcnt(0)
	ds_store_b128 v2, v[6:9] offset:16384
	v_cmpx_gt_u32_e64 s8, v10
	s_xor_b32 s2, exec_lo, s2
	s_cbranch_execz .LBB11_9
; %bb.4:
	v_add_co_u32 v6, vcc_lo, 0x6000, v4
	v_add_co_ci_u32_e32 v7, vcc_lo, 0, v5, vcc_lo
	v_add_nc_u32_e32 v10, 0x4000, v3
	;; [unrolled: 11-line block ×5, first 2 shown]
	s_mov_b32 s2, exec_lo
	global_load_b128 v[6:9], v[6:7], off
	s_waitcnt vmcnt(0)
	ds_store_b128 v2, v[6:9] offset:49152
	v_cmpx_gt_u32_e64 s8, v3
	s_xor_b32 s2, exec_lo, s2
	s_cbranch_execz .LBB11_9
; %bb.8:
	v_add_co_u32 v3, vcc_lo, 0xe000, v4
	v_add_co_ci_u32_e32 v4, vcc_lo, 0, v5, vcc_lo
	global_load_b128 v[3:6], v[3:4], off
	s_waitcnt vmcnt(0)
	ds_store_b128 v2, v[3:6] offset:57344
.LBB11_9:
	s_or_b32 exec_lo, exec_lo, s6
	s_load_b64 s[12:13], s[0:1], 0x38
	s_waitcnt lgkmcnt(0)
	s_barrier
	buffer_gl0_inv
	s_mov_b32 s2, exec_lo
	v_cmpx_gt_u32_e64 s12, v0
	s_cbranch_execz .LBB11_26
; %bb.10:
	s_load_b32 s6, s[0:1], 0x10
	s_mul_i32 s15, s15, s12
	s_delay_alu instid0(SALU_CYCLE_1) | instskip(NEXT) | instid1(VALU_DEP_1)
	v_add_lshl_u32 v24, s15, v0, 1
	v_cmp_gt_u32_e32 vcc_lo, s7, v24
	s_and_b32 exec_lo, exec_lo, vcc_lo
	s_cbranch_execz .LBB11_26
; %bb.11:
	s_waitcnt lgkmcnt(0)
	v_cvt_f32_u32_e32 v0, s6
	s_clause 0x1
	s_load_b128 s[8:11], s[0:1], 0x28
	s_load_b64 s[2:3], s[0:1], 0x18
	s_cmp_lg_u32 s4, 0
	v_mbcnt_lo_u32_b32 v33, -1, 0
	v_rcp_iflag_f32_e32 v0, v0
	s_cselect_b32 s1, -1, 0
	s_add_i32 s14, s4, -8
	s_add_i32 s15, s7, -1
	v_lshlrev_b32_e32 v34, 4, v1
	v_xor_b32_e32 v35, 16, v33
	v_mov_b32_e32 v26, 0
	s_mul_i32 s13, s12, s13
	s_mov_b32 s12, 0
	s_waitcnt_depctr 0xfff
	v_mul_f32_e32 v0, 0x4f7ffffe, v0
	s_delay_alu instid0(VALU_DEP_1)
	v_cvt_u32_f32_e32 v0, v0
	s_waitcnt lgkmcnt(0)
	s_cmp_lg_u64 s[8:9], 0
	s_cselect_b32 s16, -1, 0
	s_sub_i32 s0, 0, s6
	s_lshl_b32 s13, s13, 1
	v_mul_lo_u32 v2, s0, v0
	v_cmp_eq_u32_e64 s0, 31, v1
	s_delay_alu instid0(VALU_DEP_2) | instskip(NEXT) | instid1(VALU_DEP_1)
	v_mul_hi_u32 v2, v0, v2
	v_add_nc_u32_e32 v36, v0, v2
	s_branch .LBB11_14
.LBB11_12:                              ;   in Loop: Header=BB11_14 Depth=1
	s_waitcnt lgkmcnt(1)
	v_add_f32_e32 v2, v2, v3
	s_waitcnt vmcnt(1)
	v_cvt_f32_f16_e32 v3, v5
	s_waitcnt lgkmcnt(0)
	v_add_f32_e32 v5, v0, v1
	v_lshlrev_b64 v[0:1], 1, v[24:25]
	s_waitcnt vmcnt(0)
	v_cvt_f32_f16_e32 v4, v4
	v_add_f32_e32 v6, v2, v3
	v_lshlrev_b64 v[2:3], 1, v[27:28]
	s_delay_alu instid0(VALU_DEP_3) | instskip(SKIP_2) | instid1(VALU_DEP_4)
	v_add_f32_e32 v4, v5, v4
	v_add_co_u32 v0, vcc_lo, s10, v0
	v_add_co_ci_u32_e32 v1, vcc_lo, s11, v1, vcc_lo
	v_add_co_u32 v2, vcc_lo, s10, v2
	v_cvt_f16_f32_e32 v5, v6
	v_cvt_f16_f32_e32 v4, v4
	v_add_co_ci_u32_e32 v3, vcc_lo, s11, v3, vcc_lo
	s_clause 0x1
	global_store_b16 v[0:1], v5, off
	global_store_b16 v[2:3], v4, off
.LBB11_13:                              ;   in Loop: Header=BB11_14 Depth=1
	s_or_b32 exec_lo, exec_lo, s17
	v_add_nc_u32_e32 v24, s13, v24
	s_delay_alu instid0(VALU_DEP_1) | instskip(SKIP_1) | instid1(SALU_CYCLE_1)
	v_cmp_le_u32_e32 vcc_lo, s7, v24
	s_or_b32 s12, vcc_lo, s12
	s_and_not1_b32 exec_lo, exec_lo, s12
	s_cbranch_execz .LBB11_26
.LBB11_14:                              ; =>This Loop Header: Depth=1
                                        ;     Child Loop BB11_18 Depth 2
	v_or_b32_e32 v27, 1, v24
	v_mov_b32_e32 v38, v26
	v_mov_b32_e32 v37, v26
	s_and_not1_b32 vcc_lo, exec_lo, s1
	s_cbranch_vccnz .LBB11_21
; %bb.15:                               ;   in Loop: Header=BB11_14 Depth=1
	v_min_u32_e32 v0, s15, v24
	s_waitcnt lgkmcnt(0)
	v_min_u32_e32 v1, s15, v27
	v_mov_b32_e32 v37, 0
	v_mov_b32_e32 v39, v34
	s_mov_b32 s17, 0
	v_mul_lo_u32 v25, v0, s5
	v_mul_lo_u32 v0, v1, s5
	v_dual_mov_b32 v1, v26 :: v_dual_mov_b32 v38, 0
	s_delay_alu instid0(VALU_DEP_3) | instskip(NEXT) | instid1(VALU_DEP_2)
	v_lshlrev_b64 v[28:29], 1, v[25:26]
	v_lshlrev_b64 v[30:31], 1, v[0:1]
	s_branch .LBB11_18
.LBB11_16:                              ;   in Loop: Header=BB11_18 Depth=2
	s_or_b32 exec_lo, exec_lo, s19
.LBB11_17:                              ;   in Loop: Header=BB11_18 Depth=2
	s_delay_alu instid0(SALU_CYCLE_1)
	s_or_b32 exec_lo, exec_lo, s18
	s_waitcnt vmcnt(3) lgkmcnt(0)
	;;#ASMSTART
	v_dot2_f32_f16 v37, v16, v20, v37
	;;#ASMEND
	s_waitcnt vmcnt(2)
	;;#ASMSTART
	v_dot2_f32_f16 v38, v16, v12, v38
	;;#ASMEND
	;;#ASMSTART
	v_dot2_f32_f16 v37, v17, v21, v37
	;;#ASMEND
	;; [unrolled: 3-line block ×5, first 2 shown]
	v_add_nc_u32_e32 v39, 0x400, v39
	;;#ASMSTART
	v_dot2_f32_f16 v37, v19, v23, v37
	;;#ASMEND
	;;#ASMSTART
	v_dot2_f32_f16 v38, v19, v15, v38
	;;#ASMEND
	s_addk_i32 s17, 0x200
	s_waitcnt vmcnt(1)
	;;#ASMSTART
	v_dot2_f32_f16 v37, v4, v8, v37
	;;#ASMEND
	s_waitcnt vmcnt(0)
	;;#ASMSTART
	v_dot2_f32_f16 v38, v4, v0, v38
	;;#ASMEND
	;;#ASMSTART
	v_dot2_f32_f16 v37, v5, v9, v37
	;;#ASMEND
	;; [unrolled: 3-line block ×3, first 2 shown]
	s_cmp_ge_u32 s17, s4
	;;#ASMSTART
	v_dot2_f32_f16 v37, v6, v10, v37
	;;#ASMEND
	;;#ASMSTART
	v_dot2_f32_f16 v38, v6, v2, v38
	;;#ASMEND
	;; [unrolled: 3-line block ×4, first 2 shown]
	s_cbranch_scc1 .LBB11_21
.LBB11_18:                              ;   Parent Loop BB11_14 Depth=1
                                        ; =>  This Inner Loop Header: Depth=2
	v_dual_mov_b32 v19, 0 :: v_dual_add_nc_u32 v16, s17, v32
	v_dual_mov_b32 v18, 0 :: v_dual_mov_b32 v17, 0
	s_delay_alu instid0(VALU_DEP_2) | instskip(SKIP_1) | instid1(VALU_DEP_2)
	v_min_u32_e32 v25, s14, v16
	v_add_nc_u32_e32 v40, 0x100, v16
	v_lshlrev_b64 v[0:1], 1, v[25:26]
	s_delay_alu instid0(VALU_DEP_2) | instskip(NEXT) | instid1(VALU_DEP_2)
	v_min_u32_e32 v25, s14, v40
	v_add_co_u32 v4, vcc_lo, s2, v0
	s_delay_alu instid0(VALU_DEP_3) | instskip(NEXT) | instid1(VALU_DEP_3)
	v_add_co_ci_u32_e32 v5, vcc_lo, s3, v1, vcc_lo
	v_lshlrev_b64 v[0:1], 1, v[25:26]
	s_delay_alu instid0(VALU_DEP_3) | instskip(NEXT) | instid1(VALU_DEP_3)
	v_add_co_u32 v2, vcc_lo, v4, v28
	v_add_co_ci_u32_e32 v3, vcc_lo, v5, v29, vcc_lo
	s_delay_alu instid0(VALU_DEP_3) | instskip(NEXT) | instid1(VALU_DEP_4)
	v_add_co_u32 v6, vcc_lo, s2, v0
	v_add_co_ci_u32_e32 v7, vcc_lo, s3, v1, vcc_lo
	v_add_co_u32 v0, vcc_lo, v4, v30
	v_add_co_ci_u32_e32 v1, vcc_lo, v5, v31, vcc_lo
	s_delay_alu instid0(VALU_DEP_4) | instskip(NEXT) | instid1(VALU_DEP_4)
	v_add_co_u32 v4, vcc_lo, v6, v28
	v_add_co_ci_u32_e32 v5, vcc_lo, v7, v29, vcc_lo
	v_add_co_u32 v6, vcc_lo, v6, v30
	v_add_co_ci_u32_e32 v7, vcc_lo, v7, v31, vcc_lo
	s_clause 0x3
	global_load_b128 v[20:23], v[2:3], off slc dlc
	global_load_b128 v[12:15], v[0:1], off slc dlc
	;; [unrolled: 1-line block ×4, first 2 shown]
	v_mov_b32_e32 v5, 0
	v_cmp_gt_u32_e32 vcc_lo, s4, v16
	v_mov_b32_e32 v4, 0
	v_dual_mov_b32 v6, 0 :: v_dual_mov_b32 v7, 0
	v_mov_b32_e32 v16, 0
	s_and_saveexec_b32 s18, vcc_lo
	s_cbranch_execz .LBB11_17
; %bb.19:                               ;   in Loop: Header=BB11_18 Depth=2
	ds_load_b128 v[16:19], v39
	v_dual_mov_b32 v7, 0 :: v_dual_mov_b32 v6, 0
	v_dual_mov_b32 v5, 0 :: v_dual_mov_b32 v4, 0
	s_mov_b32 s19, exec_lo
	v_cmpx_gt_u32_e64 s4, v40
	s_cbranch_execz .LBB11_16
; %bb.20:                               ;   in Loop: Header=BB11_18 Depth=2
	ds_load_b128 v[4:7], v39 offset:512
	s_branch .LBB11_16
.LBB11_21:                              ;   in Loop: Header=BB11_14 Depth=1
	; sched_barrier mask(0x00000000)
	s_delay_alu instid0(VALU_DEP_1) | instskip(SKIP_3) | instid1(VALU_DEP_3)
	v_cvt_i32_f32_e32 v0, v37
	s_waitcnt lgkmcnt(0)
	v_cvt_i32_f32_e32 v1, v38
	v_cmp_gt_i32_e32 vcc_lo, 32, v35
	v_cvt_f32_i32_dpp v0, v0 row_shr:8 row_mask:0xf bank_mask:0xf bound_ctrl:1
	s_delay_alu instid0(VALU_DEP_3) | instskip(SKIP_1) | instid1(VALU_DEP_2)
	v_cvt_f32_i32_dpp v1, v1 row_shr:8 row_mask:0xf bank_mask:0xf bound_ctrl:1
	v_cndmask_b32_e32 v4, v33, v35, vcc_lo
	v_dual_add_f32 v0, v37, v0 :: v_dual_add_f32 v1, v38, v1
	s_delay_alu instid0(VALU_DEP_2) | instskip(NEXT) | instid1(VALU_DEP_2)
	v_lshlrev_b32_e32 v4, 2, v4
	v_cvt_i32_f32_e32 v2, v0
	s_delay_alu instid0(VALU_DEP_3) | instskip(NEXT) | instid1(VALU_DEP_2)
	v_cvt_i32_f32_e32 v3, v1
	v_cvt_f32_i32_dpp v2, v2 row_shr:4 row_mask:0xf bank_mask:0xf bound_ctrl:1
	s_delay_alu instid0(VALU_DEP_2) | instskip(NEXT) | instid1(VALU_DEP_1)
	v_cvt_f32_i32_dpp v3, v3 row_shr:4 row_mask:0xf bank_mask:0xf bound_ctrl:1
	v_dual_add_f32 v0, v0, v2 :: v_dual_add_f32 v1, v1, v3
	s_delay_alu instid0(VALU_DEP_1) | instskip(NEXT) | instid1(VALU_DEP_2)
	v_cvt_i32_f32_e32 v2, v0
	v_cvt_i32_f32_e32 v3, v1
	s_delay_alu instid0(VALU_DEP_2) | instskip(NEXT) | instid1(VALU_DEP_2)
	v_cvt_f32_i32_dpp v2, v2 row_shr:2 row_mask:0xf bank_mask:0xf bound_ctrl:1
	v_cvt_f32_i32_dpp v3, v3 row_shr:2 row_mask:0xf bank_mask:0xf bound_ctrl:1
	s_delay_alu instid0(VALU_DEP_1) | instskip(NEXT) | instid1(VALU_DEP_1)
	v_dual_add_f32 v0, v0, v2 :: v_dual_add_f32 v1, v1, v3
	v_cvt_i32_f32_e32 v2, v0
	s_delay_alu instid0(VALU_DEP_2) | instskip(NEXT) | instid1(VALU_DEP_2)
	v_cvt_i32_f32_e32 v3, v1
	v_cvt_f32_i32_dpp v2, v2 row_shr:1 row_mask:0xf bank_mask:0xf bound_ctrl:1
	s_delay_alu instid0(VALU_DEP_2) | instskip(NEXT) | instid1(VALU_DEP_2)
	v_cvt_f32_i32_dpp v3, v3 row_shr:1 row_mask:0xf bank_mask:0xf bound_ctrl:1
	v_add_f32_e32 v2, v0, v2
	s_delay_alu instid0(VALU_DEP_2)
	v_add_f32_e32 v0, v1, v3
	ds_bpermute_b32 v3, v4, v2
	ds_bpermute_b32 v1, v4, v0
	s_and_saveexec_b32 s17, s0
	s_cbranch_execz .LBB11_13
; %bb.22:                               ;   in Loop: Header=BB11_14 Depth=1
	s_and_b32 vcc_lo, exec_lo, s16
	s_cbranch_vccz .LBB11_24
; %bb.23:                               ;   in Loop: Header=BB11_14 Depth=1
	v_mul_hi_u32 v4, v24, v36
	v_mul_hi_u32 v5, v27, v36
	v_mov_b32_e32 v28, v26
	s_delay_alu instid0(VALU_DEP_3) | instskip(NEXT) | instid1(VALU_DEP_3)
	v_mul_lo_u32 v4, v4, s6
	v_mul_lo_u32 v5, v5, s6
	s_delay_alu instid0(VALU_DEP_2) | instskip(NEXT) | instid1(VALU_DEP_2)
	v_sub_nc_u32_e32 v4, v24, v4
	v_sub_nc_u32_e32 v5, v27, v5
	s_delay_alu instid0(VALU_DEP_2) | instskip(SKIP_1) | instid1(VALU_DEP_2)
	v_subrev_nc_u32_e32 v6, s6, v4
	v_cmp_le_u32_e32 vcc_lo, s6, v4
	v_cndmask_b32_e32 v4, v4, v6, vcc_lo
	s_delay_alu instid0(VALU_DEP_4) | instskip(SKIP_1) | instid1(VALU_DEP_3)
	v_subrev_nc_u32_e32 v6, s6, v5
	v_cmp_le_u32_e32 vcc_lo, s6, v5
	v_subrev_nc_u32_e32 v7, s6, v4
	s_delay_alu instid0(VALU_DEP_3) | instskip(SKIP_1) | instid1(VALU_DEP_3)
	v_cndmask_b32_e32 v6, v5, v6, vcc_lo
	v_cmp_le_u32_e32 vcc_lo, s6, v4
	v_cndmask_b32_e32 v25, v4, v7, vcc_lo
	s_delay_alu instid0(VALU_DEP_3) | instskip(SKIP_1) | instid1(VALU_DEP_3)
	v_subrev_nc_u32_e32 v7, s6, v6
	v_cmp_le_u32_e32 vcc_lo, s6, v6
	v_lshlrev_b64 v[4:5], 1, v[25:26]
	s_delay_alu instid0(VALU_DEP_3) | instskip(NEXT) | instid1(VALU_DEP_2)
	v_cndmask_b32_e32 v25, v6, v7, vcc_lo
	v_add_co_u32 v4, vcc_lo, s8, v4
	s_delay_alu instid0(VALU_DEP_2) | instskip(NEXT) | instid1(VALU_DEP_4)
	v_lshlrev_b64 v[6:7], 1, v[25:26]
	v_add_co_ci_u32_e32 v5, vcc_lo, s9, v5, vcc_lo
	v_mov_b32_e32 v25, v26
	s_delay_alu instid0(VALU_DEP_3) | instskip(NEXT) | instid1(VALU_DEP_4)
	v_add_co_u32 v6, vcc_lo, s8, v6
	v_add_co_ci_u32_e32 v7, vcc_lo, s9, v7, vcc_lo
	s_clause 0x1
	global_load_u16 v5, v[4:5], off
	global_load_u16 v4, v[6:7], off
	s_cbranch_execnz .LBB11_12
	s_branch .LBB11_25
.LBB11_24:                              ;   in Loop: Header=BB11_14 Depth=1
                                        ; implicit-def: $vgpr5
                                        ; implicit-def: $vgpr4
.LBB11_25:                              ;   in Loop: Header=BB11_14 Depth=1
	s_waitcnt vmcnt(0)
	v_dual_mov_b32 v25, v26 :: v_dual_mov_b32 v4, 0
	v_dual_mov_b32 v28, v26 :: v_dual_mov_b32 v5, 0
	s_branch .LBB11_12
.LBB11_26:
	s_nop 0
	s_sendmsg sendmsg(MSG_DEALLOC_VGPRS)
	s_endpgm
	.section	.rodata,"a",@progbits
	.p2align	6, 0x0
	.amdhsa_kernel _Z16wvSplitK_hf_sml_I6__halfLi32ELi2ELi16ELi8ELi2ELi1EEviiiiiiPKT_S3_S3_PS1_ii
		.amdhsa_group_segment_fixed_size 65536
		.amdhsa_private_segment_fixed_size 0
		.amdhsa_kernarg_size 64
		.amdhsa_user_sgpr_count 15
		.amdhsa_user_sgpr_dispatch_ptr 0
		.amdhsa_user_sgpr_queue_ptr 0
		.amdhsa_user_sgpr_kernarg_segment_ptr 1
		.amdhsa_user_sgpr_dispatch_id 0
		.amdhsa_user_sgpr_private_segment_size 0
		.amdhsa_wavefront_size32 1
		.amdhsa_uses_dynamic_stack 0
		.amdhsa_enable_private_segment 0
		.amdhsa_system_sgpr_workgroup_id_x 1
		.amdhsa_system_sgpr_workgroup_id_y 0
		.amdhsa_system_sgpr_workgroup_id_z 0
		.amdhsa_system_sgpr_workgroup_info 0
		.amdhsa_system_vgpr_workitem_id 1
		.amdhsa_next_free_vgpr 41
		.amdhsa_next_free_sgpr 20
		.amdhsa_reserve_vcc 1
		.amdhsa_float_round_mode_32 0
		.amdhsa_float_round_mode_16_64 0
		.amdhsa_float_denorm_mode_32 3
		.amdhsa_float_denorm_mode_16_64 3
		.amdhsa_dx10_clamp 1
		.amdhsa_ieee_mode 1
		.amdhsa_fp16_overflow 0
		.amdhsa_workgroup_processor_mode 1
		.amdhsa_memory_ordered 1
		.amdhsa_forward_progress 0
		.amdhsa_shared_vgpr_count 0
		.amdhsa_exception_fp_ieee_invalid_op 0
		.amdhsa_exception_fp_denorm_src 0
		.amdhsa_exception_fp_ieee_div_zero 0
		.amdhsa_exception_fp_ieee_overflow 0
		.amdhsa_exception_fp_ieee_underflow 0
		.amdhsa_exception_fp_ieee_inexact 0
		.amdhsa_exception_int_div_zero 0
	.end_amdhsa_kernel
	.section	.text._Z16wvSplitK_hf_sml_I6__halfLi32ELi2ELi16ELi8ELi2ELi1EEviiiiiiPKT_S3_S3_PS1_ii,"axG",@progbits,_Z16wvSplitK_hf_sml_I6__halfLi32ELi2ELi16ELi8ELi2ELi1EEviiiiiiPKT_S3_S3_PS1_ii,comdat
.Lfunc_end11:
	.size	_Z16wvSplitK_hf_sml_I6__halfLi32ELi2ELi16ELi8ELi2ELi1EEviiiiiiPKT_S3_S3_PS1_ii, .Lfunc_end11-_Z16wvSplitK_hf_sml_I6__halfLi32ELi2ELi16ELi8ELi2ELi1EEviiiiiiPKT_S3_S3_PS1_ii
                                        ; -- End function
	.section	.AMDGPU.csdata,"",@progbits
; Kernel info:
; codeLenInByte = 2132
; NumSgprs: 22
; NumVgprs: 41
; ScratchSize: 0
; MemoryBound: 0
; FloatMode: 240
; IeeeMode: 1
; LDSByteSize: 65536 bytes/workgroup (compile time only)
; SGPRBlocks: 2
; VGPRBlocks: 5
; NumSGPRsForWavesPerEU: 22
; NumVGPRsForWavesPerEU: 41
; Occupancy: 8
; WaveLimiterHint : 0
; COMPUTE_PGM_RSRC2:SCRATCH_EN: 0
; COMPUTE_PGM_RSRC2:USER_SGPR: 15
; COMPUTE_PGM_RSRC2:TRAP_HANDLER: 0
; COMPUTE_PGM_RSRC2:TGID_X_EN: 1
; COMPUTE_PGM_RSRC2:TGID_Y_EN: 0
; COMPUTE_PGM_RSRC2:TGID_Z_EN: 0
; COMPUTE_PGM_RSRC2:TIDIG_COMP_CNT: 1
	.section	.text._Z12wvSplitK_hf_I6__halfLi32ELi2ELi16ELi8ELi2ELi1EEviiiiiiPKT_S3_S3_PS1_ii,"axG",@progbits,_Z12wvSplitK_hf_I6__halfLi32ELi2ELi16ELi8ELi2ELi1EEviiiiiiPKT_S3_S3_PS1_ii,comdat
	.protected	_Z12wvSplitK_hf_I6__halfLi32ELi2ELi16ELi8ELi2ELi1EEviiiiiiPKT_S3_S3_PS1_ii ; -- Begin function _Z12wvSplitK_hf_I6__halfLi32ELi2ELi16ELi8ELi2ELi1EEviiiiiiPKT_S3_S3_PS1_ii
	.globl	_Z12wvSplitK_hf_I6__halfLi32ELi2ELi16ELi8ELi2ELi1EEviiiiiiPKT_S3_S3_PS1_ii
	.p2align	8
	.type	_Z12wvSplitK_hf_I6__halfLi32ELi2ELi16ELi8ELi2ELi1EEviiiiiiPKT_S3_S3_PS1_ii,@function
_Z12wvSplitK_hf_I6__halfLi32ELi2ELi16ELi8ELi2ELi1EEviiiiiiPKT_S3_S3_PS1_ii: ; @_Z12wvSplitK_hf_I6__halfLi32ELi2ELi16ELi8ELi2ELi1EEviiiiiiPKT_S3_S3_PS1_ii
; %bb.0:
	s_clause 0x1
	s_load_b64 s[16:17], s[0:1], 0x38
	s_load_b128 s[4:7], s[0:1], 0x0
	v_bfe_u32 v1, v0, 10, 10
	s_clause 0x1
	s_load_b64 s[12:13], s[0:1], 0x20
	s_load_b32 s18, s[0:1], 0x10
	s_mov_b32 s8, 1
	s_delay_alu instid0(SALU_CYCLE_1) | instskip(NEXT) | instid1(SALU_CYCLE_1)
	s_mov_b32 s9, s8
	v_dual_mov_b32 v25, s9 :: v_dual_mov_b32 v24, s8
	s_waitcnt lgkmcnt(0)
	s_mul_i32 s15, s15, s16
	s_delay_alu instid0(SALU_CYCLE_1) | instskip(NEXT) | instid1(VALU_DEP_1)
	v_add_lshl_u32 v26, s15, v1, 1
	v_add_nc_u32_e32 v2, 2, v26
	v_cmp_gt_u32_e32 vcc_lo, s7, v26
	s_delay_alu instid0(VALU_DEP_2) | instskip(NEXT) | instid1(VALU_DEP_1)
	v_cmp_le_u32_e64 s2, s7, v2
	s_and_b32 s2, vcc_lo, s2
	s_delay_alu instid0(SALU_CYCLE_1)
	s_and_saveexec_b32 s10, s2
	s_cbranch_execz .LBB12_6
; %bb.1:
	v_dual_mov_b32 v25, s9 :: v_dual_mov_b32 v24, s8
	s_add_i32 s11, s7, -2
	s_mov_b32 s14, exec_lo
	v_cmpx_ne_u32_e64 s11, v26
	s_cbranch_execz .LBB12_5
; %bb.2:
	v_subrev_nc_u32_e32 v2, s11, v26
	s_mov_b32 s2, 1
	s_mov_b32 s15, 0
	s_mov_b64 s[8:9], 0
	s_mov_b32 s3, s2
	v_cmp_lt_u32_e32 vcc_lo, 1, v2
	v_cndmask_b32_e32 v2, 1, v2, vcc_lo
.LBB12_3:                               ; =>This Inner Loop Header: Depth=1
	s_cmp_lg_u32 s8, 1
	s_cselect_b32 s3, s3, 0
	s_cmp_lg_u32 s8, 0
	s_cselect_b32 s2, s2, 0
	s_add_u32 s8, s8, 1
	v_dual_mov_b32 v25, s3 :: v_dual_mov_b32 v24, s2
	v_cmp_eq_u32_e32 vcc_lo, s8, v2
	s_addc_u32 s9, s9, 0
	s_or_b32 s15, vcc_lo, s15
	s_delay_alu instid0(SALU_CYCLE_1)
	s_and_not1_b32 exec_lo, exec_lo, s15
	s_cbranch_execnz .LBB12_3
; %bb.4:
	s_or_b32 exec_lo, exec_lo, s15
	v_mov_b32_e32 v26, s11
.LBB12_5:
	s_or_b32 exec_lo, exec_lo, s14
.LBB12_6:
	s_delay_alu instid0(SALU_CYCLE_1) | instskip(SKIP_3) | instid1(VALU_DEP_1)
	s_or_b32 exec_lo, exec_lo, s10
	v_and_b32_e32 v0, 0x3ff, v0
	s_min_u32 s3, s6, 0x8000
	s_mov_b32 s2, exec_lo
	v_lshlrev_b32_e32 v37, 3, v0
	s_delay_alu instid0(VALU_DEP_1) | instskip(NEXT) | instid1(VALU_DEP_1)
	v_lshl_add_u32 v3, v1, 8, v37
	v_cmpx_gt_u32_e64 s3, v3
	s_cbranch_execz .LBB12_15
; %bb.7:
	v_lshlrev_b32_e32 v2, 1, v3
	v_add_nc_u32_e32 v8, 0x1000, v3
	s_mov_b32 s6, exec_lo
	global_load_b128 v[4:7], v2, s[12:13]
	s_waitcnt vmcnt(0)
	ds_store_b128 v2, v[4:7]
	v_cmpx_gt_u32_e64 s3, v8
	s_xor_b32 s6, exec_lo, s6
	s_cbranch_execz .LBB12_15
; %bb.8:
	v_add_co_u32 v4, s6, s12, v2
	s_delay_alu instid0(VALU_DEP_1) | instskip(SKIP_1) | instid1(VALU_DEP_3)
	v_add_co_ci_u32_e64 v5, null, s13, 0, s6
	v_add_nc_u32_e32 v10, 0x2000, v3
	v_add_co_u32 v6, vcc_lo, 0x2000, v4
	s_delay_alu instid0(VALU_DEP_3)
	v_add_co_ci_u32_e32 v7, vcc_lo, 0, v5, vcc_lo
	s_mov_b32 s6, exec_lo
	global_load_b128 v[6:9], v[6:7], off
	s_waitcnt vmcnt(0)
	ds_store_b128 v2, v[6:9] offset:8192
	v_cmpx_gt_u32_e64 s3, v10
	s_xor_b32 s6, exec_lo, s6
	s_cbranch_execz .LBB12_15
; %bb.9:
	v_add_co_u32 v6, vcc_lo, 0x4000, v4
	v_add_co_ci_u32_e32 v7, vcc_lo, 0, v5, vcc_lo
	v_add_nc_u32_e32 v10, 0x3000, v3
	s_mov_b32 s6, exec_lo
	global_load_b128 v[6:9], v[6:7], off
	s_waitcnt vmcnt(0)
	ds_store_b128 v2, v[6:9] offset:16384
	v_cmpx_gt_u32_e64 s3, v10
	s_xor_b32 s6, exec_lo, s6
	s_cbranch_execz .LBB12_15
; %bb.10:
	v_add_co_u32 v6, vcc_lo, 0x6000, v4
	v_add_co_ci_u32_e32 v7, vcc_lo, 0, v5, vcc_lo
	v_add_nc_u32_e32 v10, 0x4000, v3
	;; [unrolled: 11-line block ×5, first 2 shown]
	global_load_b128 v[6:9], v[6:7], off
	v_cmp_gt_u32_e32 vcc_lo, s3, v3
	s_waitcnt vmcnt(0)
	ds_store_b128 v2, v[6:9] offset:49152
	s_and_saveexec_b32 s3, vcc_lo
	s_delay_alu instid0(SALU_CYCLE_1)
	s_xor_b32 s3, exec_lo, s3
	s_cbranch_execz .LBB12_15
; %bb.14:
	v_add_co_u32 v3, vcc_lo, 0xe000, v4
	v_add_co_ci_u32_e32 v4, vcc_lo, 0, v5, vcc_lo
	global_load_b128 v[3:6], v[3:4], off
	s_waitcnt vmcnt(0)
	ds_store_b128 v2, v[3:6] offset:57344
.LBB12_15:
	s_or_b32 exec_lo, exec_lo, s2
	v_cmp_gt_u32_e32 vcc_lo, s16, v1
	v_cmp_gt_u32_e64 s2, s7, v26
	s_waitcnt lgkmcnt(0)
	s_barrier
	buffer_gl0_inv
	s_and_b32 s2, vcc_lo, s2
	s_delay_alu instid0(SALU_CYCLE_1)
	s_and_saveexec_b32 s3, s2
	s_cbranch_execz .LBB12_46
; %bb.16:
	v_cvt_f32_u32_e32 v1, s18
	s_clause 0x1
	s_load_b128 s[8:11], s[0:1], 0x28
	s_load_b64 s[14:15], s[0:1], 0x18
	s_cmp_lg_u32 s4, 0
	v_mbcnt_lo_u32_b32 v38, -1, 0
	v_rcp_iflag_f32_e32 v1, v1
	s_cselect_b32 s3, -1, 0
	s_add_i32 s6, s4, -8
	s_add_i32 s19, s7, -1
	v_lshlrev_b32_e32 v39, 4, v0
	v_xor_b32_e32 v40, 16, v38
	s_mul_i32 s1, s16, s17
	s_mov_b32 s21, 0
	s_waitcnt_depctr 0xfff
	v_dual_mov_b32 v28, 0 :: v_dual_mul_f32 v1, 0x4f7ffffe, v1
	s_delay_alu instid0(VALU_DEP_1)
	v_cvt_u32_f32_e32 v1, v1
	s_waitcnt lgkmcnt(0)
	s_cmp_lg_u64 s[8:9], 0
	s_cselect_b32 s20, -1, 0
	s_sub_i32 s0, 0, s18
	s_lshl_b32 s22, s1, 1
	v_mul_lo_u32 v2, s0, v1
	v_cmp_eq_u32_e64 s0, 31, v0
	s_add_i32 s23, s7, -2
	s_delay_alu instid0(VALU_DEP_2) | instskip(NEXT) | instid1(VALU_DEP_1)
	v_mul_hi_u32 v2, v1, v2
	v_add_nc_u32_e32 v41, v1, v2
	s_branch .LBB12_19
.LBB12_17:                              ;   in Loop: Header=BB12_19 Depth=1
	s_or_b32 exec_lo, exec_lo, s25
	v_mov_b32_e32 v26, s23
.LBB12_18:                              ;   in Loop: Header=BB12_19 Depth=1
	s_or_b32 exec_lo, exec_lo, s24
	s_delay_alu instid0(VALU_DEP_1) | instskip(SKIP_1) | instid1(SALU_CYCLE_1)
	v_cmp_le_u32_e32 vcc_lo, s7, v26
	s_or_b32 s21, vcc_lo, s21
	s_and_not1_b32 exec_lo, exec_lo, s21
	s_cbranch_execz .LBB12_46
.LBB12_19:                              ; =>This Loop Header: Depth=1
                                        ;     Child Loop BB12_24 Depth 2
                                        ;     Child Loop BB12_44 Depth 2
	v_dual_mov_b32 v42, v28 :: v_dual_add_nc_u32 v29, 1, v26
	v_mov_b32_e32 v43, v28
	s_and_not1_b32 vcc_lo, exec_lo, s3
	s_cbranch_vccnz .LBB12_34
; %bb.20:                               ;   in Loop: Header=BB12_19 Depth=1
	v_min_u32_e32 v0, s19, v26
	s_waitcnt lgkmcnt(0)
	v_min_u32_e32 v1, s19, v29
	v_dual_mov_b32 v44, v39 :: v_dual_mov_b32 v43, 0
	s_mov_b32 s1, 0
	v_mul_lo_u32 v27, v0, s5
	s_delay_alu instid0(VALU_DEP_3) | instskip(SKIP_1) | instid1(VALU_DEP_3)
	v_mul_lo_u32 v0, v1, s5
	v_dual_mov_b32 v1, v28 :: v_dual_mov_b32 v42, 0
	v_lshlrev_b64 v[30:31], 1, v[27:28]
	s_delay_alu instid0(VALU_DEP_2)
	v_lshlrev_b64 v[32:33], 1, v[0:1]
	s_branch .LBB12_24
.LBB12_21:                              ;   in Loop: Header=BB12_24 Depth=2
	s_or_b32 exec_lo, exec_lo, s17
.LBB12_22:                              ;   in Loop: Header=BB12_24 Depth=2
	s_delay_alu instid0(SALU_CYCLE_1)
	s_or_b32 exec_lo, exec_lo, s16
.LBB12_23:                              ;   in Loop: Header=BB12_24 Depth=2
	s_delay_alu instid0(SALU_CYCLE_1)
	s_or_b32 exec_lo, exec_lo, s2
	s_waitcnt vmcnt(0) lgkmcnt(0)
	;;#ASMSTART
	v_dot2_f32_f16 v42, v16, v12, v42
	;;#ASMEND
	;;#ASMSTART
	v_dot2_f32_f16 v43, v16, v8, v43
	;;#ASMEND
	;; [unrolled: 3-line block ×6, first 2 shown]
	v_add_nc_u32_e32 v44, 0x400, v44
	;;#ASMSTART
	v_dot2_f32_f16 v42, v19, v15, v42
	;;#ASMEND
	;;#ASMSTART
	v_dot2_f32_f16 v43, v19, v11, v43
	;;#ASMEND
	s_addk_i32 s1, 0x200
	;;#ASMSTART
	v_dot2_f32_f16 v42, v20, v4, v42
	;;#ASMEND
	;;#ASMSTART
	v_dot2_f32_f16 v43, v20, v0, v43
	;;#ASMEND
	;; [unrolled: 3-line block ×4, first 2 shown]
	s_cmp_ge_u32 s1, s4
	;;#ASMSTART
	v_dot2_f32_f16 v42, v22, v6, v42
	;;#ASMEND
	;;#ASMSTART
	v_dot2_f32_f16 v43, v22, v2, v43
	;;#ASMEND
	;; [unrolled: 3-line block ×4, first 2 shown]
	s_cbranch_scc1 .LBB12_34
.LBB12_24:                              ;   Parent Loop BB12_19 Depth=1
                                        ; =>  This Inner Loop Header: Depth=2
	v_add_nc_u32_e32 v35, s1, v37
	v_dual_mov_b32 v23, 0 :: v_dual_mov_b32 v22, 0
	v_dual_mov_b32 v21, 0 :: v_dual_mov_b32 v20, 0
	s_delay_alu instid0(VALU_DEP_3) | instskip(SKIP_3) | instid1(VALU_DEP_3)
	v_min_u32_e32 v27, s6, v35
	v_dual_mov_b32 v19, 0 :: v_dual_add_nc_u32 v34, 0x100, v35
	v_mov_b32_e32 v18, 0
	s_mov_b32 s2, exec_lo
	v_lshlrev_b64 v[0:1], 1, v[27:28]
	s_delay_alu instid0(VALU_DEP_3) | instskip(SKIP_1) | instid1(VALU_DEP_2)
	v_min_u32_e32 v27, s6, v34
	s_waitcnt vmcnt(0)
	v_add_co_u32 v4, vcc_lo, s14, v0
	s_delay_alu instid0(VALU_DEP_3) | instskip(NEXT) | instid1(VALU_DEP_3)
	v_add_co_ci_u32_e32 v5, vcc_lo, s15, v1, vcc_lo
	v_lshlrev_b64 v[0:1], 1, v[27:28]
	s_delay_alu instid0(VALU_DEP_3) | instskip(NEXT) | instid1(VALU_DEP_3)
	v_add_co_u32 v2, vcc_lo, v4, v30
	v_add_co_ci_u32_e32 v3, vcc_lo, v5, v31, vcc_lo
	s_delay_alu instid0(VALU_DEP_3) | instskip(NEXT) | instid1(VALU_DEP_4)
	v_add_co_u32 v6, vcc_lo, s14, v0
	v_add_co_ci_u32_e32 v7, vcc_lo, s15, v1, vcc_lo
	v_add_co_u32 v0, vcc_lo, v4, v32
	v_add_co_ci_u32_e32 v1, vcc_lo, v5, v33, vcc_lo
	s_delay_alu instid0(VALU_DEP_4) | instskip(NEXT) | instid1(VALU_DEP_4)
	v_add_co_u32 v4, vcc_lo, v6, v30
	v_add_co_ci_u32_e32 v5, vcc_lo, v7, v31, vcc_lo
	v_add_co_u32 v16, vcc_lo, v6, v32
	v_add_co_ci_u32_e32 v17, vcc_lo, v7, v33, vcc_lo
	s_clause 0x3
	global_load_b128 v[12:15], v[2:3], off slc dlc
	global_load_b128 v[8:11], v[0:1], off slc dlc
	;; [unrolled: 1-line block ×4, first 2 shown]
	v_dual_mov_b32 v16, 0 :: v_dual_mov_b32 v17, 0
	v_cmpx_gt_u32_e64 s4, v35
	s_cbranch_execz .LBB12_23
; %bb.25:                               ;   in Loop: Header=BB12_24 Depth=2
	s_mov_b32 s16, exec_lo
                                        ; implicit-def: $vgpr16
	v_cmpx_lt_u32_e32 0x7fff, v35
	s_xor_b32 s16, exec_lo, s16
	s_cbranch_execz .LBB12_27
; %bb.26:                               ;   in Loop: Header=BB12_24 Depth=2
	v_mov_b32_e32 v36, v28
	s_delay_alu instid0(VALU_DEP_1) | instskip(NEXT) | instid1(VALU_DEP_1)
	v_lshlrev_b64 v[16:17], 1, v[35:36]
	v_add_co_u32 v16, vcc_lo, s12, v16
	s_delay_alu instid0(VALU_DEP_2)
	v_add_co_ci_u32_e32 v17, vcc_lo, s13, v17, vcc_lo
	global_load_b128 v[16:19], v[16:17], off
.LBB12_27:                              ;   in Loop: Header=BB12_24 Depth=2
	s_and_not1_saveexec_b32 s16, s16
	s_cbranch_execz .LBB12_29
; %bb.28:                               ;   in Loop: Header=BB12_24 Depth=2
	s_waitcnt vmcnt(0)
	ds_load_b128 v[16:19], v44
.LBB12_29:                              ;   in Loop: Header=BB12_24 Depth=2
	s_or_b32 exec_lo, exec_lo, s16
	v_dual_mov_b32 v23, 0 :: v_dual_mov_b32 v22, 0
	v_dual_mov_b32 v21, 0 :: v_dual_mov_b32 v20, 0
	s_mov_b32 s16, exec_lo
	v_cmpx_gt_u32_e64 s4, v34
	s_cbranch_execz .LBB12_22
; %bb.30:                               ;   in Loop: Header=BB12_24 Depth=2
	s_mov_b32 s17, exec_lo
                                        ; implicit-def: $vgpr23
	v_cmpx_lt_u32_e32 0x7fff, v34
	s_xor_b32 s17, exec_lo, s17
	s_cbranch_execz .LBB12_32
; %bb.31:                               ;   in Loop: Header=BB12_24 Depth=2
	v_mov_b32_e32 v35, v28
	s_delay_alu instid0(VALU_DEP_1) | instskip(NEXT) | instid1(VALU_DEP_1)
	v_lshlrev_b64 v[20:21], 1, v[34:35]
	v_add_co_u32 v20, vcc_lo, s12, v20
	s_delay_alu instid0(VALU_DEP_2)
	v_add_co_ci_u32_e32 v21, vcc_lo, s13, v21, vcc_lo
	global_load_b128 v[20:23], v[20:21], off
.LBB12_32:                              ;   in Loop: Header=BB12_24 Depth=2
	s_and_not1_saveexec_b32 s17, s17
	s_cbranch_execz .LBB12_21
; %bb.33:                               ;   in Loop: Header=BB12_24 Depth=2
	s_waitcnt vmcnt(0)
	ds_load_b128 v[20:23], v44 offset:512
	s_branch .LBB12_21
.LBB12_34:                              ;   in Loop: Header=BB12_19 Depth=1
	s_delay_alu instid0(VALU_DEP_2) | instskip(SKIP_3) | instid1(VALU_DEP_3)
	v_cvt_i32_f32_e32 v0, v42
	s_waitcnt lgkmcnt(0)
	v_cvt_i32_f32_e32 v1, v43
	v_cmp_gt_i32_e32 vcc_lo, 32, v40
	v_cvt_f32_i32_dpp v0, v0 row_shr:8 row_mask:0xf bank_mask:0xf bound_ctrl:1
	s_delay_alu instid0(VALU_DEP_3) | instskip(SKIP_2) | instid1(VALU_DEP_2)
	v_cvt_f32_i32_dpp v1, v1 row_shr:8 row_mask:0xf bank_mask:0xf bound_ctrl:1
	s_waitcnt vmcnt(0)
	v_cndmask_b32_e32 v4, v38, v40, vcc_lo
	v_dual_add_f32 v0, v42, v0 :: v_dual_add_f32 v1, v43, v1
	s_delay_alu instid0(VALU_DEP_2) | instskip(NEXT) | instid1(VALU_DEP_2)
	v_lshlrev_b32_e32 v4, 2, v4
	v_cvt_i32_f32_e32 v2, v0
	s_delay_alu instid0(VALU_DEP_3) | instskip(NEXT) | instid1(VALU_DEP_2)
	v_cvt_i32_f32_e32 v3, v1
	v_cvt_f32_i32_dpp v2, v2 row_shr:4 row_mask:0xf bank_mask:0xf bound_ctrl:1
	s_delay_alu instid0(VALU_DEP_2) | instskip(NEXT) | instid1(VALU_DEP_1)
	v_cvt_f32_i32_dpp v3, v3 row_shr:4 row_mask:0xf bank_mask:0xf bound_ctrl:1
	v_dual_add_f32 v0, v0, v2 :: v_dual_add_f32 v1, v1, v3
	s_delay_alu instid0(VALU_DEP_1) | instskip(NEXT) | instid1(VALU_DEP_2)
	v_cvt_i32_f32_e32 v2, v0
	v_cvt_i32_f32_e32 v3, v1
	s_delay_alu instid0(VALU_DEP_2) | instskip(NEXT) | instid1(VALU_DEP_2)
	v_cvt_f32_i32_dpp v2, v2 row_shr:2 row_mask:0xf bank_mask:0xf bound_ctrl:1
	v_cvt_f32_i32_dpp v3, v3 row_shr:2 row_mask:0xf bank_mask:0xf bound_ctrl:1
	s_delay_alu instid0(VALU_DEP_1) | instskip(NEXT) | instid1(VALU_DEP_1)
	v_dual_add_f32 v0, v0, v2 :: v_dual_add_f32 v1, v1, v3
	v_cvt_i32_f32_e32 v2, v0
	s_delay_alu instid0(VALU_DEP_2) | instskip(NEXT) | instid1(VALU_DEP_2)
	v_cvt_i32_f32_e32 v3, v1
	v_cvt_f32_i32_dpp v2, v2 row_shr:1 row_mask:0xf bank_mask:0xf bound_ctrl:1
	s_delay_alu instid0(VALU_DEP_2) | instskip(NEXT) | instid1(VALU_DEP_2)
	v_cvt_f32_i32_dpp v3, v3 row_shr:1 row_mask:0xf bank_mask:0xf bound_ctrl:1
	v_add_f32_e32 v2, v0, v2
	s_delay_alu instid0(VALU_DEP_2)
	v_add_f32_e32 v0, v1, v3
	ds_bpermute_b32 v3, v4, v2
	ds_bpermute_b32 v1, v4, v0
	s_and_saveexec_b32 s1, s0
	s_cbranch_execz .LBB12_41
; %bb.35:                               ;   in Loop: Header=BB12_19 Depth=1
	v_dual_mov_b32 v4, 0 :: v_dual_mov_b32 v5, 0
	s_and_not1_b32 vcc_lo, exec_lo, s20
	s_cbranch_vccnz .LBB12_37
; %bb.36:                               ;   in Loop: Header=BB12_19 Depth=1
	v_mul_hi_u32 v4, v26, v41
	v_mul_hi_u32 v5, v29, v41
	s_delay_alu instid0(VALU_DEP_2) | instskip(NEXT) | instid1(VALU_DEP_2)
	v_mul_lo_u32 v4, v4, s18
	v_mul_lo_u32 v5, v5, s18
	s_delay_alu instid0(VALU_DEP_2) | instskip(NEXT) | instid1(VALU_DEP_2)
	v_sub_nc_u32_e32 v4, v26, v4
	v_sub_nc_u32_e32 v5, v29, v5
	s_delay_alu instid0(VALU_DEP_2) | instskip(SKIP_1) | instid1(VALU_DEP_2)
	v_subrev_nc_u32_e32 v6, s18, v4
	v_cmp_le_u32_e32 vcc_lo, s18, v4
	v_cndmask_b32_e32 v4, v4, v6, vcc_lo
	s_delay_alu instid0(VALU_DEP_4) | instskip(SKIP_1) | instid1(VALU_DEP_3)
	v_subrev_nc_u32_e32 v6, s18, v5
	v_cmp_le_u32_e32 vcc_lo, s18, v5
	v_subrev_nc_u32_e32 v7, s18, v4
	s_delay_alu instid0(VALU_DEP_3) | instskip(SKIP_1) | instid1(VALU_DEP_3)
	v_cndmask_b32_e32 v6, v5, v6, vcc_lo
	v_cmp_le_u32_e32 vcc_lo, s18, v4
	v_cndmask_b32_e32 v27, v4, v7, vcc_lo
	s_delay_alu instid0(VALU_DEP_3) | instskip(SKIP_1) | instid1(VALU_DEP_3)
	v_subrev_nc_u32_e32 v7, s18, v6
	v_cmp_le_u32_e32 vcc_lo, s18, v6
	v_lshlrev_b64 v[4:5], 1, v[27:28]
	s_delay_alu instid0(VALU_DEP_3) | instskip(NEXT) | instid1(VALU_DEP_2)
	v_cndmask_b32_e32 v27, v6, v7, vcc_lo
	v_add_co_u32 v4, vcc_lo, s8, v4
	s_delay_alu instid0(VALU_DEP_2) | instskip(NEXT) | instid1(VALU_DEP_4)
	v_lshlrev_b64 v[6:7], 1, v[27:28]
	v_add_co_ci_u32_e32 v5, vcc_lo, s9, v5, vcc_lo
	s_delay_alu instid0(VALU_DEP_2) | instskip(NEXT) | instid1(VALU_DEP_3)
	v_add_co_u32 v6, vcc_lo, s8, v6
	v_add_co_ci_u32_e32 v7, vcc_lo, s9, v7, vcc_lo
	s_clause 0x1
	global_load_u16 v5, v[4:5], off
	global_load_u16 v4, v[6:7], off
.LBB12_37:                              ;   in Loop: Header=BB12_19 Depth=1
	s_mov_b32 s2, exec_lo
	v_cmpx_ne_u32_e32 0, v24
	s_cbranch_execz .LBB12_39
; %bb.38:                               ;   in Loop: Header=BB12_19 Depth=1
	s_waitcnt lgkmcnt(1)
	v_dual_add_f32 v2, v2, v3 :: v_dual_mov_b32 v27, v28
	s_waitcnt vmcnt(1)
	v_cvt_f32_f16_e32 v3, v5
	s_delay_alu instid0(VALU_DEP_1) | instskip(NEXT) | instid1(VALU_DEP_3)
	v_add_f32_e32 v5, v2, v3
	v_lshlrev_b64 v[2:3], 1, v[26:27]
	s_delay_alu instid0(VALU_DEP_2) | instskip(NEXT) | instid1(VALU_DEP_2)
	v_cvt_f16_f32_e32 v5, v5
	v_add_co_u32 v2, vcc_lo, s10, v2
	s_delay_alu instid0(VALU_DEP_3)
	v_add_co_ci_u32_e32 v3, vcc_lo, s11, v3, vcc_lo
	global_store_b16 v[2:3], v5, off
.LBB12_39:                              ;   in Loop: Header=BB12_19 Depth=1
	s_or_b32 exec_lo, exec_lo, s2
	v_cmp_ne_u32_e32 vcc_lo, 0, v25
	s_and_b32 exec_lo, exec_lo, vcc_lo
	s_cbranch_execz .LBB12_41
; %bb.40:                               ;   in Loop: Header=BB12_19 Depth=1
	s_waitcnt lgkmcnt(0)
	v_add_f32_e32 v0, v0, v1
	s_waitcnt vmcnt(0)
	v_cvt_f32_f16_e32 v1, v4
	v_mov_b32_e32 v30, v28
	s_delay_alu instid0(VALU_DEP_2) | instskip(NEXT) | instid1(VALU_DEP_2)
	v_add_f32_e32 v2, v0, v1
	v_lshlrev_b64 v[0:1], 1, v[29:30]
	s_delay_alu instid0(VALU_DEP_2) | instskip(NEXT) | instid1(VALU_DEP_2)
	v_cvt_f16_f32_e32 v2, v2
	v_add_co_u32 v0, vcc_lo, s10, v0
	s_delay_alu instid0(VALU_DEP_3)
	v_add_co_ci_u32_e32 v1, vcc_lo, s11, v1, vcc_lo
	global_store_b16 v[0:1], v2, off
.LBB12_41:                              ;   in Loop: Header=BB12_19 Depth=1
	s_or_b32 exec_lo, exec_lo, s1
	v_add_nc_u32_e32 v26, s22, v26
	s_delay_alu instid0(VALU_DEP_1) | instskip(SKIP_1) | instid1(VALU_DEP_2)
	v_add_nc_u32_e32 v0, 2, v26
	v_cmp_gt_u32_e32 vcc_lo, s7, v26
	v_cmp_le_u32_e64 s1, s7, v0
	s_delay_alu instid0(VALU_DEP_1) | instskip(NEXT) | instid1(SALU_CYCLE_1)
	s_and_b32 s1, vcc_lo, s1
	s_and_saveexec_b32 s24, s1
	s_cbranch_execz .LBB12_18
; %bb.42:                               ;   in Loop: Header=BB12_19 Depth=1
	s_mov_b32 s25, exec_lo
	v_cmpx_ne_u32_e64 s23, v26
	s_cbranch_execz .LBB12_17
; %bb.43:                               ;   in Loop: Header=BB12_19 Depth=1
	v_subrev_nc_u32_e32 v0, s23, v26
	s_mov_b32 s26, 0
	s_mov_b64 s[16:17], 0
	s_delay_alu instid0(VALU_DEP_1)
	v_cmp_lt_u32_e32 vcc_lo, 1, v0
	v_cndmask_b32_e32 v0, 1, v0, vcc_lo
.LBB12_44:                              ;   Parent Loop BB12_19 Depth=1
                                        ; =>  This Inner Loop Header: Depth=2
	s_cmp_lg_u32 s16, 1
	s_cselect_b32 vcc_lo, -1, 0
	s_cmp_lg_u32 s16, 0
	v_cndmask_b32_e32 v25, 0, v25, vcc_lo
	s_cselect_b32 s1, -1, 0
	s_add_u32 s16, s16, 1
	v_cndmask_b32_e64 v24, 0, v24, s1
	v_cmp_eq_u32_e64 s2, s16, v0
	s_addc_u32 s17, s17, 0
	s_delay_alu instid0(VALU_DEP_1) | instskip(NEXT) | instid1(SALU_CYCLE_1)
	s_or_b32 s26, s2, s26
	s_and_not1_b32 exec_lo, exec_lo, s26
	s_cbranch_execnz .LBB12_44
; %bb.45:                               ;   in Loop: Header=BB12_19 Depth=1
	s_or_b32 exec_lo, exec_lo, s26
	s_branch .LBB12_17
.LBB12_46:
	s_nop 0
	s_sendmsg sendmsg(MSG_DEALLOC_VGPRS)
	s_endpgm
	.section	.rodata,"a",@progbits
	.p2align	6, 0x0
	.amdhsa_kernel _Z12wvSplitK_hf_I6__halfLi32ELi2ELi16ELi8ELi2ELi1EEviiiiiiPKT_S3_S3_PS1_ii
		.amdhsa_group_segment_fixed_size 65536
		.amdhsa_private_segment_fixed_size 0
		.amdhsa_kernarg_size 64
		.amdhsa_user_sgpr_count 15
		.amdhsa_user_sgpr_dispatch_ptr 0
		.amdhsa_user_sgpr_queue_ptr 0
		.amdhsa_user_sgpr_kernarg_segment_ptr 1
		.amdhsa_user_sgpr_dispatch_id 0
		.amdhsa_user_sgpr_private_segment_size 0
		.amdhsa_wavefront_size32 1
		.amdhsa_uses_dynamic_stack 0
		.amdhsa_enable_private_segment 0
		.amdhsa_system_sgpr_workgroup_id_x 1
		.amdhsa_system_sgpr_workgroup_id_y 0
		.amdhsa_system_sgpr_workgroup_id_z 0
		.amdhsa_system_sgpr_workgroup_info 0
		.amdhsa_system_vgpr_workitem_id 1
		.amdhsa_next_free_vgpr 45
		.amdhsa_next_free_sgpr 27
		.amdhsa_reserve_vcc 1
		.amdhsa_float_round_mode_32 0
		.amdhsa_float_round_mode_16_64 0
		.amdhsa_float_denorm_mode_32 3
		.amdhsa_float_denorm_mode_16_64 3
		.amdhsa_dx10_clamp 1
		.amdhsa_ieee_mode 1
		.amdhsa_fp16_overflow 0
		.amdhsa_workgroup_processor_mode 1
		.amdhsa_memory_ordered 1
		.amdhsa_forward_progress 0
		.amdhsa_shared_vgpr_count 0
		.amdhsa_exception_fp_ieee_invalid_op 0
		.amdhsa_exception_fp_denorm_src 0
		.amdhsa_exception_fp_ieee_div_zero 0
		.amdhsa_exception_fp_ieee_overflow 0
		.amdhsa_exception_fp_ieee_underflow 0
		.amdhsa_exception_fp_ieee_inexact 0
		.amdhsa_exception_int_div_zero 0
	.end_amdhsa_kernel
	.section	.text._Z12wvSplitK_hf_I6__halfLi32ELi2ELi16ELi8ELi2ELi1EEviiiiiiPKT_S3_S3_PS1_ii,"axG",@progbits,_Z12wvSplitK_hf_I6__halfLi32ELi2ELi16ELi8ELi2ELi1EEviiiiiiPKT_S3_S3_PS1_ii,comdat
.Lfunc_end12:
	.size	_Z12wvSplitK_hf_I6__halfLi32ELi2ELi16ELi8ELi2ELi1EEviiiiiiPKT_S3_S3_PS1_ii, .Lfunc_end12-_Z12wvSplitK_hf_I6__halfLi32ELi2ELi16ELi8ELi2ELi1EEviiiiiiPKT_S3_S3_PS1_ii
                                        ; -- End function
	.section	.AMDGPU.csdata,"",@progbits
; Kernel info:
; codeLenInByte = 2652
; NumSgprs: 29
; NumVgprs: 45
; ScratchSize: 0
; MemoryBound: 0
; FloatMode: 240
; IeeeMode: 1
; LDSByteSize: 65536 bytes/workgroup (compile time only)
; SGPRBlocks: 3
; VGPRBlocks: 5
; NumSGPRsForWavesPerEU: 29
; NumVGPRsForWavesPerEU: 45
; Occupancy: 8
; WaveLimiterHint : 0
; COMPUTE_PGM_RSRC2:SCRATCH_EN: 0
; COMPUTE_PGM_RSRC2:USER_SGPR: 15
; COMPUTE_PGM_RSRC2:TRAP_HANDLER: 0
; COMPUTE_PGM_RSRC2:TGID_X_EN: 1
; COMPUTE_PGM_RSRC2:TGID_Y_EN: 0
; COMPUTE_PGM_RSRC2:TGID_Z_EN: 0
; COMPUTE_PGM_RSRC2:TIDIG_COMP_CNT: 1
	.section	.text._Z16wvSplitK_hf_big_I6__halfLi32ELi2ELi16ELi8ELi2ELi1EEviiiiiiPKT_S3_S3_PS1_ii,"axG",@progbits,_Z16wvSplitK_hf_big_I6__halfLi32ELi2ELi16ELi8ELi2ELi1EEviiiiiiPKT_S3_S3_PS1_ii,comdat
	.protected	_Z16wvSplitK_hf_big_I6__halfLi32ELi2ELi16ELi8ELi2ELi1EEviiiiiiPKT_S3_S3_PS1_ii ; -- Begin function _Z16wvSplitK_hf_big_I6__halfLi32ELi2ELi16ELi8ELi2ELi1EEviiiiiiPKT_S3_S3_PS1_ii
	.globl	_Z16wvSplitK_hf_big_I6__halfLi32ELi2ELi16ELi8ELi2ELi1EEviiiiiiPKT_S3_S3_PS1_ii
	.p2align	8
	.type	_Z16wvSplitK_hf_big_I6__halfLi32ELi2ELi16ELi8ELi2ELi1EEviiiiiiPKT_S3_S3_PS1_ii,@function
_Z16wvSplitK_hf_big_I6__halfLi32ELi2ELi16ELi8ELi2ELi1EEviiiiiiPKT_S3_S3_PS1_ii: ; @_Z16wvSplitK_hf_big_I6__halfLi32ELi2ELi16ELi8ELi2ELi1EEviiiiiiPKT_S3_S3_PS1_ii
; %bb.0:
	s_load_b64 s[12:13], s[0:1], 0x38
	v_bfe_u32 v1, v0, 10, 10
	s_mov_b32 s2, exec_lo
	s_waitcnt lgkmcnt(0)
	s_delay_alu instid0(VALU_DEP_1)
	v_cmpx_gt_u32_e64 s12, v1
	s_cbranch_execz .LBB13_44
; %bb.1:
	s_load_b128 s[16:19], s[0:1], 0x0
	s_mul_i32 s15, s15, s12
	s_mov_b32 s4, 1
	v_add_lshl_u32 v26, s15, v1, 1
	s_mov_b32 s5, s4
	s_delay_alu instid0(SALU_CYCLE_1) | instskip(NEXT) | instid1(VALU_DEP_2)
	v_dual_mov_b32 v25, s5 :: v_dual_mov_b32 v24, s4
	v_add_nc_u32_e32 v2, 2, v26
	s_waitcnt lgkmcnt(0)
	v_cmp_gt_u32_e32 vcc_lo, s19, v26
	s_delay_alu instid0(VALU_DEP_2) | instskip(NEXT) | instid1(VALU_DEP_1)
	v_cmp_le_u32_e64 s2, s19, v2
	s_and_b32 s2, vcc_lo, s2
	s_delay_alu instid0(SALU_CYCLE_1)
	s_and_saveexec_b32 s6, s2
	s_cbranch_execz .LBB13_7
; %bb.2:
	v_dual_mov_b32 v25, s5 :: v_dual_mov_b32 v24, s4
	s_add_i32 s7, s19, -2
	s_mov_b32 s8, exec_lo
	v_cmpx_ne_u32_e64 s7, v26
	s_cbranch_execz .LBB13_6
; %bb.3:
	v_subrev_nc_u32_e32 v2, s7, v26
	s_mov_b32 s2, 1
	s_mov_b32 s9, 0
	s_mov_b64 s[4:5], 0
	s_mov_b32 s3, s2
	v_cmp_lt_u32_e32 vcc_lo, 1, v2
	v_cndmask_b32_e32 v2, 1, v2, vcc_lo
.LBB13_4:                               ; =>This Inner Loop Header: Depth=1
	s_cmp_lg_u32 s4, 1
	s_cselect_b32 s3, s3, 0
	s_cmp_lg_u32 s4, 0
	s_cselect_b32 s2, s2, 0
	s_add_u32 s4, s4, 1
	v_dual_mov_b32 v25, s3 :: v_dual_mov_b32 v24, s2
	v_cmp_eq_u32_e32 vcc_lo, s4, v2
	s_addc_u32 s5, s5, 0
	s_or_b32 s9, vcc_lo, s9
	s_delay_alu instid0(SALU_CYCLE_1)
	s_and_not1_b32 exec_lo, exec_lo, s9
	s_cbranch_execnz .LBB13_4
; %bb.5:
	s_or_b32 exec_lo, exec_lo, s9
	v_mov_b32_e32 v26, s7
.LBB13_6:
	s_or_b32 exec_lo, exec_lo, s8
.LBB13_7:
	s_delay_alu instid0(SALU_CYCLE_1)
	s_or_b32 exec_lo, exec_lo, s6
	s_lshl_b32 s2, s12, 1
	s_abs_i32 s6, s19
	s_abs_i32 s3, s2
	s_mov_b32 s14, 0
	v_cvt_f32_u32_e32 v2, s3
	s_sub_i32 s5, 0, s3
	s_delay_alu instid0(VALU_DEP_1) | instskip(SKIP_2) | instid1(VALU_DEP_1)
	v_rcp_iflag_f32_e32 v2, v2
	s_waitcnt_depctr 0xfff
	v_mul_f32_e32 v2, 0x4f7ffffe, v2
	v_cvt_u32_f32_e32 v2, v2
	s_delay_alu instid0(VALU_DEP_1) | instskip(NEXT) | instid1(VALU_DEP_1)
	v_readfirstlane_b32 s4, v2
	s_mul_i32 s5, s5, s4
	s_delay_alu instid0(SALU_CYCLE_1) | instskip(NEXT) | instid1(SALU_CYCLE_1)
	s_mul_hi_u32 s5, s4, s5
	s_add_i32 s4, s4, s5
	s_ashr_i32 s5, s19, 31
	s_mul_hi_u32 s4, s6, s4
	s_delay_alu instid0(SALU_CYCLE_1) | instskip(NEXT) | instid1(SALU_CYCLE_1)
	s_mul_i32 s4, s4, s3
	s_sub_i32 s4, s6, s4
	s_delay_alu instid0(SALU_CYCLE_1) | instskip(SKIP_2) | instid1(SALU_CYCLE_1)
	s_sub_i32 s6, s4, s3
	s_cmp_ge_u32 s4, s3
	s_cselect_b32 s4, s6, s4
	s_sub_i32 s6, s4, s3
	s_cmp_ge_u32 s4, s3
	s_cselect_b32 s3, s6, s4
	s_add_i32 s2, s2, s19
	s_xor_b32 s3, s3, s5
	s_delay_alu instid0(SALU_CYCLE_1) | instskip(NEXT) | instid1(SALU_CYCLE_1)
	s_sub_i32 s3, s3, s5
	s_sub_i32 s2, s2, s3
	s_cmp_eq_u32 s3, 0
	s_cselect_b32 s3, s19, s2
	s_delay_alu instid0(SALU_CYCLE_1)
	v_cmp_gt_u32_e32 vcc_lo, s3, v26
	s_and_b32 exec_lo, exec_lo, vcc_lo
	s_cbranch_execz .LBB13_44
; %bb.8:
	s_clause 0x1
	s_load_b32 s15, s[0:1], 0x10
	s_load_b256 s[4:11], s[0:1], 0x18
	s_min_u32 s20, s18, 0x8000
	s_cmp_lg_u32 s16, 0
	s_mul_i32 s0, s13, s12
	s_cselect_b32 s21, -1, 0
	s_cmp_lg_u32 s18, 0
	v_and_b32_e32 v0, 0x3ff, v0
	s_cselect_b32 s22, -1, 0
	s_lshl_b32 s23, s12, 8
	s_add_i32 s24, s16, -8
	s_add_i32 s25, s19, -1
	s_lshl_b32 s26, s0, 1
	v_mbcnt_lo_u32_b32 v33, -1, 0
	v_lshlrev_b32_e32 v4, 4, v0
	v_lshlrev_b32_e32 v34, 3, v0
	v_mov_b32_e32 v28, 0
	s_delay_alu instid0(VALU_DEP_4) | instskip(NEXT) | instid1(VALU_DEP_4)
	v_xor_b32_e32 v35, 16, v33
	v_lshl_add_u32 v36, v1, 9, v4
	s_waitcnt lgkmcnt(0)
	v_cvt_f32_u32_e32 v2, s15
	s_cmp_lg_u64 s[8:9], 0
	v_lshl_add_u32 v37, v1, 8, v34
	s_cselect_b32 s27, -1, 0
	s_sub_i32 s0, 0, s15
	v_rcp_iflag_f32_e32 v2, v2
	s_add_i32 s28, s19, -2
	s_add_u32 s29, s10, 2
	s_addc_u32 s30, s11, 0
	s_lshl_b32 s31, s12, 9
	s_waitcnt_depctr 0xfff
	v_mul_f32_e32 v2, 0x4f7ffffe, v2
	s_delay_alu instid0(VALU_DEP_1) | instskip(NEXT) | instid1(VALU_DEP_1)
	v_cvt_u32_f32_e32 v2, v2
	v_mul_lo_u32 v3, s0, v2
	v_cmp_eq_u32_e64 s0, 31, v0
	s_delay_alu instid0(VALU_DEP_2) | instskip(NEXT) | instid1(VALU_DEP_1)
	v_mul_hi_u32 v3, v2, v3
	v_add_nc_u32_e32 v38, v2, v3
	s_branch .LBB13_12
.LBB13_9:                               ;   in Loop: Header=BB13_12 Depth=1
	s_or_b32 exec_lo, exec_lo, s35
	v_mov_b32_e32 v26, s28
.LBB13_10:                              ;   in Loop: Header=BB13_12 Depth=1
	s_or_b32 exec_lo, exec_lo, s34
.LBB13_11:                              ;   in Loop: Header=BB13_12 Depth=1
	s_delay_alu instid0(SALU_CYCLE_1) | instskip(NEXT) | instid1(VALU_DEP_1)
	s_or_b32 exec_lo, exec_lo, s33
	v_cmp_le_u32_e32 vcc_lo, s3, v26
	s_or_b32 s14, vcc_lo, s14
	s_delay_alu instid0(SALU_CYCLE_1)
	s_and_not1_b32 exec_lo, exec_lo, s14
	s_cbranch_execz .LBB13_44
.LBB13_12:                              ; =>This Loop Header: Depth=1
                                        ;     Child Loop BB13_17 Depth 2
                                        ;       Child Loop BB13_22 Depth 3
                                        ;     Child Loop BB13_42 Depth 2
	v_mov_b32_e32 v40, v28
	v_mov_b32_e32 v39, v28
	s_and_not1_b32 vcc_lo, exec_lo, s21
	s_mov_b32 s12, 0
	s_cbranch_vccnz .LBB13_29
; %bb.13:                               ;   in Loop: Header=BB13_12 Depth=1
	v_add_nc_u32_e32 v0, 1, v26
	s_waitcnt lgkmcnt(0)
	v_min_u32_e32 v1, s25, v26
	v_cmp_gt_u32_e64 s1, s19, v26
	v_dual_mov_b32 v39, 0 :: v_dual_mov_b32 v40, 0
	s_mov_b32 s13, 0
	s_delay_alu instid0(VALU_DEP_3) | instskip(SKIP_2) | instid1(VALU_DEP_1)
	v_mul_lo_u32 v27, v1, s17
	v_mov_b32_e32 v1, v28
	v_min_u32_e32 v0, s25, v0
	v_mul_lo_u32 v0, v0, s17
	s_delay_alu instid0(VALU_DEP_4) | instskip(NEXT) | instid1(VALU_DEP_2)
	v_lshlrev_b64 v[29:30], 1, v[27:28]
	v_lshlrev_b64 v[31:32], 1, v[0:1]
	s_branch .LBB13_17
.LBB13_14:                              ;   in Loop: Header=BB13_17 Depth=2
	s_or_b32 exec_lo, exec_lo, s34
.LBB13_15:                              ;   in Loop: Header=BB13_17 Depth=2
	s_delay_alu instid0(SALU_CYCLE_1)
	s_or_b32 exec_lo, exec_lo, s33
	s_waitcnt vmcnt(3) lgkmcnt(0)
	;;#ASMSTART
	v_dot2_f32_f16 v39, v16, v20, v39
	;;#ASMEND
	s_waitcnt vmcnt(2)
	;;#ASMSTART
	v_dot2_f32_f16 v40, v16, v12, v40
	;;#ASMEND
	;;#ASMSTART
	v_dot2_f32_f16 v39, v17, v21, v39
	;;#ASMEND
	;; [unrolled: 3-line block ×7, first 2 shown]
	s_waitcnt vmcnt(1)
	;;#ASMSTART
	v_dot2_f32_f16 v39, v4, v8, v39
	;;#ASMEND
	s_waitcnt vmcnt(0)
	;;#ASMSTART
	v_dot2_f32_f16 v40, v4, v0, v40
	;;#ASMEND
	;;#ASMSTART
	v_dot2_f32_f16 v39, v5, v9, v39
	;;#ASMEND
	;; [unrolled: 3-line block ×7, first 2 shown]
.LBB13_16:                              ;   in Loop: Header=BB13_17 Depth=2
	s_or_b32 exec_lo, exec_lo, s2
	s_addk_i32 s13, 0x200
	s_delay_alu instid0(SALU_CYCLE_1)
	s_cmp_ge_u32 s13, s16
	s_cbranch_scc1 .LBB13_29
.LBB13_17:                              ;   Parent Loop BB13_12 Depth=1
                                        ; =>  This Loop Header: Depth=2
                                        ;       Child Loop BB13_22 Depth 3
	s_cmp_eq_u32 s13, 0
	s_cselect_b32 s33, -1, 0
	s_add_i32 s2, s12, s20
	s_delay_alu instid0(SALU_CYCLE_1) | instskip(SKIP_1) | instid1(SALU_CYCLE_1)
	s_cmp_eq_u32 s13, s2
	s_cselect_b32 s34, -1, 0
	s_or_b32 s34, s33, s34
	s_delay_alu instid0(SALU_CYCLE_1)
	s_and_not1_b32 vcc_lo, exec_lo, s34
	s_cbranch_vccz .LBB13_19
; %bb.18:                               ;   in Loop: Header=BB13_17 Depth=2
	s_and_saveexec_b32 s2, s1
	s_cbranch_execz .LBB13_16
	s_branch .LBB13_26
.LBB13_19:                              ;   in Loop: Header=BB13_17 Depth=2
	s_and_b32 s33, s33, exec_lo
	s_cselect_b32 s12, s12, s2
	s_and_not1_b32 vcc_lo, exec_lo, s22
	s_waitcnt vmcnt(0)
	s_waitcnt_vscnt null, 0x0
	s_barrier
	buffer_gl0_inv
	s_cbranch_vccnz .LBB13_25
; %bb.20:                               ;   in Loop: Header=BB13_17 Depth=2
	v_dual_mov_b32 v1, v36 :: v_dual_add_nc_u32 v0, s12, v37
	s_mov_b32 s33, 0
	s_mov_b32 s34, 0
                                        ; implicit-def: $sgpr35
	s_set_inst_prefetch_distance 0x1
	s_branch .LBB13_22
	.p2align	6
.LBB13_21:                              ;   in Loop: Header=BB13_22 Depth=3
	s_or_b32 exec_lo, exec_lo, s2
	s_delay_alu instid0(SALU_CYCLE_1) | instskip(NEXT) | instid1(SALU_CYCLE_1)
	s_and_b32 s2, exec_lo, s35
	s_or_b32 s33, s2, s33
	s_delay_alu instid0(SALU_CYCLE_1)
	s_and_not1_b32 exec_lo, exec_lo, s33
	s_cbranch_execz .LBB13_24
.LBB13_22:                              ;   Parent Loop BB13_12 Depth=1
                                        ;     Parent Loop BB13_17 Depth=2
                                        ; =>    This Inner Loop Header: Depth=3
	v_add_nc_u32_e32 v27, s34, v0
	v_add_nc_u32_e32 v2, s34, v37
	s_or_b32 s35, s35, exec_lo
	s_delay_alu instid0(VALU_DEP_2) | instskip(NEXT) | instid1(VALU_DEP_2)
	v_cmp_gt_u32_e32 vcc_lo, s18, v27
	v_cmp_gt_u32_e64 s2, s20, v2
	s_delay_alu instid0(VALU_DEP_1) | instskip(NEXT) | instid1(SALU_CYCLE_1)
	s_and_b32 s36, s2, vcc_lo
	s_and_saveexec_b32 s2, s36
	s_cbranch_execz .LBB13_21
; %bb.23:                               ;   in Loop: Header=BB13_22 Depth=3
	v_lshlrev_b64 v[2:3], 1, v[27:28]
	s_add_i32 s34, s34, s23
	s_delay_alu instid0(SALU_CYCLE_1) | instskip(SKIP_1) | instid1(VALU_DEP_1)
	s_cmp_ge_u32 s34, s20
	s_cselect_b32 s36, -1, 0
	v_add_co_u32 v2, vcc_lo, s6, v2
	s_delay_alu instid0(VALU_DEP_2) | instskip(SKIP_2) | instid1(SALU_CYCLE_1)
	v_add_co_ci_u32_e32 v3, vcc_lo, s7, v3, vcc_lo
	s_and_not1_b32 s35, s35, exec_lo
	s_and_b32 s36, s36, exec_lo
	s_or_b32 s35, s35, s36
	global_load_b128 v[2:5], v[2:3], off
	s_waitcnt vmcnt(0)
	ds_store_b128 v1, v[2:5]
	v_add_nc_u32_e32 v1, s31, v1
	s_branch .LBB13_21
.LBB13_24:                              ;   in Loop: Header=BB13_17 Depth=2
	s_set_inst_prefetch_distance 0x2
	s_or_b32 exec_lo, exec_lo, s33
.LBB13_25:                              ;   in Loop: Header=BB13_17 Depth=2
	s_waitcnt lgkmcnt(0)
	s_barrier
	buffer_gl0_inv
	s_and_saveexec_b32 s2, s1
	s_cbranch_execz .LBB13_16
.LBB13_26:                              ;   in Loop: Header=BB13_17 Depth=2
	v_dual_mov_b32 v18, 0 :: v_dual_add_nc_u32 v41, s13, v34
	v_dual_mov_b32 v17, 0 :: v_dual_mov_b32 v16, 0
	s_mov_b32 s33, exec_lo
	s_delay_alu instid0(VALU_DEP_2) | instskip(SKIP_1) | instid1(VALU_DEP_2)
	v_min_u32_e32 v27, s24, v41
	v_dual_mov_b32 v19, 0 :: v_dual_add_nc_u32 v42, 0x100, v41
	v_lshlrev_b64 v[0:1], 1, v[27:28]
	s_delay_alu instid0(VALU_DEP_2) | instskip(SKIP_1) | instid1(VALU_DEP_2)
	v_min_u32_e32 v27, s24, v42
	s_waitcnt vmcnt(0)
	v_add_co_u32 v4, vcc_lo, s4, v0
	s_delay_alu instid0(VALU_DEP_3) | instskip(NEXT) | instid1(VALU_DEP_3)
	v_add_co_ci_u32_e32 v5, vcc_lo, s5, v1, vcc_lo
	v_lshlrev_b64 v[0:1], 1, v[27:28]
	s_delay_alu instid0(VALU_DEP_3) | instskip(NEXT) | instid1(VALU_DEP_3)
	v_add_co_u32 v2, vcc_lo, v4, v29
	v_add_co_ci_u32_e32 v3, vcc_lo, v5, v30, vcc_lo
	s_delay_alu instid0(VALU_DEP_3) | instskip(NEXT) | instid1(VALU_DEP_4)
	v_add_co_u32 v6, vcc_lo, s4, v0
	v_add_co_ci_u32_e32 v7, vcc_lo, s5, v1, vcc_lo
	v_add_co_u32 v0, vcc_lo, v4, v31
	v_add_co_ci_u32_e32 v1, vcc_lo, v5, v32, vcc_lo
	s_delay_alu instid0(VALU_DEP_4) | instskip(NEXT) | instid1(VALU_DEP_4)
	v_add_co_u32 v4, vcc_lo, v6, v29
	v_add_co_ci_u32_e32 v5, vcc_lo, v7, v30, vcc_lo
	v_add_co_u32 v6, vcc_lo, v6, v31
	v_add_co_ci_u32_e32 v7, vcc_lo, v7, v32, vcc_lo
	s_clause 0x3
	global_load_b128 v[20:23], v[2:3], off slc dlc
	global_load_b128 v[12:15], v[0:1], off slc dlc
	;; [unrolled: 1-line block ×4, first 2 shown]
	v_dual_mov_b32 v4, 0 :: v_dual_mov_b32 v5, 0
	v_dual_mov_b32 v6, 0 :: v_dual_mov_b32 v7, 0
	v_cmpx_gt_u32_e64 s16, v41
	s_cbranch_execz .LBB13_15
; %bb.27:                               ;   in Loop: Header=BB13_17 Depth=2
	v_subrev_nc_u32_e32 v4, s12, v41
	v_mov_b32_e32 v7, 0
	v_mov_b32_e32 v5, 0
	s_mov_b32 s34, exec_lo
	s_delay_alu instid0(VALU_DEP_3)
	v_dual_mov_b32 v6, 0 :: v_dual_lshlrev_b32 v27, 1, v4
	v_mov_b32_e32 v4, 0
	ds_load_b128 v[16:19], v27
	v_cmpx_gt_u32_e64 s16, v42
	s_cbranch_execz .LBB13_14
; %bb.28:                               ;   in Loop: Header=BB13_17 Depth=2
	ds_load_b128 v[4:7], v27 offset:512
	s_branch .LBB13_14
.LBB13_29:                              ;   in Loop: Header=BB13_12 Depth=1
	s_mov_b32 s1, exec_lo
	v_cmpx_le_u32_e64 s19, v26
	s_xor_b32 s1, exec_lo, s1
; %bb.30:                               ;   in Loop: Header=BB13_12 Depth=1
	v_add_nc_u32_e32 v26, s26, v26
                                        ; implicit-def: $vgpr39
                                        ; implicit-def: $vgpr40
; %bb.31:                               ;   in Loop: Header=BB13_12 Depth=1
	s_and_not1_saveexec_b32 s33, s1
	s_cbranch_execz .LBB13_11
; %bb.32:                               ;   in Loop: Header=BB13_12 Depth=1
	v_cvt_i32_f32_e32 v0, v39
	s_waitcnt lgkmcnt(0)
	v_cvt_i32_f32_e32 v1, v40
	v_cmp_gt_i32_e32 vcc_lo, 32, v35
	s_delay_alu instid0(VALU_DEP_3) | instskip(NEXT) | instid1(VALU_DEP_3)
	v_cvt_f32_i32_dpp v0, v0 row_shr:8 row_mask:0xf bank_mask:0xf bound_ctrl:1
	v_cvt_f32_i32_dpp v1, v1 row_shr:8 row_mask:0xf bank_mask:0xf bound_ctrl:1
	s_waitcnt vmcnt(0)
	v_cndmask_b32_e32 v4, v33, v35, vcc_lo
	s_delay_alu instid0(VALU_DEP_2) | instskip(NEXT) | instid1(VALU_DEP_2)
	v_dual_add_f32 v0, v39, v0 :: v_dual_add_f32 v1, v40, v1
	v_lshlrev_b32_e32 v4, 2, v4
	s_delay_alu instid0(VALU_DEP_2) | instskip(NEXT) | instid1(VALU_DEP_3)
	v_cvt_i32_f32_e32 v2, v0
	v_cvt_i32_f32_e32 v3, v1
	s_delay_alu instid0(VALU_DEP_2) | instskip(NEXT) | instid1(VALU_DEP_2)
	v_cvt_f32_i32_dpp v2, v2 row_shr:4 row_mask:0xf bank_mask:0xf bound_ctrl:1
	v_cvt_f32_i32_dpp v3, v3 row_shr:4 row_mask:0xf bank_mask:0xf bound_ctrl:1
	s_delay_alu instid0(VALU_DEP_1) | instskip(NEXT) | instid1(VALU_DEP_1)
	v_dual_add_f32 v0, v0, v2 :: v_dual_add_f32 v1, v1, v3
	v_cvt_i32_f32_e32 v2, v0
	s_delay_alu instid0(VALU_DEP_2) | instskip(NEXT) | instid1(VALU_DEP_2)
	v_cvt_i32_f32_e32 v3, v1
	v_cvt_f32_i32_dpp v2, v2 row_shr:2 row_mask:0xf bank_mask:0xf bound_ctrl:1
	s_delay_alu instid0(VALU_DEP_2) | instskip(NEXT) | instid1(VALU_DEP_1)
	v_cvt_f32_i32_dpp v3, v3 row_shr:2 row_mask:0xf bank_mask:0xf bound_ctrl:1
	v_dual_add_f32 v0, v0, v2 :: v_dual_add_f32 v1, v1, v3
	s_delay_alu instid0(VALU_DEP_1) | instskip(NEXT) | instid1(VALU_DEP_2)
	v_cvt_i32_f32_e32 v2, v0
	v_cvt_i32_f32_e32 v3, v1
	s_delay_alu instid0(VALU_DEP_2) | instskip(NEXT) | instid1(VALU_DEP_2)
	v_cvt_f32_i32_dpp v2, v2 row_shr:1 row_mask:0xf bank_mask:0xf bound_ctrl:1
	v_cvt_f32_i32_dpp v3, v3 row_shr:1 row_mask:0xf bank_mask:0xf bound_ctrl:1
	s_delay_alu instid0(VALU_DEP_2) | instskip(NEXT) | instid1(VALU_DEP_2)
	v_add_f32_e32 v2, v0, v2
	v_add_f32_e32 v0, v1, v3
	ds_bpermute_b32 v3, v4, v2
	ds_bpermute_b32 v1, v4, v0
	s_and_saveexec_b32 s1, s0
	s_cbranch_execz .LBB13_39
; %bb.33:                               ;   in Loop: Header=BB13_12 Depth=1
	v_dual_mov_b32 v4, 0 :: v_dual_mov_b32 v5, 0
	s_and_not1_b32 vcc_lo, exec_lo, s27
	s_cbranch_vccnz .LBB13_35
; %bb.34:                               ;   in Loop: Header=BB13_12 Depth=1
	v_mul_hi_u32 v4, v26, v38
	s_delay_alu instid0(VALU_DEP_1) | instskip(NEXT) | instid1(VALU_DEP_1)
	v_mul_lo_u32 v4, v4, s15
	v_sub_nc_u32_e32 v4, v26, v4
	s_delay_alu instid0(VALU_DEP_1) | instskip(SKIP_1) | instid1(VALU_DEP_2)
	v_subrev_nc_u32_e32 v7, s15, v4
	v_cmp_le_u32_e32 vcc_lo, s15, v4
	v_dual_cndmask_b32 v4, v4, v7 :: v_dual_add_nc_u32 v5, 1, v26
	s_delay_alu instid0(VALU_DEP_1) | instskip(NEXT) | instid1(VALU_DEP_2)
	v_mul_hi_u32 v6, v5, v38
	v_subrev_nc_u32_e32 v7, s15, v4
	s_delay_alu instid0(VALU_DEP_2) | instskip(NEXT) | instid1(VALU_DEP_1)
	v_mul_lo_u32 v6, v6, s15
	v_sub_nc_u32_e32 v5, v5, v6
	s_delay_alu instid0(VALU_DEP_1) | instskip(SKIP_1) | instid1(VALU_DEP_2)
	v_subrev_nc_u32_e32 v6, s15, v5
	v_cmp_le_u32_e32 vcc_lo, s15, v5
	v_cndmask_b32_e32 v6, v5, v6, vcc_lo
	v_cmp_le_u32_e32 vcc_lo, s15, v4
	v_cndmask_b32_e32 v27, v4, v7, vcc_lo
	s_delay_alu instid0(VALU_DEP_3) | instskip(SKIP_1) | instid1(VALU_DEP_3)
	v_subrev_nc_u32_e32 v7, s15, v6
	v_cmp_le_u32_e32 vcc_lo, s15, v6
	v_lshlrev_b64 v[4:5], 1, v[27:28]
	s_delay_alu instid0(VALU_DEP_3) | instskip(NEXT) | instid1(VALU_DEP_2)
	v_cndmask_b32_e32 v27, v6, v7, vcc_lo
	v_add_co_u32 v4, vcc_lo, s8, v4
	s_delay_alu instid0(VALU_DEP_2) | instskip(NEXT) | instid1(VALU_DEP_4)
	v_lshlrev_b64 v[6:7], 1, v[27:28]
	v_add_co_ci_u32_e32 v5, vcc_lo, s9, v5, vcc_lo
	s_delay_alu instid0(VALU_DEP_2) | instskip(NEXT) | instid1(VALU_DEP_3)
	v_add_co_u32 v6, vcc_lo, s8, v6
	v_add_co_ci_u32_e32 v7, vcc_lo, s9, v7, vcc_lo
	s_clause 0x1
	global_load_u16 v5, v[4:5], off
	global_load_u16 v4, v[6:7], off
.LBB13_35:                              ;   in Loop: Header=BB13_12 Depth=1
	s_mov_b32 s2, exec_lo
	v_cmpx_ne_u32_e32 0, v24
	s_cbranch_execz .LBB13_37
; %bb.36:                               ;   in Loop: Header=BB13_12 Depth=1
	s_waitcnt lgkmcnt(1)
	v_dual_add_f32 v2, v2, v3 :: v_dual_mov_b32 v27, v28
	s_waitcnt vmcnt(1)
	v_cvt_f32_f16_e32 v3, v5
	s_delay_alu instid0(VALU_DEP_1) | instskip(NEXT) | instid1(VALU_DEP_3)
	v_add_f32_e32 v5, v2, v3
	v_lshlrev_b64 v[2:3], 1, v[26:27]
	s_delay_alu instid0(VALU_DEP_2) | instskip(NEXT) | instid1(VALU_DEP_2)
	v_cvt_f16_f32_e32 v5, v5
	v_add_co_u32 v2, vcc_lo, s10, v2
	s_delay_alu instid0(VALU_DEP_3)
	v_add_co_ci_u32_e32 v3, vcc_lo, s11, v3, vcc_lo
	global_store_b16 v[2:3], v5, off
.LBB13_37:                              ;   in Loop: Header=BB13_12 Depth=1
	s_or_b32 exec_lo, exec_lo, s2
	v_cmp_ne_u32_e32 vcc_lo, 0, v25
	s_and_b32 exec_lo, exec_lo, vcc_lo
	s_cbranch_execz .LBB13_39
; %bb.38:                               ;   in Loop: Header=BB13_12 Depth=1
	s_waitcnt lgkmcnt(0)
	v_add_f32_e32 v0, v0, v1
	s_waitcnt vmcnt(0)
	v_cvt_f32_f16_e32 v1, v4
	v_mov_b32_e32 v27, v28
	s_delay_alu instid0(VALU_DEP_2) | instskip(NEXT) | instid1(VALU_DEP_2)
	v_add_f32_e32 v2, v0, v1
	v_lshlrev_b64 v[0:1], 1, v[26:27]
	s_delay_alu instid0(VALU_DEP_2) | instskip(NEXT) | instid1(VALU_DEP_2)
	v_cvt_f16_f32_e32 v2, v2
	v_add_co_u32 v0, vcc_lo, s29, v0
	s_delay_alu instid0(VALU_DEP_3)
	v_add_co_ci_u32_e32 v1, vcc_lo, s30, v1, vcc_lo
	global_store_b16 v[0:1], v2, off
.LBB13_39:                              ;   in Loop: Header=BB13_12 Depth=1
	s_or_b32 exec_lo, exec_lo, s1
	v_add_nc_u32_e32 v26, s26, v26
	s_delay_alu instid0(VALU_DEP_1) | instskip(SKIP_1) | instid1(VALU_DEP_2)
	v_add_nc_u32_e32 v0, 2, v26
	v_cmp_gt_u32_e32 vcc_lo, s19, v26
	v_cmp_le_u32_e64 s1, s19, v0
	s_delay_alu instid0(VALU_DEP_1) | instskip(NEXT) | instid1(SALU_CYCLE_1)
	s_and_b32 s1, vcc_lo, s1
	s_and_saveexec_b32 s34, s1
	s_cbranch_execz .LBB13_10
; %bb.40:                               ;   in Loop: Header=BB13_12 Depth=1
	s_mov_b32 s35, exec_lo
	v_cmpx_ne_u32_e64 s28, v26
	s_cbranch_execz .LBB13_9
; %bb.41:                               ;   in Loop: Header=BB13_12 Depth=1
	v_subrev_nc_u32_e32 v0, s28, v26
	s_mov_b32 s36, 0
	s_mov_b64 s[12:13], 0
	s_delay_alu instid0(VALU_DEP_1)
	v_cmp_lt_u32_e32 vcc_lo, 1, v0
	v_cndmask_b32_e32 v0, 1, v0, vcc_lo
.LBB13_42:                              ;   Parent Loop BB13_12 Depth=1
                                        ; =>  This Inner Loop Header: Depth=2
	s_cmp_lg_u32 s12, 1
	s_cselect_b32 vcc_lo, -1, 0
	s_cmp_lg_u32 s12, 0
	v_cndmask_b32_e32 v25, 0, v25, vcc_lo
	s_cselect_b32 s1, -1, 0
	s_add_u32 s12, s12, 1
	v_cndmask_b32_e64 v24, 0, v24, s1
	v_cmp_eq_u32_e64 s2, s12, v0
	s_addc_u32 s13, s13, 0
	s_delay_alu instid0(VALU_DEP_1) | instskip(NEXT) | instid1(SALU_CYCLE_1)
	s_or_b32 s36, s2, s36
	s_and_not1_b32 exec_lo, exec_lo, s36
	s_cbranch_execnz .LBB13_42
; %bb.43:                               ;   in Loop: Header=BB13_12 Depth=1
	s_or_b32 exec_lo, exec_lo, s36
	s_branch .LBB13_9
.LBB13_44:
	s_nop 0
	s_sendmsg sendmsg(MSG_DEALLOC_VGPRS)
	s_endpgm
	.section	.rodata,"a",@progbits
	.p2align	6, 0x0
	.amdhsa_kernel _Z16wvSplitK_hf_big_I6__halfLi32ELi2ELi16ELi8ELi2ELi1EEviiiiiiPKT_S3_S3_PS1_ii
		.amdhsa_group_segment_fixed_size 65536
		.amdhsa_private_segment_fixed_size 0
		.amdhsa_kernarg_size 64
		.amdhsa_user_sgpr_count 15
		.amdhsa_user_sgpr_dispatch_ptr 0
		.amdhsa_user_sgpr_queue_ptr 0
		.amdhsa_user_sgpr_kernarg_segment_ptr 1
		.amdhsa_user_sgpr_dispatch_id 0
		.amdhsa_user_sgpr_private_segment_size 0
		.amdhsa_wavefront_size32 1
		.amdhsa_uses_dynamic_stack 0
		.amdhsa_enable_private_segment 0
		.amdhsa_system_sgpr_workgroup_id_x 1
		.amdhsa_system_sgpr_workgroup_id_y 0
		.amdhsa_system_sgpr_workgroup_id_z 0
		.amdhsa_system_sgpr_workgroup_info 0
		.amdhsa_system_vgpr_workitem_id 1
		.amdhsa_next_free_vgpr 43
		.amdhsa_next_free_sgpr 37
		.amdhsa_reserve_vcc 1
		.amdhsa_float_round_mode_32 0
		.amdhsa_float_round_mode_16_64 0
		.amdhsa_float_denorm_mode_32 3
		.amdhsa_float_denorm_mode_16_64 3
		.amdhsa_dx10_clamp 1
		.amdhsa_ieee_mode 1
		.amdhsa_fp16_overflow 0
		.amdhsa_workgroup_processor_mode 1
		.amdhsa_memory_ordered 1
		.amdhsa_forward_progress 0
		.amdhsa_shared_vgpr_count 0
		.amdhsa_exception_fp_ieee_invalid_op 0
		.amdhsa_exception_fp_denorm_src 0
		.amdhsa_exception_fp_ieee_div_zero 0
		.amdhsa_exception_fp_ieee_overflow 0
		.amdhsa_exception_fp_ieee_underflow 0
		.amdhsa_exception_fp_ieee_inexact 0
		.amdhsa_exception_int_div_zero 0
	.end_amdhsa_kernel
	.section	.text._Z16wvSplitK_hf_big_I6__halfLi32ELi2ELi16ELi8ELi2ELi1EEviiiiiiPKT_S3_S3_PS1_ii,"axG",@progbits,_Z16wvSplitK_hf_big_I6__halfLi32ELi2ELi16ELi8ELi2ELi1EEviiiiiiPKT_S3_S3_PS1_ii,comdat
.Lfunc_end13:
	.size	_Z16wvSplitK_hf_big_I6__halfLi32ELi2ELi16ELi8ELi2ELi1EEviiiiiiPKT_S3_S3_PS1_ii, .Lfunc_end13-_Z16wvSplitK_hf_big_I6__halfLi32ELi2ELi16ELi8ELi2ELi1EEviiiiiiPKT_S3_S3_PS1_ii
                                        ; -- End function
	.section	.AMDGPU.csdata,"",@progbits
; Kernel info:
; codeLenInByte = 2488
; NumSgprs: 39
; NumVgprs: 43
; ScratchSize: 0
; MemoryBound: 0
; FloatMode: 240
; IeeeMode: 1
; LDSByteSize: 65536 bytes/workgroup (compile time only)
; SGPRBlocks: 4
; VGPRBlocks: 5
; NumSGPRsForWavesPerEU: 39
; NumVGPRsForWavesPerEU: 43
; Occupancy: 8
; WaveLimiterHint : 0
; COMPUTE_PGM_RSRC2:SCRATCH_EN: 0
; COMPUTE_PGM_RSRC2:USER_SGPR: 15
; COMPUTE_PGM_RSRC2:TRAP_HANDLER: 0
; COMPUTE_PGM_RSRC2:TGID_X_EN: 1
; COMPUTE_PGM_RSRC2:TGID_Y_EN: 0
; COMPUTE_PGM_RSRC2:TGID_Z_EN: 0
; COMPUTE_PGM_RSRC2:TIDIG_COMP_CNT: 1
	.section	.text._Z16wvSplitK_hf_sml_I6__halfLi32ELi3ELi16ELi8ELi2ELi1EEviiiiiiPKT_S3_S3_PS1_ii,"axG",@progbits,_Z16wvSplitK_hf_sml_I6__halfLi32ELi3ELi16ELi8ELi2ELi1EEviiiiiiPKT_S3_S3_PS1_ii,comdat
	.protected	_Z16wvSplitK_hf_sml_I6__halfLi32ELi3ELi16ELi8ELi2ELi1EEviiiiiiPKT_S3_S3_PS1_ii ; -- Begin function _Z16wvSplitK_hf_sml_I6__halfLi32ELi3ELi16ELi8ELi2ELi1EEviiiiiiPKT_S3_S3_PS1_ii
	.globl	_Z16wvSplitK_hf_sml_I6__halfLi32ELi3ELi16ELi8ELi2ELi1EEviiiiiiPKT_S3_S3_PS1_ii
	.p2align	8
	.type	_Z16wvSplitK_hf_sml_I6__halfLi32ELi3ELi16ELi8ELi2ELi1EEviiiiiiPKT_S3_S3_PS1_ii,@function
_Z16wvSplitK_hf_sml_I6__halfLi32ELi3ELi16ELi8ELi2ELi1EEviiiiiiPKT_S3_S3_PS1_ii: ; @_Z16wvSplitK_hf_sml_I6__halfLi32ELi3ELi16ELi8ELi2ELi1EEviiiiiiPKT_S3_S3_PS1_ii
; %bb.0:
	s_load_b128 s[4:7], s[0:1], 0x0
	v_and_b32_e32 v1, 0x3ff, v0
	v_bfe_u32 v0, v0, 10, 10
	s_delay_alu instid0(VALU_DEP_2) | instskip(NEXT) | instid1(VALU_DEP_1)
	v_lshlrev_b32_e32 v44, 3, v1
	v_lshl_add_u32 v3, v0, 8, v44
	s_waitcnt lgkmcnt(0)
	s_min_u32 s8, s6, 0x8000
	s_mov_b32 s6, exec_lo
	s_delay_alu instid0(VALU_DEP_1)
	v_cmpx_gt_u32_e64 s8, v3
	s_cbranch_execz .LBB14_9
; %bb.1:
	s_load_b64 s[2:3], s[0:1], 0x20
	v_lshlrev_b32_e32 v2, 1, v3
	v_add_nc_u32_e32 v8, 0x1000, v3
	s_mov_b32 s9, exec_lo
	s_waitcnt lgkmcnt(0)
	global_load_b128 v[4:7], v2, s[2:3]
	s_waitcnt vmcnt(0)
	ds_store_b128 v2, v[4:7]
	v_cmpx_gt_u32_e64 s8, v8
	s_xor_b32 s9, exec_lo, s9
	s_cbranch_execz .LBB14_9
; %bb.2:
	v_add_co_u32 v4, s2, s2, v2
	s_delay_alu instid0(VALU_DEP_1) | instskip(SKIP_1) | instid1(VALU_DEP_3)
	v_add_co_ci_u32_e64 v5, null, s3, 0, s2
	v_add_nc_u32_e32 v10, 0x2000, v3
	v_add_co_u32 v6, vcc_lo, 0x2000, v4
	s_delay_alu instid0(VALU_DEP_3)
	v_add_co_ci_u32_e32 v7, vcc_lo, 0, v5, vcc_lo
	s_mov_b32 s2, exec_lo
	global_load_b128 v[6:9], v[6:7], off
	s_waitcnt vmcnt(0)
	ds_store_b128 v2, v[6:9] offset:8192
	v_cmpx_gt_u32_e64 s8, v10
	s_xor_b32 s2, exec_lo, s2
	s_cbranch_execz .LBB14_9
; %bb.3:
	v_add_co_u32 v6, vcc_lo, 0x4000, v4
	v_add_co_ci_u32_e32 v7, vcc_lo, 0, v5, vcc_lo
	v_add_nc_u32_e32 v10, 0x3000, v3
	s_mov_b32 s2, exec_lo
	global_load_b128 v[6:9], v[6:7], off
	s_waitcnt vmcnt(0)
	ds_store_b128 v2, v[6:9] offset:16384
	v_cmpx_gt_u32_e64 s8, v10
	s_xor_b32 s2, exec_lo, s2
	s_cbranch_execz .LBB14_9
; %bb.4:
	v_add_co_u32 v6, vcc_lo, 0x6000, v4
	v_add_co_ci_u32_e32 v7, vcc_lo, 0, v5, vcc_lo
	v_add_nc_u32_e32 v10, 0x4000, v3
	;; [unrolled: 11-line block ×5, first 2 shown]
	s_mov_b32 s2, exec_lo
	global_load_b128 v[6:9], v[6:7], off
	s_waitcnt vmcnt(0)
	ds_store_b128 v2, v[6:9] offset:49152
	v_cmpx_gt_u32_e64 s8, v3
	s_xor_b32 s2, exec_lo, s2
	s_cbranch_execz .LBB14_9
; %bb.8:
	v_add_co_u32 v3, vcc_lo, 0xe000, v4
	v_add_co_ci_u32_e32 v4, vcc_lo, 0, v5, vcc_lo
	global_load_b128 v[3:6], v[3:4], off
	s_waitcnt vmcnt(0)
	ds_store_b128 v2, v[3:6] offset:57344
.LBB14_9:
	s_or_b32 exec_lo, exec_lo, s6
	s_load_b64 s[12:13], s[0:1], 0x38
	s_waitcnt lgkmcnt(0)
	s_barrier
	buffer_gl0_inv
	s_mov_b32 s2, exec_lo
	v_cmpx_gt_u32_e64 s12, v0
	s_cbranch_execz .LBB14_26
; %bb.10:
	s_load_b32 s6, s[0:1], 0x10
	v_mad_u64_u32 v[2:3], null, s15, s12, v[0:1]
	s_delay_alu instid0(VALU_DEP_1) | instskip(NEXT) | instid1(VALU_DEP_1)
	v_lshl_add_u32 v32, v2, 1, v2
	v_cmp_gt_u32_e32 vcc_lo, s7, v32
	s_and_b32 exec_lo, exec_lo, vcc_lo
	s_cbranch_execz .LBB14_26
; %bb.11:
	s_waitcnt lgkmcnt(0)
	v_cvt_f32_u32_e32 v0, s6
	s_clause 0x1
	s_load_b128 s[8:11], s[0:1], 0x28
	s_load_b64 s[2:3], s[0:1], 0x18
	s_cmp_lg_u32 s4, 0
	v_mbcnt_lo_u32_b32 v45, -1, 0
	v_rcp_iflag_f32_e32 v0, v0
	s_cselect_b32 s1, -1, 0
	s_add_i32 s14, s4, -8
	s_add_i32 s15, s7, -1
	v_lshlrev_b32_e32 v46, 4, v1
	v_xor_b32_e32 v48, 16, v45
	s_mul_i32 s13, s12, s13
	s_mov_b32 s12, 0
	s_mul_i32 s13, s13, 3
	s_waitcnt_depctr 0xfff
	v_mul_f32_e32 v0, 0x4f7ffffe, v0
	s_delay_alu instid0(VALU_DEP_1) | instskip(SKIP_4) | instid1(SALU_CYCLE_1)
	v_cvt_u32_f32_e32 v0, v0
	s_waitcnt lgkmcnt(0)
	s_cmp_lg_u64 s[8:9], 0
	s_cselect_b32 s16, -1, 0
	s_sub_i32 s0, 0, s6
	v_mul_lo_u32 v2, s0, v0
	v_cmp_eq_u32_e64 s0, 31, v1
	s_delay_alu instid0(VALU_DEP_2) | instskip(NEXT) | instid1(VALU_DEP_1)
	v_mul_hi_u32 v2, v0, v2
	v_dual_mov_b32 v34, 0 :: v_dual_add_nc_u32 v47, v0, v2
	s_branch .LBB14_14
.LBB14_12:                              ;   in Loop: Header=BB14_14 Depth=1
	s_waitcnt lgkmcnt(0)
	v_dual_add_f32 v4, v4, v5 :: v_dual_add_f32 v9, v1, v3
	s_waitcnt vmcnt(2)
	v_cvt_f32_f16_e32 v5, v8
	v_add_f32_e32 v8, v0, v2
	v_lshlrev_b64 v[0:1], 1, v[32:33]
	s_waitcnt vmcnt(1)
	v_cvt_f32_f16_e32 v7, v7
	v_lshlrev_b64 v[2:3], 1, v[37:38]
	v_add_f32_e32 v4, v4, v5
	s_waitcnt vmcnt(0)
	v_cvt_f32_f16_e32 v5, v6
	v_add_f32_e32 v6, v8, v7
	v_add_co_u32 v0, vcc_lo, s10, v0
	v_cvt_f16_f32_e32 v7, v4
	s_delay_alu instid0(VALU_DEP_4) | instskip(SKIP_4) | instid1(VALU_DEP_4)
	v_add_f32_e32 v8, v9, v5
	v_lshlrev_b64 v[4:5], 1, v[35:36]
	v_add_co_ci_u32_e32 v1, vcc_lo, s11, v1, vcc_lo
	v_add_co_u32 v2, vcc_lo, s10, v2
	v_add_co_ci_u32_e32 v3, vcc_lo, s11, v3, vcc_lo
	v_add_co_u32 v4, vcc_lo, s10, v4
	v_cvt_f16_f32_e32 v6, v6
	v_cvt_f16_f32_e32 v8, v8
	v_add_co_ci_u32_e32 v5, vcc_lo, s11, v5, vcc_lo
	s_clause 0x2
	global_store_b16 v[0:1], v7, off
	global_store_b16 v[2:3], v6, off
	;; [unrolled: 1-line block ×3, first 2 shown]
.LBB14_13:                              ;   in Loop: Header=BB14_14 Depth=1
	s_or_b32 exec_lo, exec_lo, s17
	v_add_nc_u32_e32 v32, s13, v32
	s_delay_alu instid0(VALU_DEP_1) | instskip(SKIP_1) | instid1(SALU_CYCLE_1)
	v_cmp_le_u32_e32 vcc_lo, s7, v32
	s_or_b32 s12, vcc_lo, s12
	s_and_not1_b32 exec_lo, exec_lo, s12
	s_cbranch_execz .LBB14_26
.LBB14_14:                              ; =>This Loop Header: Depth=1
                                        ;     Child Loop BB14_18 Depth 2
	s_delay_alu instid0(VALU_DEP_1)
	v_dual_mov_b32 v50, v34 :: v_dual_add_nc_u32 v37, 1, v32
	v_dual_mov_b32 v36, v34 :: v_dual_add_nc_u32 v35, 2, v32
	v_mov_b32_e32 v49, v34
	s_and_not1_b32 vcc_lo, exec_lo, s1
	s_cbranch_vccnz .LBB14_21
; %bb.15:                               ;   in Loop: Header=BB14_14 Depth=1
	v_min_u32_e32 v0, s15, v32
	v_min_u32_e32 v1, s15, v37
	s_waitcnt lgkmcnt(1)
	v_min_u32_e32 v2, s15, v35
	s_waitcnt lgkmcnt(0)
	v_dual_mov_b32 v3, v34 :: v_dual_mov_b32 v50, 0
	v_mul_lo_u32 v33, v0, s5
	v_mul_lo_u32 v0, v1, s5
	;; [unrolled: 1-line block ×3, first 2 shown]
	v_dual_mov_b32 v1, v34 :: v_dual_mov_b32 v36, 0
	v_mov_b32_e32 v51, v46
	v_mov_b32_e32 v49, 0
	s_mov_b32 s17, 0
	v_lshlrev_b64 v[38:39], 1, v[33:34]
	v_lshlrev_b64 v[40:41], 1, v[0:1]
	;; [unrolled: 1-line block ×3, first 2 shown]
	s_branch .LBB14_18
.LBB14_16:                              ;   in Loop: Header=BB14_18 Depth=2
	s_or_b32 exec_lo, exec_lo, s19
.LBB14_17:                              ;   in Loop: Header=BB14_18 Depth=2
	s_delay_alu instid0(SALU_CYCLE_1)
	s_or_b32 exec_lo, exec_lo, s18
	s_waitcnt vmcnt(5) lgkmcnt(0)
	;;#ASMSTART
	v_dot2_f32_f16 v50, v20, v28, v50
	;;#ASMEND
	s_waitcnt vmcnt(4)
	;;#ASMSTART
	v_dot2_f32_f16 v49, v20, v24, v49
	;;#ASMEND
	s_waitcnt vmcnt(3)
	;;#ASMSTART
	v_dot2_f32_f16 v36, v20, v16, v36
	;;#ASMEND
	;;#ASMSTART
	v_dot2_f32_f16 v50, v21, v29, v50
	;;#ASMEND
	;; [unrolled: 3-line block ×7, first 2 shown]
	v_add_nc_u32_e32 v51, 0x400, v51
	;;#ASMSTART
	v_dot2_f32_f16 v50, v23, v31, v50
	;;#ASMEND
	;;#ASMSTART
	v_dot2_f32_f16 v49, v23, v27, v49
	;;#ASMEND
	;; [unrolled: 3-line block ×3, first 2 shown]
	s_addk_i32 s17, 0x200
	s_waitcnt vmcnt(2)
	;;#ASMSTART
	v_dot2_f32_f16 v50, v4, v12, v50
	;;#ASMEND
	s_waitcnt vmcnt(1)
	;;#ASMSTART
	v_dot2_f32_f16 v49, v4, v8, v49
	;;#ASMEND
	;; [unrolled: 4-line block ×3, first 2 shown]
	;;#ASMSTART
	v_dot2_f32_f16 v50, v5, v13, v50
	;;#ASMEND
	;;#ASMSTART
	v_dot2_f32_f16 v49, v5, v9, v49
	;;#ASMEND
	;; [unrolled: 3-line block ×3, first 2 shown]
	s_cmp_ge_u32 s17, s4
	;;#ASMSTART
	v_dot2_f32_f16 v50, v6, v14, v50
	;;#ASMEND
	;;#ASMSTART
	v_dot2_f32_f16 v49, v6, v10, v49
	;;#ASMEND
	;; [unrolled: 3-line block ×6, first 2 shown]
	s_cbranch_scc1 .LBB14_21
.LBB14_18:                              ;   Parent Loop BB14_14 Depth=1
                                        ; =>  This Inner Loop Header: Depth=2
	v_dual_mov_b32 v23, 0 :: v_dual_add_nc_u32 v22, s17, v44
	s_delay_alu instid0(VALU_DEP_1) | instskip(SKIP_1) | instid1(VALU_DEP_2)
	v_min_u32_e32 v33, s14, v22
	v_add_nc_u32_e32 v52, 0x100, v22
	v_lshlrev_b64 v[0:1], 1, v[33:34]
	s_delay_alu instid0(VALU_DEP_2) | instskip(NEXT) | instid1(VALU_DEP_2)
	v_min_u32_e32 v33, s14, v52
	v_add_co_u32 v6, vcc_lo, s2, v0
	s_delay_alu instid0(VALU_DEP_3) | instskip(NEXT) | instid1(VALU_DEP_3)
	v_add_co_ci_u32_e32 v7, vcc_lo, s3, v1, vcc_lo
	v_lshlrev_b64 v[0:1], 1, v[33:34]
	s_delay_alu instid0(VALU_DEP_3) | instskip(NEXT) | instid1(VALU_DEP_3)
	v_add_co_u32 v2, vcc_lo, v6, v38
	v_add_co_ci_u32_e32 v3, vcc_lo, v7, v39, vcc_lo
	v_add_co_u32 v4, vcc_lo, v6, v40
	v_add_co_ci_u32_e32 v5, vcc_lo, v7, v41, vcc_lo
	;; [unrolled: 2-line block ×4, first 2 shown]
	s_delay_alu instid0(VALU_DEP_4) | instskip(NEXT) | instid1(VALU_DEP_4)
	v_add_co_u32 v6, vcc_lo, v10, v38
	v_add_co_ci_u32_e32 v7, vcc_lo, v11, v39, vcc_lo
	v_add_co_u32 v8, vcc_lo, v10, v40
	v_add_co_ci_u32_e32 v9, vcc_lo, v11, v41, vcc_lo
	;; [unrolled: 2-line block ×3, first 2 shown]
	s_clause 0x5
	global_load_b128 v[28:31], v[2:3], off slc dlc
	global_load_b128 v[24:27], v[4:5], off slc dlc
	;; [unrolled: 1-line block ×6, first 2 shown]
	v_mov_b32_e32 v5, 0
	v_cmp_gt_u32_e32 vcc_lo, s4, v22
	v_dual_mov_b32 v4, 0 :: v_dual_mov_b32 v7, 0
	v_dual_mov_b32 v6, 0 :: v_dual_mov_b32 v21, 0
	v_mov_b32_e32 v22, 0
	v_mov_b32_e32 v20, 0
	s_and_saveexec_b32 s18, vcc_lo
	s_cbranch_execz .LBB14_17
; %bb.19:                               ;   in Loop: Header=BB14_18 Depth=2
	ds_load_b128 v[20:23], v51
	v_dual_mov_b32 v7, 0 :: v_dual_mov_b32 v6, 0
	v_dual_mov_b32 v5, 0 :: v_dual_mov_b32 v4, 0
	s_mov_b32 s19, exec_lo
	v_cmpx_gt_u32_e64 s4, v52
	s_cbranch_execz .LBB14_16
; %bb.20:                               ;   in Loop: Header=BB14_18 Depth=2
	ds_load_b128 v[4:7], v51 offset:512
	s_branch .LBB14_16
.LBB14_21:                              ;   in Loop: Header=BB14_14 Depth=1
	; sched_barrier mask(0x00000000)
	v_cvt_i32_f32_e32 v0, v50
	s_delay_alu instid0(VALU_DEP_2)
	v_cvt_i32_f32_e32 v1, v49
	s_waitcnt lgkmcnt(1)
	v_cvt_i32_f32_e32 v2, v36
	v_cmp_gt_i32_e32 vcc_lo, 32, v48
	v_cvt_f32_i32_dpp v0, v0 row_shr:8 row_mask:0xf bank_mask:0xf bound_ctrl:1
	v_cvt_f32_i32_dpp v1, v1 row_shr:8 row_mask:0xf bank_mask:0xf bound_ctrl:1
	s_delay_alu instid0(VALU_DEP_4) | instskip(SKIP_1) | instid1(VALU_DEP_3)
	v_cvt_f32_i32_dpp v2, v2 row_shr:8 row_mask:0xf bank_mask:0xf bound_ctrl:1
	v_cndmask_b32_e32 v6, v45, v48, vcc_lo
	v_dual_add_f32 v0, v50, v0 :: v_dual_add_f32 v1, v49, v1
	s_delay_alu instid0(VALU_DEP_2) | instskip(SKIP_1) | instid1(VALU_DEP_2)
	v_lshlrev_b32_e32 v6, 2, v6
	s_waitcnt lgkmcnt(0)
	v_cvt_i32_f32_e32 v3, v0
	s_delay_alu instid0(VALU_DEP_3) | instskip(NEXT) | instid1(VALU_DEP_2)
	v_cvt_i32_f32_e32 v4, v1
	v_cvt_f32_i32_dpp v3, v3 row_shr:4 row_mask:0xf bank_mask:0xf bound_ctrl:1
	s_delay_alu instid0(VALU_DEP_2) | instskip(NEXT) | instid1(VALU_DEP_1)
	v_cvt_f32_i32_dpp v4, v4 row_shr:4 row_mask:0xf bank_mask:0xf bound_ctrl:1
	v_dual_add_f32 v2, v36, v2 :: v_dual_add_f32 v1, v1, v4
	s_delay_alu instid0(VALU_DEP_1) | instskip(NEXT) | instid1(VALU_DEP_2)
	v_cvt_i32_f32_e32 v5, v2
	v_cvt_i32_f32_e32 v4, v1
	s_delay_alu instid0(VALU_DEP_2) | instskip(NEXT) | instid1(VALU_DEP_2)
	v_cvt_f32_i32_dpp v5, v5 row_shr:4 row_mask:0xf bank_mask:0xf bound_ctrl:1
	v_cvt_f32_i32_dpp v4, v4 row_shr:2 row_mask:0xf bank_mask:0xf bound_ctrl:1
	s_delay_alu instid0(VALU_DEP_2) | instskip(NEXT) | instid1(VALU_DEP_2)
	v_add_f32_e32 v2, v2, v5
	v_dual_add_f32 v0, v0, v3 :: v_dual_add_f32 v1, v1, v4
	s_delay_alu instid0(VALU_DEP_2) | instskip(NEXT) | instid1(VALU_DEP_2)
	v_cvt_i32_f32_e32 v5, v2
	v_cvt_i32_f32_e32 v3, v0
	s_delay_alu instid0(VALU_DEP_3) | instskip(NEXT) | instid1(VALU_DEP_3)
	v_cvt_i32_f32_e32 v4, v1
	v_cvt_f32_i32_dpp v5, v5 row_shr:2 row_mask:0xf bank_mask:0xf bound_ctrl:1
	s_delay_alu instid0(VALU_DEP_3) | instskip(NEXT) | instid1(VALU_DEP_3)
	v_cvt_f32_i32_dpp v3, v3 row_shr:2 row_mask:0xf bank_mask:0xf bound_ctrl:1
	v_cvt_f32_i32_dpp v7, v4 row_shr:1 row_mask:0xf bank_mask:0xf bound_ctrl:1
	s_delay_alu instid0(VALU_DEP_3) | instskip(NEXT) | instid1(VALU_DEP_1)
	v_add_f32_e32 v2, v2, v5
	v_cvt_i32_f32_e32 v5, v2
	s_delay_alu instid0(VALU_DEP_1) | instskip(SKIP_1) | instid1(VALU_DEP_1)
	v_cvt_f32_i32_dpp v5, v5 row_shr:1 row_mask:0xf bank_mask:0xf bound_ctrl:1
	v_add_f32_e32 v0, v0, v3
	v_cvt_i32_f32_e32 v3, v0
	s_delay_alu instid0(VALU_DEP_1) | instskip(NEXT) | instid1(VALU_DEP_1)
	v_cvt_f32_i32_dpp v3, v3 row_shr:1 row_mask:0xf bank_mask:0xf bound_ctrl:1
	v_add_f32_e32 v4, v0, v3
	v_dual_add_f32 v0, v1, v7 :: v_dual_add_f32 v1, v2, v5
	ds_bpermute_b32 v5, v6, v4
	ds_bpermute_b32 v2, v6, v0
	;; [unrolled: 1-line block ×3, first 2 shown]
	s_and_saveexec_b32 s17, s0
	s_cbranch_execz .LBB14_13
; %bb.22:                               ;   in Loop: Header=BB14_14 Depth=1
	s_and_b32 vcc_lo, exec_lo, s16
	s_cbranch_vccz .LBB14_24
; %bb.23:                               ;   in Loop: Header=BB14_14 Depth=1
	v_mul_hi_u32 v6, v32, v47
	v_mul_hi_u32 v7, v37, v47
	;; [unrolled: 1-line block ×3, first 2 shown]
	v_mov_b32_e32 v38, v34
	v_mov_b32_e32 v36, v34
	v_mul_lo_u32 v6, v6, s6
	v_mul_lo_u32 v7, v7, s6
	;; [unrolled: 1-line block ×3, first 2 shown]
	s_delay_alu instid0(VALU_DEP_3) | instskip(NEXT) | instid1(VALU_DEP_3)
	v_sub_nc_u32_e32 v6, v32, v6
	v_sub_nc_u32_e32 v7, v37, v7
	s_delay_alu instid0(VALU_DEP_3) | instskip(NEXT) | instid1(VALU_DEP_3)
	v_sub_nc_u32_e32 v8, v35, v8
	v_subrev_nc_u32_e32 v9, s6, v6
	v_cmp_le_u32_e32 vcc_lo, s6, v6
	s_delay_alu instid0(VALU_DEP_2) | instskip(SKIP_2) | instid1(VALU_DEP_3)
	v_cndmask_b32_e32 v6, v6, v9, vcc_lo
	v_subrev_nc_u32_e32 v9, s6, v7
	v_cmp_le_u32_e32 vcc_lo, s6, v7
	v_subrev_nc_u32_e32 v10, s6, v6
	s_delay_alu instid0(VALU_DEP_3) | instskip(SKIP_2) | instid1(VALU_DEP_4)
	v_cndmask_b32_e32 v9, v7, v9, vcc_lo
	v_cmp_le_u32_e32 vcc_lo, s6, v6
	v_subrev_nc_u32_e32 v7, s6, v8
	v_cndmask_b32_e32 v33, v6, v10, vcc_lo
	v_cmp_le_u32_e32 vcc_lo, s6, v8
	v_subrev_nc_u32_e32 v10, s6, v9
	s_delay_alu instid0(VALU_DEP_4) | instskip(SKIP_2) | instid1(VALU_DEP_4)
	v_cndmask_b32_e32 v11, v8, v7, vcc_lo
	v_cmp_le_u32_e32 vcc_lo, s6, v9
	v_lshlrev_b64 v[6:7], 1, v[33:34]
	v_cndmask_b32_e32 v33, v9, v10, vcc_lo
	s_delay_alu instid0(VALU_DEP_4) | instskip(SKIP_1) | instid1(VALU_DEP_3)
	v_subrev_nc_u32_e32 v10, s6, v11
	v_cmp_le_u32_e32 vcc_lo, s6, v11
	v_lshlrev_b64 v[8:9], 1, v[33:34]
	s_delay_alu instid0(VALU_DEP_3) | instskip(SKIP_2) | instid1(VALU_DEP_3)
	v_cndmask_b32_e32 v33, v11, v10, vcc_lo
	v_add_co_u32 v6, vcc_lo, s8, v6
	v_add_co_ci_u32_e32 v7, vcc_lo, s9, v7, vcc_lo
	v_lshlrev_b64 v[10:11], 1, v[33:34]
	v_add_co_u32 v12, vcc_lo, s8, v8
	v_add_co_ci_u32_e32 v13, vcc_lo, s9, v9, vcc_lo
	v_mov_b32_e32 v33, v34
	s_delay_alu instid0(VALU_DEP_4)
	v_add_co_u32 v9, vcc_lo, s8, v10
	v_add_co_ci_u32_e32 v10, vcc_lo, s9, v11, vcc_lo
	s_clause 0x2
	global_load_u16 v8, v[6:7], off
	global_load_u16 v7, v[12:13], off
	;; [unrolled: 1-line block ×3, first 2 shown]
	s_cbranch_execnz .LBB14_12
	s_branch .LBB14_25
.LBB14_24:                              ;   in Loop: Header=BB14_14 Depth=1
                                        ; implicit-def: $vgpr6
                                        ; implicit-def: $vgpr7
                                        ; implicit-def: $vgpr8
.LBB14_25:                              ;   in Loop: Header=BB14_14 Depth=1
	s_waitcnt vmcnt(2)
	v_dual_mov_b32 v33, v34 :: v_dual_mov_b32 v8, 0
	s_waitcnt vmcnt(1)
	v_dual_mov_b32 v38, v34 :: v_dual_mov_b32 v7, 0
	v_mov_b32_e32 v36, v34
	s_waitcnt vmcnt(0)
	v_mov_b32_e32 v6, 0
	s_branch .LBB14_12
.LBB14_26:
	s_nop 0
	s_sendmsg sendmsg(MSG_DEALLOC_VGPRS)
	s_endpgm
	.section	.rodata,"a",@progbits
	.p2align	6, 0x0
	.amdhsa_kernel _Z16wvSplitK_hf_sml_I6__halfLi32ELi3ELi16ELi8ELi2ELi1EEviiiiiiPKT_S3_S3_PS1_ii
		.amdhsa_group_segment_fixed_size 65536
		.amdhsa_private_segment_fixed_size 0
		.amdhsa_kernarg_size 64
		.amdhsa_user_sgpr_count 15
		.amdhsa_user_sgpr_dispatch_ptr 0
		.amdhsa_user_sgpr_queue_ptr 0
		.amdhsa_user_sgpr_kernarg_segment_ptr 1
		.amdhsa_user_sgpr_dispatch_id 0
		.amdhsa_user_sgpr_private_segment_size 0
		.amdhsa_wavefront_size32 1
		.amdhsa_uses_dynamic_stack 0
		.amdhsa_enable_private_segment 0
		.amdhsa_system_sgpr_workgroup_id_x 1
		.amdhsa_system_sgpr_workgroup_id_y 0
		.amdhsa_system_sgpr_workgroup_id_z 0
		.amdhsa_system_sgpr_workgroup_info 0
		.amdhsa_system_vgpr_workitem_id 1
		.amdhsa_next_free_vgpr 53
		.amdhsa_next_free_sgpr 20
		.amdhsa_reserve_vcc 1
		.amdhsa_float_round_mode_32 0
		.amdhsa_float_round_mode_16_64 0
		.amdhsa_float_denorm_mode_32 3
		.amdhsa_float_denorm_mode_16_64 3
		.amdhsa_dx10_clamp 1
		.amdhsa_ieee_mode 1
		.amdhsa_fp16_overflow 0
		.amdhsa_workgroup_processor_mode 1
		.amdhsa_memory_ordered 1
		.amdhsa_forward_progress 0
		.amdhsa_shared_vgpr_count 0
		.amdhsa_exception_fp_ieee_invalid_op 0
		.amdhsa_exception_fp_denorm_src 0
		.amdhsa_exception_fp_ieee_div_zero 0
		.amdhsa_exception_fp_ieee_overflow 0
		.amdhsa_exception_fp_ieee_underflow 0
		.amdhsa_exception_fp_ieee_inexact 0
		.amdhsa_exception_int_div_zero 0
	.end_amdhsa_kernel
	.section	.text._Z16wvSplitK_hf_sml_I6__halfLi32ELi3ELi16ELi8ELi2ELi1EEviiiiiiPKT_S3_S3_PS1_ii,"axG",@progbits,_Z16wvSplitK_hf_sml_I6__halfLi32ELi3ELi16ELi8ELi2ELi1EEviiiiiiPKT_S3_S3_PS1_ii,comdat
.Lfunc_end14:
	.size	_Z16wvSplitK_hf_sml_I6__halfLi32ELi3ELi16ELi8ELi2ELi1EEviiiiiiPKT_S3_S3_PS1_ii, .Lfunc_end14-_Z16wvSplitK_hf_sml_I6__halfLi32ELi3ELi16ELi8ELi2ELi1EEviiiiiiPKT_S3_S3_PS1_ii
                                        ; -- End function
	.section	.AMDGPU.csdata,"",@progbits
; Kernel info:
; codeLenInByte = 2600
; NumSgprs: 22
; NumVgprs: 53
; ScratchSize: 0
; MemoryBound: 0
; FloatMode: 240
; IeeeMode: 1
; LDSByteSize: 65536 bytes/workgroup (compile time only)
; SGPRBlocks: 2
; VGPRBlocks: 6
; NumSGPRsForWavesPerEU: 22
; NumVGPRsForWavesPerEU: 53
; Occupancy: 8
; WaveLimiterHint : 0
; COMPUTE_PGM_RSRC2:SCRATCH_EN: 0
; COMPUTE_PGM_RSRC2:USER_SGPR: 15
; COMPUTE_PGM_RSRC2:TRAP_HANDLER: 0
; COMPUTE_PGM_RSRC2:TGID_X_EN: 1
; COMPUTE_PGM_RSRC2:TGID_Y_EN: 0
; COMPUTE_PGM_RSRC2:TGID_Z_EN: 0
; COMPUTE_PGM_RSRC2:TIDIG_COMP_CNT: 1
	.section	.text._Z12wvSplitK_hf_I6__halfLi32ELi3ELi16ELi8ELi2ELi1EEviiiiiiPKT_S3_S3_PS1_ii,"axG",@progbits,_Z12wvSplitK_hf_I6__halfLi32ELi3ELi16ELi8ELi2ELi1EEviiiiiiPKT_S3_S3_PS1_ii,comdat
	.protected	_Z12wvSplitK_hf_I6__halfLi32ELi3ELi16ELi8ELi2ELi1EEviiiiiiPKT_S3_S3_PS1_ii ; -- Begin function _Z12wvSplitK_hf_I6__halfLi32ELi3ELi16ELi8ELi2ELi1EEviiiiiiPKT_S3_S3_PS1_ii
	.globl	_Z12wvSplitK_hf_I6__halfLi32ELi3ELi16ELi8ELi2ELi1EEviiiiiiPKT_S3_S3_PS1_ii
	.p2align	8
	.type	_Z12wvSplitK_hf_I6__halfLi32ELi3ELi16ELi8ELi2ELi1EEviiiiiiPKT_S3_S3_PS1_ii,@function
_Z12wvSplitK_hf_I6__halfLi32ELi3ELi16ELi8ELi2ELi1EEviiiiiiPKT_S3_S3_PS1_ii: ; @_Z12wvSplitK_hf_I6__halfLi32ELi3ELi16ELi8ELi2ELi1EEviiiiiiPKT_S3_S3_PS1_ii
; %bb.0:
	s_clause 0x1
	s_load_b64 s[16:17], s[0:1], 0x38
	s_load_b128 s[4:7], s[0:1], 0x0
	v_bfe_u32 v1, v0, 10, 10
	s_clause 0x1
	s_load_b64 s[12:13], s[0:1], 0x20
	s_load_b32 s18, s[0:1], 0x10
	s_mov_b32 s8, 1
	s_delay_alu instid0(SALU_CYCLE_1) | instskip(SKIP_1) | instid1(SALU_CYCLE_1)
	s_mov_b32 s9, s8
	s_mov_b32 s10, s8
	v_mov_b32_e32 v34, s10
	v_dual_mov_b32 v32, s8 :: v_dual_mov_b32 v33, s9
	s_waitcnt lgkmcnt(0)
	v_mad_u64_u32 v[2:3], null, s15, s16, v[1:2]
	s_delay_alu instid0(VALU_DEP_1) | instskip(NEXT) | instid1(VALU_DEP_1)
	v_lshl_add_u32 v35, v2, 1, v2
	v_add_nc_u32_e32 v2, 3, v35
	v_cmp_gt_u32_e32 vcc_lo, s7, v35
	s_delay_alu instid0(VALU_DEP_2) | instskip(NEXT) | instid1(VALU_DEP_1)
	v_cmp_le_u32_e64 s2, s7, v2
	s_and_b32 s2, vcc_lo, s2
	s_delay_alu instid0(SALU_CYCLE_1)
	s_and_saveexec_b32 s11, s2
	s_cbranch_execz .LBB15_6
; %bb.1:
	v_dual_mov_b32 v34, s10 :: v_dual_mov_b32 v33, s9
	v_mov_b32_e32 v32, s8
	s_add_i32 s14, s7, -3
	s_mov_b32 s15, exec_lo
	v_cmpx_ne_u32_e64 s14, v35
	s_cbranch_execz .LBB15_5
; %bb.2:
	v_subrev_nc_u32_e32 v2, s14, v35
	s_mov_b32 s19, 0
	s_mov_b64 s[2:3], 0
	s_mov_b32 s9, s8
	s_mov_b32 s10, s8
	v_cmp_lt_u32_e32 vcc_lo, 1, v2
	v_cndmask_b32_e32 v2, 1, v2, vcc_lo
.LBB15_3:                               ; =>This Inner Loop Header: Depth=1
	s_cmp_lg_u32 s2, 2
	s_cselect_b32 s10, s10, 0
	s_cmp_lg_u32 s2, 1
	s_cselect_b32 s9, s9, 0
	;; [unrolled: 2-line block ×3, first 2 shown]
	s_add_u32 s2, s2, 1
	v_dual_mov_b32 v34, s10 :: v_dual_mov_b32 v33, s9
	v_cmp_eq_u32_e32 vcc_lo, s2, v2
	v_mov_b32_e32 v32, s8
	s_addc_u32 s3, s3, 0
	s_or_b32 s19, vcc_lo, s19
	s_delay_alu instid0(SALU_CYCLE_1)
	s_and_not1_b32 exec_lo, exec_lo, s19
	s_cbranch_execnz .LBB15_3
; %bb.4:
	s_or_b32 exec_lo, exec_lo, s19
	v_mov_b32_e32 v35, s14
.LBB15_5:
	s_or_b32 exec_lo, exec_lo, s15
.LBB15_6:
	s_delay_alu instid0(SALU_CYCLE_1) | instskip(SKIP_3) | instid1(VALU_DEP_1)
	s_or_b32 exec_lo, exec_lo, s11
	v_and_b32_e32 v0, 0x3ff, v0
	s_min_u32 s3, s6, 0x8000
	s_mov_b32 s2, exec_lo
	v_lshlrev_b32_e32 v49, 3, v0
	s_delay_alu instid0(VALU_DEP_1) | instskip(NEXT) | instid1(VALU_DEP_1)
	v_lshl_add_u32 v3, v1, 8, v49
	v_cmpx_gt_u32_e64 s3, v3
	s_cbranch_execz .LBB15_15
; %bb.7:
	v_lshlrev_b32_e32 v2, 1, v3
	v_add_nc_u32_e32 v8, 0x1000, v3
	s_mov_b32 s6, exec_lo
	global_load_b128 v[4:7], v2, s[12:13]
	s_waitcnt vmcnt(0)
	ds_store_b128 v2, v[4:7]
	v_cmpx_gt_u32_e64 s3, v8
	s_xor_b32 s6, exec_lo, s6
	s_cbranch_execz .LBB15_15
; %bb.8:
	v_add_co_u32 v4, s6, s12, v2
	s_delay_alu instid0(VALU_DEP_1) | instskip(SKIP_1) | instid1(VALU_DEP_3)
	v_add_co_ci_u32_e64 v5, null, s13, 0, s6
	v_add_nc_u32_e32 v10, 0x2000, v3
	v_add_co_u32 v6, vcc_lo, 0x2000, v4
	s_delay_alu instid0(VALU_DEP_3)
	v_add_co_ci_u32_e32 v7, vcc_lo, 0, v5, vcc_lo
	s_mov_b32 s6, exec_lo
	global_load_b128 v[6:9], v[6:7], off
	s_waitcnt vmcnt(0)
	ds_store_b128 v2, v[6:9] offset:8192
	v_cmpx_gt_u32_e64 s3, v10
	s_xor_b32 s6, exec_lo, s6
	s_cbranch_execz .LBB15_15
; %bb.9:
	v_add_co_u32 v6, vcc_lo, 0x4000, v4
	v_add_co_ci_u32_e32 v7, vcc_lo, 0, v5, vcc_lo
	v_add_nc_u32_e32 v10, 0x3000, v3
	s_mov_b32 s6, exec_lo
	global_load_b128 v[6:9], v[6:7], off
	s_waitcnt vmcnt(0)
	ds_store_b128 v2, v[6:9] offset:16384
	v_cmpx_gt_u32_e64 s3, v10
	s_xor_b32 s6, exec_lo, s6
	s_cbranch_execz .LBB15_15
; %bb.10:
	v_add_co_u32 v6, vcc_lo, 0x6000, v4
	v_add_co_ci_u32_e32 v7, vcc_lo, 0, v5, vcc_lo
	v_add_nc_u32_e32 v10, 0x4000, v3
	;; [unrolled: 11-line block ×5, first 2 shown]
	global_load_b128 v[6:9], v[6:7], off
	v_cmp_gt_u32_e32 vcc_lo, s3, v3
	s_waitcnt vmcnt(0)
	ds_store_b128 v2, v[6:9] offset:49152
	s_and_saveexec_b32 s3, vcc_lo
	s_delay_alu instid0(SALU_CYCLE_1)
	s_xor_b32 s3, exec_lo, s3
	s_cbranch_execz .LBB15_15
; %bb.14:
	v_add_co_u32 v3, vcc_lo, 0xe000, v4
	v_add_co_ci_u32_e32 v4, vcc_lo, 0, v5, vcc_lo
	global_load_b128 v[3:6], v[3:4], off
	s_waitcnt vmcnt(0)
	ds_store_b128 v2, v[3:6] offset:57344
.LBB15_15:
	s_or_b32 exec_lo, exec_lo, s2
	v_cmp_gt_u32_e32 vcc_lo, s16, v1
	v_cmp_gt_u32_e64 s2, s7, v35
	s_waitcnt lgkmcnt(0)
	s_barrier
	buffer_gl0_inv
	s_and_b32 s2, vcc_lo, s2
	s_delay_alu instid0(SALU_CYCLE_1)
	s_and_saveexec_b32 s3, s2
	s_cbranch_execz .LBB15_48
; %bb.16:
	v_cvt_f32_u32_e32 v1, s18
	s_clause 0x1
	s_load_b128 s[8:11], s[0:1], 0x28
	s_load_b64 s[14:15], s[0:1], 0x18
	s_cmp_lg_u32 s4, 0
	v_mbcnt_lo_u32_b32 v50, -1, 0
	v_rcp_iflag_f32_e32 v1, v1
	s_cselect_b32 s6, -1, 0
	s_add_i32 s19, s4, -8
	s_add_i32 s20, s7, -1
	v_lshlrev_b32_e32 v51, 4, v0
	v_xor_b32_e32 v53, 16, v50
	s_mul_i32 s23, s16, s17
	s_mov_b32 s22, 0
	s_mul_i32 s23, s23, 3
	s_waitcnt_depctr 0xfff
	v_mul_f32_e32 v1, 0x4f7ffffe, v1
	s_delay_alu instid0(VALU_DEP_1)
	v_cvt_u32_f32_e32 v1, v1
	s_waitcnt lgkmcnt(0)
	s_cmp_lg_u64 s[8:9], 0
	s_cselect_b32 s21, -1, 0
	s_sub_i32 s0, 0, s18
	s_add_i32 s24, s7, -3
	v_mul_lo_u32 v2, s0, v1
	v_cmp_eq_u32_e64 s0, 31, v0
	s_delay_alu instid0(VALU_DEP_2) | instskip(NEXT) | instid1(VALU_DEP_1)
	v_mul_hi_u32 v2, v1, v2
	v_dual_mov_b32 v37, 0 :: v_dual_add_nc_u32 v52, v1, v2
	s_branch .LBB15_19
.LBB15_17:                              ;   in Loop: Header=BB15_19 Depth=1
	s_or_b32 exec_lo, exec_lo, s26
	v_mov_b32_e32 v35, s24
.LBB15_18:                              ;   in Loop: Header=BB15_19 Depth=1
	s_or_b32 exec_lo, exec_lo, s25
	s_delay_alu instid0(VALU_DEP_1) | instskip(SKIP_1) | instid1(SALU_CYCLE_1)
	v_cmp_le_u32_e32 vcc_lo, s7, v35
	s_or_b32 s22, vcc_lo, s22
	s_and_not1_b32 exec_lo, exec_lo, s22
	s_cbranch_execz .LBB15_48
.LBB15_19:                              ; =>This Loop Header: Depth=1
                                        ;     Child Loop BB15_24 Depth 2
                                        ;     Child Loop BB15_46 Depth 2
	s_delay_alu instid0(VALU_DEP_1)
	v_dual_mov_b32 v56, v37 :: v_dual_add_nc_u32 v39, 1, v35
	v_dual_mov_b32 v55, v37 :: v_dual_add_nc_u32 v38, 2, v35
	v_mov_b32_e32 v54, v37
	s_and_not1_b32 vcc_lo, exec_lo, s6
	s_cbranch_vccnz .LBB15_34
; %bb.20:                               ;   in Loop: Header=BB15_19 Depth=1
	v_min_u32_e32 v0, s20, v35
	s_waitcnt lgkmcnt(0)
	v_min_u32_e32 v1, s20, v39
	v_min_u32_e32 v2, s20, v38
	v_dual_mov_b32 v3, v37 :: v_dual_mov_b32 v56, 0
	v_mul_lo_u32 v36, v0, s5
	s_delay_alu instid0(VALU_DEP_4) | instskip(NEXT) | instid1(VALU_DEP_4)
	v_mul_lo_u32 v0, v1, s5
	v_mul_lo_u32 v2, v2, s5
	v_dual_mov_b32 v1, v37 :: v_dual_mov_b32 v54, 0
	v_mov_b32_e32 v57, v51
	v_mov_b32_e32 v55, 0
	s_mov_b32 s1, 0
	v_lshlrev_b64 v[40:41], 1, v[36:37]
	v_lshlrev_b64 v[42:43], 1, v[0:1]
	;; [unrolled: 1-line block ×3, first 2 shown]
	s_branch .LBB15_24
.LBB15_21:                              ;   in Loop: Header=BB15_24 Depth=2
	s_or_b32 exec_lo, exec_lo, s16
.LBB15_22:                              ;   in Loop: Header=BB15_24 Depth=2
	s_delay_alu instid0(SALU_CYCLE_1)
	s_or_b32 exec_lo, exec_lo, s3
.LBB15_23:                              ;   in Loop: Header=BB15_24 Depth=2
	s_delay_alu instid0(SALU_CYCLE_1)
	s_or_b32 exec_lo, exec_lo, s2
	s_waitcnt vmcnt(0) lgkmcnt(0)
	;;#ASMSTART
	v_dot2_f32_f16 v56, v20, v24, v56
	;;#ASMEND
	;;#ASMSTART
	v_dot2_f32_f16 v55, v20, v16, v55
	;;#ASMEND
	;; [unrolled: 3-line block ×9, first 2 shown]
	v_add_nc_u32_e32 v57, 0x400, v57
	;;#ASMSTART
	v_dot2_f32_f16 v56, v23, v27, v56
	;;#ASMEND
	;;#ASMSTART
	v_dot2_f32_f16 v55, v23, v19, v55
	;;#ASMEND
	;; [unrolled: 3-line block ×3, first 2 shown]
	s_addk_i32 s1, 0x200
	;;#ASMSTART
	v_dot2_f32_f16 v56, v28, v8, v56
	;;#ASMEND
	;;#ASMSTART
	v_dot2_f32_f16 v55, v28, v4, v55
	;;#ASMEND
	;; [unrolled: 3-line block ×6, first 2 shown]
	s_cmp_ge_u32 s1, s4
	;;#ASMSTART
	v_dot2_f32_f16 v56, v30, v10, v56
	;;#ASMEND
	;;#ASMSTART
	v_dot2_f32_f16 v55, v30, v6, v55
	;;#ASMEND
	;; [unrolled: 3-line block ×6, first 2 shown]
	s_cbranch_scc1 .LBB15_34
.LBB15_24:                              ;   Parent Loop BB15_19 Depth=1
                                        ; =>  This Inner Loop Header: Depth=2
	v_dual_mov_b32 v30, 0 :: v_dual_add_nc_u32 v47, s1, v49
	v_dual_mov_b32 v29, 0 :: v_dual_mov_b32 v28, 0
	s_mov_b32 s2, exec_lo
	s_delay_alu instid0(VALU_DEP_2) | instskip(SKIP_1) | instid1(VALU_DEP_2)
	v_min_u32_e32 v36, s19, v47
	v_dual_mov_b32 v31, 0 :: v_dual_add_nc_u32 v46, 0x100, v47
	v_lshlrev_b64 v[0:1], 1, v[36:37]
	s_delay_alu instid0(VALU_DEP_2) | instskip(SKIP_1) | instid1(VALU_DEP_2)
	v_min_u32_e32 v36, s19, v46
	s_waitcnt vmcnt(0)
	v_add_co_u32 v6, vcc_lo, s14, v0
	s_delay_alu instid0(VALU_DEP_3) | instskip(NEXT) | instid1(VALU_DEP_3)
	v_add_co_ci_u32_e32 v7, vcc_lo, s15, v1, vcc_lo
	v_lshlrev_b64 v[0:1], 1, v[36:37]
	s_delay_alu instid0(VALU_DEP_3) | instskip(NEXT) | instid1(VALU_DEP_3)
	v_add_co_u32 v2, vcc_lo, v6, v40
	v_add_co_ci_u32_e32 v3, vcc_lo, v7, v41, vcc_lo
	v_add_co_u32 v4, vcc_lo, v6, v42
	v_add_co_ci_u32_e32 v5, vcc_lo, v7, v43, vcc_lo
	;; [unrolled: 2-line block ×4, first 2 shown]
	s_delay_alu instid0(VALU_DEP_4) | instskip(NEXT) | instid1(VALU_DEP_4)
	v_add_co_u32 v6, vcc_lo, v8, v40
	v_add_co_ci_u32_e32 v7, vcc_lo, v9, v41, vcc_lo
	v_add_co_u32 v20, vcc_lo, v8, v42
	v_add_co_ci_u32_e32 v21, vcc_lo, v9, v43, vcc_lo
	;; [unrolled: 2-line block ×3, first 2 shown]
	s_clause 0x5
	global_load_b128 v[24:27], v[2:3], off slc dlc
	global_load_b128 v[16:19], v[4:5], off slc dlc
	;; [unrolled: 1-line block ×6, first 2 shown]
	v_dual_mov_b32 v21, 0 :: v_dual_mov_b32 v20, 0
	v_dual_mov_b32 v22, 0 :: v_dual_mov_b32 v23, 0
	v_cmpx_gt_u32_e64 s4, v47
	s_cbranch_execz .LBB15_23
; %bb.25:                               ;   in Loop: Header=BB15_24 Depth=2
	s_mov_b32 s3, exec_lo
                                        ; implicit-def: $vgpr20
	v_cmpx_lt_u32_e32 0x7fff, v47
	s_xor_b32 s3, exec_lo, s3
	s_cbranch_execz .LBB15_27
; %bb.26:                               ;   in Loop: Header=BB15_24 Depth=2
	v_mov_b32_e32 v48, v37
	s_delay_alu instid0(VALU_DEP_1) | instskip(NEXT) | instid1(VALU_DEP_1)
	v_lshlrev_b64 v[20:21], 1, v[47:48]
	v_add_co_u32 v20, vcc_lo, s12, v20
	s_delay_alu instid0(VALU_DEP_2)
	v_add_co_ci_u32_e32 v21, vcc_lo, s13, v21, vcc_lo
	global_load_b128 v[20:23], v[20:21], off
.LBB15_27:                              ;   in Loop: Header=BB15_24 Depth=2
	s_and_not1_saveexec_b32 s3, s3
	s_cbranch_execz .LBB15_29
; %bb.28:                               ;   in Loop: Header=BB15_24 Depth=2
	s_waitcnt vmcnt(0)
	ds_load_b128 v[20:23], v57
.LBB15_29:                              ;   in Loop: Header=BB15_24 Depth=2
	s_or_b32 exec_lo, exec_lo, s3
	v_dual_mov_b32 v31, 0 :: v_dual_mov_b32 v30, 0
	v_dual_mov_b32 v29, 0 :: v_dual_mov_b32 v28, 0
	s_mov_b32 s3, exec_lo
	v_cmpx_gt_u32_e64 s4, v46
	s_cbranch_execz .LBB15_22
; %bb.30:                               ;   in Loop: Header=BB15_24 Depth=2
	s_mov_b32 s16, exec_lo
                                        ; implicit-def: $vgpr31
	v_cmpx_lt_u32_e32 0x7fff, v46
	s_xor_b32 s16, exec_lo, s16
	s_cbranch_execz .LBB15_32
; %bb.31:                               ;   in Loop: Header=BB15_24 Depth=2
	v_mov_b32_e32 v47, v37
	s_delay_alu instid0(VALU_DEP_1) | instskip(NEXT) | instid1(VALU_DEP_1)
	v_lshlrev_b64 v[28:29], 1, v[46:47]
	v_add_co_u32 v28, vcc_lo, s12, v28
	s_delay_alu instid0(VALU_DEP_2)
	v_add_co_ci_u32_e32 v29, vcc_lo, s13, v29, vcc_lo
	global_load_b128 v[28:31], v[28:29], off
.LBB15_32:                              ;   in Loop: Header=BB15_24 Depth=2
	s_and_not1_saveexec_b32 s16, s16
	s_cbranch_execz .LBB15_21
; %bb.33:                               ;   in Loop: Header=BB15_24 Depth=2
	s_waitcnt vmcnt(0)
	ds_load_b128 v[28:31], v57 offset:512
	s_branch .LBB15_21
.LBB15_34:                              ;   in Loop: Header=BB15_19 Depth=1
	v_cvt_i32_f32_e32 v0, v56
	s_waitcnt lgkmcnt(0)
	v_cvt_i32_f32_e32 v1, v55
	v_cvt_i32_f32_e32 v2, v54
	v_cmp_gt_i32_e32 vcc_lo, 32, v53
	v_cvt_f32_i32_dpp v0, v0 row_shr:8 row_mask:0xf bank_mask:0xf bound_ctrl:1
	s_delay_alu instid0(VALU_DEP_4) | instskip(NEXT) | instid1(VALU_DEP_4)
	v_cvt_f32_i32_dpp v1, v1 row_shr:8 row_mask:0xf bank_mask:0xf bound_ctrl:1
	v_cvt_f32_i32_dpp v2, v2 row_shr:8 row_mask:0xf bank_mask:0xf bound_ctrl:1
	s_waitcnt vmcnt(0)
	v_cndmask_b32_e32 v6, v50, v53, vcc_lo
	s_delay_alu instid0(VALU_DEP_3) | instskip(NEXT) | instid1(VALU_DEP_2)
	v_dual_add_f32 v0, v56, v0 :: v_dual_add_f32 v1, v55, v1
	v_lshlrev_b32_e32 v6, 2, v6
	s_delay_alu instid0(VALU_DEP_2) | instskip(NEXT) | instid1(VALU_DEP_3)
	v_cvt_i32_f32_e32 v3, v0
	v_cvt_i32_f32_e32 v4, v1
	s_delay_alu instid0(VALU_DEP_2) | instskip(NEXT) | instid1(VALU_DEP_2)
	v_cvt_f32_i32_dpp v3, v3 row_shr:4 row_mask:0xf bank_mask:0xf bound_ctrl:1
	v_cvt_f32_i32_dpp v4, v4 row_shr:4 row_mask:0xf bank_mask:0xf bound_ctrl:1
	s_delay_alu instid0(VALU_DEP_1) | instskip(NEXT) | instid1(VALU_DEP_1)
	v_dual_add_f32 v2, v54, v2 :: v_dual_add_f32 v1, v1, v4
	v_cvt_i32_f32_e32 v5, v2
	s_delay_alu instid0(VALU_DEP_2) | instskip(NEXT) | instid1(VALU_DEP_2)
	v_cvt_i32_f32_e32 v4, v1
	v_cvt_f32_i32_dpp v5, v5 row_shr:4 row_mask:0xf bank_mask:0xf bound_ctrl:1
	s_delay_alu instid0(VALU_DEP_2) | instskip(SKIP_1) | instid1(VALU_DEP_2)
	v_cvt_f32_i32_dpp v4, v4 row_shr:2 row_mask:0xf bank_mask:0xf bound_ctrl:1
	v_add_f32_e32 v0, v0, v3
	v_dual_add_f32 v2, v2, v5 :: v_dual_add_f32 v1, v1, v4
	s_delay_alu instid0(VALU_DEP_2) | instskip(NEXT) | instid1(VALU_DEP_2)
	v_cvt_i32_f32_e32 v3, v0
	v_cvt_i32_f32_e32 v5, v2
	s_delay_alu instid0(VALU_DEP_3) | instskip(NEXT) | instid1(VALU_DEP_3)
	v_cvt_i32_f32_e32 v4, v1
	v_cvt_f32_i32_dpp v3, v3 row_shr:2 row_mask:0xf bank_mask:0xf bound_ctrl:1
	s_delay_alu instid0(VALU_DEP_3) | instskip(NEXT) | instid1(VALU_DEP_3)
	v_cvt_f32_i32_dpp v5, v5 row_shr:2 row_mask:0xf bank_mask:0xf bound_ctrl:1
	v_cvt_f32_i32_dpp v7, v4 row_shr:1 row_mask:0xf bank_mask:0xf bound_ctrl:1
	s_delay_alu instid0(VALU_DEP_2) | instskip(NEXT) | instid1(VALU_DEP_1)
	v_dual_add_f32 v0, v0, v3 :: v_dual_add_f32 v3, v2, v5
	v_cvt_i32_f32_e32 v2, v0
	s_delay_alu instid0(VALU_DEP_2) | instskip(NEXT) | instid1(VALU_DEP_2)
	v_cvt_i32_f32_e32 v5, v3
	v_cvt_f32_i32_dpp v2, v2 row_shr:1 row_mask:0xf bank_mask:0xf bound_ctrl:1
	s_delay_alu instid0(VALU_DEP_2) | instskip(NEXT) | instid1(VALU_DEP_2)
	v_cvt_f32_i32_dpp v5, v5 row_shr:1 row_mask:0xf bank_mask:0xf bound_ctrl:1
	v_add_f32_e32 v4, v0, v2
	v_add_f32_e32 v2, v1, v7
	s_delay_alu instid0(VALU_DEP_3)
	v_add_f32_e32 v0, v3, v5
	ds_bpermute_b32 v5, v6, v4
	ds_bpermute_b32 v3, v6, v2
	;; [unrolled: 1-line block ×3, first 2 shown]
	s_and_saveexec_b32 s1, s0
	s_cbranch_execz .LBB15_43
; %bb.35:                               ;   in Loop: Header=BB15_19 Depth=1
	v_dual_mov_b32 v8, 0 :: v_dual_mov_b32 v7, 0
	v_mov_b32_e32 v6, 0
	s_and_not1_b32 vcc_lo, exec_lo, s21
	s_cbranch_vccnz .LBB15_37
; %bb.36:                               ;   in Loop: Header=BB15_19 Depth=1
	v_mul_hi_u32 v6, v35, v52
	v_mul_hi_u32 v7, v39, v52
	;; [unrolled: 1-line block ×3, first 2 shown]
	s_delay_alu instid0(VALU_DEP_3) | instskip(NEXT) | instid1(VALU_DEP_3)
	v_mul_lo_u32 v6, v6, s18
	v_mul_lo_u32 v7, v7, s18
	s_delay_alu instid0(VALU_DEP_3) | instskip(NEXT) | instid1(VALU_DEP_3)
	v_mul_lo_u32 v8, v8, s18
	v_sub_nc_u32_e32 v6, v35, v6
	s_delay_alu instid0(VALU_DEP_3) | instskip(NEXT) | instid1(VALU_DEP_3)
	v_sub_nc_u32_e32 v7, v39, v7
	v_sub_nc_u32_e32 v8, v38, v8
	s_delay_alu instid0(VALU_DEP_3) | instskip(SKIP_1) | instid1(VALU_DEP_2)
	v_subrev_nc_u32_e32 v9, s18, v6
	v_cmp_le_u32_e32 vcc_lo, s18, v6
	v_cndmask_b32_e32 v6, v6, v9, vcc_lo
	v_subrev_nc_u32_e32 v9, s18, v7
	v_cmp_le_u32_e32 vcc_lo, s18, v7
	s_delay_alu instid0(VALU_DEP_3) | instskip(NEXT) | instid1(VALU_DEP_3)
	v_subrev_nc_u32_e32 v10, s18, v6
	v_cndmask_b32_e32 v9, v7, v9, vcc_lo
	v_cmp_le_u32_e32 vcc_lo, s18, v6
	v_subrev_nc_u32_e32 v7, s18, v8
	s_delay_alu instid0(VALU_DEP_4) | instskip(SKIP_2) | instid1(VALU_DEP_4)
	v_cndmask_b32_e32 v36, v6, v10, vcc_lo
	v_cmp_le_u32_e32 vcc_lo, s18, v8
	v_subrev_nc_u32_e32 v10, s18, v9
	v_cndmask_b32_e32 v11, v8, v7, vcc_lo
	v_cmp_le_u32_e32 vcc_lo, s18, v9
	v_lshlrev_b64 v[6:7], 1, v[36:37]
	s_delay_alu instid0(VALU_DEP_4) | instskip(NEXT) | instid1(VALU_DEP_4)
	v_cndmask_b32_e32 v36, v9, v10, vcc_lo
	v_subrev_nc_u32_e32 v10, s18, v11
	v_cmp_le_u32_e32 vcc_lo, s18, v11
	s_delay_alu instid0(VALU_DEP_3) | instskip(NEXT) | instid1(VALU_DEP_3)
	v_lshlrev_b64 v[8:9], 1, v[36:37]
	v_cndmask_b32_e32 v36, v11, v10, vcc_lo
	v_add_co_u32 v6, vcc_lo, s8, v6
	v_add_co_ci_u32_e32 v7, vcc_lo, s9, v7, vcc_lo
	s_delay_alu instid0(VALU_DEP_3) | instskip(SKIP_2) | instid1(VALU_DEP_3)
	v_lshlrev_b64 v[10:11], 1, v[36:37]
	v_add_co_u32 v12, vcc_lo, s8, v8
	v_add_co_ci_u32_e32 v13, vcc_lo, s9, v9, vcc_lo
	v_add_co_u32 v9, vcc_lo, s8, v10
	s_delay_alu instid0(VALU_DEP_4)
	v_add_co_ci_u32_e32 v10, vcc_lo, s9, v11, vcc_lo
	s_clause 0x2
	global_load_u16 v8, v[6:7], off
	global_load_u16 v7, v[12:13], off
	;; [unrolled: 1-line block ×3, first 2 shown]
.LBB15_37:                              ;   in Loop: Header=BB15_19 Depth=1
	s_mov_b32 s2, exec_lo
	v_cmpx_ne_u32_e32 0, v32
	s_cbranch_execz .LBB15_39
; %bb.38:                               ;   in Loop: Header=BB15_19 Depth=1
	s_waitcnt lgkmcnt(2)
	v_add_f32_e32 v4, v4, v5
	s_waitcnt vmcnt(2)
	v_cvt_f32_f16_e32 v5, v8
	v_mov_b32_e32 v36, v37
	s_delay_alu instid0(VALU_DEP_2) | instskip(NEXT) | instid1(VALU_DEP_2)
	v_add_f32_e32 v8, v4, v5
	v_lshlrev_b64 v[4:5], 1, v[35:36]
	s_delay_alu instid0(VALU_DEP_2) | instskip(NEXT) | instid1(VALU_DEP_2)
	v_cvt_f16_f32_e32 v8, v8
	v_add_co_u32 v4, vcc_lo, s10, v4
	s_delay_alu instid0(VALU_DEP_3)
	v_add_co_ci_u32_e32 v5, vcc_lo, s11, v5, vcc_lo
	global_store_b16 v[4:5], v8, off
.LBB15_39:                              ;   in Loop: Header=BB15_19 Depth=1
	s_or_b32 exec_lo, exec_lo, s2
	s_delay_alu instid0(SALU_CYCLE_1)
	s_mov_b32 s2, exec_lo
	v_cmpx_ne_u32_e32 0, v33
	s_cbranch_execz .LBB15_41
; %bb.40:                               ;   in Loop: Header=BB15_19 Depth=1
	s_waitcnt lgkmcnt(1)
	v_add_f32_e32 v2, v2, v3
	s_waitcnt vmcnt(1)
	v_cvt_f32_f16_e32 v3, v7
	v_mov_b32_e32 v40, v37
	s_delay_alu instid0(VALU_DEP_2) | instskip(NEXT) | instid1(VALU_DEP_2)
	v_add_f32_e32 v4, v2, v3
	v_lshlrev_b64 v[2:3], 1, v[39:40]
	s_delay_alu instid0(VALU_DEP_2) | instskip(NEXT) | instid1(VALU_DEP_2)
	v_cvt_f16_f32_e32 v4, v4
	v_add_co_u32 v2, vcc_lo, s10, v2
	s_delay_alu instid0(VALU_DEP_3)
	v_add_co_ci_u32_e32 v3, vcc_lo, s11, v3, vcc_lo
	global_store_b16 v[2:3], v4, off
.LBB15_41:                              ;   in Loop: Header=BB15_19 Depth=1
	s_or_b32 exec_lo, exec_lo, s2
	v_cmp_ne_u32_e32 vcc_lo, 0, v34
	s_and_b32 exec_lo, exec_lo, vcc_lo
	s_cbranch_execz .LBB15_43
; %bb.42:                               ;   in Loop: Header=BB15_19 Depth=1
	s_waitcnt lgkmcnt(0)
	v_dual_add_f32 v0, v0, v1 :: v_dual_mov_b32 v39, v37
	s_waitcnt vmcnt(0)
	v_cvt_f32_f16_e32 v1, v6
	s_delay_alu instid0(VALU_DEP_1) | instskip(NEXT) | instid1(VALU_DEP_3)
	v_add_f32_e32 v2, v0, v1
	v_lshlrev_b64 v[0:1], 1, v[38:39]
	s_delay_alu instid0(VALU_DEP_2) | instskip(NEXT) | instid1(VALU_DEP_2)
	v_cvt_f16_f32_e32 v2, v2
	v_add_co_u32 v0, vcc_lo, s10, v0
	s_delay_alu instid0(VALU_DEP_3)
	v_add_co_ci_u32_e32 v1, vcc_lo, s11, v1, vcc_lo
	global_store_b16 v[0:1], v2, off
.LBB15_43:                              ;   in Loop: Header=BB15_19 Depth=1
	s_or_b32 exec_lo, exec_lo, s1
	v_add_nc_u32_e32 v35, s23, v35
	s_delay_alu instid0(VALU_DEP_1) | instskip(SKIP_1) | instid1(VALU_DEP_2)
	v_add_nc_u32_e32 v0, 3, v35
	v_cmp_gt_u32_e32 vcc_lo, s7, v35
	v_cmp_le_u32_e64 s1, s7, v0
	s_delay_alu instid0(VALU_DEP_1) | instskip(NEXT) | instid1(SALU_CYCLE_1)
	s_and_b32 s1, vcc_lo, s1
	s_and_saveexec_b32 s25, s1
	s_cbranch_execz .LBB15_18
; %bb.44:                               ;   in Loop: Header=BB15_19 Depth=1
	s_mov_b32 s26, exec_lo
	v_cmpx_ne_u32_e64 s24, v35
	s_cbranch_execz .LBB15_17
; %bb.45:                               ;   in Loop: Header=BB15_19 Depth=1
	v_subrev_nc_u32_e32 v0, s24, v35
	s_mov_b32 s27, 0
	s_mov_b64 s[16:17], 0
	s_delay_alu instid0(VALU_DEP_1)
	v_cmp_lt_u32_e32 vcc_lo, 1, v0
	v_cndmask_b32_e32 v0, 1, v0, vcc_lo
	.p2align	6
.LBB15_46:                              ;   Parent Loop BB15_19 Depth=1
                                        ; =>  This Inner Loop Header: Depth=2
	s_cmp_lg_u32 s16, 2
	s_cselect_b32 vcc_lo, -1, 0
	s_cmp_lg_u32 s16, 1
	v_cndmask_b32_e32 v34, 0, v34, vcc_lo
	s_cselect_b32 s1, -1, 0
	s_cmp_lg_u32 s16, 0
	v_cndmask_b32_e64 v33, 0, v33, s1
	s_cselect_b32 s2, -1, 0
	s_add_u32 s16, s16, 1
	v_cndmask_b32_e64 v32, 0, v32, s2
	v_cmp_eq_u32_e64 s3, s16, v0
	s_addc_u32 s17, s17, 0
	s_delay_alu instid0(VALU_DEP_1) | instskip(NEXT) | instid1(SALU_CYCLE_1)
	s_or_b32 s27, s3, s27
	s_and_not1_b32 exec_lo, exec_lo, s27
	s_cbranch_execnz .LBB15_46
; %bb.47:                               ;   in Loop: Header=BB15_19 Depth=1
	s_or_b32 exec_lo, exec_lo, s27
	s_branch .LBB15_17
.LBB15_48:
	s_nop 0
	s_sendmsg sendmsg(MSG_DEALLOC_VGPRS)
	s_endpgm
	.section	.rodata,"a",@progbits
	.p2align	6, 0x0
	.amdhsa_kernel _Z12wvSplitK_hf_I6__halfLi32ELi3ELi16ELi8ELi2ELi1EEviiiiiiPKT_S3_S3_PS1_ii
		.amdhsa_group_segment_fixed_size 65536
		.amdhsa_private_segment_fixed_size 0
		.amdhsa_kernarg_size 64
		.amdhsa_user_sgpr_count 15
		.amdhsa_user_sgpr_dispatch_ptr 0
		.amdhsa_user_sgpr_queue_ptr 0
		.amdhsa_user_sgpr_kernarg_segment_ptr 1
		.amdhsa_user_sgpr_dispatch_id 0
		.amdhsa_user_sgpr_private_segment_size 0
		.amdhsa_wavefront_size32 1
		.amdhsa_uses_dynamic_stack 0
		.amdhsa_enable_private_segment 0
		.amdhsa_system_sgpr_workgroup_id_x 1
		.amdhsa_system_sgpr_workgroup_id_y 0
		.amdhsa_system_sgpr_workgroup_id_z 0
		.amdhsa_system_sgpr_workgroup_info 0
		.amdhsa_system_vgpr_workitem_id 1
		.amdhsa_next_free_vgpr 58
		.amdhsa_next_free_sgpr 28
		.amdhsa_reserve_vcc 1
		.amdhsa_float_round_mode_32 0
		.amdhsa_float_round_mode_16_64 0
		.amdhsa_float_denorm_mode_32 3
		.amdhsa_float_denorm_mode_16_64 3
		.amdhsa_dx10_clamp 1
		.amdhsa_ieee_mode 1
		.amdhsa_fp16_overflow 0
		.amdhsa_workgroup_processor_mode 1
		.amdhsa_memory_ordered 1
		.amdhsa_forward_progress 0
		.amdhsa_shared_vgpr_count 0
		.amdhsa_exception_fp_ieee_invalid_op 0
		.amdhsa_exception_fp_denorm_src 0
		.amdhsa_exception_fp_ieee_div_zero 0
		.amdhsa_exception_fp_ieee_overflow 0
		.amdhsa_exception_fp_ieee_underflow 0
		.amdhsa_exception_fp_ieee_inexact 0
		.amdhsa_exception_int_div_zero 0
	.end_amdhsa_kernel
	.section	.text._Z12wvSplitK_hf_I6__halfLi32ELi3ELi16ELi8ELi2ELi1EEviiiiiiPKT_S3_S3_PS1_ii,"axG",@progbits,_Z12wvSplitK_hf_I6__halfLi32ELi3ELi16ELi8ELi2ELi1EEviiiiiiPKT_S3_S3_PS1_ii,comdat
.Lfunc_end15:
	.size	_Z12wvSplitK_hf_I6__halfLi32ELi3ELi16ELi8ELi2ELi1EEviiiiiiPKT_S3_S3_PS1_ii, .Lfunc_end15-_Z12wvSplitK_hf_I6__halfLi32ELi3ELi16ELi8ELi2ELi1EEviiiiiiPKT_S3_S3_PS1_ii
                                        ; -- End function
	.section	.AMDGPU.csdata,"",@progbits
; Kernel info:
; codeLenInByte = 3180
; NumSgprs: 30
; NumVgprs: 58
; ScratchSize: 0
; MemoryBound: 0
; FloatMode: 240
; IeeeMode: 1
; LDSByteSize: 65536 bytes/workgroup (compile time only)
; SGPRBlocks: 3
; VGPRBlocks: 7
; NumSGPRsForWavesPerEU: 30
; NumVGPRsForWavesPerEU: 58
; Occupancy: 8
; WaveLimiterHint : 0
; COMPUTE_PGM_RSRC2:SCRATCH_EN: 0
; COMPUTE_PGM_RSRC2:USER_SGPR: 15
; COMPUTE_PGM_RSRC2:TRAP_HANDLER: 0
; COMPUTE_PGM_RSRC2:TGID_X_EN: 1
; COMPUTE_PGM_RSRC2:TGID_Y_EN: 0
; COMPUTE_PGM_RSRC2:TGID_Z_EN: 0
; COMPUTE_PGM_RSRC2:TIDIG_COMP_CNT: 1
	.section	.text._Z16wvSplitK_hf_big_I6__halfLi32ELi3ELi16ELi8ELi2ELi1EEviiiiiiPKT_S3_S3_PS1_ii,"axG",@progbits,_Z16wvSplitK_hf_big_I6__halfLi32ELi3ELi16ELi8ELi2ELi1EEviiiiiiPKT_S3_S3_PS1_ii,comdat
	.protected	_Z16wvSplitK_hf_big_I6__halfLi32ELi3ELi16ELi8ELi2ELi1EEviiiiiiPKT_S3_S3_PS1_ii ; -- Begin function _Z16wvSplitK_hf_big_I6__halfLi32ELi3ELi16ELi8ELi2ELi1EEviiiiiiPKT_S3_S3_PS1_ii
	.globl	_Z16wvSplitK_hf_big_I6__halfLi32ELi3ELi16ELi8ELi2ELi1EEviiiiiiPKT_S3_S3_PS1_ii
	.p2align	8
	.type	_Z16wvSplitK_hf_big_I6__halfLi32ELi3ELi16ELi8ELi2ELi1EEviiiiiiPKT_S3_S3_PS1_ii,@function
_Z16wvSplitK_hf_big_I6__halfLi32ELi3ELi16ELi8ELi2ELi1EEviiiiiiPKT_S3_S3_PS1_ii: ; @_Z16wvSplitK_hf_big_I6__halfLi32ELi3ELi16ELi8ELi2ELi1EEviiiiiiPKT_S3_S3_PS1_ii
; %bb.0:
	s_load_b64 s[12:13], s[0:1], 0x38
	v_bfe_u32 v1, v0, 10, 10
	s_mov_b32 s2, exec_lo
	s_waitcnt lgkmcnt(0)
	s_delay_alu instid0(VALU_DEP_1)
	v_cmpx_gt_u32_e64 s12, v1
	s_cbranch_execz .LBB16_46
; %bb.1:
	s_load_b128 s[16:19], s[0:1], 0x0
	v_mad_u64_u32 v[2:3], null, s15, s12, v[1:2]
	s_mov_b32 s4, 1
	s_delay_alu instid0(SALU_CYCLE_1) | instskip(SKIP_1) | instid1(SALU_CYCLE_1)
	s_mov_b32 s5, s4
	s_mov_b32 s6, s4
	v_mov_b32_e32 v34, s6
	s_delay_alu instid0(VALU_DEP_2) | instskip(SKIP_1) | instid1(VALU_DEP_2)
	v_lshl_add_u32 v35, v2, 1, v2
	v_dual_mov_b32 v32, s4 :: v_dual_mov_b32 v33, s5
	v_add_nc_u32_e32 v2, 3, v35
	s_waitcnt lgkmcnt(0)
	v_cmp_gt_u32_e32 vcc_lo, s19, v35
	s_delay_alu instid0(VALU_DEP_2) | instskip(NEXT) | instid1(VALU_DEP_1)
	v_cmp_le_u32_e64 s2, s19, v2
	s_and_b32 s2, vcc_lo, s2
	s_delay_alu instid0(SALU_CYCLE_1)
	s_and_saveexec_b32 s7, s2
	s_cbranch_execz .LBB16_7
; %bb.2:
	v_dual_mov_b32 v34, s6 :: v_dual_mov_b32 v33, s5
	v_mov_b32_e32 v32, s4
	s_add_i32 s8, s19, -3
	s_mov_b32 s9, exec_lo
	v_cmpx_ne_u32_e64 s8, v35
	s_cbranch_execz .LBB16_6
; %bb.3:
	v_subrev_nc_u32_e32 v2, s8, v35
	s_mov_b32 s10, 0
	s_mov_b64 s[2:3], 0
	s_mov_b32 s5, s4
	s_mov_b32 s6, s4
	v_cmp_lt_u32_e32 vcc_lo, 1, v2
	v_cndmask_b32_e32 v2, 1, v2, vcc_lo
.LBB16_4:                               ; =>This Inner Loop Header: Depth=1
	s_cmp_lg_u32 s2, 2
	s_cselect_b32 s6, s6, 0
	s_cmp_lg_u32 s2, 1
	s_cselect_b32 s5, s5, 0
	;; [unrolled: 2-line block ×3, first 2 shown]
	s_add_u32 s2, s2, 1
	v_dual_mov_b32 v34, s6 :: v_dual_mov_b32 v33, s5
	v_cmp_eq_u32_e32 vcc_lo, s2, v2
	v_mov_b32_e32 v32, s4
	s_addc_u32 s3, s3, 0
	s_or_b32 s10, vcc_lo, s10
	s_delay_alu instid0(SALU_CYCLE_1)
	s_and_not1_b32 exec_lo, exec_lo, s10
	s_cbranch_execnz .LBB16_4
; %bb.5:
	s_or_b32 exec_lo, exec_lo, s10
	v_mov_b32_e32 v35, s8
.LBB16_6:
	s_or_b32 exec_lo, exec_lo, s9
.LBB16_7:
	s_delay_alu instid0(SALU_CYCLE_1)
	s_or_b32 exec_lo, exec_lo, s7
	s_mul_i32 s28, s12, 3
	s_abs_i32 s5, s19
	s_abs_i32 s2, s28
	s_mov_b32 s15, 0
	v_cvt_f32_u32_e32 v2, s2
	s_sub_i32 s4, 0, s2
	s_delay_alu instid0(VALU_DEP_1) | instskip(SKIP_2) | instid1(VALU_DEP_1)
	v_rcp_iflag_f32_e32 v2, v2
	s_waitcnt_depctr 0xfff
	v_mul_f32_e32 v2, 0x4f7ffffe, v2
	v_cvt_u32_f32_e32 v2, v2
	s_delay_alu instid0(VALU_DEP_1) | instskip(NEXT) | instid1(VALU_DEP_1)
	v_readfirstlane_b32 s3, v2
	s_mul_i32 s4, s4, s3
	s_delay_alu instid0(SALU_CYCLE_1) | instskip(NEXT) | instid1(SALU_CYCLE_1)
	s_mul_hi_u32 s4, s3, s4
	s_add_i32 s3, s3, s4
	s_ashr_i32 s4, s19, 31
	s_mul_hi_u32 s3, s5, s3
	s_delay_alu instid0(SALU_CYCLE_1) | instskip(NEXT) | instid1(SALU_CYCLE_1)
	s_mul_i32 s3, s3, s2
	s_sub_i32 s3, s5, s3
	s_delay_alu instid0(SALU_CYCLE_1) | instskip(SKIP_2) | instid1(SALU_CYCLE_1)
	s_sub_i32 s5, s3, s2
	s_cmp_ge_u32 s3, s2
	s_cselect_b32 s3, s5, s3
	s_sub_i32 s5, s3, s2
	s_cmp_ge_u32 s3, s2
	s_cselect_b32 s2, s5, s3
	s_add_i32 s3, s28, s19
	s_xor_b32 s2, s2, s4
	s_delay_alu instid0(SALU_CYCLE_1) | instskip(NEXT) | instid1(SALU_CYCLE_1)
	s_sub_i32 s2, s2, s4
	s_sub_i32 s3, s3, s2
	s_cmp_eq_u32 s2, 0
	s_cselect_b32 s14, s19, s3
	s_delay_alu instid0(SALU_CYCLE_1)
	v_cmp_gt_u32_e32 vcc_lo, s14, v35
	s_and_b32 exec_lo, exec_lo, vcc_lo
	s_cbranch_execz .LBB16_46
; %bb.8:
	s_clause 0x1
	s_load_b32 s20, s[0:1], 0x10
	s_load_b256 s[4:11], s[0:1], 0x18
	s_min_u32 s21, s18, 0x8000
	s_cmp_lg_u32 s16, 0
	v_and_b32_e32 v0, 0x3ff, v0
	s_cselect_b32 s22, -1, 0
	s_cmp_lg_u32 s18, 0
	v_mbcnt_lo_u32_b32 v44, -1, 0
	s_cselect_b32 s23, -1, 0
	s_lshl_b32 s24, s12, 8
	s_add_i32 s25, s16, -8
	s_add_i32 s26, s19, -1
	v_lshlrev_b32_e32 v4, 4, v0
	v_lshlrev_b32_e32 v45, 3, v0
	v_xor_b32_e32 v49, 16, v44
	s_mul_i32 s28, s28, s13
	v_mov_b32_e32 v37, 0
	v_lshl_add_u32 v46, v1, 9, v4
	v_lshl_add_u32 v47, v1, 8, v45
	s_waitcnt lgkmcnt(0)
	v_cvt_f32_u32_e32 v2, s20
	s_cmp_lg_u64 s[8:9], 0
	s_cselect_b32 s27, -1, 0
	s_sub_i32 s0, 0, s20
	s_delay_alu instid0(VALU_DEP_1)
	v_rcp_iflag_f32_e32 v2, v2
	s_add_i32 s29, s19, -3
	s_add_u32 s30, s10, 2
	s_addc_u32 s31, s11, 0
	s_lshl_b32 s33, s12, 9
	s_waitcnt_depctr 0xfff
	v_mul_f32_e32 v2, 0x4f7ffffe, v2
	s_delay_alu instid0(VALU_DEP_1) | instskip(NEXT) | instid1(VALU_DEP_1)
	v_cvt_u32_f32_e32 v2, v2
	v_mul_lo_u32 v3, s0, v2
	v_cmp_eq_u32_e64 s0, 31, v0
	s_delay_alu instid0(VALU_DEP_2) | instskip(NEXT) | instid1(VALU_DEP_1)
	v_mul_hi_u32 v3, v2, v3
	v_add_nc_u32_e32 v48, v2, v3
	s_branch .LBB16_12
.LBB16_9:                               ;   in Loop: Header=BB16_12 Depth=1
	s_or_b32 exec_lo, exec_lo, s36
	v_mov_b32_e32 v35, s29
.LBB16_10:                              ;   in Loop: Header=BB16_12 Depth=1
	s_or_b32 exec_lo, exec_lo, s35
.LBB16_11:                              ;   in Loop: Header=BB16_12 Depth=1
	s_delay_alu instid0(SALU_CYCLE_1) | instskip(NEXT) | instid1(VALU_DEP_1)
	s_or_b32 exec_lo, exec_lo, s34
	v_cmp_le_u32_e32 vcc_lo, s14, v35
	s_or_b32 s15, vcc_lo, s15
	s_delay_alu instid0(SALU_CYCLE_1)
	s_and_not1_b32 exec_lo, exec_lo, s15
	s_cbranch_execz .LBB16_46
.LBB16_12:                              ; =>This Loop Header: Depth=1
                                        ;     Child Loop BB16_17 Depth 2
                                        ;       Child Loop BB16_22 Depth 3
                                        ;     Child Loop BB16_44 Depth 2
	v_mov_b32_e32 v52, v37
	v_mov_b32_e32 v51, v37
	;; [unrolled: 1-line block ×3, first 2 shown]
	s_and_not1_b32 vcc_lo, exec_lo, s22
	s_mov_b32 s3, 0
	s_cbranch_vccnz .LBB16_29
; %bb.13:                               ;   in Loop: Header=BB16_12 Depth=1
	v_dual_mov_b32 v50, 0 :: v_dual_add_nc_u32 v1, 2, v35
	v_add_nc_u32_e32 v0, 1, v35
	s_waitcnt lgkmcnt(0)
	v_min_u32_e32 v2, s26, v35
	v_dual_mov_b32 v3, v37 :: v_dual_mov_b32 v52, 0
	v_min_u32_e32 v1, s26, v1
	v_cmp_gt_u32_e64 s1, s19, v35
	s_delay_alu instid0(VALU_DEP_4)
	v_mul_lo_u32 v36, v2, s17
	v_mov_b32_e32 v51, 0
	s_mov_b32 s12, 0
	v_mul_lo_u32 v2, v1, s17
	v_mov_b32_e32 v1, v37
	v_min_u32_e32 v0, s26, v0
	v_lshlrev_b64 v[38:39], 1, v[36:37]
	s_delay_alu instid0(VALU_DEP_2) | instskip(SKIP_1) | instid1(VALU_DEP_2)
	v_mul_lo_u32 v0, v0, s17
	v_lshlrev_b64 v[42:43], 1, v[2:3]
	v_lshlrev_b64 v[40:41], 1, v[0:1]
	s_branch .LBB16_17
.LBB16_14:                              ;   in Loop: Header=BB16_17 Depth=2
	s_or_b32 exec_lo, exec_lo, s34
.LBB16_15:                              ;   in Loop: Header=BB16_17 Depth=2
	s_delay_alu instid0(SALU_CYCLE_1)
	s_or_b32 exec_lo, exec_lo, s13
	s_waitcnt vmcnt(5) lgkmcnt(0)
	;;#ASMSTART
	v_dot2_f32_f16 v52, v20, v28, v52
	;;#ASMEND
	s_waitcnt vmcnt(4)
	;;#ASMSTART
	v_dot2_f32_f16 v51, v20, v24, v51
	;;#ASMEND
	s_waitcnt vmcnt(3)
	;;#ASMSTART
	v_dot2_f32_f16 v50, v20, v16, v50
	;;#ASMEND
	;;#ASMSTART
	v_dot2_f32_f16 v52, v21, v29, v52
	;;#ASMEND
	;; [unrolled: 3-line block ×10, first 2 shown]
	s_waitcnt vmcnt(2)
	;;#ASMSTART
	v_dot2_f32_f16 v52, v4, v12, v52
	;;#ASMEND
	s_waitcnt vmcnt(1)
	;;#ASMSTART
	v_dot2_f32_f16 v51, v4, v8, v51
	;;#ASMEND
	;; [unrolled: 4-line block ×3, first 2 shown]
	;;#ASMSTART
	v_dot2_f32_f16 v52, v5, v13, v52
	;;#ASMEND
	;;#ASMSTART
	v_dot2_f32_f16 v51, v5, v9, v51
	;;#ASMEND
	;; [unrolled: 3-line block ×9, first 2 shown]
.LBB16_16:                              ;   in Loop: Header=BB16_17 Depth=2
	s_or_b32 exec_lo, exec_lo, s2
	s_addk_i32 s12, 0x200
	s_delay_alu instid0(SALU_CYCLE_1)
	s_cmp_ge_u32 s12, s16
	s_cbranch_scc1 .LBB16_29
.LBB16_17:                              ;   Parent Loop BB16_12 Depth=1
                                        ; =>  This Loop Header: Depth=2
                                        ;       Child Loop BB16_22 Depth 3
	s_cmp_eq_u32 s12, 0
	s_cselect_b32 s13, -1, 0
	s_add_i32 s2, s3, s21
	s_delay_alu instid0(SALU_CYCLE_1) | instskip(SKIP_1) | instid1(SALU_CYCLE_1)
	s_cmp_eq_u32 s12, s2
	s_cselect_b32 s34, -1, 0
	s_or_b32 s34, s13, s34
	s_delay_alu instid0(SALU_CYCLE_1)
	s_and_not1_b32 vcc_lo, exec_lo, s34
	s_cbranch_vccz .LBB16_19
; %bb.18:                               ;   in Loop: Header=BB16_17 Depth=2
	s_and_saveexec_b32 s2, s1
	s_cbranch_execz .LBB16_16
	s_branch .LBB16_26
.LBB16_19:                              ;   in Loop: Header=BB16_17 Depth=2
	s_and_b32 s13, s13, exec_lo
	s_cselect_b32 s3, s3, s2
	s_and_not1_b32 vcc_lo, exec_lo, s23
	s_waitcnt vmcnt(0)
	s_waitcnt_vscnt null, 0x0
	s_barrier
	buffer_gl0_inv
	s_cbranch_vccnz .LBB16_25
; %bb.20:                               ;   in Loop: Header=BB16_17 Depth=2
	v_dual_mov_b32 v1, v46 :: v_dual_add_nc_u32 v0, s3, v47
	s_mov_b32 s13, 0
	s_mov_b32 s34, 0
                                        ; implicit-def: $sgpr35
	s_set_inst_prefetch_distance 0x1
	s_branch .LBB16_22
	.p2align	6
.LBB16_21:                              ;   in Loop: Header=BB16_22 Depth=3
	s_or_b32 exec_lo, exec_lo, s2
	s_delay_alu instid0(SALU_CYCLE_1) | instskip(NEXT) | instid1(SALU_CYCLE_1)
	s_and_b32 s2, exec_lo, s35
	s_or_b32 s13, s2, s13
	s_delay_alu instid0(SALU_CYCLE_1)
	s_and_not1_b32 exec_lo, exec_lo, s13
	s_cbranch_execz .LBB16_24
.LBB16_22:                              ;   Parent Loop BB16_12 Depth=1
                                        ;     Parent Loop BB16_17 Depth=2
                                        ; =>    This Inner Loop Header: Depth=3
	v_add_nc_u32_e32 v36, s34, v0
	v_add_nc_u32_e32 v2, s34, v47
	s_or_b32 s35, s35, exec_lo
	s_delay_alu instid0(VALU_DEP_2) | instskip(NEXT) | instid1(VALU_DEP_2)
	v_cmp_gt_u32_e32 vcc_lo, s18, v36
	v_cmp_gt_u32_e64 s2, s21, v2
	s_delay_alu instid0(VALU_DEP_1) | instskip(NEXT) | instid1(SALU_CYCLE_1)
	s_and_b32 s36, s2, vcc_lo
	s_and_saveexec_b32 s2, s36
	s_cbranch_execz .LBB16_21
; %bb.23:                               ;   in Loop: Header=BB16_22 Depth=3
	v_lshlrev_b64 v[2:3], 1, v[36:37]
	s_add_i32 s34, s34, s24
	s_delay_alu instid0(SALU_CYCLE_1) | instskip(SKIP_1) | instid1(VALU_DEP_1)
	s_cmp_ge_u32 s34, s21
	s_cselect_b32 s36, -1, 0
	v_add_co_u32 v2, vcc_lo, s6, v2
	s_delay_alu instid0(VALU_DEP_2) | instskip(SKIP_2) | instid1(SALU_CYCLE_1)
	v_add_co_ci_u32_e32 v3, vcc_lo, s7, v3, vcc_lo
	s_and_not1_b32 s35, s35, exec_lo
	s_and_b32 s36, s36, exec_lo
	s_or_b32 s35, s35, s36
	global_load_b128 v[2:5], v[2:3], off
	s_waitcnt vmcnt(0)
	ds_store_b128 v1, v[2:5]
	v_add_nc_u32_e32 v1, s33, v1
	s_branch .LBB16_21
.LBB16_24:                              ;   in Loop: Header=BB16_17 Depth=2
	s_set_inst_prefetch_distance 0x2
	s_or_b32 exec_lo, exec_lo, s13
.LBB16_25:                              ;   in Loop: Header=BB16_17 Depth=2
	s_waitcnt lgkmcnt(0)
	s_barrier
	buffer_gl0_inv
	s_and_saveexec_b32 s2, s1
	s_cbranch_execz .LBB16_16
.LBB16_26:                              ;   in Loop: Header=BB16_17 Depth=2
	v_add_nc_u32_e32 v53, s12, v45
	s_mov_b32 s13, exec_lo
	v_dual_mov_b32 v23, 0 :: v_dual_mov_b32 v22, 0
	s_delay_alu instid0(VALU_DEP_2) | instskip(SKIP_1) | instid1(VALU_DEP_2)
	v_min_u32_e32 v36, s25, v53
	v_add_nc_u32_e32 v54, 0x100, v53
	v_lshlrev_b64 v[0:1], 1, v[36:37]
	s_delay_alu instid0(VALU_DEP_2) | instskip(NEXT) | instid1(VALU_DEP_2)
	v_min_u32_e32 v36, s25, v54
	v_add_co_u32 v6, vcc_lo, s4, v0
	s_waitcnt vmcnt(0)
	s_delay_alu instid0(VALU_DEP_3) | instskip(NEXT) | instid1(VALU_DEP_3)
	v_add_co_ci_u32_e32 v7, vcc_lo, s5, v1, vcc_lo
	v_lshlrev_b64 v[0:1], 1, v[36:37]
	s_delay_alu instid0(VALU_DEP_3) | instskip(NEXT) | instid1(VALU_DEP_3)
	v_add_co_u32 v2, vcc_lo, v6, v38
	v_add_co_ci_u32_e32 v3, vcc_lo, v7, v39, vcc_lo
	v_add_co_u32 v4, vcc_lo, v6, v40
	v_add_co_ci_u32_e32 v5, vcc_lo, v7, v41, vcc_lo
	;; [unrolled: 2-line block ×4, first 2 shown]
	s_delay_alu instid0(VALU_DEP_4) | instskip(NEXT) | instid1(VALU_DEP_4)
	v_add_co_u32 v6, vcc_lo, v10, v38
	v_add_co_ci_u32_e32 v7, vcc_lo, v11, v39, vcc_lo
	v_add_co_u32 v8, vcc_lo, v10, v40
	v_add_co_ci_u32_e32 v9, vcc_lo, v11, v41, vcc_lo
	;; [unrolled: 2-line block ×3, first 2 shown]
	s_clause 0x5
	global_load_b128 v[28:31], v[2:3], off slc dlc
	global_load_b128 v[24:27], v[4:5], off slc dlc
	;; [unrolled: 1-line block ×6, first 2 shown]
	v_dual_mov_b32 v4, 0 :: v_dual_mov_b32 v5, 0
	v_dual_mov_b32 v6, 0 :: v_dual_mov_b32 v7, 0
	;; [unrolled: 1-line block ×3, first 2 shown]
	v_cmpx_gt_u32_e64 s16, v53
	s_cbranch_execz .LBB16_15
; %bb.27:                               ;   in Loop: Header=BB16_17 Depth=2
	v_subrev_nc_u32_e32 v4, s3, v53
	v_dual_mov_b32 v6, 0 :: v_dual_mov_b32 v5, 0
	s_mov_b32 s34, exec_lo
	s_delay_alu instid0(VALU_DEP_2)
	v_dual_mov_b32 v7, 0 :: v_dual_lshlrev_b32 v36, 1, v4
	v_mov_b32_e32 v4, 0
	ds_load_b128 v[20:23], v36
	v_cmpx_gt_u32_e64 s16, v54
	s_cbranch_execz .LBB16_14
; %bb.28:                               ;   in Loop: Header=BB16_17 Depth=2
	ds_load_b128 v[4:7], v36 offset:512
	s_branch .LBB16_14
.LBB16_29:                              ;   in Loop: Header=BB16_12 Depth=1
	s_mov_b32 s1, exec_lo
	v_cmpx_le_u32_e64 s19, v35
	s_xor_b32 s1, exec_lo, s1
; %bb.30:                               ;   in Loop: Header=BB16_12 Depth=1
	v_add_nc_u32_e32 v35, s28, v35
                                        ; implicit-def: $vgpr52
                                        ; implicit-def: $vgpr51
                                        ; implicit-def: $vgpr50
; %bb.31:                               ;   in Loop: Header=BB16_12 Depth=1
	s_and_not1_saveexec_b32 s34, s1
	s_cbranch_execz .LBB16_11
; %bb.32:                               ;   in Loop: Header=BB16_12 Depth=1
	v_cvt_i32_f32_e32 v0, v52
	v_cvt_i32_f32_e32 v1, v51
	s_waitcnt lgkmcnt(0)
	v_cvt_i32_f32_e32 v2, v50
	v_cmp_gt_i32_e32 vcc_lo, 32, v49
	v_cvt_f32_i32_dpp v0, v0 row_shr:8 row_mask:0xf bank_mask:0xf bound_ctrl:1
	v_cvt_f32_i32_dpp v1, v1 row_shr:8 row_mask:0xf bank_mask:0xf bound_ctrl:1
	s_delay_alu instid0(VALU_DEP_4) | instskip(NEXT) | instid1(VALU_DEP_2)
	v_cvt_f32_i32_dpp v2, v2 row_shr:8 row_mask:0xf bank_mask:0xf bound_ctrl:1
	v_dual_add_f32 v0, v52, v0 :: v_dual_add_f32 v1, v51, v1
	s_delay_alu instid0(VALU_DEP_1) | instskip(NEXT) | instid1(VALU_DEP_2)
	v_cvt_i32_f32_e32 v3, v0
	v_cvt_i32_f32_e32 v4, v1
	s_delay_alu instid0(VALU_DEP_2) | instskip(NEXT) | instid1(VALU_DEP_2)
	v_cvt_f32_i32_dpp v3, v3 row_shr:4 row_mask:0xf bank_mask:0xf bound_ctrl:1
	v_cvt_f32_i32_dpp v4, v4 row_shr:4 row_mask:0xf bank_mask:0xf bound_ctrl:1
	s_delay_alu instid0(VALU_DEP_1) | instskip(NEXT) | instid1(VALU_DEP_1)
	v_dual_add_f32 v2, v50, v2 :: v_dual_add_f32 v1, v1, v4
	v_cvt_i32_f32_e32 v5, v2
	s_delay_alu instid0(VALU_DEP_2) | instskip(NEXT) | instid1(VALU_DEP_2)
	v_cvt_i32_f32_e32 v4, v1
	v_cvt_f32_i32_dpp v5, v5 row_shr:4 row_mask:0xf bank_mask:0xf bound_ctrl:1
	s_delay_alu instid0(VALU_DEP_2) | instskip(NEXT) | instid1(VALU_DEP_1)
	v_cvt_f32_i32_dpp v4, v4 row_shr:2 row_mask:0xf bank_mask:0xf bound_ctrl:1
	v_dual_add_f32 v0, v0, v3 :: v_dual_add_f32 v1, v1, v4
	s_delay_alu instid0(VALU_DEP_1) | instskip(NEXT) | instid1(VALU_DEP_2)
	v_cvt_i32_f32_e32 v3, v0
	v_cvt_i32_f32_e32 v4, v1
	s_delay_alu instid0(VALU_DEP_2) | instskip(NEXT) | instid1(VALU_DEP_2)
	v_cvt_f32_i32_dpp v3, v3 row_shr:2 row_mask:0xf bank_mask:0xf bound_ctrl:1
	v_cvt_f32_i32_dpp v4, v4 row_shr:1 row_mask:0xf bank_mask:0xf bound_ctrl:1
	s_delay_alu instid0(VALU_DEP_2) | instskip(NEXT) | instid1(VALU_DEP_1)
	v_add_f32_e32 v0, v0, v3
	v_cvt_i32_f32_e32 v3, v0
	s_delay_alu instid0(VALU_DEP_1) | instskip(SKIP_1) | instid1(VALU_DEP_1)
	v_cvt_f32_i32_dpp v3, v3 row_shr:1 row_mask:0xf bank_mask:0xf bound_ctrl:1
	v_add_f32_e32 v2, v2, v5
	v_cvt_i32_f32_e32 v5, v2
	s_delay_alu instid0(VALU_DEP_1) | instskip(NEXT) | instid1(VALU_DEP_1)
	v_cvt_f32_i32_dpp v5, v5 row_shr:2 row_mask:0xf bank_mask:0xf bound_ctrl:1
	v_add_f32_e32 v2, v2, v5
	s_delay_alu instid0(VALU_DEP_1) | instskip(SKIP_1) | instid1(VALU_DEP_1)
	v_cvt_i32_f32_e32 v5, v2
	s_waitcnt vmcnt(0)
	v_cvt_f32_i32_dpp v7, v5 row_shr:1 row_mask:0xf bank_mask:0xf bound_ctrl:1
	v_add_f32_e32 v5, v0, v3
	v_dual_cndmask_b32 v6, v44, v49 :: v_dual_add_f32 v3, v1, v4
	s_delay_alu instid0(VALU_DEP_1)
	v_dual_add_f32 v1, v2, v7 :: v_dual_lshlrev_b32 v8, 2, v6
	ds_bpermute_b32 v6, v8, v5
	ds_bpermute_b32 v4, v8, v3
	;; [unrolled: 1-line block ×3, first 2 shown]
	s_and_saveexec_b32 s1, s0
	s_cbranch_execz .LBB16_41
; %bb.33:                               ;   in Loop: Header=BB16_12 Depth=1
	v_dual_mov_b32 v9, 0 :: v_dual_add_nc_u32 v0, 2, v35
	v_dual_mov_b32 v8, 0 :: v_dual_mov_b32 v7, 0
	s_and_not1_b32 vcc_lo, exec_lo, s27
	s_cbranch_vccnz .LBB16_35
; %bb.34:                               ;   in Loop: Header=BB16_12 Depth=1
	v_mul_hi_u32 v7, v35, v48
	v_add_nc_u32_e32 v8, 1, v35
	v_mul_hi_u32 v10, v0, v48
	s_delay_alu instid0(VALU_DEP_2) | instskip(NEXT) | instid1(VALU_DEP_4)
	v_mul_hi_u32 v9, v8, v48
	v_mul_lo_u32 v7, v7, s20
	s_delay_alu instid0(VALU_DEP_3) | instskip(NEXT) | instid1(VALU_DEP_3)
	v_mul_lo_u32 v10, v10, s20
	v_mul_lo_u32 v9, v9, s20
	s_delay_alu instid0(VALU_DEP_3) | instskip(NEXT) | instid1(VALU_DEP_3)
	v_sub_nc_u32_e32 v7, v35, v7
	v_sub_nc_u32_e32 v10, v0, v10
	s_delay_alu instid0(VALU_DEP_2) | instskip(NEXT) | instid1(VALU_DEP_4)
	v_subrev_nc_u32_e32 v11, s20, v7
	v_sub_nc_u32_e32 v8, v8, v9
	v_cmp_le_u32_e32 vcc_lo, s20, v7
	s_delay_alu instid0(VALU_DEP_2) | instskip(NEXT) | instid1(VALU_DEP_4)
	v_subrev_nc_u32_e32 v9, s20, v8
	v_cndmask_b32_e32 v7, v7, v11, vcc_lo
	v_cmp_le_u32_e32 vcc_lo, s20, v8
	s_delay_alu instid0(VALU_DEP_2) | instskip(NEXT) | instid1(VALU_DEP_4)
	v_subrev_nc_u32_e32 v11, s20, v7
	v_cndmask_b32_e32 v9, v8, v9, vcc_lo
	v_cmp_le_u32_e32 vcc_lo, s20, v7
	v_subrev_nc_u32_e32 v8, s20, v10
	s_delay_alu instid0(VALU_DEP_4) | instskip(SKIP_2) | instid1(VALU_DEP_4)
	v_cndmask_b32_e32 v36, v7, v11, vcc_lo
	v_cmp_le_u32_e32 vcc_lo, s20, v10
	v_subrev_nc_u32_e32 v11, s20, v9
	v_cndmask_b32_e32 v12, v10, v8, vcc_lo
	v_cmp_le_u32_e32 vcc_lo, s20, v9
	v_lshlrev_b64 v[7:8], 1, v[36:37]
	s_delay_alu instid0(VALU_DEP_4) | instskip(NEXT) | instid1(VALU_DEP_4)
	v_cndmask_b32_e32 v36, v9, v11, vcc_lo
	v_subrev_nc_u32_e32 v11, s20, v12
	v_cmp_le_u32_e32 vcc_lo, s20, v12
	s_delay_alu instid0(VALU_DEP_3) | instskip(NEXT) | instid1(VALU_DEP_3)
	v_lshlrev_b64 v[9:10], 1, v[36:37]
	v_cndmask_b32_e32 v36, v12, v11, vcc_lo
	v_add_co_u32 v7, vcc_lo, s8, v7
	v_add_co_ci_u32_e32 v8, vcc_lo, s9, v8, vcc_lo
	s_delay_alu instid0(VALU_DEP_3) | instskip(SKIP_2) | instid1(VALU_DEP_3)
	v_lshlrev_b64 v[11:12], 1, v[36:37]
	v_add_co_u32 v13, vcc_lo, s8, v9
	v_add_co_ci_u32_e32 v14, vcc_lo, s9, v10, vcc_lo
	v_add_co_u32 v10, vcc_lo, s8, v11
	s_delay_alu instid0(VALU_DEP_4)
	v_add_co_ci_u32_e32 v11, vcc_lo, s9, v12, vcc_lo
	s_clause 0x2
	global_load_u16 v9, v[7:8], off
	global_load_u16 v8, v[13:14], off
	;; [unrolled: 1-line block ×3, first 2 shown]
.LBB16_35:                              ;   in Loop: Header=BB16_12 Depth=1
	s_mov_b32 s2, exec_lo
	v_cmpx_ne_u32_e32 0, v32
	s_cbranch_execz .LBB16_37
; %bb.36:                               ;   in Loop: Header=BB16_12 Depth=1
	s_waitcnt lgkmcnt(2)
	v_add_f32_e32 v5, v5, v6
	s_waitcnt vmcnt(2)
	v_cvt_f32_f16_e32 v6, v9
	v_mov_b32_e32 v36, v37
	s_delay_alu instid0(VALU_DEP_2) | instskip(NEXT) | instid1(VALU_DEP_2)
	v_add_f32_e32 v9, v5, v6
	v_lshlrev_b64 v[5:6], 1, v[35:36]
	s_delay_alu instid0(VALU_DEP_2) | instskip(NEXT) | instid1(VALU_DEP_2)
	v_cvt_f16_f32_e32 v9, v9
	v_add_co_u32 v5, vcc_lo, s10, v5
	s_delay_alu instid0(VALU_DEP_3)
	v_add_co_ci_u32_e32 v6, vcc_lo, s11, v6, vcc_lo
	global_store_b16 v[5:6], v9, off
.LBB16_37:                              ;   in Loop: Header=BB16_12 Depth=1
	s_or_b32 exec_lo, exec_lo, s2
	s_delay_alu instid0(SALU_CYCLE_1)
	s_mov_b32 s2, exec_lo
	v_cmpx_ne_u32_e32 0, v33
	s_cbranch_execz .LBB16_39
; %bb.38:                               ;   in Loop: Header=BB16_12 Depth=1
	s_waitcnt lgkmcnt(1)
	v_dual_add_f32 v3, v3, v4 :: v_dual_mov_b32 v36, v37
	s_waitcnt vmcnt(1)
	v_cvt_f32_f16_e32 v4, v8
	s_delay_alu instid0(VALU_DEP_1) | instskip(NEXT) | instid1(VALU_DEP_3)
	v_add_f32_e32 v5, v3, v4
	v_lshlrev_b64 v[3:4], 1, v[35:36]
	s_delay_alu instid0(VALU_DEP_2) | instskip(NEXT) | instid1(VALU_DEP_2)
	v_cvt_f16_f32_e32 v5, v5
	v_add_co_u32 v3, vcc_lo, s30, v3
	s_delay_alu instid0(VALU_DEP_3)
	v_add_co_ci_u32_e32 v4, vcc_lo, s31, v4, vcc_lo
	global_store_b16 v[3:4], v5, off
.LBB16_39:                              ;   in Loop: Header=BB16_12 Depth=1
	s_or_b32 exec_lo, exec_lo, s2
	v_cmp_ne_u32_e32 vcc_lo, 0, v34
	s_and_b32 exec_lo, exec_lo, vcc_lo
	s_cbranch_execz .LBB16_41
; %bb.40:                               ;   in Loop: Header=BB16_12 Depth=1
	s_waitcnt lgkmcnt(0)
	v_add_f32_e32 v2, v1, v2
	s_waitcnt vmcnt(0)
	v_cvt_f32_f16_e32 v3, v7
	s_delay_alu instid0(VALU_DEP_1) | instskip(NEXT) | instid1(VALU_DEP_1)
	v_dual_mov_b32 v1, v37 :: v_dual_add_f32 v2, v2, v3
	v_lshlrev_b64 v[0:1], 1, v[0:1]
	s_delay_alu instid0(VALU_DEP_2) | instskip(NEXT) | instid1(VALU_DEP_2)
	v_cvt_f16_f32_e32 v2, v2
	v_add_co_u32 v0, vcc_lo, s10, v0
	s_delay_alu instid0(VALU_DEP_3)
	v_add_co_ci_u32_e32 v1, vcc_lo, s11, v1, vcc_lo
	global_store_b16 v[0:1], v2, off
.LBB16_41:                              ;   in Loop: Header=BB16_12 Depth=1
	s_or_b32 exec_lo, exec_lo, s1
	v_add_nc_u32_e32 v35, s28, v35
	s_delay_alu instid0(VALU_DEP_1) | instskip(SKIP_1) | instid1(VALU_DEP_2)
	v_add_nc_u32_e32 v0, 3, v35
	v_cmp_gt_u32_e32 vcc_lo, s19, v35
	v_cmp_le_u32_e64 s1, s19, v0
	s_delay_alu instid0(VALU_DEP_1) | instskip(NEXT) | instid1(SALU_CYCLE_1)
	s_and_b32 s1, vcc_lo, s1
	s_and_saveexec_b32 s35, s1
	s_cbranch_execz .LBB16_10
; %bb.42:                               ;   in Loop: Header=BB16_12 Depth=1
	s_mov_b32 s36, exec_lo
	v_cmpx_ne_u32_e64 s29, v35
	s_cbranch_execz .LBB16_9
; %bb.43:                               ;   in Loop: Header=BB16_12 Depth=1
	v_subrev_nc_u32_e32 v0, s29, v35
	s_mov_b32 s37, 0
	s_mov_b64 s[12:13], 0
	s_delay_alu instid0(VALU_DEP_1)
	v_cmp_lt_u32_e32 vcc_lo, 1, v0
	v_cndmask_b32_e32 v0, 1, v0, vcc_lo
	.p2align	6
.LBB16_44:                              ;   Parent Loop BB16_12 Depth=1
                                        ; =>  This Inner Loop Header: Depth=2
	s_cmp_lg_u32 s12, 2
	s_cselect_b32 vcc_lo, -1, 0
	s_cmp_lg_u32 s12, 1
	v_cndmask_b32_e32 v34, 0, v34, vcc_lo
	s_cselect_b32 s1, -1, 0
	s_cmp_lg_u32 s12, 0
	v_cndmask_b32_e64 v33, 0, v33, s1
	s_cselect_b32 s2, -1, 0
	s_add_u32 s12, s12, 1
	v_cndmask_b32_e64 v32, 0, v32, s2
	v_cmp_eq_u32_e64 s3, s12, v0
	s_addc_u32 s13, s13, 0
	s_delay_alu instid0(VALU_DEP_1) | instskip(NEXT) | instid1(SALU_CYCLE_1)
	s_or_b32 s37, s3, s37
	s_and_not1_b32 exec_lo, exec_lo, s37
	s_cbranch_execnz .LBB16_44
; %bb.45:                               ;   in Loop: Header=BB16_12 Depth=1
	s_or_b32 exec_lo, exec_lo, s37
	s_branch .LBB16_9
.LBB16_46:
	s_nop 0
	s_sendmsg sendmsg(MSG_DEALLOC_VGPRS)
	s_endpgm
	.section	.rodata,"a",@progbits
	.p2align	6, 0x0
	.amdhsa_kernel _Z16wvSplitK_hf_big_I6__halfLi32ELi3ELi16ELi8ELi2ELi1EEviiiiiiPKT_S3_S3_PS1_ii
		.amdhsa_group_segment_fixed_size 65536
		.amdhsa_private_segment_fixed_size 0
		.amdhsa_kernarg_size 64
		.amdhsa_user_sgpr_count 15
		.amdhsa_user_sgpr_dispatch_ptr 0
		.amdhsa_user_sgpr_queue_ptr 0
		.amdhsa_user_sgpr_kernarg_segment_ptr 1
		.amdhsa_user_sgpr_dispatch_id 0
		.amdhsa_user_sgpr_private_segment_size 0
		.amdhsa_wavefront_size32 1
		.amdhsa_uses_dynamic_stack 0
		.amdhsa_enable_private_segment 0
		.amdhsa_system_sgpr_workgroup_id_x 1
		.amdhsa_system_sgpr_workgroup_id_y 0
		.amdhsa_system_sgpr_workgroup_id_z 0
		.amdhsa_system_sgpr_workgroup_info 0
		.amdhsa_system_vgpr_workitem_id 1
		.amdhsa_next_free_vgpr 55
		.amdhsa_next_free_sgpr 38
		.amdhsa_reserve_vcc 1
		.amdhsa_float_round_mode_32 0
		.amdhsa_float_round_mode_16_64 0
		.amdhsa_float_denorm_mode_32 3
		.amdhsa_float_denorm_mode_16_64 3
		.amdhsa_dx10_clamp 1
		.amdhsa_ieee_mode 1
		.amdhsa_fp16_overflow 0
		.amdhsa_workgroup_processor_mode 1
		.amdhsa_memory_ordered 1
		.amdhsa_forward_progress 0
		.amdhsa_shared_vgpr_count 0
		.amdhsa_exception_fp_ieee_invalid_op 0
		.amdhsa_exception_fp_denorm_src 0
		.amdhsa_exception_fp_ieee_div_zero 0
		.amdhsa_exception_fp_ieee_overflow 0
		.amdhsa_exception_fp_ieee_underflow 0
		.amdhsa_exception_fp_ieee_inexact 0
		.amdhsa_exception_int_div_zero 0
	.end_amdhsa_kernel
	.section	.text._Z16wvSplitK_hf_big_I6__halfLi32ELi3ELi16ELi8ELi2ELi1EEviiiiiiPKT_S3_S3_PS1_ii,"axG",@progbits,_Z16wvSplitK_hf_big_I6__halfLi32ELi3ELi16ELi8ELi2ELi1EEviiiiiiPKT_S3_S3_PS1_ii,comdat
.Lfunc_end16:
	.size	_Z16wvSplitK_hf_big_I6__halfLi32ELi3ELi16ELi8ELi2ELi1EEviiiiiiPKT_S3_S3_PS1_ii, .Lfunc_end16-_Z16wvSplitK_hf_big_I6__halfLi32ELi3ELi16ELi8ELi2ELi1EEviiiiiiPKT_S3_S3_PS1_ii
                                        ; -- End function
	.section	.AMDGPU.csdata,"",@progbits
; Kernel info:
; codeLenInByte = 3032
; NumSgprs: 40
; NumVgprs: 55
; ScratchSize: 0
; MemoryBound: 0
; FloatMode: 240
; IeeeMode: 1
; LDSByteSize: 65536 bytes/workgroup (compile time only)
; SGPRBlocks: 4
; VGPRBlocks: 6
; NumSGPRsForWavesPerEU: 40
; NumVGPRsForWavesPerEU: 55
; Occupancy: 8
; WaveLimiterHint : 0
; COMPUTE_PGM_RSRC2:SCRATCH_EN: 0
; COMPUTE_PGM_RSRC2:USER_SGPR: 15
; COMPUTE_PGM_RSRC2:TRAP_HANDLER: 0
; COMPUTE_PGM_RSRC2:TGID_X_EN: 1
; COMPUTE_PGM_RSRC2:TGID_Y_EN: 0
; COMPUTE_PGM_RSRC2:TGID_Z_EN: 0
; COMPUTE_PGM_RSRC2:TIDIG_COMP_CNT: 1
	.section	.text._Z16wvSplitK_hf_sml_I6__halfLi32ELi4ELi16ELi8ELi1ELi1EEviiiiiiPKT_S3_S3_PS1_ii,"axG",@progbits,_Z16wvSplitK_hf_sml_I6__halfLi32ELi4ELi16ELi8ELi1ELi1EEviiiiiiPKT_S3_S3_PS1_ii,comdat
	.protected	_Z16wvSplitK_hf_sml_I6__halfLi32ELi4ELi16ELi8ELi1ELi1EEviiiiiiPKT_S3_S3_PS1_ii ; -- Begin function _Z16wvSplitK_hf_sml_I6__halfLi32ELi4ELi16ELi8ELi1ELi1EEviiiiiiPKT_S3_S3_PS1_ii
	.globl	_Z16wvSplitK_hf_sml_I6__halfLi32ELi4ELi16ELi8ELi1ELi1EEviiiiiiPKT_S3_S3_PS1_ii
	.p2align	8
	.type	_Z16wvSplitK_hf_sml_I6__halfLi32ELi4ELi16ELi8ELi1ELi1EEviiiiiiPKT_S3_S3_PS1_ii,@function
_Z16wvSplitK_hf_sml_I6__halfLi32ELi4ELi16ELi8ELi1ELi1EEviiiiiiPKT_S3_S3_PS1_ii: ; @_Z16wvSplitK_hf_sml_I6__halfLi32ELi4ELi16ELi8ELi1ELi1EEviiiiiiPKT_S3_S3_PS1_ii
; %bb.0:
	s_load_b128 s[4:7], s[0:1], 0x0
	v_and_b32_e32 v1, 0x3ff, v0
	v_bfe_u32 v0, v0, 10, 10
	s_delay_alu instid0(VALU_DEP_2) | instskip(NEXT) | instid1(VALU_DEP_1)
	v_lshlrev_b32_e32 v36, 3, v1
	v_lshl_add_u32 v3, v0, 8, v36
	s_waitcnt lgkmcnt(0)
	s_min_u32 s8, s6, 0x8000
	s_mov_b32 s6, exec_lo
	s_delay_alu instid0(VALU_DEP_1)
	v_cmpx_gt_u32_e64 s8, v3
	s_cbranch_execz .LBB17_9
; %bb.1:
	s_load_b64 s[2:3], s[0:1], 0x20
	v_lshlrev_b32_e32 v2, 1, v3
	v_add_nc_u32_e32 v8, 0x1000, v3
	s_mov_b32 s9, exec_lo
	s_waitcnt lgkmcnt(0)
	global_load_b128 v[4:7], v2, s[2:3]
	s_waitcnt vmcnt(0)
	ds_store_b128 v2, v[4:7]
	v_cmpx_gt_u32_e64 s8, v8
	s_xor_b32 s9, exec_lo, s9
	s_cbranch_execz .LBB17_9
; %bb.2:
	v_add_co_u32 v4, s2, s2, v2
	s_delay_alu instid0(VALU_DEP_1) | instskip(SKIP_1) | instid1(VALU_DEP_3)
	v_add_co_ci_u32_e64 v5, null, s3, 0, s2
	v_add_nc_u32_e32 v10, 0x2000, v3
	v_add_co_u32 v6, vcc_lo, 0x2000, v4
	s_delay_alu instid0(VALU_DEP_3)
	v_add_co_ci_u32_e32 v7, vcc_lo, 0, v5, vcc_lo
	s_mov_b32 s2, exec_lo
	global_load_b128 v[6:9], v[6:7], off
	s_waitcnt vmcnt(0)
	ds_store_b128 v2, v[6:9] offset:8192
	v_cmpx_gt_u32_e64 s8, v10
	s_xor_b32 s2, exec_lo, s2
	s_cbranch_execz .LBB17_9
; %bb.3:
	v_add_co_u32 v6, vcc_lo, 0x4000, v4
	v_add_co_ci_u32_e32 v7, vcc_lo, 0, v5, vcc_lo
	v_add_nc_u32_e32 v10, 0x3000, v3
	s_mov_b32 s2, exec_lo
	global_load_b128 v[6:9], v[6:7], off
	s_waitcnt vmcnt(0)
	ds_store_b128 v2, v[6:9] offset:16384
	v_cmpx_gt_u32_e64 s8, v10
	s_xor_b32 s2, exec_lo, s2
	s_cbranch_execz .LBB17_9
; %bb.4:
	v_add_co_u32 v6, vcc_lo, 0x6000, v4
	v_add_co_ci_u32_e32 v7, vcc_lo, 0, v5, vcc_lo
	v_add_nc_u32_e32 v10, 0x4000, v3
	;; [unrolled: 11-line block ×5, first 2 shown]
	s_mov_b32 s2, exec_lo
	global_load_b128 v[6:9], v[6:7], off
	s_waitcnt vmcnt(0)
	ds_store_b128 v2, v[6:9] offset:49152
	v_cmpx_gt_u32_e64 s8, v3
	s_xor_b32 s2, exec_lo, s2
	s_cbranch_execz .LBB17_9
; %bb.8:
	v_add_co_u32 v3, vcc_lo, 0xe000, v4
	v_add_co_ci_u32_e32 v4, vcc_lo, 0, v5, vcc_lo
	global_load_b128 v[3:6], v[3:4], off
	s_waitcnt vmcnt(0)
	ds_store_b128 v2, v[3:6] offset:57344
.LBB17_9:
	s_or_b32 exec_lo, exec_lo, s6
	s_load_b64 s[12:13], s[0:1], 0x38
	s_waitcnt lgkmcnt(0)
	s_barrier
	buffer_gl0_inv
	s_mov_b32 s2, exec_lo
	v_cmpx_gt_u32_e64 s12, v0
	s_cbranch_execz .LBB17_24
; %bb.10:
	s_load_b32 s6, s[0:1], 0x10
	s_mul_i32 s15, s15, s12
	s_delay_alu instid0(SALU_CYCLE_1) | instskip(NEXT) | instid1(VALU_DEP_1)
	v_add_lshl_u32 v20, s15, v0, 2
	v_cmp_gt_u32_e32 vcc_lo, s7, v20
	s_and_b32 exec_lo, exec_lo, vcc_lo
	s_cbranch_execz .LBB17_24
; %bb.11:
	s_waitcnt lgkmcnt(0)
	v_cvt_f32_u32_e32 v0, s6
	s_clause 0x1
	s_load_b128 s[8:11], s[0:1], 0x28
	s_load_b64 s[2:3], s[0:1], 0x18
	s_cmp_lg_u32 s4, 0
	v_mbcnt_lo_u32_b32 v37, -1, 0
	v_rcp_iflag_f32_e32 v0, v0
	s_cselect_b32 s1, -1, 0
	s_add_i32 s14, s4, -8
	s_add_i32 s15, s7, -1
	v_lshlrev_b32_e32 v38, 4, v1
	v_xor_b32_e32 v40, 16, v37
	s_mul_i32 s13, s12, s13
	s_mov_b32 s12, 0
	s_waitcnt_depctr 0xfff
	v_mul_f32_e32 v0, 0x4f7ffffe, v0
	s_delay_alu instid0(VALU_DEP_1)
	v_cvt_u32_f32_e32 v0, v0
	s_waitcnt lgkmcnt(0)
	s_cmp_lg_u64 s[8:9], 0
	s_cselect_b32 s16, -1, 0
	s_sub_i32 s0, 0, s6
	s_lshl_b32 s13, s13, 2
	v_mul_lo_u32 v2, s0, v0
	v_cmp_eq_u32_e64 s0, 31, v1
	s_delay_alu instid0(VALU_DEP_2) | instskip(NEXT) | instid1(VALU_DEP_1)
	v_mul_hi_u32 v2, v0, v2
	v_dual_mov_b32 v22, 0 :: v_dual_add_nc_u32 v39, v0, v2
	s_branch .LBB17_14
.LBB17_12:                              ;   in Loop: Header=BB17_14 Depth=1
	s_waitcnt lgkmcnt(1)
	v_dual_add_f32 v6, v6, v7 :: v_dual_add_f32 v5, v3, v5
	s_waitcnt vmcnt(3)
	v_cvt_f32_f16_e32 v7, v11
	v_add_f32_e32 v4, v2, v4
	v_lshlrev_b64 v[2:3], 1, v[20:21]
	s_waitcnt vmcnt(2)
	v_cvt_f32_f16_e32 v10, v10
	s_waitcnt vmcnt(1)
	v_cvt_f32_f16_e32 v9, v9
	s_waitcnt lgkmcnt(0)
	v_dual_add_f32 v6, v6, v7 :: v_dual_add_f32 v7, v0, v1
	s_waitcnt vmcnt(0)
	v_cvt_f32_f16_e32 v8, v8
	v_add_f32_e32 v4, v4, v10
	v_add_co_u32 v0, vcc_lo, s10, v2
	v_add_co_ci_u32_e32 v1, vcc_lo, s11, v3, vcc_lo
	v_lshlrev_b64 v[2:3], 1, v[27:28]
	v_cvt_f16_f32_e32 v10, v6
	v_add_f32_e32 v6, v5, v9
	v_cvt_f16_f32_e32 v11, v4
	v_lshlrev_b64 v[4:5], 1, v[25:26]
	v_add_f32_e32 v8, v7, v8
	v_add_co_u32 v2, vcc_lo, s10, v2
	v_cvt_f16_f32_e32 v9, v6
	v_lshlrev_b64 v[6:7], 1, v[23:24]
	v_add_co_ci_u32_e32 v3, vcc_lo, s11, v3, vcc_lo
	v_add_co_u32 v4, vcc_lo, s10, v4
	v_add_co_ci_u32_e32 v5, vcc_lo, s11, v5, vcc_lo
	s_delay_alu instid0(VALU_DEP_4)
	v_add_co_u32 v6, vcc_lo, s10, v6
	v_cvt_f16_f32_e32 v8, v8
	v_add_co_ci_u32_e32 v7, vcc_lo, s11, v7, vcc_lo
	s_clause 0x3
	global_store_b16 v[0:1], v10, off
	global_store_b16 v[2:3], v11, off
	;; [unrolled: 1-line block ×4, first 2 shown]
.LBB17_13:                              ;   in Loop: Header=BB17_14 Depth=1
	s_or_b32 exec_lo, exec_lo, s17
	v_add_nc_u32_e32 v20, s13, v20
	s_delay_alu instid0(VALU_DEP_1) | instskip(SKIP_1) | instid1(SALU_CYCLE_1)
	v_cmp_le_u32_e32 vcc_lo, s7, v20
	s_or_b32 s12, vcc_lo, s12
	s_and_not1_b32 exec_lo, exec_lo, s12
	s_cbranch_execz .LBB17_24
.LBB17_14:                              ; =>This Loop Header: Depth=1
                                        ;     Child Loop BB17_17 Depth 2
	v_or_b32_e32 v27, 1, v20
	v_or_b32_e32 v25, 2, v20
	v_or_b32_e32 v23, 3, v20
	v_mov_b32_e32 v42, v22
	v_mov_b32_e32 v41, v22
	;; [unrolled: 1-line block ×4, first 2 shown]
	s_and_not1_b32 vcc_lo, exec_lo, s1
	s_cbranch_vccnz .LBB17_19
; %bb.15:                               ;   in Loop: Header=BB17_14 Depth=1
	v_min_u32_e32 v0, s15, v20
	s_waitcnt lgkmcnt(0)
	v_min_u32_e32 v1, s15, v27
	v_min_u32_e32 v2, s15, v25
	;; [unrolled: 1-line block ×3, first 2 shown]
	v_dual_mov_b32 v5, v22 :: v_dual_mov_b32 v42, 0
	v_mul_lo_u32 v21, v0, s5
	v_mul_lo_u32 v0, v1, s5
	;; [unrolled: 1-line block ×4, first 2 shown]
	v_dual_mov_b32 v1, v22 :: v_dual_mov_b32 v24, 0
	v_dual_mov_b32 v3, v22 :: v_dual_mov_b32 v26, 0
	v_lshlrev_b64 v[28:29], 1, v[21:22]
	s_delay_alu instid0(VALU_DEP_3) | instskip(SKIP_1) | instid1(VALU_DEP_4)
	v_lshlrev_b64 v[30:31], 1, v[0:1]
	v_mov_b32_e32 v43, v38
	v_lshlrev_b64 v[32:33], 1, v[2:3]
	v_lshlrev_b64 v[34:35], 1, v[4:5]
	v_mov_b32_e32 v41, 0
	s_mov_b32 s17, 0
	s_branch .LBB17_17
.LBB17_16:                              ;   in Loop: Header=BB17_17 Depth=2
	s_or_b32 exec_lo, exec_lo, s18
	v_add_nc_u32_e32 v43, 0x200, v43
	s_addk_i32 s17, 0x100
	s_waitcnt vmcnt(3) lgkmcnt(0)
	;;#ASMSTART
	v_dot2_f32_f16 v42, v4, v16, v42
	;;#ASMEND
	s_waitcnt vmcnt(2)
	;;#ASMSTART
	v_dot2_f32_f16 v41, v4, v12, v41
	;;#ASMEND
	s_waitcnt vmcnt(1)
	;; [unrolled: 4-line block ×3, first 2 shown]
	;;#ASMSTART
	v_dot2_f32_f16 v24, v4, v0, v24
	;;#ASMEND
	;;#ASMSTART
	v_dot2_f32_f16 v42, v5, v17, v42
	;;#ASMEND
	;; [unrolled: 3-line block ×5, first 2 shown]
	s_cmp_ge_u32 s17, s4
	;;#ASMSTART
	v_dot2_f32_f16 v42, v6, v18, v42
	;;#ASMEND
	;;#ASMSTART
	v_dot2_f32_f16 v41, v6, v14, v41
	;;#ASMEND
	;; [unrolled: 3-line block ×8, first 2 shown]
	s_cbranch_scc1 .LBB17_19
.LBB17_17:                              ;   Parent Loop BB17_14 Depth=1
                                        ; =>  This Inner Loop Header: Depth=2
	v_add_nc_u32_e32 v44, s17, v36
	s_mov_b32 s18, exec_lo
	s_delay_alu instid0(VALU_DEP_1) | instskip(NEXT) | instid1(VALU_DEP_1)
	v_min_u32_e32 v21, s14, v44
	v_lshlrev_b64 v[0:1], 1, v[21:22]
	s_delay_alu instid0(VALU_DEP_1) | instskip(NEXT) | instid1(VALU_DEP_2)
	v_add_co_u32 v6, vcc_lo, s2, v0
	v_add_co_ci_u32_e32 v7, vcc_lo, s3, v1, vcc_lo
	s_delay_alu instid0(VALU_DEP_2) | instskip(NEXT) | instid1(VALU_DEP_2)
	v_add_co_u32 v0, vcc_lo, v6, v28
	v_add_co_ci_u32_e32 v1, vcc_lo, v7, v29, vcc_lo
	v_add_co_u32 v2, vcc_lo, v6, v30
	v_add_co_ci_u32_e32 v3, vcc_lo, v7, v31, vcc_lo
	;; [unrolled: 2-line block ×4, first 2 shown]
	s_clause 0x3
	global_load_b128 v[16:19], v[0:1], off slc dlc
	global_load_b128 v[12:15], v[2:3], off slc dlc
	global_load_b128 v[8:11], v[4:5], off slc dlc
	global_load_b128 v[0:3], v[6:7], off slc dlc
	v_dual_mov_b32 v5, 0 :: v_dual_mov_b32 v4, 0
	v_dual_mov_b32 v7, 0 :: v_dual_mov_b32 v6, 0
	v_cmpx_gt_u32_e64 s4, v44
	s_cbranch_execz .LBB17_16
; %bb.18:                               ;   in Loop: Header=BB17_17 Depth=2
	ds_load_b128 v[4:7], v43
	s_branch .LBB17_16
.LBB17_19:                              ;   in Loop: Header=BB17_14 Depth=1
	; sched_barrier mask(0x00000000)
	v_cvt_i32_f32_e32 v0, v42
	s_waitcnt lgkmcnt(0)
	v_cvt_i32_f32_e32 v1, v41
	v_cvt_i32_f32_e32 v2, v26
	;; [unrolled: 1-line block ×3, first 2 shown]
	v_cmp_gt_i32_e32 vcc_lo, 32, v40
	v_cvt_f32_i32_dpp v0, v0 row_shr:8 row_mask:0xf bank_mask:0xf bound_ctrl:1
	v_cvt_f32_i32_dpp v1, v1 row_shr:8 row_mask:0xf bank_mask:0xf bound_ctrl:1
	;; [unrolled: 1-line block ×4, first 2 shown]
	s_delay_alu instid0(VALU_DEP_3) | instskip(NEXT) | instid1(VALU_DEP_2)
	v_dual_add_f32 v0, v42, v0 :: v_dual_add_f32 v1, v41, v1
	v_dual_add_f32 v2, v26, v2 :: v_dual_add_f32 v3, v24, v3
	s_delay_alu instid0(VALU_DEP_2) | instskip(NEXT) | instid1(VALU_DEP_3)
	v_cvt_i32_f32_e32 v4, v0
	v_cvt_i32_f32_e32 v5, v1
	s_delay_alu instid0(VALU_DEP_3) | instskip(NEXT) | instid1(VALU_DEP_4)
	v_cvt_i32_f32_e32 v6, v2
	v_cvt_i32_f32_e32 v7, v3
	s_delay_alu instid0(VALU_DEP_4) | instskip(NEXT) | instid1(VALU_DEP_4)
	v_cvt_f32_i32_dpp v4, v4 row_shr:4 row_mask:0xf bank_mask:0xf bound_ctrl:1
	v_cvt_f32_i32_dpp v5, v5 row_shr:4 row_mask:0xf bank_mask:0xf bound_ctrl:1
	s_delay_alu instid0(VALU_DEP_4) | instskip(NEXT) | instid1(VALU_DEP_4)
	v_cvt_f32_i32_dpp v6, v6 row_shr:4 row_mask:0xf bank_mask:0xf bound_ctrl:1
	v_cvt_f32_i32_dpp v7, v7 row_shr:4 row_mask:0xf bank_mask:0xf bound_ctrl:1
	s_delay_alu instid0(VALU_DEP_3) | instskip(NEXT) | instid1(VALU_DEP_2)
	v_dual_add_f32 v0, v0, v4 :: v_dual_add_f32 v1, v1, v5
	v_dual_add_f32 v2, v2, v6 :: v_dual_add_f32 v3, v3, v7
	s_delay_alu instid0(VALU_DEP_2) | instskip(NEXT) | instid1(VALU_DEP_3)
	v_cvt_i32_f32_e32 v4, v0
	v_cvt_i32_f32_e32 v5, v1
	s_delay_alu instid0(VALU_DEP_3) | instskip(NEXT) | instid1(VALU_DEP_4)
	v_cvt_i32_f32_e32 v6, v2
	v_cvt_i32_f32_e32 v7, v3
	s_delay_alu instid0(VALU_DEP_4) | instskip(NEXT) | instid1(VALU_DEP_4)
	v_cvt_f32_i32_dpp v4, v4 row_shr:2 row_mask:0xf bank_mask:0xf bound_ctrl:1
	v_cvt_f32_i32_dpp v5, v5 row_shr:2 row_mask:0xf bank_mask:0xf bound_ctrl:1
	s_delay_alu instid0(VALU_DEP_4) | instskip(NEXT) | instid1(VALU_DEP_4)
	v_cvt_f32_i32_dpp v6, v6 row_shr:2 row_mask:0xf bank_mask:0xf bound_ctrl:1
	v_cvt_f32_i32_dpp v7, v7 row_shr:2 row_mask:0xf bank_mask:0xf bound_ctrl:1
	s_delay_alu instid0(VALU_DEP_3) | instskip(NEXT) | instid1(VALU_DEP_2)
	v_dual_add_f32 v0, v0, v4 :: v_dual_add_f32 v1, v1, v5
	v_dual_add_f32 v4, v2, v6 :: v_dual_add_f32 v5, v3, v7
	s_delay_alu instid0(VALU_DEP_2) | instskip(NEXT) | instid1(VALU_DEP_3)
	v_cvt_i32_f32_e32 v2, v0
	v_cvt_i32_f32_e32 v3, v1
	s_delay_alu instid0(VALU_DEP_3) | instskip(NEXT) | instid1(VALU_DEP_4)
	v_cvt_i32_f32_e32 v6, v4
	v_cvt_i32_f32_e32 v7, v5
	s_delay_alu instid0(VALU_DEP_4) | instskip(NEXT) | instid1(VALU_DEP_4)
	v_cvt_f32_i32_dpp v2, v2 row_shr:1 row_mask:0xf bank_mask:0xf bound_ctrl:1
	v_cvt_f32_i32_dpp v3, v3 row_shr:1 row_mask:0xf bank_mask:0xf bound_ctrl:1
	s_delay_alu instid0(VALU_DEP_4) | instskip(SKIP_3) | instid1(VALU_DEP_4)
	v_cvt_f32_i32_dpp v9, v6 row_shr:1 row_mask:0xf bank_mask:0xf bound_ctrl:1
	v_cndmask_b32_e32 v8, v37, v40, vcc_lo
	v_cvt_f32_i32_dpp v7, v7 row_shr:1 row_mask:0xf bank_mask:0xf bound_ctrl:1
	v_add_f32_e32 v6, v0, v2
	v_dual_add_f32 v2, v1, v3 :: v_dual_add_f32 v3, v4, v9
	s_delay_alu instid0(VALU_DEP_4) | instskip(NEXT) | instid1(VALU_DEP_4)
	v_lshlrev_b32_e32 v8, 2, v8
	v_add_f32_e32 v0, v5, v7
	ds_bpermute_b32 v7, v8, v6
	ds_bpermute_b32 v4, v8, v2
	ds_bpermute_b32 v5, v8, v3
	ds_bpermute_b32 v1, v8, v0
	s_and_saveexec_b32 s17, s0
	s_cbranch_execz .LBB17_13
; %bb.20:                               ;   in Loop: Header=BB17_14 Depth=1
	s_and_b32 vcc_lo, exec_lo, s16
	s_cbranch_vccz .LBB17_22
; %bb.21:                               ;   in Loop: Header=BB17_14 Depth=1
	v_mul_hi_u32 v8, v20, v39
	v_mul_hi_u32 v9, v27, v39
	;; [unrolled: 1-line block ×4, first 2 shown]
	v_mov_b32_e32 v26, v22
	v_mov_b32_e32 v24, v22
	;; [unrolled: 1-line block ×3, first 2 shown]
	v_mul_lo_u32 v8, v8, s6
	v_mul_lo_u32 v9, v9, s6
	;; [unrolled: 1-line block ×4, first 2 shown]
	s_delay_alu instid0(VALU_DEP_4) | instskip(NEXT) | instid1(VALU_DEP_4)
	v_sub_nc_u32_e32 v8, v20, v8
	v_sub_nc_u32_e32 v9, v27, v9
	s_delay_alu instid0(VALU_DEP_4) | instskip(NEXT) | instid1(VALU_DEP_4)
	v_sub_nc_u32_e32 v10, v25, v10
	v_sub_nc_u32_e32 v11, v23, v11
	s_delay_alu instid0(VALU_DEP_4) | instskip(SKIP_1) | instid1(VALU_DEP_4)
	v_subrev_nc_u32_e32 v12, s6, v8
	v_cmp_le_u32_e32 vcc_lo, s6, v8
	v_subrev_nc_u32_e32 v13, s6, v10
	s_delay_alu instid0(VALU_DEP_4) | instskip(NEXT) | instid1(VALU_DEP_4)
	v_subrev_nc_u32_e32 v15, s6, v11
	v_cndmask_b32_e32 v8, v8, v12, vcc_lo
	v_subrev_nc_u32_e32 v12, s6, v9
	v_cmp_le_u32_e32 vcc_lo, s6, v9
	s_delay_alu instid0(VALU_DEP_3) | instskip(NEXT) | instid1(VALU_DEP_3)
	v_subrev_nc_u32_e32 v14, s6, v8
	v_cndmask_b32_e32 v12, v9, v12, vcc_lo
	v_cmp_le_u32_e32 vcc_lo, s6, v8
	s_delay_alu instid0(VALU_DEP_3) | instskip(SKIP_1) | instid1(VALU_DEP_2)
	v_cndmask_b32_e32 v21, v8, v14, vcc_lo
	v_cmp_le_u32_e32 vcc_lo, s6, v10
	v_lshlrev_b64 v[8:9], 1, v[21:22]
	v_cndmask_b32_e32 v13, v10, v13, vcc_lo
	v_cmp_le_u32_e32 vcc_lo, s6, v11
	v_subrev_nc_u32_e32 v10, s6, v12
	v_cndmask_b32_e32 v14, v11, v15, vcc_lo
	v_cmp_le_u32_e32 vcc_lo, s6, v12
	s_delay_alu instid0(VALU_DEP_3) | instskip(SKIP_3) | instid1(VALU_DEP_4)
	v_cndmask_b32_e32 v21, v12, v10, vcc_lo
	v_subrev_nc_u32_e32 v12, s6, v13
	v_cmp_le_u32_e32 vcc_lo, s6, v13
	v_subrev_nc_u32_e32 v15, s6, v14
	v_lshlrev_b64 v[10:11], 1, v[21:22]
	s_delay_alu instid0(VALU_DEP_4) | instskip(SKIP_3) | instid1(VALU_DEP_4)
	v_cndmask_b32_e32 v21, v13, v12, vcc_lo
	v_add_co_u32 v8, vcc_lo, s8, v8
	v_add_co_ci_u32_e32 v9, vcc_lo, s9, v9, vcc_lo
	v_cmp_le_u32_e32 vcc_lo, s6, v14
	v_lshlrev_b64 v[12:13], 1, v[21:22]
	v_cndmask_b32_e32 v21, v14, v15, vcc_lo
	v_add_co_u32 v14, vcc_lo, s8, v10
	v_add_co_ci_u32_e32 v15, vcc_lo, s9, v11, vcc_lo
	s_delay_alu instid0(VALU_DEP_3) | instskip(SKIP_3) | instid1(VALU_DEP_4)
	v_lshlrev_b64 v[10:11], 1, v[21:22]
	v_add_co_u32 v12, vcc_lo, s8, v12
	v_add_co_ci_u32_e32 v13, vcc_lo, s9, v13, vcc_lo
	v_mov_b32_e32 v21, v22
	v_add_co_u32 v16, vcc_lo, s8, v10
	v_add_co_ci_u32_e32 v17, vcc_lo, s9, v11, vcc_lo
	s_clause 0x3
	global_load_u16 v11, v[8:9], off
	global_load_u16 v10, v[14:15], off
	;; [unrolled: 1-line block ×4, first 2 shown]
	s_cbranch_execnz .LBB17_12
	s_branch .LBB17_23
.LBB17_22:                              ;   in Loop: Header=BB17_14 Depth=1
                                        ; implicit-def: $vgpr11
                                        ; implicit-def: $vgpr10
                                        ; implicit-def: $vgpr9
                                        ; implicit-def: $vgpr8
.LBB17_23:                              ;   in Loop: Header=BB17_14 Depth=1
	s_waitcnt vmcnt(0)
	v_dual_mov_b32 v21, v22 :: v_dual_mov_b32 v8, 0
	v_dual_mov_b32 v28, v22 :: v_dual_mov_b32 v9, 0
	;; [unrolled: 1-line block ×3, first 2 shown]
	v_mov_b32_e32 v24, v22
	v_mov_b32_e32 v10, 0
	s_branch .LBB17_12
.LBB17_24:
	s_nop 0
	s_sendmsg sendmsg(MSG_DEALLOC_VGPRS)
	s_endpgm
	.section	.rodata,"a",@progbits
	.p2align	6, 0x0
	.amdhsa_kernel _Z16wvSplitK_hf_sml_I6__halfLi32ELi4ELi16ELi8ELi1ELi1EEviiiiiiPKT_S3_S3_PS1_ii
		.amdhsa_group_segment_fixed_size 65536
		.amdhsa_private_segment_fixed_size 0
		.amdhsa_kernarg_size 64
		.amdhsa_user_sgpr_count 15
		.amdhsa_user_sgpr_dispatch_ptr 0
		.amdhsa_user_sgpr_queue_ptr 0
		.amdhsa_user_sgpr_kernarg_segment_ptr 1
		.amdhsa_user_sgpr_dispatch_id 0
		.amdhsa_user_sgpr_private_segment_size 0
		.amdhsa_wavefront_size32 1
		.amdhsa_uses_dynamic_stack 0
		.amdhsa_enable_private_segment 0
		.amdhsa_system_sgpr_workgroup_id_x 1
		.amdhsa_system_sgpr_workgroup_id_y 0
		.amdhsa_system_sgpr_workgroup_id_z 0
		.amdhsa_system_sgpr_workgroup_info 0
		.amdhsa_system_vgpr_workitem_id 1
		.amdhsa_next_free_vgpr 45
		.amdhsa_next_free_sgpr 19
		.amdhsa_reserve_vcc 1
		.amdhsa_float_round_mode_32 0
		.amdhsa_float_round_mode_16_64 0
		.amdhsa_float_denorm_mode_32 3
		.amdhsa_float_denorm_mode_16_64 3
		.amdhsa_dx10_clamp 1
		.amdhsa_ieee_mode 1
		.amdhsa_fp16_overflow 0
		.amdhsa_workgroup_processor_mode 1
		.amdhsa_memory_ordered 1
		.amdhsa_forward_progress 0
		.amdhsa_shared_vgpr_count 0
		.amdhsa_exception_fp_ieee_invalid_op 0
		.amdhsa_exception_fp_denorm_src 0
		.amdhsa_exception_fp_ieee_div_zero 0
		.amdhsa_exception_fp_ieee_overflow 0
		.amdhsa_exception_fp_ieee_underflow 0
		.amdhsa_exception_fp_ieee_inexact 0
		.amdhsa_exception_int_div_zero 0
	.end_amdhsa_kernel
	.section	.text._Z16wvSplitK_hf_sml_I6__halfLi32ELi4ELi16ELi8ELi1ELi1EEviiiiiiPKT_S3_S3_PS1_ii,"axG",@progbits,_Z16wvSplitK_hf_sml_I6__halfLi32ELi4ELi16ELi8ELi1ELi1EEviiiiiiPKT_S3_S3_PS1_ii,comdat
.Lfunc_end17:
	.size	_Z16wvSplitK_hf_sml_I6__halfLi32ELi4ELi16ELi8ELi1ELi1EEviiiiiiPKT_S3_S3_PS1_ii, .Lfunc_end17-_Z16wvSplitK_hf_sml_I6__halfLi32ELi4ELi16ELi8ELi1ELi1EEviiiiiiPKT_S3_S3_PS1_ii
                                        ; -- End function
	.section	.AMDGPU.csdata,"",@progbits
; Kernel info:
; codeLenInByte = 2528
; NumSgprs: 21
; NumVgprs: 45
; ScratchSize: 0
; MemoryBound: 0
; FloatMode: 240
; IeeeMode: 1
; LDSByteSize: 65536 bytes/workgroup (compile time only)
; SGPRBlocks: 2
; VGPRBlocks: 5
; NumSGPRsForWavesPerEU: 21
; NumVGPRsForWavesPerEU: 45
; Occupancy: 8
; WaveLimiterHint : 0
; COMPUTE_PGM_RSRC2:SCRATCH_EN: 0
; COMPUTE_PGM_RSRC2:USER_SGPR: 15
; COMPUTE_PGM_RSRC2:TRAP_HANDLER: 0
; COMPUTE_PGM_RSRC2:TGID_X_EN: 1
; COMPUTE_PGM_RSRC2:TGID_Y_EN: 0
; COMPUTE_PGM_RSRC2:TGID_Z_EN: 0
; COMPUTE_PGM_RSRC2:TIDIG_COMP_CNT: 1
	.section	.text._Z12wvSplitK_hf_I6__halfLi32ELi4ELi16ELi8ELi1ELi1EEviiiiiiPKT_S3_S3_PS1_ii,"axG",@progbits,_Z12wvSplitK_hf_I6__halfLi32ELi4ELi16ELi8ELi1ELi1EEviiiiiiPKT_S3_S3_PS1_ii,comdat
	.protected	_Z12wvSplitK_hf_I6__halfLi32ELi4ELi16ELi8ELi1ELi1EEviiiiiiPKT_S3_S3_PS1_ii ; -- Begin function _Z12wvSplitK_hf_I6__halfLi32ELi4ELi16ELi8ELi1ELi1EEviiiiiiPKT_S3_S3_PS1_ii
	.globl	_Z12wvSplitK_hf_I6__halfLi32ELi4ELi16ELi8ELi1ELi1EEviiiiiiPKT_S3_S3_PS1_ii
	.p2align	8
	.type	_Z12wvSplitK_hf_I6__halfLi32ELi4ELi16ELi8ELi1ELi1EEviiiiiiPKT_S3_S3_PS1_ii,@function
_Z12wvSplitK_hf_I6__halfLi32ELi4ELi16ELi8ELi1ELi1EEviiiiiiPKT_S3_S3_PS1_ii: ; @_Z12wvSplitK_hf_I6__halfLi32ELi4ELi16ELi8ELi1ELi1EEviiiiiiPKT_S3_S3_PS1_ii
; %bb.0:
	s_clause 0x1
	s_load_b64 s[16:17], s[0:1], 0x38
	s_load_b128 s[4:7], s[0:1], 0x0
	v_bfe_u32 v5, v0, 10, 10
	s_clause 0x1
	s_load_b64 s[12:13], s[0:1], 0x20
	s_load_b32 s18, s[0:1], 0x10
	s_mov_b32 s8, 1
	s_delay_alu instid0(SALU_CYCLE_1) | instskip(SKIP_4) | instid1(SALU_CYCLE_1)
	s_mov_b32 s9, s8
	s_mov_b32 s10, s8
	;; [unrolled: 1-line block ×3, first 2 shown]
	s_waitcnt lgkmcnt(0)
	s_mul_i32 s15, s15, s16
	v_add_lshl_u32 v25, s15, v5, 2
	s_delay_alu instid0(VALU_DEP_1) | instskip(SKIP_1) | instid1(VALU_DEP_2)
	v_add_nc_u32_e32 v1, 4, v25
	v_cmp_gt_u32_e32 vcc_lo, s7, v25
	v_cmp_le_u32_e64 s2, s7, v1
	v_dual_mov_b32 v1, s8 :: v_dual_mov_b32 v4, s11
	v_dual_mov_b32 v2, s9 :: v_dual_mov_b32 v3, s10
	s_delay_alu instid0(VALU_DEP_3) | instskip(NEXT) | instid1(SALU_CYCLE_1)
	s_and_b32 s2, vcc_lo, s2
	s_and_saveexec_b32 s14, s2
	s_cbranch_execz .LBB18_6
; %bb.1:
	v_dual_mov_b32 v1, s8 :: v_dual_mov_b32 v2, s9
	v_dual_mov_b32 v3, s10 :: v_dual_mov_b32 v4, s11
	s_add_i32 s15, s7, -4
	s_mov_b32 s19, exec_lo
	v_cmpx_ne_u32_e64 s15, v25
	s_cbranch_execz .LBB18_5
; %bb.2:
	v_subrev_nc_u32_e32 v1, s15, v25
	s_mov_b32 s20, 0
	s_mov_b64 s[2:3], 0
	s_mov_b32 s9, s8
	s_mov_b32 s10, s8
	v_cmp_lt_u32_e32 vcc_lo, 1, v1
	s_mov_b32 s11, s8
	v_cndmask_b32_e32 v6, 1, v1, vcc_lo
	.p2align	6
.LBB18_3:                               ; =>This Inner Loop Header: Depth=1
	s_cmp_lg_u32 s2, 3
	s_cselect_b32 s11, s11, 0
	s_cmp_lg_u32 s2, 2
	s_cselect_b32 s10, s10, 0
	s_cmp_lg_u32 s2, 1
	s_cselect_b32 s9, s9, 0
	s_cmp_lg_u32 s2, 0
	s_cselect_b32 s8, s8, 0
	s_add_u32 s2, s2, 1
	v_dual_mov_b32 v1, s8 :: v_dual_mov_b32 v2, s9
	v_cmp_eq_u32_e32 vcc_lo, s2, v6
	v_dual_mov_b32 v3, s10 :: v_dual_mov_b32 v4, s11
	s_addc_u32 s3, s3, 0
	s_or_b32 s20, vcc_lo, s20
	s_delay_alu instid0(SALU_CYCLE_1)
	s_and_not1_b32 exec_lo, exec_lo, s20
	s_cbranch_execnz .LBB18_3
; %bb.4:
	s_or_b32 exec_lo, exec_lo, s20
	v_mov_b32_e32 v25, s15
.LBB18_5:
	s_or_b32 exec_lo, exec_lo, s19
.LBB18_6:
	s_delay_alu instid0(SALU_CYCLE_1) | instskip(SKIP_3) | instid1(VALU_DEP_1)
	s_or_b32 exec_lo, exec_lo, s14
	v_and_b32_e32 v6, 0x3ff, v0
	s_min_u32 s3, s6, 0x8000
	s_mov_b32 s2, exec_lo
	v_lshlrev_b32_e32 v0, 3, v6
	s_delay_alu instid0(VALU_DEP_1) | instskip(NEXT) | instid1(VALU_DEP_1)
	v_lshl_add_u32 v8, v5, 8, v0
	v_cmpx_gt_u32_e64 s3, v8
	s_cbranch_execz .LBB18_15
; %bb.7:
	v_lshlrev_b32_e32 v7, 1, v8
	v_add_nc_u32_e32 v13, 0x1000, v8
	s_mov_b32 s6, exec_lo
	global_load_b128 v[9:12], v7, s[12:13]
	s_waitcnt vmcnt(0)
	ds_store_b128 v7, v[9:12]
	v_cmpx_gt_u32_e64 s3, v13
	s_xor_b32 s6, exec_lo, s6
	s_cbranch_execz .LBB18_15
; %bb.8:
	v_add_co_u32 v9, s6, s12, v7
	s_delay_alu instid0(VALU_DEP_1) | instskip(SKIP_1) | instid1(VALU_DEP_3)
	v_add_co_ci_u32_e64 v10, null, s13, 0, s6
	v_add_nc_u32_e32 v15, 0x2000, v8
	v_add_co_u32 v11, vcc_lo, 0x2000, v9
	s_delay_alu instid0(VALU_DEP_3)
	v_add_co_ci_u32_e32 v12, vcc_lo, 0, v10, vcc_lo
	s_mov_b32 s6, exec_lo
	global_load_b128 v[11:14], v[11:12], off
	s_waitcnt vmcnt(0)
	ds_store_b128 v7, v[11:14] offset:8192
	v_cmpx_gt_u32_e64 s3, v15
	s_xor_b32 s6, exec_lo, s6
	s_cbranch_execz .LBB18_15
; %bb.9:
	v_add_co_u32 v11, vcc_lo, 0x4000, v9
	v_add_co_ci_u32_e32 v12, vcc_lo, 0, v10, vcc_lo
	v_add_nc_u32_e32 v15, 0x3000, v8
	s_mov_b32 s6, exec_lo
	global_load_b128 v[11:14], v[11:12], off
	s_waitcnt vmcnt(0)
	ds_store_b128 v7, v[11:14] offset:16384
	v_cmpx_gt_u32_e64 s3, v15
	s_xor_b32 s6, exec_lo, s6
	s_cbranch_execz .LBB18_15
; %bb.10:
	v_add_co_u32 v11, vcc_lo, 0x6000, v9
	v_add_co_ci_u32_e32 v12, vcc_lo, 0, v10, vcc_lo
	v_add_nc_u32_e32 v15, 0x4000, v8
	;; [unrolled: 11-line block ×5, first 2 shown]
	global_load_b128 v[11:14], v[11:12], off
	v_cmp_gt_u32_e32 vcc_lo, s3, v8
	s_waitcnt vmcnt(0)
	ds_store_b128 v7, v[11:14] offset:49152
	s_and_saveexec_b32 s3, vcc_lo
	s_delay_alu instid0(SALU_CYCLE_1)
	s_xor_b32 s3, exec_lo, s3
	s_cbranch_execz .LBB18_15
; %bb.14:
	v_add_co_u32 v8, vcc_lo, 0xe000, v9
	v_add_co_ci_u32_e32 v9, vcc_lo, 0, v10, vcc_lo
	global_load_b128 v[8:11], v[8:9], off
	s_waitcnt vmcnt(0)
	ds_store_b128 v7, v[8:11] offset:57344
.LBB18_15:
	s_or_b32 exec_lo, exec_lo, s2
	v_cmp_gt_u32_e32 vcc_lo, s16, v5
	v_cmp_gt_u32_e64 s2, s7, v25
	s_waitcnt lgkmcnt(0)
	s_barrier
	buffer_gl0_inv
	s_and_b32 s2, vcc_lo, s2
	s_delay_alu instid0(SALU_CYCLE_1)
	s_and_saveexec_b32 s3, s2
	s_cbranch_execz .LBB18_44
; %bb.16:
	v_cvt_f32_u32_e32 v5, s18
	s_clause 0x1
	s_load_b128 s[8:11], s[0:1], 0x28
	s_load_b64 s[14:15], s[0:1], 0x18
	s_cmp_lg_u32 s4, 0
	v_mbcnt_lo_u32_b32 v41, -1, 0
	v_rcp_iflag_f32_e32 v5, v5
	s_cselect_b32 s6, -1, 0
	s_add_i32 s19, s4, -8
	s_add_i32 s20, s7, -1
	v_xor_b32_e32 v43, 16, v41
	s_mul_i32 s1, s16, s17
	s_mov_b32 s22, 0
	s_waitcnt_depctr 0xfff
	v_dual_mul_f32 v5, 0x4f7ffffe, v5 :: v_dual_lshlrev_b32 v42, 4, v6
	s_delay_alu instid0(VALU_DEP_1)
	v_cvt_u32_f32_e32 v5, v5
	s_waitcnt lgkmcnt(0)
	s_cmp_lg_u64 s[8:9], 0
	s_cselect_b32 s21, -1, 0
	s_sub_i32 s0, 0, s18
	s_lshl_b32 s23, s1, 2
	v_mul_lo_u32 v7, s0, v5
	v_cmp_eq_u32_e64 s0, 31, v6
	s_add_i32 s24, s7, -4
	s_delay_alu instid0(VALU_DEP_2) | instskip(NEXT) | instid1(VALU_DEP_1)
	v_mul_hi_u32 v7, v5, v7
	v_dual_mov_b32 v27, 0 :: v_dual_add_nc_u32 v44, v5, v7
	s_branch .LBB18_19
.LBB18_17:                              ;   in Loop: Header=BB18_19 Depth=1
	s_or_b32 exec_lo, exec_lo, s26
	v_mov_b32_e32 v25, s24
.LBB18_18:                              ;   in Loop: Header=BB18_19 Depth=1
	s_or_b32 exec_lo, exec_lo, s25
	s_delay_alu instid0(VALU_DEP_1) | instskip(SKIP_1) | instid1(SALU_CYCLE_1)
	v_cmp_le_u32_e32 vcc_lo, s7, v25
	s_or_b32 s22, vcc_lo, s22
	s_and_not1_b32 exec_lo, exec_lo, s22
	s_cbranch_execz .LBB18_44
.LBB18_19:                              ; =>This Loop Header: Depth=1
                                        ;     Child Loop BB18_23 Depth 2
                                        ;     Child Loop BB18_42 Depth 2
	s_delay_alu instid0(VALU_DEP_1)
	v_dual_mov_b32 v47, v27 :: v_dual_add_nc_u32 v30, 1, v25
	v_dual_mov_b32 v48, v27 :: v_dual_add_nc_u32 v29, 2, v25
	;; [unrolled: 1-line block ×3, first 2 shown]
	v_mov_b32_e32 v46, v27
	s_and_not1_b32 vcc_lo, exec_lo, s6
	s_cbranch_vccnz .LBB18_28
; %bb.20:                               ;   in Loop: Header=BB18_19 Depth=1
	v_min_u32_e32 v5, s20, v25
	s_waitcnt lgkmcnt(0)
	v_min_u32_e32 v6, s20, v30
	v_min_u32_e32 v7, s20, v29
	;; [unrolled: 1-line block ×3, first 2 shown]
	v_dual_mov_b32 v10, v27 :: v_dual_mov_b32 v47, 0
	v_mul_lo_u32 v26, v5, s5
	v_mul_lo_u32 v5, v6, s5
	;; [unrolled: 1-line block ×4, first 2 shown]
	v_dual_mov_b32 v6, v27 :: v_dual_mov_b32 v45, 0
	v_dual_mov_b32 v8, v27 :: v_dual_mov_b32 v49, v42
	v_lshlrev_b64 v[31:32], 1, v[26:27]
	s_delay_alu instid0(VALU_DEP_3) | instskip(SKIP_1) | instid1(VALU_DEP_4)
	v_lshlrev_b64 v[33:34], 1, v[5:6]
	v_mov_b32_e32 v46, 0
	v_lshlrev_b64 v[35:36], 1, v[7:8]
	v_lshlrev_b64 v[37:38], 1, v[9:10]
	v_mov_b32_e32 v48, 0
	s_mov_b32 s1, 0
	s_branch .LBB18_23
.LBB18_21:                              ;   in Loop: Header=BB18_23 Depth=2
	s_or_b32 exec_lo, exec_lo, s3
.LBB18_22:                              ;   in Loop: Header=BB18_23 Depth=2
	s_delay_alu instid0(SALU_CYCLE_1)
	s_or_b32 exec_lo, exec_lo, s2
	v_add_nc_u32_e32 v49, 0x200, v49
	s_addk_i32 s1, 0x100
	s_waitcnt vmcnt(0) lgkmcnt(0)
	;;#ASMSTART
	v_dot2_f32_f16 v48, v9, v21, v48
	;;#ASMEND
	;;#ASMSTART
	v_dot2_f32_f16 v47, v9, v17, v47
	;;#ASMEND
	;; [unrolled: 3-line block ×8, first 2 shown]
	s_cmp_ge_u32 s1, s4
	;;#ASMSTART
	v_dot2_f32_f16 v48, v11, v23, v48
	;;#ASMEND
	;;#ASMSTART
	v_dot2_f32_f16 v47, v11, v19, v47
	;;#ASMEND
	;; [unrolled: 3-line block ×8, first 2 shown]
	s_cbranch_scc1 .LBB18_28
.LBB18_23:                              ;   Parent Loop BB18_19 Depth=1
                                        ; =>  This Inner Loop Header: Depth=2
	v_add_nc_u32_e32 v39, s1, v0
	s_mov_b32 s2, exec_lo
	s_delay_alu instid0(VALU_DEP_1) | instskip(NEXT) | instid1(VALU_DEP_1)
	v_min_u32_e32 v26, s19, v39
	v_lshlrev_b64 v[5:6], 1, v[26:27]
	s_delay_alu instid0(VALU_DEP_1) | instskip(NEXT) | instid1(VALU_DEP_2)
	v_add_co_u32 v11, vcc_lo, s14, v5
	v_add_co_ci_u32_e32 v12, vcc_lo, s15, v6, vcc_lo
	s_delay_alu instid0(VALU_DEP_2) | instskip(NEXT) | instid1(VALU_DEP_2)
	v_add_co_u32 v5, vcc_lo, v11, v31
	v_add_co_ci_u32_e32 v6, vcc_lo, v12, v32, vcc_lo
	v_add_co_u32 v7, vcc_lo, v11, v33
	v_add_co_ci_u32_e32 v8, vcc_lo, v12, v34, vcc_lo
	;; [unrolled: 2-line block ×4, first 2 shown]
	s_clause 0x3
	global_load_b128 v[21:24], v[5:6], off slc dlc
	global_load_b128 v[17:20], v[7:8], off slc dlc
	;; [unrolled: 1-line block ×4, first 2 shown]
	v_dual_mov_b32 v10, 0 :: v_dual_mov_b32 v9, 0
	v_dual_mov_b32 v12, 0 :: v_dual_mov_b32 v11, 0
	v_cmpx_gt_u32_e64 s4, v39
	s_cbranch_execz .LBB18_22
; %bb.24:                               ;   in Loop: Header=BB18_23 Depth=2
	s_mov_b32 s3, exec_lo
                                        ; implicit-def: $vgpr12
	v_cmpx_lt_u32_e32 0x7fff, v39
	s_xor_b32 s3, exec_lo, s3
	s_cbranch_execz .LBB18_26
; %bb.25:                               ;   in Loop: Header=BB18_23 Depth=2
	v_mov_b32_e32 v40, v27
	s_delay_alu instid0(VALU_DEP_1) | instskip(NEXT) | instid1(VALU_DEP_1)
	v_lshlrev_b64 v[9:10], 1, v[39:40]
	v_add_co_u32 v9, vcc_lo, s12, v9
	s_delay_alu instid0(VALU_DEP_2)
	v_add_co_ci_u32_e32 v10, vcc_lo, s13, v10, vcc_lo
	global_load_b128 v[9:12], v[9:10], off
.LBB18_26:                              ;   in Loop: Header=BB18_23 Depth=2
	s_and_not1_saveexec_b32 s3, s3
	s_cbranch_execz .LBB18_21
; %bb.27:                               ;   in Loop: Header=BB18_23 Depth=2
	s_waitcnt vmcnt(0)
	ds_load_b128 v[9:12], v49
	s_branch .LBB18_21
.LBB18_28:                              ;   in Loop: Header=BB18_19 Depth=1
	v_cvt_i32_f32_e32 v5, v48
	s_waitcnt lgkmcnt(0)
	v_cvt_i32_f32_e32 v6, v47
	v_cvt_i32_f32_e32 v7, v46
	;; [unrolled: 1-line block ×3, first 2 shown]
	v_cmp_gt_i32_e32 vcc_lo, 32, v43
	v_cvt_f32_i32_dpp v5, v5 row_shr:8 row_mask:0xf bank_mask:0xf bound_ctrl:1
	v_cvt_f32_i32_dpp v6, v6 row_shr:8 row_mask:0xf bank_mask:0xf bound_ctrl:1
	;; [unrolled: 1-line block ×4, first 2 shown]
	s_waitcnt vmcnt(0)
	v_cndmask_b32_e32 v13, v41, v43, vcc_lo
	v_dual_add_f32 v5, v48, v5 :: v_dual_add_f32 v6, v47, v6
	s_delay_alu instid0(VALU_DEP_3) | instskip(NEXT) | instid1(VALU_DEP_3)
	v_dual_add_f32 v7, v46, v7 :: v_dual_add_f32 v8, v45, v8
	v_lshlrev_b32_e32 v13, 2, v13
	s_delay_alu instid0(VALU_DEP_3) | instskip(NEXT) | instid1(VALU_DEP_4)
	v_cvt_i32_f32_e32 v9, v5
	v_cvt_i32_f32_e32 v10, v6
	s_delay_alu instid0(VALU_DEP_4) | instskip(SKIP_1) | instid1(VALU_DEP_4)
	v_cvt_i32_f32_e32 v11, v7
	v_cvt_i32_f32_e32 v12, v8
	v_cvt_f32_i32_dpp v9, v9 row_shr:4 row_mask:0xf bank_mask:0xf bound_ctrl:1
	s_delay_alu instid0(VALU_DEP_4) | instskip(NEXT) | instid1(VALU_DEP_4)
	v_cvt_f32_i32_dpp v10, v10 row_shr:4 row_mask:0xf bank_mask:0xf bound_ctrl:1
	v_cvt_f32_i32_dpp v11, v11 row_shr:4 row_mask:0xf bank_mask:0xf bound_ctrl:1
	s_delay_alu instid0(VALU_DEP_4) | instskip(NEXT) | instid1(VALU_DEP_3)
	v_cvt_f32_i32_dpp v12, v12 row_shr:4 row_mask:0xf bank_mask:0xf bound_ctrl:1
	v_dual_add_f32 v5, v5, v9 :: v_dual_add_f32 v6, v6, v10
	s_delay_alu instid0(VALU_DEP_2) | instskip(NEXT) | instid1(VALU_DEP_2)
	v_dual_add_f32 v7, v7, v11 :: v_dual_add_f32 v8, v8, v12
	v_cvt_i32_f32_e32 v9, v5
	s_delay_alu instid0(VALU_DEP_3) | instskip(NEXT) | instid1(VALU_DEP_3)
	v_cvt_i32_f32_e32 v10, v6
	v_cvt_i32_f32_e32 v11, v7
	s_delay_alu instid0(VALU_DEP_4) | instskip(NEXT) | instid1(VALU_DEP_4)
	v_cvt_i32_f32_e32 v12, v8
	v_cvt_f32_i32_dpp v9, v9 row_shr:2 row_mask:0xf bank_mask:0xf bound_ctrl:1
	s_delay_alu instid0(VALU_DEP_4) | instskip(NEXT) | instid1(VALU_DEP_4)
	v_cvt_f32_i32_dpp v10, v10 row_shr:2 row_mask:0xf bank_mask:0xf bound_ctrl:1
	v_cvt_f32_i32_dpp v11, v11 row_shr:2 row_mask:0xf bank_mask:0xf bound_ctrl:1
	s_delay_alu instid0(VALU_DEP_4) | instskip(NEXT) | instid1(VALU_DEP_3)
	v_cvt_f32_i32_dpp v12, v12 row_shr:2 row_mask:0xf bank_mask:0xf bound_ctrl:1
	v_dual_add_f32 v5, v5, v9 :: v_dual_add_f32 v6, v6, v10
	s_delay_alu instid0(VALU_DEP_2) | instskip(NEXT) | instid1(VALU_DEP_2)
	v_dual_add_f32 v7, v7, v11 :: v_dual_add_f32 v8, v8, v12
	v_cvt_i32_f32_e32 v9, v5
	s_delay_alu instid0(VALU_DEP_3) | instskip(NEXT) | instid1(VALU_DEP_3)
	v_cvt_i32_f32_e32 v10, v6
	v_cvt_i32_f32_e32 v11, v7
	s_delay_alu instid0(VALU_DEP_4) | instskip(NEXT) | instid1(VALU_DEP_4)
	v_cvt_i32_f32_e32 v12, v8
	v_cvt_f32_i32_dpp v9, v9 row_shr:1 row_mask:0xf bank_mask:0xf bound_ctrl:1
	s_delay_alu instid0(VALU_DEP_4) | instskip(NEXT) | instid1(VALU_DEP_4)
	v_cvt_f32_i32_dpp v10, v10 row_shr:1 row_mask:0xf bank_mask:0xf bound_ctrl:1
	v_cvt_f32_i32_dpp v14, v11 row_shr:1 row_mask:0xf bank_mask:0xf bound_ctrl:1
	s_delay_alu instid0(VALU_DEP_4) | instskip(NEXT) | instid1(VALU_DEP_4)
	v_cvt_f32_i32_dpp v12, v12 row_shr:1 row_mask:0xf bank_mask:0xf bound_ctrl:1
	v_add_f32_e32 v11, v5, v9
	s_delay_alu instid0(VALU_DEP_4) | instskip(NEXT) | instid1(VALU_DEP_4)
	v_add_f32_e32 v9, v6, v10
	v_add_f32_e32 v7, v7, v14
	s_delay_alu instid0(VALU_DEP_4)
	v_add_f32_e32 v5, v8, v12
	ds_bpermute_b32 v12, v13, v11
	ds_bpermute_b32 v10, v13, v9
	;; [unrolled: 1-line block ×4, first 2 shown]
	s_and_saveexec_b32 s1, s0
	s_cbranch_execz .LBB18_39
; %bb.29:                               ;   in Loop: Header=BB18_19 Depth=1
	v_dual_mov_b32 v13, 0 :: v_dual_mov_b32 v14, 0
	v_dual_mov_b32 v15, 0 :: v_dual_mov_b32 v16, 0
	s_and_not1_b32 vcc_lo, exec_lo, s21
	s_cbranch_vccnz .LBB18_31
; %bb.30:                               ;   in Loop: Header=BB18_19 Depth=1
	v_mul_hi_u32 v13, v25, v44
	v_mul_hi_u32 v14, v30, v44
	;; [unrolled: 1-line block ×4, first 2 shown]
	s_delay_alu instid0(VALU_DEP_4) | instskip(NEXT) | instid1(VALU_DEP_4)
	v_mul_lo_u32 v13, v13, s18
	v_mul_lo_u32 v14, v14, s18
	s_delay_alu instid0(VALU_DEP_4) | instskip(NEXT) | instid1(VALU_DEP_4)
	v_mul_lo_u32 v15, v15, s18
	v_mul_lo_u32 v16, v16, s18
	s_delay_alu instid0(VALU_DEP_4) | instskip(NEXT) | instid1(VALU_DEP_4)
	v_sub_nc_u32_e32 v13, v25, v13
	v_sub_nc_u32_e32 v14, v30, v14
	s_delay_alu instid0(VALU_DEP_4) | instskip(NEXT) | instid1(VALU_DEP_4)
	v_sub_nc_u32_e32 v15, v29, v15
	v_sub_nc_u32_e32 v16, v28, v16
	s_delay_alu instid0(VALU_DEP_4) | instskip(SKIP_1) | instid1(VALU_DEP_4)
	v_subrev_nc_u32_e32 v17, s18, v13
	v_cmp_le_u32_e32 vcc_lo, s18, v13
	v_subrev_nc_u32_e32 v18, s18, v15
	s_delay_alu instid0(VALU_DEP_4) | instskip(NEXT) | instid1(VALU_DEP_4)
	v_subrev_nc_u32_e32 v20, s18, v16
	v_cndmask_b32_e32 v13, v13, v17, vcc_lo
	v_subrev_nc_u32_e32 v17, s18, v14
	v_cmp_le_u32_e32 vcc_lo, s18, v14
	s_delay_alu instid0(VALU_DEP_3) | instskip(NEXT) | instid1(VALU_DEP_3)
	v_subrev_nc_u32_e32 v19, s18, v13
	v_cndmask_b32_e32 v17, v14, v17, vcc_lo
	v_cmp_le_u32_e32 vcc_lo, s18, v13
	s_delay_alu instid0(VALU_DEP_3) | instskip(SKIP_1) | instid1(VALU_DEP_2)
	v_cndmask_b32_e32 v26, v13, v19, vcc_lo
	v_cmp_le_u32_e32 vcc_lo, s18, v15
	v_lshlrev_b64 v[13:14], 1, v[26:27]
	v_cndmask_b32_e32 v18, v15, v18, vcc_lo
	v_cmp_le_u32_e32 vcc_lo, s18, v16
	v_subrev_nc_u32_e32 v15, s18, v17
	v_cndmask_b32_e32 v19, v16, v20, vcc_lo
	v_cmp_le_u32_e32 vcc_lo, s18, v17
	s_delay_alu instid0(VALU_DEP_3) | instskip(SKIP_3) | instid1(VALU_DEP_4)
	v_cndmask_b32_e32 v26, v17, v15, vcc_lo
	v_subrev_nc_u32_e32 v17, s18, v18
	v_cmp_le_u32_e32 vcc_lo, s18, v18
	v_subrev_nc_u32_e32 v20, s18, v19
	v_lshlrev_b64 v[15:16], 1, v[26:27]
	s_delay_alu instid0(VALU_DEP_4) | instskip(SKIP_3) | instid1(VALU_DEP_4)
	v_cndmask_b32_e32 v26, v18, v17, vcc_lo
	v_add_co_u32 v13, vcc_lo, s8, v13
	v_add_co_ci_u32_e32 v14, vcc_lo, s9, v14, vcc_lo
	v_cmp_le_u32_e32 vcc_lo, s18, v19
	v_lshlrev_b64 v[17:18], 1, v[26:27]
	v_cndmask_b32_e32 v26, v19, v20, vcc_lo
	v_add_co_u32 v19, vcc_lo, s8, v15
	v_add_co_ci_u32_e32 v20, vcc_lo, s9, v16, vcc_lo
	s_delay_alu instid0(VALU_DEP_3) | instskip(SKIP_2) | instid1(VALU_DEP_3)
	v_lshlrev_b64 v[15:16], 1, v[26:27]
	v_add_co_u32 v17, vcc_lo, s8, v17
	v_add_co_ci_u32_e32 v18, vcc_lo, s9, v18, vcc_lo
	v_add_co_u32 v21, vcc_lo, s8, v15
	s_delay_alu instid0(VALU_DEP_4)
	v_add_co_ci_u32_e32 v22, vcc_lo, s9, v16, vcc_lo
	s_clause 0x3
	global_load_u16 v16, v[13:14], off
	global_load_u16 v15, v[19:20], off
	;; [unrolled: 1-line block ×4, first 2 shown]
.LBB18_31:                              ;   in Loop: Header=BB18_19 Depth=1
	s_mov_b32 s2, exec_lo
	v_cmpx_ne_u32_e32 0, v1
	s_cbranch_execz .LBB18_33
; %bb.32:                               ;   in Loop: Header=BB18_19 Depth=1
	s_waitcnt lgkmcnt(3)
	v_add_f32_e32 v11, v11, v12
	s_waitcnt vmcnt(3)
	v_cvt_f32_f16_e32 v12, v16
	v_mov_b32_e32 v26, v27
	s_delay_alu instid0(VALU_DEP_2) | instskip(NEXT) | instid1(VALU_DEP_2)
	v_add_f32_e32 v16, v11, v12
	v_lshlrev_b64 v[11:12], 1, v[25:26]
	s_delay_alu instid0(VALU_DEP_2) | instskip(NEXT) | instid1(VALU_DEP_2)
	v_cvt_f16_f32_e32 v16, v16
	v_add_co_u32 v11, vcc_lo, s10, v11
	s_delay_alu instid0(VALU_DEP_3)
	v_add_co_ci_u32_e32 v12, vcc_lo, s11, v12, vcc_lo
	global_store_b16 v[11:12], v16, off
.LBB18_33:                              ;   in Loop: Header=BB18_19 Depth=1
	s_or_b32 exec_lo, exec_lo, s2
	s_delay_alu instid0(SALU_CYCLE_1)
	s_mov_b32 s2, exec_lo
	v_cmpx_ne_u32_e32 0, v2
	s_cbranch_execz .LBB18_35
; %bb.34:                               ;   in Loop: Header=BB18_19 Depth=1
	s_waitcnt lgkmcnt(2)
	v_add_f32_e32 v9, v9, v10
	s_waitcnt vmcnt(2)
	v_cvt_f32_f16_e32 v10, v15
	v_mov_b32_e32 v31, v27
	s_delay_alu instid0(VALU_DEP_2) | instskip(NEXT) | instid1(VALU_DEP_2)
	v_add_f32_e32 v11, v9, v10
	v_lshlrev_b64 v[9:10], 1, v[30:31]
	s_delay_alu instid0(VALU_DEP_2) | instskip(NEXT) | instid1(VALU_DEP_2)
	v_cvt_f16_f32_e32 v11, v11
	v_add_co_u32 v9, vcc_lo, s10, v9
	s_delay_alu instid0(VALU_DEP_3)
	v_add_co_ci_u32_e32 v10, vcc_lo, s11, v10, vcc_lo
	global_store_b16 v[9:10], v11, off
.LBB18_35:                              ;   in Loop: Header=BB18_19 Depth=1
	s_or_b32 exec_lo, exec_lo, s2
	s_delay_alu instid0(SALU_CYCLE_1)
	s_mov_b32 s2, exec_lo
	v_cmpx_ne_u32_e32 0, v3
	s_cbranch_execz .LBB18_37
; %bb.36:                               ;   in Loop: Header=BB18_19 Depth=1
	s_waitcnt lgkmcnt(1)
	v_add_f32_e32 v7, v7, v8
	s_waitcnt vmcnt(1)
	v_cvt_f32_f16_e32 v8, v14
	v_mov_b32_e32 v30, v27
	s_delay_alu instid0(VALU_DEP_2) | instskip(NEXT) | instid1(VALU_DEP_2)
	v_add_f32_e32 v9, v7, v8
	v_lshlrev_b64 v[7:8], 1, v[29:30]
	s_delay_alu instid0(VALU_DEP_2) | instskip(NEXT) | instid1(VALU_DEP_2)
	v_cvt_f16_f32_e32 v9, v9
	v_add_co_u32 v7, vcc_lo, s10, v7
	s_delay_alu instid0(VALU_DEP_3)
	v_add_co_ci_u32_e32 v8, vcc_lo, s11, v8, vcc_lo
	global_store_b16 v[7:8], v9, off
.LBB18_37:                              ;   in Loop: Header=BB18_19 Depth=1
	s_or_b32 exec_lo, exec_lo, s2
	v_cmp_ne_u32_e32 vcc_lo, 0, v4
	s_and_b32 exec_lo, exec_lo, vcc_lo
	s_cbranch_execz .LBB18_39
; %bb.38:                               ;   in Loop: Header=BB18_19 Depth=1
	s_waitcnt lgkmcnt(0)
	v_add_f32_e32 v5, v5, v6
	s_waitcnt vmcnt(0)
	v_cvt_f32_f16_e32 v6, v13
	v_mov_b32_e32 v29, v27
	s_delay_alu instid0(VALU_DEP_2) | instskip(NEXT) | instid1(VALU_DEP_2)
	v_add_f32_e32 v7, v5, v6
	v_lshlrev_b64 v[5:6], 1, v[28:29]
	s_delay_alu instid0(VALU_DEP_2) | instskip(NEXT) | instid1(VALU_DEP_2)
	v_cvt_f16_f32_e32 v7, v7
	v_add_co_u32 v5, vcc_lo, s10, v5
	s_delay_alu instid0(VALU_DEP_3)
	v_add_co_ci_u32_e32 v6, vcc_lo, s11, v6, vcc_lo
	global_store_b16 v[5:6], v7, off
.LBB18_39:                              ;   in Loop: Header=BB18_19 Depth=1
	s_or_b32 exec_lo, exec_lo, s1
	v_add_nc_u32_e32 v25, s23, v25
	s_delay_alu instid0(VALU_DEP_1) | instskip(SKIP_1) | instid1(VALU_DEP_2)
	v_add_nc_u32_e32 v5, 4, v25
	v_cmp_gt_u32_e32 vcc_lo, s7, v25
	v_cmp_le_u32_e64 s1, s7, v5
	s_delay_alu instid0(VALU_DEP_1) | instskip(NEXT) | instid1(SALU_CYCLE_1)
	s_and_b32 s1, vcc_lo, s1
	s_and_saveexec_b32 s25, s1
	s_cbranch_execz .LBB18_18
; %bb.40:                               ;   in Loop: Header=BB18_19 Depth=1
	s_mov_b32 s26, exec_lo
	v_cmpx_ne_u32_e64 s24, v25
	s_cbranch_execz .LBB18_17
; %bb.41:                               ;   in Loop: Header=BB18_19 Depth=1
	v_subrev_nc_u32_e32 v5, s24, v25
	s_mov_b32 s27, 0
	s_mov_b64 s[16:17], 0
	s_delay_alu instid0(VALU_DEP_1)
	v_cmp_lt_u32_e32 vcc_lo, 1, v5
	v_cndmask_b32_e32 v5, 1, v5, vcc_lo
	.p2align	6
.LBB18_42:                              ;   Parent Loop BB18_19 Depth=1
                                        ; =>  This Inner Loop Header: Depth=2
	s_cmp_lg_u32 s16, 3
	s_cselect_b32 vcc_lo, -1, 0
	s_cmp_lg_u32 s16, 2
	v_cndmask_b32_e32 v4, 0, v4, vcc_lo
	s_cselect_b32 s1, -1, 0
	s_cmp_lg_u32 s16, 1
	v_cndmask_b32_e64 v3, 0, v3, s1
	s_cselect_b32 s2, -1, 0
	s_cmp_lg_u32 s16, 0
	v_cndmask_b32_e64 v2, 0, v2, s2
	s_cselect_b32 s3, -1, 0
	s_add_u32 s16, s16, 1
	v_cndmask_b32_e64 v1, 0, v1, s3
	v_cmp_eq_u32_e32 vcc_lo, s16, v5
	s_addc_u32 s17, s17, 0
	s_or_b32 s27, vcc_lo, s27
	s_delay_alu instid0(SALU_CYCLE_1)
	s_and_not1_b32 exec_lo, exec_lo, s27
	s_cbranch_execnz .LBB18_42
; %bb.43:                               ;   in Loop: Header=BB18_19 Depth=1
	s_or_b32 exec_lo, exec_lo, s27
	s_branch .LBB18_17
.LBB18_44:
	s_nop 0
	s_sendmsg sendmsg(MSG_DEALLOC_VGPRS)
	s_endpgm
	.section	.rodata,"a",@progbits
	.p2align	6, 0x0
	.amdhsa_kernel _Z12wvSplitK_hf_I6__halfLi32ELi4ELi16ELi8ELi1ELi1EEviiiiiiPKT_S3_S3_PS1_ii
		.amdhsa_group_segment_fixed_size 65536
		.amdhsa_private_segment_fixed_size 0
		.amdhsa_kernarg_size 64
		.amdhsa_user_sgpr_count 15
		.amdhsa_user_sgpr_dispatch_ptr 0
		.amdhsa_user_sgpr_queue_ptr 0
		.amdhsa_user_sgpr_kernarg_segment_ptr 1
		.amdhsa_user_sgpr_dispatch_id 0
		.amdhsa_user_sgpr_private_segment_size 0
		.amdhsa_wavefront_size32 1
		.amdhsa_uses_dynamic_stack 0
		.amdhsa_enable_private_segment 0
		.amdhsa_system_sgpr_workgroup_id_x 1
		.amdhsa_system_sgpr_workgroup_id_y 0
		.amdhsa_system_sgpr_workgroup_id_z 0
		.amdhsa_system_sgpr_workgroup_info 0
		.amdhsa_system_vgpr_workitem_id 1
		.amdhsa_next_free_vgpr 50
		.amdhsa_next_free_sgpr 28
		.amdhsa_reserve_vcc 1
		.amdhsa_float_round_mode_32 0
		.amdhsa_float_round_mode_16_64 0
		.amdhsa_float_denorm_mode_32 3
		.amdhsa_float_denorm_mode_16_64 3
		.amdhsa_dx10_clamp 1
		.amdhsa_ieee_mode 1
		.amdhsa_fp16_overflow 0
		.amdhsa_workgroup_processor_mode 1
		.amdhsa_memory_ordered 1
		.amdhsa_forward_progress 0
		.amdhsa_shared_vgpr_count 0
		.amdhsa_exception_fp_ieee_invalid_op 0
		.amdhsa_exception_fp_denorm_src 0
		.amdhsa_exception_fp_ieee_div_zero 0
		.amdhsa_exception_fp_ieee_overflow 0
		.amdhsa_exception_fp_ieee_underflow 0
		.amdhsa_exception_fp_ieee_inexact 0
		.amdhsa_exception_int_div_zero 0
	.end_amdhsa_kernel
	.section	.text._Z12wvSplitK_hf_I6__halfLi32ELi4ELi16ELi8ELi1ELi1EEviiiiiiPKT_S3_S3_PS1_ii,"axG",@progbits,_Z12wvSplitK_hf_I6__halfLi32ELi4ELi16ELi8ELi1ELi1EEviiiiiiPKT_S3_S3_PS1_ii,comdat
.Lfunc_end18:
	.size	_Z12wvSplitK_hf_I6__halfLi32ELi4ELi16ELi8ELi1ELi1EEviiiiiiPKT_S3_S3_PS1_ii, .Lfunc_end18-_Z12wvSplitK_hf_I6__halfLi32ELi4ELi16ELi8ELi1ELi1EEviiiiiiPKT_S3_S3_PS1_ii
                                        ; -- End function
	.section	.AMDGPU.csdata,"",@progbits
; Kernel info:
; codeLenInByte = 3120
; NumSgprs: 30
; NumVgprs: 50
; ScratchSize: 0
; MemoryBound: 0
; FloatMode: 240
; IeeeMode: 1
; LDSByteSize: 65536 bytes/workgroup (compile time only)
; SGPRBlocks: 3
; VGPRBlocks: 6
; NumSGPRsForWavesPerEU: 30
; NumVGPRsForWavesPerEU: 50
; Occupancy: 8
; WaveLimiterHint : 0
; COMPUTE_PGM_RSRC2:SCRATCH_EN: 0
; COMPUTE_PGM_RSRC2:USER_SGPR: 15
; COMPUTE_PGM_RSRC2:TRAP_HANDLER: 0
; COMPUTE_PGM_RSRC2:TGID_X_EN: 1
; COMPUTE_PGM_RSRC2:TGID_Y_EN: 0
; COMPUTE_PGM_RSRC2:TGID_Z_EN: 0
; COMPUTE_PGM_RSRC2:TIDIG_COMP_CNT: 1
	.section	.text._Z16wvSplitK_hf_big_I6__halfLi32ELi4ELi16ELi8ELi1ELi1EEviiiiiiPKT_S3_S3_PS1_ii,"axG",@progbits,_Z16wvSplitK_hf_big_I6__halfLi32ELi4ELi16ELi8ELi1ELi1EEviiiiiiPKT_S3_S3_PS1_ii,comdat
	.protected	_Z16wvSplitK_hf_big_I6__halfLi32ELi4ELi16ELi8ELi1ELi1EEviiiiiiPKT_S3_S3_PS1_ii ; -- Begin function _Z16wvSplitK_hf_big_I6__halfLi32ELi4ELi16ELi8ELi1ELi1EEviiiiiiPKT_S3_S3_PS1_ii
	.globl	_Z16wvSplitK_hf_big_I6__halfLi32ELi4ELi16ELi8ELi1ELi1EEviiiiiiPKT_S3_S3_PS1_ii
	.p2align	8
	.type	_Z16wvSplitK_hf_big_I6__halfLi32ELi4ELi16ELi8ELi1ELi1EEviiiiiiPKT_S3_S3_PS1_ii,@function
_Z16wvSplitK_hf_big_I6__halfLi32ELi4ELi16ELi8ELi1ELi1EEviiiiiiPKT_S3_S3_PS1_ii: ; @_Z16wvSplitK_hf_big_I6__halfLi32ELi4ELi16ELi8ELi1ELi1EEviiiiiiPKT_S3_S3_PS1_ii
; %bb.0:
	s_load_b64 s[12:13], s[0:1], 0x38
	v_bfe_u32 v5, v0, 10, 10
	s_mov_b32 s2, exec_lo
	s_waitcnt lgkmcnt(0)
	s_delay_alu instid0(VALU_DEP_1)
	v_cmpx_gt_u32_e64 s12, v5
	s_cbranch_execz .LBB19_46
; %bb.1:
	s_load_b128 s[16:19], s[0:1], 0x0
	s_mul_i32 s15, s15, s12
	s_mov_b32 s4, 1
	v_add_lshl_u32 v25, s15, v5, 2
	s_mov_b32 s5, s4
	s_mov_b32 s6, s4
	;; [unrolled: 1-line block ×3, first 2 shown]
	s_delay_alu instid0(VALU_DEP_1) | instskip(SKIP_2) | instid1(VALU_DEP_2)
	v_add_nc_u32_e32 v1, 4, v25
	s_waitcnt lgkmcnt(0)
	v_cmp_gt_u32_e32 vcc_lo, s19, v25
	v_cmp_le_u32_e64 s2, s19, v1
	v_dual_mov_b32 v1, s4 :: v_dual_mov_b32 v4, s7
	v_dual_mov_b32 v2, s5 :: v_dual_mov_b32 v3, s6
	s_delay_alu instid0(VALU_DEP_3) | instskip(NEXT) | instid1(SALU_CYCLE_1)
	s_and_b32 s2, vcc_lo, s2
	s_and_saveexec_b32 s8, s2
	s_cbranch_execz .LBB19_7
; %bb.2:
	v_dual_mov_b32 v1, s4 :: v_dual_mov_b32 v2, s5
	v_dual_mov_b32 v3, s6 :: v_dual_mov_b32 v4, s7
	s_add_i32 s9, s19, -4
	s_mov_b32 s10, exec_lo
	v_cmpx_ne_u32_e64 s9, v25
	s_cbranch_execz .LBB19_6
; %bb.3:
	v_subrev_nc_u32_e32 v1, s9, v25
	s_mov_b32 s11, 0
	s_mov_b64 s[2:3], 0
	s_mov_b32 s5, s4
	s_mov_b32 s6, s4
	v_cmp_lt_u32_e32 vcc_lo, 1, v1
	s_mov_b32 s7, s4
	v_cndmask_b32_e32 v6, 1, v1, vcc_lo
	.p2align	6
.LBB19_4:                               ; =>This Inner Loop Header: Depth=1
	s_cmp_lg_u32 s2, 3
	s_cselect_b32 s7, s7, 0
	s_cmp_lg_u32 s2, 2
	s_cselect_b32 s6, s6, 0
	;; [unrolled: 2-line block ×4, first 2 shown]
	s_add_u32 s2, s2, 1
	v_dual_mov_b32 v1, s4 :: v_dual_mov_b32 v2, s5
	v_cmp_eq_u32_e32 vcc_lo, s2, v6
	v_dual_mov_b32 v3, s6 :: v_dual_mov_b32 v4, s7
	s_addc_u32 s3, s3, 0
	s_or_b32 s11, vcc_lo, s11
	s_delay_alu instid0(SALU_CYCLE_1)
	s_and_not1_b32 exec_lo, exec_lo, s11
	s_cbranch_execnz .LBB19_4
; %bb.5:
	s_or_b32 exec_lo, exec_lo, s11
	v_mov_b32_e32 v25, s9
.LBB19_6:
	s_or_b32 exec_lo, exec_lo, s10
.LBB19_7:
	s_delay_alu instid0(SALU_CYCLE_1)
	s_or_b32 exec_lo, exec_lo, s8
	s_lshl_b32 s2, s12, 2
	s_abs_i32 s6, s19
	s_abs_i32 s3, s2
	s_mov_b32 s15, 0
	v_cvt_f32_u32_e32 v6, s3
	s_sub_i32 s5, 0, s3
	s_delay_alu instid0(VALU_DEP_1) | instskip(SKIP_2) | instid1(VALU_DEP_1)
	v_rcp_iflag_f32_e32 v6, v6
	s_waitcnt_depctr 0xfff
	v_mul_f32_e32 v6, 0x4f7ffffe, v6
	v_cvt_u32_f32_e32 v6, v6
	s_delay_alu instid0(VALU_DEP_1) | instskip(NEXT) | instid1(VALU_DEP_1)
	v_readfirstlane_b32 s4, v6
	s_mul_i32 s5, s5, s4
	s_delay_alu instid0(SALU_CYCLE_1) | instskip(NEXT) | instid1(SALU_CYCLE_1)
	s_mul_hi_u32 s5, s4, s5
	s_add_i32 s4, s4, s5
	s_ashr_i32 s5, s19, 31
	s_mul_hi_u32 s4, s6, s4
	s_delay_alu instid0(SALU_CYCLE_1) | instskip(NEXT) | instid1(SALU_CYCLE_1)
	s_mul_i32 s4, s4, s3
	s_sub_i32 s4, s6, s4
	s_delay_alu instid0(SALU_CYCLE_1) | instskip(SKIP_2) | instid1(SALU_CYCLE_1)
	s_sub_i32 s6, s4, s3
	s_cmp_ge_u32 s4, s3
	s_cselect_b32 s4, s6, s4
	s_sub_i32 s6, s4, s3
	s_cmp_ge_u32 s4, s3
	s_cselect_b32 s3, s6, s4
	s_add_i32 s2, s2, s19
	s_xor_b32 s3, s3, s5
	s_delay_alu instid0(SALU_CYCLE_1) | instskip(NEXT) | instid1(SALU_CYCLE_1)
	s_sub_i32 s3, s3, s5
	s_sub_i32 s2, s2, s3
	s_cmp_eq_u32 s3, 0
	s_cselect_b32 s14, s19, s2
	s_delay_alu instid0(SALU_CYCLE_1)
	v_cmp_gt_u32_e32 vcc_lo, s14, v25
	s_and_b32 exec_lo, exec_lo, vcc_lo
	s_cbranch_execz .LBB19_46
; %bb.8:
	s_clause 0x1
	s_load_b32 s20, s[0:1], 0x10
	s_load_b256 s[4:11], s[0:1], 0x18
	s_min_u32 s21, s18, 0x8000
	s_cmp_lg_u32 s16, 0
	s_mul_i32 s0, s13, s12
	s_cselect_b32 s22, -1, 0
	s_cmp_lg_u32 s18, 0
	v_and_b32_e32 v8, 0x3ff, v0
	s_cselect_b32 s23, -1, 0
	s_lshl_b32 s24, s12, 8
	s_add_i32 s25, s16, -8
	s_add_i32 s26, s19, -1
	s_lshl_b32 s27, s0, 2
	v_mbcnt_lo_u32_b32 v0, -1, 0
	v_lshlrev_b32_e32 v9, 4, v8
	v_dual_mov_b32 v27, 0 :: v_dual_lshlrev_b32 v36, 3, v8
	s_delay_alu instid0(VALU_DEP_3) | instskip(NEXT) | instid1(VALU_DEP_3)
	v_xor_b32_e32 v37, 16, v0
	v_lshl_add_u32 v38, v5, 9, v9
	s_waitcnt lgkmcnt(0)
	v_cvt_f32_u32_e32 v6, s20
	s_cmp_lg_u64 s[8:9], 0
	v_lshl_add_u32 v39, v5, 8, v36
	s_cselect_b32 s28, -1, 0
	s_sub_i32 s0, 0, s20
	v_rcp_iflag_f32_e32 v6, v6
	s_add_i32 s29, s19, -4
	s_add_u32 s30, s10, 2
	s_addc_u32 s31, s11, 0
	s_lshl_b32 s33, s12, 9
	s_waitcnt_depctr 0xfff
	v_mul_f32_e32 v6, 0x4f7ffffe, v6
	s_delay_alu instid0(VALU_DEP_1) | instskip(NEXT) | instid1(VALU_DEP_1)
	v_cvt_u32_f32_e32 v6, v6
	v_mul_lo_u32 v7, s0, v6
	v_cmp_eq_u32_e64 s0, 31, v8
	s_delay_alu instid0(VALU_DEP_2) | instskip(NEXT) | instid1(VALU_DEP_1)
	v_mul_hi_u32 v7, v6, v7
	v_add_nc_u32_e32 v40, v6, v7
	s_branch .LBB19_12
.LBB19_9:                               ;   in Loop: Header=BB19_12 Depth=1
	s_or_b32 exec_lo, exec_lo, s36
	v_mov_b32_e32 v25, s29
.LBB19_10:                              ;   in Loop: Header=BB19_12 Depth=1
	s_or_b32 exec_lo, exec_lo, s35
.LBB19_11:                              ;   in Loop: Header=BB19_12 Depth=1
	s_delay_alu instid0(SALU_CYCLE_1) | instskip(NEXT) | instid1(VALU_DEP_1)
	s_or_b32 exec_lo, exec_lo, s34
	v_cmp_le_u32_e32 vcc_lo, s14, v25
	s_or_b32 s15, vcc_lo, s15
	s_delay_alu instid0(SALU_CYCLE_1)
	s_and_not1_b32 exec_lo, exec_lo, s15
	s_cbranch_execz .LBB19_46
.LBB19_12:                              ; =>This Loop Header: Depth=1
                                        ;     Child Loop BB19_16 Depth 2
                                        ;       Child Loop BB19_21 Depth 3
                                        ;     Child Loop BB19_44 Depth 2
	v_mov_b32_e32 v44, v27
	v_mov_b32_e32 v43, v27
	;; [unrolled: 1-line block ×4, first 2 shown]
	s_and_not1_b32 vcc_lo, exec_lo, s22
	s_mov_b32 s3, 0
	s_cbranch_vccnz .LBB19_27
; %bb.13:                               ;   in Loop: Header=BB19_12 Depth=1
	v_dual_mov_b32 v41, 0 :: v_dual_add_nc_u32 v6, 2, v25
	v_add_nc_u32_e32 v5, 1, v25
	v_add_nc_u32_e32 v7, 3, v25
	v_min_u32_e32 v8, s26, v25
	s_delay_alu instid0(VALU_DEP_4)
	v_min_u32_e32 v6, s26, v6
	s_waitcnt lgkmcnt(1)
	v_dual_mov_b32 v10, v27 :: v_dual_mov_b32 v43, 0
	v_cmp_gt_u32_e64 s1, s19, v25
	v_mul_lo_u32 v26, v8, s17
	v_mov_b32_e32 v8, v27
	s_waitcnt lgkmcnt(0)
	v_min_u32_e32 v9, s26, v7
	v_mul_lo_u32 v7, v6, s17
	v_mov_b32_e32 v6, v27
	v_min_u32_e32 v5, s26, v5
	v_mov_b32_e32 v42, 0
	v_mul_lo_u32 v9, v9, s17
	v_lshlrev_b64 v[28:29], 1, v[26:27]
	v_mov_b32_e32 v44, 0
	v_mul_lo_u32 v5, v5, s17
	v_lshlrev_b64 v[32:33], 1, v[7:8]
	s_mov_b32 s12, 0
	v_lshlrev_b64 v[34:35], 1, v[9:10]
	s_delay_alu instid0(VALU_DEP_3)
	v_lshlrev_b64 v[30:31], 1, v[5:6]
	s_branch .LBB19_16
.LBB19_14:                              ;   in Loop: Header=BB19_16 Depth=2
	s_or_b32 exec_lo, exec_lo, s13
	s_waitcnt vmcnt(3) lgkmcnt(0)
	;;#ASMSTART
	v_dot2_f32_f16 v44, v9, v21, v44
	;;#ASMEND
	s_waitcnt vmcnt(2)
	;;#ASMSTART
	v_dot2_f32_f16 v43, v9, v17, v43
	;;#ASMEND
	s_waitcnt vmcnt(1)
	;; [unrolled: 4-line block ×3, first 2 shown]
	;;#ASMSTART
	v_dot2_f32_f16 v41, v9, v5, v41
	;;#ASMEND
	;;#ASMSTART
	v_dot2_f32_f16 v44, v10, v22, v44
	;;#ASMEND
	;; [unrolled: 3-line block ×13, first 2 shown]
.LBB19_15:                              ;   in Loop: Header=BB19_16 Depth=2
	s_or_b32 exec_lo, exec_lo, s2
	s_addk_i32 s12, 0x100
	s_delay_alu instid0(SALU_CYCLE_1)
	s_cmp_ge_u32 s12, s16
	s_cbranch_scc1 .LBB19_27
.LBB19_16:                              ;   Parent Loop BB19_12 Depth=1
                                        ; =>  This Loop Header: Depth=2
                                        ;       Child Loop BB19_21 Depth 3
	s_cmp_eq_u32 s12, 0
	s_cselect_b32 s13, -1, 0
	s_add_i32 s2, s3, s21
	s_delay_alu instid0(SALU_CYCLE_1) | instskip(SKIP_1) | instid1(SALU_CYCLE_1)
	s_cmp_eq_u32 s12, s2
	s_cselect_b32 s34, -1, 0
	s_or_b32 s34, s13, s34
	s_delay_alu instid0(SALU_CYCLE_1)
	s_and_not1_b32 vcc_lo, exec_lo, s34
	s_cbranch_vccz .LBB19_18
; %bb.17:                               ;   in Loop: Header=BB19_16 Depth=2
	s_and_saveexec_b32 s2, s1
	s_cbranch_execz .LBB19_15
	s_branch .LBB19_25
.LBB19_18:                              ;   in Loop: Header=BB19_16 Depth=2
	s_and_b32 s13, s13, exec_lo
	s_cselect_b32 s3, s3, s2
	s_and_not1_b32 vcc_lo, exec_lo, s23
	s_waitcnt vmcnt(0)
	s_waitcnt_vscnt null, 0x0
	s_barrier
	buffer_gl0_inv
	s_cbranch_vccnz .LBB19_24
; %bb.19:                               ;   in Loop: Header=BB19_16 Depth=2
	v_dual_mov_b32 v6, v38 :: v_dual_add_nc_u32 v5, s3, v39
	s_mov_b32 s13, 0
	s_mov_b32 s34, 0
                                        ; implicit-def: $sgpr35
	s_set_inst_prefetch_distance 0x1
	s_branch .LBB19_21
	.p2align	6
.LBB19_20:                              ;   in Loop: Header=BB19_21 Depth=3
	s_or_b32 exec_lo, exec_lo, s2
	s_delay_alu instid0(SALU_CYCLE_1) | instskip(NEXT) | instid1(SALU_CYCLE_1)
	s_and_b32 s2, exec_lo, s35
	s_or_b32 s13, s2, s13
	s_delay_alu instid0(SALU_CYCLE_1)
	s_and_not1_b32 exec_lo, exec_lo, s13
	s_cbranch_execz .LBB19_23
.LBB19_21:                              ;   Parent Loop BB19_12 Depth=1
                                        ;     Parent Loop BB19_16 Depth=2
                                        ; =>    This Inner Loop Header: Depth=3
	v_add_nc_u32_e32 v26, s34, v5
	v_add_nc_u32_e32 v7, s34, v39
	s_or_b32 s35, s35, exec_lo
	s_delay_alu instid0(VALU_DEP_2) | instskip(NEXT) | instid1(VALU_DEP_2)
	v_cmp_gt_u32_e32 vcc_lo, s18, v26
	v_cmp_gt_u32_e64 s2, s21, v7
	s_delay_alu instid0(VALU_DEP_1) | instskip(NEXT) | instid1(SALU_CYCLE_1)
	s_and_b32 s36, s2, vcc_lo
	s_and_saveexec_b32 s2, s36
	s_cbranch_execz .LBB19_20
; %bb.22:                               ;   in Loop: Header=BB19_21 Depth=3
	v_lshlrev_b64 v[7:8], 1, v[26:27]
	s_add_i32 s34, s34, s24
	s_delay_alu instid0(SALU_CYCLE_1) | instskip(SKIP_1) | instid1(VALU_DEP_1)
	s_cmp_ge_u32 s34, s21
	s_cselect_b32 s36, -1, 0
	v_add_co_u32 v7, vcc_lo, s6, v7
	s_delay_alu instid0(VALU_DEP_2) | instskip(SKIP_2) | instid1(SALU_CYCLE_1)
	v_add_co_ci_u32_e32 v8, vcc_lo, s7, v8, vcc_lo
	s_and_not1_b32 s35, s35, exec_lo
	s_and_b32 s36, s36, exec_lo
	s_or_b32 s35, s35, s36
	global_load_b128 v[7:10], v[7:8], off
	s_waitcnt vmcnt(0)
	ds_store_b128 v6, v[7:10]
	v_add_nc_u32_e32 v6, s33, v6
	s_branch .LBB19_20
.LBB19_23:                              ;   in Loop: Header=BB19_16 Depth=2
	s_set_inst_prefetch_distance 0x2
	s_or_b32 exec_lo, exec_lo, s13
.LBB19_24:                              ;   in Loop: Header=BB19_16 Depth=2
	s_waitcnt lgkmcnt(0)
	s_barrier
	buffer_gl0_inv
	s_and_saveexec_b32 s2, s1
	s_cbranch_execz .LBB19_15
.LBB19_25:                              ;   in Loop: Header=BB19_16 Depth=2
	v_add_nc_u32_e32 v45, s12, v36
	s_mov_b32 s13, exec_lo
	s_delay_alu instid0(VALU_DEP_1) | instskip(NEXT) | instid1(VALU_DEP_1)
	v_min_u32_e32 v26, s25, v45
	v_lshlrev_b64 v[5:6], 1, v[26:27]
	s_delay_alu instid0(VALU_DEP_1) | instskip(NEXT) | instid1(VALU_DEP_2)
	v_add_co_u32 v11, vcc_lo, s4, v5
	v_add_co_ci_u32_e32 v12, vcc_lo, s5, v6, vcc_lo
	s_delay_alu instid0(VALU_DEP_2) | instskip(NEXT) | instid1(VALU_DEP_2)
	v_add_co_u32 v5, vcc_lo, v11, v28
	v_add_co_ci_u32_e32 v6, vcc_lo, v12, v29, vcc_lo
	v_add_co_u32 v7, vcc_lo, v11, v30
	v_add_co_ci_u32_e32 v8, vcc_lo, v12, v31, vcc_lo
	;; [unrolled: 2-line block ×4, first 2 shown]
	s_clause 0x3
	global_load_b128 v[21:24], v[5:6], off slc dlc
	global_load_b128 v[17:20], v[7:8], off slc dlc
	;; [unrolled: 1-line block ×4, first 2 shown]
	v_dual_mov_b32 v10, 0 :: v_dual_mov_b32 v9, 0
	v_dual_mov_b32 v12, 0 :: v_dual_mov_b32 v11, 0
	v_cmpx_gt_u32_e64 s16, v45
	s_cbranch_execz .LBB19_14
; %bb.26:                               ;   in Loop: Header=BB19_16 Depth=2
	v_subrev_nc_u32_e32 v9, s3, v45
	s_delay_alu instid0(VALU_DEP_1)
	v_lshlrev_b32_e32 v9, 1, v9
	ds_load_b128 v[9:12], v9
	s_branch .LBB19_14
.LBB19_27:                              ;   in Loop: Header=BB19_12 Depth=1
	s_mov_b32 s1, exec_lo
	v_cmpx_le_u32_e64 s19, v25
	s_xor_b32 s1, exec_lo, s1
; %bb.28:                               ;   in Loop: Header=BB19_12 Depth=1
	v_add_nc_u32_e32 v25, s27, v25
                                        ; implicit-def: $vgpr44
                                        ; implicit-def: $vgpr43
                                        ; implicit-def: $vgpr42
                                        ; implicit-def: $vgpr41
; %bb.29:                               ;   in Loop: Header=BB19_12 Depth=1
	s_and_not1_saveexec_b32 s34, s1
	s_cbranch_execz .LBB19_11
; %bb.30:                               ;   in Loop: Header=BB19_12 Depth=1
	v_cvt_i32_f32_e32 v5, v44
	v_cvt_i32_f32_e32 v6, v43
	;; [unrolled: 1-line block ×4, first 2 shown]
	v_cmp_gt_i32_e32 vcc_lo, 32, v37
	v_cvt_f32_i32_dpp v5, v5 row_shr:8 row_mask:0xf bank_mask:0xf bound_ctrl:1
	v_cvt_f32_i32_dpp v6, v6 row_shr:8 row_mask:0xf bank_mask:0xf bound_ctrl:1
	;; [unrolled: 1-line block ×4, first 2 shown]
	v_cndmask_b32_e32 v13, v0, v37, vcc_lo
	s_delay_alu instid0(VALU_DEP_4) | instskip(NEXT) | instid1(VALU_DEP_3)
	v_dual_add_f32 v5, v44, v5 :: v_dual_add_f32 v6, v43, v6
	v_dual_add_f32 v7, v42, v7 :: v_dual_add_f32 v8, v41, v8
	s_waitcnt lgkmcnt(0)
	s_delay_alu instid0(VALU_DEP_2) | instskip(NEXT) | instid1(VALU_DEP_3)
	v_cvt_i32_f32_e32 v9, v5
	v_cvt_i32_f32_e32 v10, v6
	s_delay_alu instid0(VALU_DEP_3) | instskip(SKIP_1) | instid1(VALU_DEP_4)
	v_cvt_i32_f32_e32 v11, v7
	v_cvt_i32_f32_e32 v12, v8
	v_cvt_f32_i32_dpp v9, v9 row_shr:4 row_mask:0xf bank_mask:0xf bound_ctrl:1
	s_delay_alu instid0(VALU_DEP_4) | instskip(NEXT) | instid1(VALU_DEP_4)
	v_cvt_f32_i32_dpp v10, v10 row_shr:4 row_mask:0xf bank_mask:0xf bound_ctrl:1
	v_cvt_f32_i32_dpp v11, v11 row_shr:4 row_mask:0xf bank_mask:0xf bound_ctrl:1
	s_delay_alu instid0(VALU_DEP_4) | instskip(NEXT) | instid1(VALU_DEP_3)
	v_cvt_f32_i32_dpp v12, v12 row_shr:4 row_mask:0xf bank_mask:0xf bound_ctrl:1
	v_dual_add_f32 v5, v5, v9 :: v_dual_add_f32 v6, v6, v10
	s_delay_alu instid0(VALU_DEP_2) | instskip(NEXT) | instid1(VALU_DEP_2)
	v_dual_add_f32 v7, v7, v11 :: v_dual_add_f32 v8, v8, v12
	v_cvt_i32_f32_e32 v9, v5
	s_delay_alu instid0(VALU_DEP_3) | instskip(NEXT) | instid1(VALU_DEP_3)
	v_cvt_i32_f32_e32 v10, v6
	v_cvt_i32_f32_e32 v11, v7
	s_delay_alu instid0(VALU_DEP_4) | instskip(NEXT) | instid1(VALU_DEP_4)
	v_cvt_i32_f32_e32 v12, v8
	v_cvt_f32_i32_dpp v9, v9 row_shr:2 row_mask:0xf bank_mask:0xf bound_ctrl:1
	s_delay_alu instid0(VALU_DEP_4) | instskip(NEXT) | instid1(VALU_DEP_4)
	v_cvt_f32_i32_dpp v10, v10 row_shr:2 row_mask:0xf bank_mask:0xf bound_ctrl:1
	v_cvt_f32_i32_dpp v11, v11 row_shr:2 row_mask:0xf bank_mask:0xf bound_ctrl:1
	s_delay_alu instid0(VALU_DEP_4) | instskip(NEXT) | instid1(VALU_DEP_3)
	v_cvt_f32_i32_dpp v12, v12 row_shr:2 row_mask:0xf bank_mask:0xf bound_ctrl:1
	v_dual_add_f32 v5, v5, v9 :: v_dual_add_f32 v6, v6, v10
	s_delay_alu instid0(VALU_DEP_2) | instskip(NEXT) | instid1(VALU_DEP_2)
	v_dual_add_f32 v7, v7, v11 :: v_dual_add_f32 v8, v8, v12
	v_cvt_i32_f32_e32 v9, v5
	s_delay_alu instid0(VALU_DEP_3) | instskip(NEXT) | instid1(VALU_DEP_3)
	v_cvt_i32_f32_e32 v10, v6
	v_cvt_i32_f32_e32 v11, v7
	s_delay_alu instid0(VALU_DEP_4) | instskip(NEXT) | instid1(VALU_DEP_4)
	v_cvt_i32_f32_e32 v12, v8
	v_cvt_f32_i32_dpp v9, v9 row_shr:1 row_mask:0xf bank_mask:0xf bound_ctrl:1
	s_delay_alu instid0(VALU_DEP_4) | instskip(NEXT) | instid1(VALU_DEP_4)
	v_cvt_f32_i32_dpp v10, v10 row_shr:1 row_mask:0xf bank_mask:0xf bound_ctrl:1
	v_cvt_f32_i32_dpp v14, v11 row_shr:1 row_mask:0xf bank_mask:0xf bound_ctrl:1
	s_delay_alu instid0(VALU_DEP_4)
	v_cvt_f32_i32_dpp v12, v12 row_shr:1 row_mask:0xf bank_mask:0xf bound_ctrl:1
	s_waitcnt vmcnt(0)
	v_lshlrev_b32_e32 v15, 2, v13
	v_add_f32_e32 v13, v5, v9
	v_add_f32_e32 v11, v6, v10
	v_dual_add_f32 v7, v7, v14 :: v_dual_add_f32 v8, v8, v12
	ds_bpermute_b32 v14, v15, v13
	ds_bpermute_b32 v12, v15, v11
	ds_bpermute_b32 v10, v15, v7
	ds_bpermute_b32 v9, v15, v8
	s_and_saveexec_b32 s1, s0
	s_cbranch_execz .LBB19_41
; %bb.31:                               ;   in Loop: Header=BB19_12 Depth=1
	v_dual_mov_b32 v15, 0 :: v_dual_add_nc_u32 v6, 2, v25
	v_dual_mov_b32 v16, 0 :: v_dual_add_nc_u32 v5, 3, v25
	v_dual_mov_b32 v17, 0 :: v_dual_mov_b32 v18, 0
	s_and_not1_b32 vcc_lo, exec_lo, s28
	s_cbranch_vccnz .LBB19_33
; %bb.32:                               ;   in Loop: Header=BB19_12 Depth=1
	v_mul_hi_u32 v15, v25, v40
	v_mul_hi_u32 v19, v5, v40
	;; [unrolled: 1-line block ×3, first 2 shown]
	s_delay_alu instid0(VALU_DEP_3) | instskip(NEXT) | instid1(VALU_DEP_3)
	v_mul_lo_u32 v15, v15, s20
	v_mul_lo_u32 v19, v19, s20
	s_delay_alu instid0(VALU_DEP_3) | instskip(NEXT) | instid1(VALU_DEP_3)
	v_mul_lo_u32 v17, v17, s20
	v_sub_nc_u32_e32 v15, v25, v15
	s_delay_alu instid0(VALU_DEP_2) | instskip(NEXT) | instid1(VALU_DEP_2)
	v_sub_nc_u32_e32 v17, v6, v17
	v_subrev_nc_u32_e32 v20, s20, v15
	v_cmp_le_u32_e32 vcc_lo, s20, v15
	s_delay_alu instid0(VALU_DEP_2) | instskip(NEXT) | instid1(VALU_DEP_1)
	v_dual_cndmask_b32 v15, v15, v20 :: v_dual_add_nc_u32 v16, 1, v25
	v_mul_hi_u32 v18, v16, v40
	v_subrev_nc_u32_e32 v20, s20, v17
	s_delay_alu instid0(VALU_DEP_3) | instskip(NEXT) | instid1(VALU_DEP_3)
	v_subrev_nc_u32_e32 v21, s20, v15
	v_mul_lo_u32 v18, v18, s20
	s_delay_alu instid0(VALU_DEP_1) | instskip(SKIP_1) | instid1(VALU_DEP_2)
	v_sub_nc_u32_e32 v16, v16, v18
	v_sub_nc_u32_e32 v18, v5, v19
	v_subrev_nc_u32_e32 v19, s20, v16
	v_cmp_le_u32_e32 vcc_lo, s20, v16
	s_delay_alu instid0(VALU_DEP_3) | instskip(NEXT) | instid1(VALU_DEP_3)
	v_subrev_nc_u32_e32 v22, s20, v18
	v_cndmask_b32_e32 v19, v16, v19, vcc_lo
	v_cmp_le_u32_e32 vcc_lo, s20, v15
	v_cndmask_b32_e32 v26, v15, v21, vcc_lo
	v_cmp_le_u32_e32 vcc_lo, s20, v17
	s_delay_alu instid0(VALU_DEP_2)
	v_lshlrev_b64 v[15:16], 1, v[26:27]
	v_cndmask_b32_e32 v20, v17, v20, vcc_lo
	v_cmp_le_u32_e32 vcc_lo, s20, v18
	v_subrev_nc_u32_e32 v17, s20, v19
	v_cndmask_b32_e32 v21, v18, v22, vcc_lo
	v_cmp_le_u32_e32 vcc_lo, s20, v19
	s_delay_alu instid0(VALU_DEP_2) | instskip(NEXT) | instid1(VALU_DEP_4)
	v_subrev_nc_u32_e32 v22, s20, v21
	v_cndmask_b32_e32 v26, v19, v17, vcc_lo
	v_subrev_nc_u32_e32 v19, s20, v20
	v_cmp_le_u32_e32 vcc_lo, s20, v20
	s_delay_alu instid0(VALU_DEP_3) | instskip(NEXT) | instid1(VALU_DEP_3)
	v_lshlrev_b64 v[17:18], 1, v[26:27]
	v_cndmask_b32_e32 v26, v20, v19, vcc_lo
	v_add_co_u32 v15, vcc_lo, s8, v15
	v_add_co_ci_u32_e32 v16, vcc_lo, s9, v16, vcc_lo
	v_cmp_le_u32_e32 vcc_lo, s20, v21
	s_delay_alu instid0(VALU_DEP_4) | instskip(SKIP_3) | instid1(VALU_DEP_3)
	v_lshlrev_b64 v[19:20], 1, v[26:27]
	v_cndmask_b32_e32 v26, v21, v22, vcc_lo
	v_add_co_u32 v21, vcc_lo, s8, v17
	v_add_co_ci_u32_e32 v22, vcc_lo, s9, v18, vcc_lo
	v_lshlrev_b64 v[17:18], 1, v[26:27]
	v_add_co_u32 v19, vcc_lo, s8, v19
	v_add_co_ci_u32_e32 v20, vcc_lo, s9, v20, vcc_lo
	s_delay_alu instid0(VALU_DEP_3) | instskip(NEXT) | instid1(VALU_DEP_4)
	v_add_co_u32 v23, vcc_lo, s8, v17
	v_add_co_ci_u32_e32 v24, vcc_lo, s9, v18, vcc_lo
	s_clause 0x3
	global_load_u16 v18, v[15:16], off
	global_load_u16 v17, v[21:22], off
	global_load_u16 v16, v[19:20], off
	global_load_u16 v15, v[23:24], off
.LBB19_33:                              ;   in Loop: Header=BB19_12 Depth=1
	s_mov_b32 s2, exec_lo
	v_cmpx_ne_u32_e32 0, v1
	s_cbranch_execz .LBB19_35
; %bb.34:                               ;   in Loop: Header=BB19_12 Depth=1
	s_waitcnt lgkmcnt(3)
	v_dual_add_f32 v13, v13, v14 :: v_dual_mov_b32 v26, v27
	s_waitcnt vmcnt(3)
	v_cvt_f32_f16_e32 v14, v18
	s_delay_alu instid0(VALU_DEP_1) | instskip(NEXT) | instid1(VALU_DEP_3)
	v_add_f32_e32 v18, v13, v14
	v_lshlrev_b64 v[13:14], 1, v[25:26]
	s_delay_alu instid0(VALU_DEP_2) | instskip(NEXT) | instid1(VALU_DEP_2)
	v_cvt_f16_f32_e32 v18, v18
	v_add_co_u32 v13, vcc_lo, s10, v13
	s_delay_alu instid0(VALU_DEP_3)
	v_add_co_ci_u32_e32 v14, vcc_lo, s11, v14, vcc_lo
	global_store_b16 v[13:14], v18, off
.LBB19_35:                              ;   in Loop: Header=BB19_12 Depth=1
	s_or_b32 exec_lo, exec_lo, s2
	s_delay_alu instid0(SALU_CYCLE_1)
	s_mov_b32 s2, exec_lo
	v_cmpx_ne_u32_e32 0, v2
	s_cbranch_execz .LBB19_37
; %bb.36:                               ;   in Loop: Header=BB19_12 Depth=1
	s_waitcnt lgkmcnt(2)
	v_add_f32_e32 v11, v11, v12
	s_waitcnt vmcnt(2)
	v_cvt_f32_f16_e32 v12, v17
	v_mov_b32_e32 v26, v27
	s_delay_alu instid0(VALU_DEP_2) | instskip(NEXT) | instid1(VALU_DEP_2)
	v_add_f32_e32 v13, v11, v12
	v_lshlrev_b64 v[11:12], 1, v[25:26]
	s_delay_alu instid0(VALU_DEP_2) | instskip(NEXT) | instid1(VALU_DEP_2)
	v_cvt_f16_f32_e32 v13, v13
	v_add_co_u32 v11, vcc_lo, s30, v11
	s_delay_alu instid0(VALU_DEP_3)
	v_add_co_ci_u32_e32 v12, vcc_lo, s31, v12, vcc_lo
	global_store_b16 v[11:12], v13, off
.LBB19_37:                              ;   in Loop: Header=BB19_12 Depth=1
	s_or_b32 exec_lo, exec_lo, s2
	s_delay_alu instid0(SALU_CYCLE_1)
	s_mov_b32 s2, exec_lo
	v_cmpx_ne_u32_e32 0, v3
	s_cbranch_execz .LBB19_39
; %bb.38:                               ;   in Loop: Header=BB19_12 Depth=1
	s_waitcnt lgkmcnt(1)
	v_add_f32_e32 v10, v7, v10
	s_waitcnt vmcnt(1)
	v_cvt_f32_f16_e32 v11, v16
	s_delay_alu instid0(VALU_DEP_1) | instskip(NEXT) | instid1(VALU_DEP_1)
	v_dual_mov_b32 v7, v27 :: v_dual_add_f32 v10, v10, v11
	v_lshlrev_b64 v[6:7], 1, v[6:7]
	s_delay_alu instid0(VALU_DEP_2) | instskip(NEXT) | instid1(VALU_DEP_2)
	v_cvt_f16_f32_e32 v10, v10
	v_add_co_u32 v6, vcc_lo, s10, v6
	s_delay_alu instid0(VALU_DEP_3)
	v_add_co_ci_u32_e32 v7, vcc_lo, s11, v7, vcc_lo
	global_store_b16 v[6:7], v10, off
.LBB19_39:                              ;   in Loop: Header=BB19_12 Depth=1
	s_or_b32 exec_lo, exec_lo, s2
	v_cmp_ne_u32_e32 vcc_lo, 0, v4
	s_and_b32 exec_lo, exec_lo, vcc_lo
	s_cbranch_execz .LBB19_41
; %bb.40:                               ;   in Loop: Header=BB19_12 Depth=1
	s_waitcnt lgkmcnt(0)
	v_dual_add_f32 v7, v8, v9 :: v_dual_mov_b32 v6, v27
	s_waitcnt vmcnt(0)
	v_cvt_f32_f16_e32 v8, v15
	s_delay_alu instid0(VALU_DEP_2) | instskip(NEXT) | instid1(VALU_DEP_2)
	v_lshlrev_b64 v[5:6], 1, v[5:6]
	v_add_f32_e32 v7, v7, v8
	s_delay_alu instid0(VALU_DEP_1) | instskip(NEXT) | instid1(VALU_DEP_3)
	v_cvt_f16_f32_e32 v7, v7
	v_add_co_u32 v5, vcc_lo, s10, v5
	s_delay_alu instid0(VALU_DEP_4)
	v_add_co_ci_u32_e32 v6, vcc_lo, s11, v6, vcc_lo
	global_store_b16 v[5:6], v7, off
.LBB19_41:                              ;   in Loop: Header=BB19_12 Depth=1
	s_or_b32 exec_lo, exec_lo, s1
	v_add_nc_u32_e32 v25, s27, v25
	s_delay_alu instid0(VALU_DEP_1) | instskip(SKIP_1) | instid1(VALU_DEP_2)
	v_add_nc_u32_e32 v5, 4, v25
	v_cmp_gt_u32_e32 vcc_lo, s19, v25
	v_cmp_le_u32_e64 s1, s19, v5
	s_delay_alu instid0(VALU_DEP_1) | instskip(NEXT) | instid1(SALU_CYCLE_1)
	s_and_b32 s1, vcc_lo, s1
	s_and_saveexec_b32 s35, s1
	s_cbranch_execz .LBB19_10
; %bb.42:                               ;   in Loop: Header=BB19_12 Depth=1
	s_mov_b32 s36, exec_lo
	v_cmpx_ne_u32_e64 s29, v25
	s_cbranch_execz .LBB19_9
; %bb.43:                               ;   in Loop: Header=BB19_12 Depth=1
	v_subrev_nc_u32_e32 v5, s29, v25
	s_mov_b32 s37, 0
	s_mov_b64 s[12:13], 0
	s_delay_alu instid0(VALU_DEP_1)
	v_cmp_lt_u32_e32 vcc_lo, 1, v5
	v_cndmask_b32_e32 v5, 1, v5, vcc_lo
	.p2align	6
.LBB19_44:                              ;   Parent Loop BB19_12 Depth=1
                                        ; =>  This Inner Loop Header: Depth=2
	s_cmp_lg_u32 s12, 3
	s_cselect_b32 vcc_lo, -1, 0
	s_cmp_lg_u32 s12, 2
	v_cndmask_b32_e32 v4, 0, v4, vcc_lo
	s_cselect_b32 s1, -1, 0
	s_cmp_lg_u32 s12, 1
	v_cndmask_b32_e64 v3, 0, v3, s1
	s_cselect_b32 s2, -1, 0
	s_cmp_lg_u32 s12, 0
	v_cndmask_b32_e64 v2, 0, v2, s2
	s_cselect_b32 s3, -1, 0
	s_add_u32 s12, s12, 1
	v_cndmask_b32_e64 v1, 0, v1, s3
	v_cmp_eq_u32_e32 vcc_lo, s12, v5
	s_addc_u32 s13, s13, 0
	s_or_b32 s37, vcc_lo, s37
	s_delay_alu instid0(SALU_CYCLE_1)
	s_and_not1_b32 exec_lo, exec_lo, s37
	s_cbranch_execnz .LBB19_44
; %bb.45:                               ;   in Loop: Header=BB19_12 Depth=1
	s_or_b32 exec_lo, exec_lo, s37
	s_branch .LBB19_9
.LBB19_46:
	s_nop 0
	s_sendmsg sendmsg(MSG_DEALLOC_VGPRS)
	s_endpgm
	.section	.rodata,"a",@progbits
	.p2align	6, 0x0
	.amdhsa_kernel _Z16wvSplitK_hf_big_I6__halfLi32ELi4ELi16ELi8ELi1ELi1EEviiiiiiPKT_S3_S3_PS1_ii
		.amdhsa_group_segment_fixed_size 65536
		.amdhsa_private_segment_fixed_size 0
		.amdhsa_kernarg_size 64
		.amdhsa_user_sgpr_count 15
		.amdhsa_user_sgpr_dispatch_ptr 0
		.amdhsa_user_sgpr_queue_ptr 0
		.amdhsa_user_sgpr_kernarg_segment_ptr 1
		.amdhsa_user_sgpr_dispatch_id 0
		.amdhsa_user_sgpr_private_segment_size 0
		.amdhsa_wavefront_size32 1
		.amdhsa_uses_dynamic_stack 0
		.amdhsa_enable_private_segment 0
		.amdhsa_system_sgpr_workgroup_id_x 1
		.amdhsa_system_sgpr_workgroup_id_y 0
		.amdhsa_system_sgpr_workgroup_id_z 0
		.amdhsa_system_sgpr_workgroup_info 0
		.amdhsa_system_vgpr_workitem_id 1
		.amdhsa_next_free_vgpr 46
		.amdhsa_next_free_sgpr 38
		.amdhsa_reserve_vcc 1
		.amdhsa_float_round_mode_32 0
		.amdhsa_float_round_mode_16_64 0
		.amdhsa_float_denorm_mode_32 3
		.amdhsa_float_denorm_mode_16_64 3
		.amdhsa_dx10_clamp 1
		.amdhsa_ieee_mode 1
		.amdhsa_fp16_overflow 0
		.amdhsa_workgroup_processor_mode 1
		.amdhsa_memory_ordered 1
		.amdhsa_forward_progress 0
		.amdhsa_shared_vgpr_count 0
		.amdhsa_exception_fp_ieee_invalid_op 0
		.amdhsa_exception_fp_denorm_src 0
		.amdhsa_exception_fp_ieee_div_zero 0
		.amdhsa_exception_fp_ieee_overflow 0
		.amdhsa_exception_fp_ieee_underflow 0
		.amdhsa_exception_fp_ieee_inexact 0
		.amdhsa_exception_int_div_zero 0
	.end_amdhsa_kernel
	.section	.text._Z16wvSplitK_hf_big_I6__halfLi32ELi4ELi16ELi8ELi1ELi1EEviiiiiiPKT_S3_S3_PS1_ii,"axG",@progbits,_Z16wvSplitK_hf_big_I6__halfLi32ELi4ELi16ELi8ELi1ELi1EEviiiiiiPKT_S3_S3_PS1_ii,comdat
.Lfunc_end19:
	.size	_Z16wvSplitK_hf_big_I6__halfLi32ELi4ELi16ELi8ELi1ELi1EEviiiiiiPKT_S3_S3_PS1_ii, .Lfunc_end19-_Z16wvSplitK_hf_big_I6__halfLi32ELi4ELi16ELi8ELi1ELi1EEviiiiiiPKT_S3_S3_PS1_ii
                                        ; -- End function
	.section	.AMDGPU.csdata,"",@progbits
; Kernel info:
; codeLenInByte = 3040
; NumSgprs: 40
; NumVgprs: 46
; ScratchSize: 0
; MemoryBound: 0
; FloatMode: 240
; IeeeMode: 1
; LDSByteSize: 65536 bytes/workgroup (compile time only)
; SGPRBlocks: 4
; VGPRBlocks: 5
; NumSGPRsForWavesPerEU: 40
; NumVGPRsForWavesPerEU: 46
; Occupancy: 8
; WaveLimiterHint : 0
; COMPUTE_PGM_RSRC2:SCRATCH_EN: 0
; COMPUTE_PGM_RSRC2:USER_SGPR: 15
; COMPUTE_PGM_RSRC2:TRAP_HANDLER: 0
; COMPUTE_PGM_RSRC2:TGID_X_EN: 1
; COMPUTE_PGM_RSRC2:TGID_Y_EN: 0
; COMPUTE_PGM_RSRC2:TGID_Z_EN: 0
; COMPUTE_PGM_RSRC2:TIDIG_COMP_CNT: 1
	.section	.text._Z16wvSplitK_hf_sml_I6__halfLi32ELi4ELi16ELi8ELi2ELi1EEviiiiiiPKT_S3_S3_PS1_ii,"axG",@progbits,_Z16wvSplitK_hf_sml_I6__halfLi32ELi4ELi16ELi8ELi2ELi1EEviiiiiiPKT_S3_S3_PS1_ii,comdat
	.protected	_Z16wvSplitK_hf_sml_I6__halfLi32ELi4ELi16ELi8ELi2ELi1EEviiiiiiPKT_S3_S3_PS1_ii ; -- Begin function _Z16wvSplitK_hf_sml_I6__halfLi32ELi4ELi16ELi8ELi2ELi1EEviiiiiiPKT_S3_S3_PS1_ii
	.globl	_Z16wvSplitK_hf_sml_I6__halfLi32ELi4ELi16ELi8ELi2ELi1EEviiiiiiPKT_S3_S3_PS1_ii
	.p2align	8
	.type	_Z16wvSplitK_hf_sml_I6__halfLi32ELi4ELi16ELi8ELi2ELi1EEviiiiiiPKT_S3_S3_PS1_ii,@function
_Z16wvSplitK_hf_sml_I6__halfLi32ELi4ELi16ELi8ELi2ELi1EEviiiiiiPKT_S3_S3_PS1_ii: ; @_Z16wvSplitK_hf_sml_I6__halfLi32ELi4ELi16ELi8ELi2ELi1EEviiiiiiPKT_S3_S3_PS1_ii
; %bb.0:
	s_load_b128 s[4:7], s[0:1], 0x0
	v_and_b32_e32 v1, 0x3ff, v0
	v_bfe_u32 v0, v0, 10, 10
	s_delay_alu instid0(VALU_DEP_2) | instskip(NEXT) | instid1(VALU_DEP_1)
	v_lshlrev_b32_e32 v56, 3, v1
	v_lshl_add_u32 v3, v0, 8, v56
	s_waitcnt lgkmcnt(0)
	s_min_u32 s8, s6, 0x8000
	s_mov_b32 s6, exec_lo
	s_delay_alu instid0(VALU_DEP_1)
	v_cmpx_gt_u32_e64 s8, v3
	s_cbranch_execz .LBB20_9
; %bb.1:
	s_load_b64 s[2:3], s[0:1], 0x20
	v_lshlrev_b32_e32 v2, 1, v3
	v_add_nc_u32_e32 v8, 0x1000, v3
	s_mov_b32 s9, exec_lo
	s_waitcnt lgkmcnt(0)
	global_load_b128 v[4:7], v2, s[2:3]
	s_waitcnt vmcnt(0)
	ds_store_b128 v2, v[4:7]
	v_cmpx_gt_u32_e64 s8, v8
	s_xor_b32 s9, exec_lo, s9
	s_cbranch_execz .LBB20_9
; %bb.2:
	v_add_co_u32 v4, s2, s2, v2
	s_delay_alu instid0(VALU_DEP_1) | instskip(SKIP_1) | instid1(VALU_DEP_3)
	v_add_co_ci_u32_e64 v5, null, s3, 0, s2
	v_add_nc_u32_e32 v10, 0x2000, v3
	v_add_co_u32 v6, vcc_lo, 0x2000, v4
	s_delay_alu instid0(VALU_DEP_3)
	v_add_co_ci_u32_e32 v7, vcc_lo, 0, v5, vcc_lo
	s_mov_b32 s2, exec_lo
	global_load_b128 v[6:9], v[6:7], off
	s_waitcnt vmcnt(0)
	ds_store_b128 v2, v[6:9] offset:8192
	v_cmpx_gt_u32_e64 s8, v10
	s_xor_b32 s2, exec_lo, s2
	s_cbranch_execz .LBB20_9
; %bb.3:
	v_add_co_u32 v6, vcc_lo, 0x4000, v4
	v_add_co_ci_u32_e32 v7, vcc_lo, 0, v5, vcc_lo
	v_add_nc_u32_e32 v10, 0x3000, v3
	s_mov_b32 s2, exec_lo
	global_load_b128 v[6:9], v[6:7], off
	s_waitcnt vmcnt(0)
	ds_store_b128 v2, v[6:9] offset:16384
	v_cmpx_gt_u32_e64 s8, v10
	s_xor_b32 s2, exec_lo, s2
	s_cbranch_execz .LBB20_9
; %bb.4:
	v_add_co_u32 v6, vcc_lo, 0x6000, v4
	v_add_co_ci_u32_e32 v7, vcc_lo, 0, v5, vcc_lo
	v_add_nc_u32_e32 v10, 0x4000, v3
	;; [unrolled: 11-line block ×5, first 2 shown]
	s_mov_b32 s2, exec_lo
	global_load_b128 v[6:9], v[6:7], off
	s_waitcnt vmcnt(0)
	ds_store_b128 v2, v[6:9] offset:49152
	v_cmpx_gt_u32_e64 s8, v3
	s_xor_b32 s2, exec_lo, s2
	s_cbranch_execz .LBB20_9
; %bb.8:
	v_add_co_u32 v3, vcc_lo, 0xe000, v4
	v_add_co_ci_u32_e32 v4, vcc_lo, 0, v5, vcc_lo
	global_load_b128 v[3:6], v[3:4], off
	s_waitcnt vmcnt(0)
	ds_store_b128 v2, v[3:6] offset:57344
.LBB20_9:
	s_or_b32 exec_lo, exec_lo, s6
	s_load_b64 s[12:13], s[0:1], 0x38
	s_waitcnt lgkmcnt(0)
	s_barrier
	buffer_gl0_inv
	s_mov_b32 s2, exec_lo
	v_cmpx_gt_u32_e64 s12, v0
	s_cbranch_execz .LBB20_26
; %bb.10:
	s_load_b32 s6, s[0:1], 0x10
	s_mul_i32 s15, s15, s12
	s_delay_alu instid0(SALU_CYCLE_1) | instskip(NEXT) | instid1(VALU_DEP_1)
	v_add_lshl_u32 v40, s15, v0, 2
	v_cmp_gt_u32_e32 vcc_lo, s7, v40
	s_and_b32 exec_lo, exec_lo, vcc_lo
	s_cbranch_execz .LBB20_26
; %bb.11:
	s_waitcnt lgkmcnt(0)
	v_cvt_f32_u32_e32 v0, s6
	s_clause 0x1
	s_load_b128 s[8:11], s[0:1], 0x28
	s_load_b64 s[2:3], s[0:1], 0x18
	s_cmp_lg_u32 s4, 0
	v_mbcnt_lo_u32_b32 v57, -1, 0
	v_rcp_iflag_f32_e32 v0, v0
	s_cselect_b32 s1, -1, 0
	s_add_i32 s14, s4, -8
	s_add_i32 s15, s7, -1
	v_lshlrev_b32_e32 v58, 4, v1
	v_xor_b32_e32 v60, 16, v57
	s_mul_i32 s13, s12, s13
	s_mov_b32 s12, 0
	s_waitcnt_depctr 0xfff
	v_mul_f32_e32 v0, 0x4f7ffffe, v0
	s_delay_alu instid0(VALU_DEP_1)
	v_cvt_u32_f32_e32 v0, v0
	s_waitcnt lgkmcnt(0)
	s_cmp_lg_u64 s[8:9], 0
	s_cselect_b32 s16, -1, 0
	s_sub_i32 s0, 0, s6
	s_lshl_b32 s13, s13, 2
	v_mul_lo_u32 v2, s0, v0
	v_cmp_eq_u32_e64 s0, 31, v1
	s_delay_alu instid0(VALU_DEP_2) | instskip(NEXT) | instid1(VALU_DEP_1)
	v_mul_hi_u32 v2, v0, v2
	v_dual_mov_b32 v42, 0 :: v_dual_add_nc_u32 v59, v0, v2
	s_branch .LBB20_14
.LBB20_12:                              ;   in Loop: Header=BB20_14 Depth=1
	s_waitcnt lgkmcnt(1)
	v_dual_add_f32 v6, v6, v7 :: v_dual_add_f32 v5, v3, v5
	s_waitcnt vmcnt(3)
	v_cvt_f32_f16_e32 v7, v11
	v_add_f32_e32 v4, v2, v4
	v_lshlrev_b64 v[2:3], 1, v[40:41]
	s_waitcnt vmcnt(2)
	v_cvt_f32_f16_e32 v10, v10
	s_waitcnt vmcnt(1)
	v_cvt_f32_f16_e32 v9, v9
	s_waitcnt lgkmcnt(0)
	v_dual_add_f32 v6, v6, v7 :: v_dual_add_f32 v7, v0, v1
	s_waitcnt vmcnt(0)
	v_cvt_f32_f16_e32 v8, v8
	v_add_f32_e32 v4, v4, v10
	v_add_co_u32 v0, vcc_lo, s10, v2
	v_add_co_ci_u32_e32 v1, vcc_lo, s11, v3, vcc_lo
	v_lshlrev_b64 v[2:3], 1, v[47:48]
	v_cvt_f16_f32_e32 v10, v6
	v_add_f32_e32 v6, v5, v9
	v_cvt_f16_f32_e32 v11, v4
	v_lshlrev_b64 v[4:5], 1, v[45:46]
	v_add_f32_e32 v8, v7, v8
	v_add_co_u32 v2, vcc_lo, s10, v2
	v_cvt_f16_f32_e32 v9, v6
	v_lshlrev_b64 v[6:7], 1, v[43:44]
	v_add_co_ci_u32_e32 v3, vcc_lo, s11, v3, vcc_lo
	v_add_co_u32 v4, vcc_lo, s10, v4
	v_add_co_ci_u32_e32 v5, vcc_lo, s11, v5, vcc_lo
	s_delay_alu instid0(VALU_DEP_4)
	v_add_co_u32 v6, vcc_lo, s10, v6
	v_cvt_f16_f32_e32 v8, v8
	v_add_co_ci_u32_e32 v7, vcc_lo, s11, v7, vcc_lo
	s_clause 0x3
	global_store_b16 v[0:1], v10, off
	global_store_b16 v[2:3], v11, off
	;; [unrolled: 1-line block ×4, first 2 shown]
.LBB20_13:                              ;   in Loop: Header=BB20_14 Depth=1
	s_or_b32 exec_lo, exec_lo, s17
	v_add_nc_u32_e32 v40, s13, v40
	s_delay_alu instid0(VALU_DEP_1) | instskip(SKIP_1) | instid1(SALU_CYCLE_1)
	v_cmp_le_u32_e32 vcc_lo, s7, v40
	s_or_b32 s12, vcc_lo, s12
	s_and_not1_b32 exec_lo, exec_lo, s12
	s_cbranch_execz .LBB20_26
.LBB20_14:                              ; =>This Loop Header: Depth=1
                                        ;     Child Loop BB20_18 Depth 2
	v_or_b32_e32 v47, 1, v40
	v_or_b32_e32 v45, 2, v40
	;; [unrolled: 1-line block ×3, first 2 shown]
	v_mov_b32_e32 v62, v42
	v_mov_b32_e32 v61, v42
	;; [unrolled: 1-line block ×4, first 2 shown]
	s_and_not1_b32 vcc_lo, exec_lo, s1
	s_cbranch_vccnz .LBB20_21
; %bb.15:                               ;   in Loop: Header=BB20_14 Depth=1
	v_min_u32_e32 v0, s15, v40
	s_waitcnt lgkmcnt(0)
	v_min_u32_e32 v1, s15, v47
	v_min_u32_e32 v2, s15, v45
	;; [unrolled: 1-line block ×3, first 2 shown]
	v_dual_mov_b32 v5, v42 :: v_dual_mov_b32 v62, 0
	v_mul_lo_u32 v41, v0, s5
	v_mul_lo_u32 v0, v1, s5
	;; [unrolled: 1-line block ×4, first 2 shown]
	v_dual_mov_b32 v1, v42 :: v_dual_mov_b32 v44, 0
	v_dual_mov_b32 v3, v42 :: v_dual_mov_b32 v46, 0
	v_lshlrev_b64 v[48:49], 1, v[41:42]
	s_delay_alu instid0(VALU_DEP_3) | instskip(SKIP_1) | instid1(VALU_DEP_4)
	v_lshlrev_b64 v[50:51], 1, v[0:1]
	v_mov_b32_e32 v63, v58
	v_lshlrev_b64 v[52:53], 1, v[2:3]
	v_lshlrev_b64 v[54:55], 1, v[4:5]
	v_mov_b32_e32 v61, 0
	s_mov_b32 s17, 0
	s_branch .LBB20_18
.LBB20_16:                              ;   in Loop: Header=BB20_18 Depth=2
	s_or_b32 exec_lo, exec_lo, s19
.LBB20_17:                              ;   in Loop: Header=BB20_18 Depth=2
	s_delay_alu instid0(SALU_CYCLE_1)
	s_or_b32 exec_lo, exec_lo, s18
	s_waitcnt vmcnt(7) lgkmcnt(0)
	;;#ASMSTART
	v_dot2_f32_f16 v62, v36, v32, v62
	;;#ASMEND
	s_waitcnt vmcnt(6)
	;;#ASMSTART
	v_dot2_f32_f16 v61, v36, v24, v61
	;;#ASMEND
	s_waitcnt vmcnt(5)
	;; [unrolled: 4-line block ×3, first 2 shown]
	;;#ASMSTART
	v_dot2_f32_f16 v44, v36, v20, v44
	;;#ASMEND
	;;#ASMSTART
	v_dot2_f32_f16 v62, v37, v33, v62
	;;#ASMEND
	;; [unrolled: 3-line block ×9, first 2 shown]
	v_add_nc_u32_e32 v63, 0x400, v63
	;;#ASMSTART
	v_dot2_f32_f16 v62, v39, v35, v62
	;;#ASMEND
	;;#ASMSTART
	v_dot2_f32_f16 v61, v39, v27, v61
	;;#ASMEND
	;; [unrolled: 3-line block ×4, first 2 shown]
	s_addk_i32 s17, 0x200
	s_waitcnt vmcnt(3)
	;;#ASMSTART
	v_dot2_f32_f16 v62, v4, v16, v62
	;;#ASMEND
	s_waitcnt vmcnt(2)
	;;#ASMSTART
	v_dot2_f32_f16 v61, v4, v12, v61
	;;#ASMEND
	s_waitcnt vmcnt(1)
	;;#ASMSTART
	v_dot2_f32_f16 v46, v4, v8, v46
	;;#ASMEND
	s_waitcnt vmcnt(0)
	;;#ASMSTART
	v_dot2_f32_f16 v44, v4, v0, v44
	;;#ASMEND
	;;#ASMSTART
	v_dot2_f32_f16 v62, v5, v17, v62
	;;#ASMEND
	;;#ASMSTART
	v_dot2_f32_f16 v61, v5, v13, v61
	;;#ASMEND
	;; [unrolled: 3-line block ×4, first 2 shown]
	s_cmp_ge_u32 s17, s4
	;;#ASMSTART
	v_dot2_f32_f16 v62, v6, v18, v62
	;;#ASMEND
	;;#ASMSTART
	v_dot2_f32_f16 v61, v6, v14, v61
	;;#ASMEND
	;; [unrolled: 3-line block ×8, first 2 shown]
	s_cbranch_scc1 .LBB20_21
.LBB20_18:                              ;   Parent Loop BB20_14 Depth=1
                                        ; =>  This Inner Loop Header: Depth=2
	v_dual_mov_b32 v39, 0 :: v_dual_add_nc_u32 v38, s17, v56
	s_delay_alu instid0(VALU_DEP_1) | instskip(SKIP_1) | instid1(VALU_DEP_2)
	v_min_u32_e32 v41, s14, v38
	v_add_nc_u32_e32 v64, 0x100, v38
	v_lshlrev_b64 v[0:1], 1, v[41:42]
	s_delay_alu instid0(VALU_DEP_2) | instskip(NEXT) | instid1(VALU_DEP_2)
	v_min_u32_e32 v41, s14, v64
	v_add_co_u32 v8, vcc_lo, s2, v0
	s_delay_alu instid0(VALU_DEP_3) | instskip(NEXT) | instid1(VALU_DEP_3)
	v_add_co_ci_u32_e32 v9, vcc_lo, s3, v1, vcc_lo
	v_lshlrev_b64 v[0:1], 1, v[41:42]
	s_delay_alu instid0(VALU_DEP_3) | instskip(NEXT) | instid1(VALU_DEP_3)
	v_add_co_u32 v2, vcc_lo, v8, v48
	v_add_co_ci_u32_e32 v3, vcc_lo, v9, v49, vcc_lo
	v_add_co_u32 v4, vcc_lo, v8, v50
	v_add_co_ci_u32_e32 v5, vcc_lo, v9, v51, vcc_lo
	;; [unrolled: 2-line block ×5, first 2 shown]
	s_clause 0x1
	global_load_b128 v[32:35], v[2:3], off slc dlc
	global_load_b128 v[24:27], v[4:5], off slc dlc
	v_add_co_u32 v2, vcc_lo, v10, v48
	v_add_co_ci_u32_e32 v3, vcc_lo, v11, v49, vcc_lo
	v_add_co_u32 v4, vcc_lo, v10, v50
	v_add_co_ci_u32_e32 v5, vcc_lo, v11, v51, vcc_lo
	;; [unrolled: 2-line block ×4, first 2 shown]
	s_clause 0x5
	global_load_b128 v[28:31], v[6:7], off slc dlc
	global_load_b128 v[20:23], v[0:1], off slc dlc
	global_load_b128 v[16:19], v[2:3], off slc dlc
	global_load_b128 v[12:15], v[4:5], off slc dlc
	global_load_b128 v[8:11], v[8:9], off slc dlc
	global_load_b128 v[0:3], v[36:37], off slc dlc
	v_dual_mov_b32 v7, 0 :: v_dual_mov_b32 v4, 0
	v_mov_b32_e32 v5, 0
	v_cmp_gt_u32_e32 vcc_lo, s4, v38
	v_dual_mov_b32 v6, 0 :: v_dual_mov_b32 v37, 0
	v_mov_b32_e32 v38, 0
	v_mov_b32_e32 v36, 0
	s_and_saveexec_b32 s18, vcc_lo
	s_cbranch_execz .LBB20_17
; %bb.19:                               ;   in Loop: Header=BB20_18 Depth=2
	ds_load_b128 v[36:39], v63
	v_dual_mov_b32 v7, 0 :: v_dual_mov_b32 v6, 0
	v_dual_mov_b32 v5, 0 :: v_dual_mov_b32 v4, 0
	s_mov_b32 s19, exec_lo
	v_cmpx_gt_u32_e64 s4, v64
	s_cbranch_execz .LBB20_16
; %bb.20:                               ;   in Loop: Header=BB20_18 Depth=2
	ds_load_b128 v[4:7], v63 offset:512
	s_branch .LBB20_16
.LBB20_21:                              ;   in Loop: Header=BB20_14 Depth=1
	; sched_barrier mask(0x00000000)
	v_cvt_i32_f32_e32 v0, v62
	s_waitcnt lgkmcnt(0)
	v_cvt_i32_f32_e32 v1, v61
	v_cvt_i32_f32_e32 v2, v46
	;; [unrolled: 1-line block ×3, first 2 shown]
	v_cmp_gt_i32_e32 vcc_lo, 32, v60
	v_cvt_f32_i32_dpp v0, v0 row_shr:8 row_mask:0xf bank_mask:0xf bound_ctrl:1
	v_cvt_f32_i32_dpp v1, v1 row_shr:8 row_mask:0xf bank_mask:0xf bound_ctrl:1
	v_cvt_f32_i32_dpp v2, v2 row_shr:8 row_mask:0xf bank_mask:0xf bound_ctrl:1
	v_cvt_f32_i32_dpp v3, v3 row_shr:8 row_mask:0xf bank_mask:0xf bound_ctrl:1
	s_delay_alu instid0(VALU_DEP_3) | instskip(NEXT) | instid1(VALU_DEP_2)
	v_dual_add_f32 v0, v62, v0 :: v_dual_add_f32 v1, v61, v1
	v_dual_add_f32 v2, v46, v2 :: v_dual_add_f32 v3, v44, v3
	s_delay_alu instid0(VALU_DEP_2) | instskip(NEXT) | instid1(VALU_DEP_3)
	v_cvt_i32_f32_e32 v4, v0
	v_cvt_i32_f32_e32 v5, v1
	s_delay_alu instid0(VALU_DEP_3) | instskip(NEXT) | instid1(VALU_DEP_4)
	v_cvt_i32_f32_e32 v6, v2
	v_cvt_i32_f32_e32 v7, v3
	s_delay_alu instid0(VALU_DEP_4) | instskip(NEXT) | instid1(VALU_DEP_4)
	v_cvt_f32_i32_dpp v4, v4 row_shr:4 row_mask:0xf bank_mask:0xf bound_ctrl:1
	v_cvt_f32_i32_dpp v5, v5 row_shr:4 row_mask:0xf bank_mask:0xf bound_ctrl:1
	s_delay_alu instid0(VALU_DEP_4) | instskip(NEXT) | instid1(VALU_DEP_4)
	v_cvt_f32_i32_dpp v6, v6 row_shr:4 row_mask:0xf bank_mask:0xf bound_ctrl:1
	v_cvt_f32_i32_dpp v7, v7 row_shr:4 row_mask:0xf bank_mask:0xf bound_ctrl:1
	s_delay_alu instid0(VALU_DEP_3) | instskip(NEXT) | instid1(VALU_DEP_2)
	v_dual_add_f32 v0, v0, v4 :: v_dual_add_f32 v1, v1, v5
	v_dual_add_f32 v2, v2, v6 :: v_dual_add_f32 v3, v3, v7
	s_delay_alu instid0(VALU_DEP_2) | instskip(NEXT) | instid1(VALU_DEP_3)
	v_cvt_i32_f32_e32 v4, v0
	v_cvt_i32_f32_e32 v5, v1
	s_delay_alu instid0(VALU_DEP_3) | instskip(NEXT) | instid1(VALU_DEP_4)
	v_cvt_i32_f32_e32 v6, v2
	v_cvt_i32_f32_e32 v7, v3
	s_delay_alu instid0(VALU_DEP_4) | instskip(NEXT) | instid1(VALU_DEP_4)
	v_cvt_f32_i32_dpp v4, v4 row_shr:2 row_mask:0xf bank_mask:0xf bound_ctrl:1
	v_cvt_f32_i32_dpp v5, v5 row_shr:2 row_mask:0xf bank_mask:0xf bound_ctrl:1
	s_delay_alu instid0(VALU_DEP_4) | instskip(NEXT) | instid1(VALU_DEP_4)
	v_cvt_f32_i32_dpp v6, v6 row_shr:2 row_mask:0xf bank_mask:0xf bound_ctrl:1
	v_cvt_f32_i32_dpp v7, v7 row_shr:2 row_mask:0xf bank_mask:0xf bound_ctrl:1
	s_delay_alu instid0(VALU_DEP_3) | instskip(NEXT) | instid1(VALU_DEP_2)
	v_dual_add_f32 v0, v0, v4 :: v_dual_add_f32 v1, v1, v5
	v_dual_add_f32 v4, v2, v6 :: v_dual_add_f32 v5, v3, v7
	s_delay_alu instid0(VALU_DEP_2) | instskip(NEXT) | instid1(VALU_DEP_3)
	v_cvt_i32_f32_e32 v2, v0
	v_cvt_i32_f32_e32 v3, v1
	s_delay_alu instid0(VALU_DEP_3) | instskip(NEXT) | instid1(VALU_DEP_4)
	v_cvt_i32_f32_e32 v6, v4
	v_cvt_i32_f32_e32 v7, v5
	s_delay_alu instid0(VALU_DEP_4) | instskip(NEXT) | instid1(VALU_DEP_4)
	v_cvt_f32_i32_dpp v2, v2 row_shr:1 row_mask:0xf bank_mask:0xf bound_ctrl:1
	v_cvt_f32_i32_dpp v3, v3 row_shr:1 row_mask:0xf bank_mask:0xf bound_ctrl:1
	s_delay_alu instid0(VALU_DEP_4) | instskip(SKIP_3) | instid1(VALU_DEP_4)
	v_cvt_f32_i32_dpp v9, v6 row_shr:1 row_mask:0xf bank_mask:0xf bound_ctrl:1
	v_cndmask_b32_e32 v8, v57, v60, vcc_lo
	v_cvt_f32_i32_dpp v7, v7 row_shr:1 row_mask:0xf bank_mask:0xf bound_ctrl:1
	v_add_f32_e32 v6, v0, v2
	v_dual_add_f32 v2, v1, v3 :: v_dual_add_f32 v3, v4, v9
	s_delay_alu instid0(VALU_DEP_4) | instskip(NEXT) | instid1(VALU_DEP_4)
	v_lshlrev_b32_e32 v8, 2, v8
	v_add_f32_e32 v0, v5, v7
	ds_bpermute_b32 v7, v8, v6
	ds_bpermute_b32 v4, v8, v2
	;; [unrolled: 1-line block ×4, first 2 shown]
	s_and_saveexec_b32 s17, s0
	s_cbranch_execz .LBB20_13
; %bb.22:                               ;   in Loop: Header=BB20_14 Depth=1
	s_and_b32 vcc_lo, exec_lo, s16
	s_cbranch_vccz .LBB20_24
; %bb.23:                               ;   in Loop: Header=BB20_14 Depth=1
	v_mul_hi_u32 v8, v40, v59
	v_mul_hi_u32 v9, v47, v59
	;; [unrolled: 1-line block ×4, first 2 shown]
	v_mov_b32_e32 v46, v42
	v_mov_b32_e32 v44, v42
	;; [unrolled: 1-line block ×3, first 2 shown]
	v_mul_lo_u32 v8, v8, s6
	v_mul_lo_u32 v9, v9, s6
	;; [unrolled: 1-line block ×4, first 2 shown]
	s_delay_alu instid0(VALU_DEP_4) | instskip(NEXT) | instid1(VALU_DEP_4)
	v_sub_nc_u32_e32 v8, v40, v8
	v_sub_nc_u32_e32 v9, v47, v9
	s_delay_alu instid0(VALU_DEP_4) | instskip(NEXT) | instid1(VALU_DEP_4)
	v_sub_nc_u32_e32 v10, v45, v10
	v_sub_nc_u32_e32 v11, v43, v11
	s_delay_alu instid0(VALU_DEP_4) | instskip(SKIP_1) | instid1(VALU_DEP_4)
	v_subrev_nc_u32_e32 v12, s6, v8
	v_cmp_le_u32_e32 vcc_lo, s6, v8
	v_subrev_nc_u32_e32 v13, s6, v10
	s_delay_alu instid0(VALU_DEP_4) | instskip(NEXT) | instid1(VALU_DEP_4)
	v_subrev_nc_u32_e32 v15, s6, v11
	v_cndmask_b32_e32 v8, v8, v12, vcc_lo
	v_subrev_nc_u32_e32 v12, s6, v9
	v_cmp_le_u32_e32 vcc_lo, s6, v9
	s_delay_alu instid0(VALU_DEP_3) | instskip(NEXT) | instid1(VALU_DEP_3)
	v_subrev_nc_u32_e32 v14, s6, v8
	v_cndmask_b32_e32 v12, v9, v12, vcc_lo
	v_cmp_le_u32_e32 vcc_lo, s6, v8
	s_delay_alu instid0(VALU_DEP_3) | instskip(SKIP_1) | instid1(VALU_DEP_2)
	v_cndmask_b32_e32 v41, v8, v14, vcc_lo
	v_cmp_le_u32_e32 vcc_lo, s6, v10
	v_lshlrev_b64 v[8:9], 1, v[41:42]
	v_cndmask_b32_e32 v13, v10, v13, vcc_lo
	v_cmp_le_u32_e32 vcc_lo, s6, v11
	v_subrev_nc_u32_e32 v10, s6, v12
	v_cndmask_b32_e32 v14, v11, v15, vcc_lo
	v_cmp_le_u32_e32 vcc_lo, s6, v12
	s_delay_alu instid0(VALU_DEP_3) | instskip(SKIP_3) | instid1(VALU_DEP_4)
	v_cndmask_b32_e32 v41, v12, v10, vcc_lo
	v_subrev_nc_u32_e32 v12, s6, v13
	v_cmp_le_u32_e32 vcc_lo, s6, v13
	v_subrev_nc_u32_e32 v15, s6, v14
	v_lshlrev_b64 v[10:11], 1, v[41:42]
	s_delay_alu instid0(VALU_DEP_4) | instskip(SKIP_3) | instid1(VALU_DEP_4)
	v_cndmask_b32_e32 v41, v13, v12, vcc_lo
	v_add_co_u32 v8, vcc_lo, s8, v8
	v_add_co_ci_u32_e32 v9, vcc_lo, s9, v9, vcc_lo
	v_cmp_le_u32_e32 vcc_lo, s6, v14
	v_lshlrev_b64 v[12:13], 1, v[41:42]
	v_cndmask_b32_e32 v41, v14, v15, vcc_lo
	v_add_co_u32 v14, vcc_lo, s8, v10
	v_add_co_ci_u32_e32 v15, vcc_lo, s9, v11, vcc_lo
	s_delay_alu instid0(VALU_DEP_3) | instskip(SKIP_3) | instid1(VALU_DEP_4)
	v_lshlrev_b64 v[10:11], 1, v[41:42]
	v_add_co_u32 v12, vcc_lo, s8, v12
	v_add_co_ci_u32_e32 v13, vcc_lo, s9, v13, vcc_lo
	v_mov_b32_e32 v41, v42
	v_add_co_u32 v16, vcc_lo, s8, v10
	v_add_co_ci_u32_e32 v17, vcc_lo, s9, v11, vcc_lo
	s_clause 0x3
	global_load_u16 v11, v[8:9], off
	global_load_u16 v10, v[14:15], off
	;; [unrolled: 1-line block ×4, first 2 shown]
	s_cbranch_execnz .LBB20_12
	s_branch .LBB20_25
.LBB20_24:                              ;   in Loop: Header=BB20_14 Depth=1
                                        ; implicit-def: $vgpr11
                                        ; implicit-def: $vgpr10
                                        ; implicit-def: $vgpr9
                                        ; implicit-def: $vgpr8
.LBB20_25:                              ;   in Loop: Header=BB20_14 Depth=1
	s_waitcnt vmcnt(0)
	v_dual_mov_b32 v41, v42 :: v_dual_mov_b32 v8, 0
	v_dual_mov_b32 v48, v42 :: v_dual_mov_b32 v9, 0
	;; [unrolled: 1-line block ×3, first 2 shown]
	v_mov_b32_e32 v44, v42
	v_mov_b32_e32 v10, 0
	s_branch .LBB20_12
.LBB20_26:
	s_nop 0
	s_sendmsg sendmsg(MSG_DEALLOC_VGPRS)
	s_endpgm
	.section	.rodata,"a",@progbits
	.p2align	6, 0x0
	.amdhsa_kernel _Z16wvSplitK_hf_sml_I6__halfLi32ELi4ELi16ELi8ELi2ELi1EEviiiiiiPKT_S3_S3_PS1_ii
		.amdhsa_group_segment_fixed_size 65536
		.amdhsa_private_segment_fixed_size 0
		.amdhsa_kernarg_size 64
		.amdhsa_user_sgpr_count 15
		.amdhsa_user_sgpr_dispatch_ptr 0
		.amdhsa_user_sgpr_queue_ptr 0
		.amdhsa_user_sgpr_kernarg_segment_ptr 1
		.amdhsa_user_sgpr_dispatch_id 0
		.amdhsa_user_sgpr_private_segment_size 0
		.amdhsa_wavefront_size32 1
		.amdhsa_uses_dynamic_stack 0
		.amdhsa_enable_private_segment 0
		.amdhsa_system_sgpr_workgroup_id_x 1
		.amdhsa_system_sgpr_workgroup_id_y 0
		.amdhsa_system_sgpr_workgroup_id_z 0
		.amdhsa_system_sgpr_workgroup_info 0
		.amdhsa_system_vgpr_workitem_id 1
		.amdhsa_next_free_vgpr 65
		.amdhsa_next_free_sgpr 20
		.amdhsa_reserve_vcc 1
		.amdhsa_float_round_mode_32 0
		.amdhsa_float_round_mode_16_64 0
		.amdhsa_float_denorm_mode_32 3
		.amdhsa_float_denorm_mode_16_64 3
		.amdhsa_dx10_clamp 1
		.amdhsa_ieee_mode 1
		.amdhsa_fp16_overflow 0
		.amdhsa_workgroup_processor_mode 1
		.amdhsa_memory_ordered 1
		.amdhsa_forward_progress 0
		.amdhsa_shared_vgpr_count 0
		.amdhsa_exception_fp_ieee_invalid_op 0
		.amdhsa_exception_fp_denorm_src 0
		.amdhsa_exception_fp_ieee_div_zero 0
		.amdhsa_exception_fp_ieee_overflow 0
		.amdhsa_exception_fp_ieee_underflow 0
		.amdhsa_exception_fp_ieee_inexact 0
		.amdhsa_exception_int_div_zero 0
	.end_amdhsa_kernel
	.section	.text._Z16wvSplitK_hf_sml_I6__halfLi32ELi4ELi16ELi8ELi2ELi1EEviiiiiiPKT_S3_S3_PS1_ii,"axG",@progbits,_Z16wvSplitK_hf_sml_I6__halfLi32ELi4ELi16ELi8ELi2ELi1EEviiiiiiPKT_S3_S3_PS1_ii,comdat
.Lfunc_end20:
	.size	_Z16wvSplitK_hf_sml_I6__halfLi32ELi4ELi16ELi8ELi2ELi1EEviiiiiiPKT_S3_S3_PS1_ii, .Lfunc_end20-_Z16wvSplitK_hf_sml_I6__halfLi32ELi4ELi16ELi8ELi2ELi1EEviiiiiiPKT_S3_S3_PS1_ii
                                        ; -- End function
	.section	.AMDGPU.csdata,"",@progbits
; Kernel info:
; codeLenInByte = 3044
; NumSgprs: 22
; NumVgprs: 65
; ScratchSize: 0
; MemoryBound: 0
; FloatMode: 240
; IeeeMode: 1
; LDSByteSize: 65536 bytes/workgroup (compile time only)
; SGPRBlocks: 2
; VGPRBlocks: 8
; NumSGPRsForWavesPerEU: 22
; NumVGPRsForWavesPerEU: 65
; Occupancy: 8
; WaveLimiterHint : 0
; COMPUTE_PGM_RSRC2:SCRATCH_EN: 0
; COMPUTE_PGM_RSRC2:USER_SGPR: 15
; COMPUTE_PGM_RSRC2:TRAP_HANDLER: 0
; COMPUTE_PGM_RSRC2:TGID_X_EN: 1
; COMPUTE_PGM_RSRC2:TGID_Y_EN: 0
; COMPUTE_PGM_RSRC2:TGID_Z_EN: 0
; COMPUTE_PGM_RSRC2:TIDIG_COMP_CNT: 1
	.section	.text._Z12wvSplitK_hf_I6__halfLi32ELi4ELi16ELi8ELi2ELi1EEviiiiiiPKT_S3_S3_PS1_ii,"axG",@progbits,_Z12wvSplitK_hf_I6__halfLi32ELi4ELi16ELi8ELi2ELi1EEviiiiiiPKT_S3_S3_PS1_ii,comdat
	.protected	_Z12wvSplitK_hf_I6__halfLi32ELi4ELi16ELi8ELi2ELi1EEviiiiiiPKT_S3_S3_PS1_ii ; -- Begin function _Z12wvSplitK_hf_I6__halfLi32ELi4ELi16ELi8ELi2ELi1EEviiiiiiPKT_S3_S3_PS1_ii
	.globl	_Z12wvSplitK_hf_I6__halfLi32ELi4ELi16ELi8ELi2ELi1EEviiiiiiPKT_S3_S3_PS1_ii
	.p2align	8
	.type	_Z12wvSplitK_hf_I6__halfLi32ELi4ELi16ELi8ELi2ELi1EEviiiiiiPKT_S3_S3_PS1_ii,@function
_Z12wvSplitK_hf_I6__halfLi32ELi4ELi16ELi8ELi2ELi1EEviiiiiiPKT_S3_S3_PS1_ii: ; @_Z12wvSplitK_hf_I6__halfLi32ELi4ELi16ELi8ELi2ELi1EEviiiiiiPKT_S3_S3_PS1_ii
; %bb.0:
	s_clause 0x1
	s_load_b64 s[16:17], s[0:1], 0x38
	s_load_b128 s[4:7], s[0:1], 0x0
	v_bfe_u32 v5, v0, 10, 10
	s_clause 0x1
	s_load_b64 s[12:13], s[0:1], 0x20
	s_load_b32 s18, s[0:1], 0x10
	s_mov_b32 s8, 1
	s_delay_alu instid0(SALU_CYCLE_1) | instskip(SKIP_4) | instid1(SALU_CYCLE_1)
	s_mov_b32 s9, s8
	s_mov_b32 s10, s8
	;; [unrolled: 1-line block ×3, first 2 shown]
	s_waitcnt lgkmcnt(0)
	s_mul_i32 s15, s15, s16
	v_add_lshl_u32 v45, s15, v5, 2
	s_delay_alu instid0(VALU_DEP_1) | instskip(SKIP_1) | instid1(VALU_DEP_2)
	v_add_nc_u32_e32 v1, 4, v45
	v_cmp_gt_u32_e32 vcc_lo, s7, v45
	v_cmp_le_u32_e64 s2, s7, v1
	v_dual_mov_b32 v1, s8 :: v_dual_mov_b32 v4, s11
	v_dual_mov_b32 v2, s9 :: v_dual_mov_b32 v3, s10
	s_delay_alu instid0(VALU_DEP_3) | instskip(NEXT) | instid1(SALU_CYCLE_1)
	s_and_b32 s2, vcc_lo, s2
	s_and_saveexec_b32 s14, s2
	s_cbranch_execz .LBB21_6
; %bb.1:
	v_dual_mov_b32 v1, s8 :: v_dual_mov_b32 v2, s9
	v_dual_mov_b32 v3, s10 :: v_dual_mov_b32 v4, s11
	s_add_i32 s15, s7, -4
	s_mov_b32 s19, exec_lo
	v_cmpx_ne_u32_e64 s15, v45
	s_cbranch_execz .LBB21_5
; %bb.2:
	v_subrev_nc_u32_e32 v1, s15, v45
	s_mov_b32 s20, 0
	s_mov_b64 s[2:3], 0
	s_mov_b32 s9, s8
	s_mov_b32 s10, s8
	v_cmp_lt_u32_e32 vcc_lo, 1, v1
	s_mov_b32 s11, s8
	v_cndmask_b32_e32 v6, 1, v1, vcc_lo
	.p2align	6
.LBB21_3:                               ; =>This Inner Loop Header: Depth=1
	s_cmp_lg_u32 s2, 3
	s_cselect_b32 s11, s11, 0
	s_cmp_lg_u32 s2, 2
	s_cselect_b32 s10, s10, 0
	;; [unrolled: 2-line block ×4, first 2 shown]
	s_add_u32 s2, s2, 1
	v_dual_mov_b32 v1, s8 :: v_dual_mov_b32 v2, s9
	v_cmp_eq_u32_e32 vcc_lo, s2, v6
	v_dual_mov_b32 v3, s10 :: v_dual_mov_b32 v4, s11
	s_addc_u32 s3, s3, 0
	s_or_b32 s20, vcc_lo, s20
	s_delay_alu instid0(SALU_CYCLE_1)
	s_and_not1_b32 exec_lo, exec_lo, s20
	s_cbranch_execnz .LBB21_3
; %bb.4:
	s_or_b32 exec_lo, exec_lo, s20
	v_mov_b32_e32 v45, s15
.LBB21_5:
	s_or_b32 exec_lo, exec_lo, s19
.LBB21_6:
	s_delay_alu instid0(SALU_CYCLE_1) | instskip(SKIP_3) | instid1(VALU_DEP_1)
	s_or_b32 exec_lo, exec_lo, s14
	v_and_b32_e32 v6, 0x3ff, v0
	s_min_u32 s3, s6, 0x8000
	s_mov_b32 s2, exec_lo
	v_lshlrev_b32_e32 v0, 3, v6
	s_delay_alu instid0(VALU_DEP_1) | instskip(NEXT) | instid1(VALU_DEP_1)
	v_lshl_add_u32 v8, v5, 8, v0
	v_cmpx_gt_u32_e64 s3, v8
	s_cbranch_execz .LBB21_15
; %bb.7:
	v_lshlrev_b32_e32 v7, 1, v8
	v_add_nc_u32_e32 v13, 0x1000, v8
	s_mov_b32 s6, exec_lo
	global_load_b128 v[9:12], v7, s[12:13]
	s_waitcnt vmcnt(0)
	ds_store_b128 v7, v[9:12]
	v_cmpx_gt_u32_e64 s3, v13
	s_xor_b32 s6, exec_lo, s6
	s_cbranch_execz .LBB21_15
; %bb.8:
	v_add_co_u32 v9, s6, s12, v7
	s_delay_alu instid0(VALU_DEP_1) | instskip(SKIP_1) | instid1(VALU_DEP_3)
	v_add_co_ci_u32_e64 v10, null, s13, 0, s6
	v_add_nc_u32_e32 v15, 0x2000, v8
	v_add_co_u32 v11, vcc_lo, 0x2000, v9
	s_delay_alu instid0(VALU_DEP_3)
	v_add_co_ci_u32_e32 v12, vcc_lo, 0, v10, vcc_lo
	s_mov_b32 s6, exec_lo
	global_load_b128 v[11:14], v[11:12], off
	s_waitcnt vmcnt(0)
	ds_store_b128 v7, v[11:14] offset:8192
	v_cmpx_gt_u32_e64 s3, v15
	s_xor_b32 s6, exec_lo, s6
	s_cbranch_execz .LBB21_15
; %bb.9:
	v_add_co_u32 v11, vcc_lo, 0x4000, v9
	v_add_co_ci_u32_e32 v12, vcc_lo, 0, v10, vcc_lo
	v_add_nc_u32_e32 v15, 0x3000, v8
	s_mov_b32 s6, exec_lo
	global_load_b128 v[11:14], v[11:12], off
	s_waitcnt vmcnt(0)
	ds_store_b128 v7, v[11:14] offset:16384
	v_cmpx_gt_u32_e64 s3, v15
	s_xor_b32 s6, exec_lo, s6
	s_cbranch_execz .LBB21_15
; %bb.10:
	v_add_co_u32 v11, vcc_lo, 0x6000, v9
	v_add_co_ci_u32_e32 v12, vcc_lo, 0, v10, vcc_lo
	v_add_nc_u32_e32 v15, 0x4000, v8
	;; [unrolled: 11-line block ×5, first 2 shown]
	global_load_b128 v[11:14], v[11:12], off
	v_cmp_gt_u32_e32 vcc_lo, s3, v8
	s_waitcnt vmcnt(0)
	ds_store_b128 v7, v[11:14] offset:49152
	s_and_saveexec_b32 s3, vcc_lo
	s_delay_alu instid0(SALU_CYCLE_1)
	s_xor_b32 s3, exec_lo, s3
	s_cbranch_execz .LBB21_15
; %bb.14:
	v_add_co_u32 v8, vcc_lo, 0xe000, v9
	v_add_co_ci_u32_e32 v9, vcc_lo, 0, v10, vcc_lo
	global_load_b128 v[8:11], v[8:9], off
	s_waitcnt vmcnt(0)
	ds_store_b128 v7, v[8:11] offset:57344
.LBB21_15:
	s_or_b32 exec_lo, exec_lo, s2
	v_cmp_gt_u32_e32 vcc_lo, s16, v5
	v_cmp_gt_u32_e64 s2, s7, v45
	s_waitcnt lgkmcnt(0)
	s_barrier
	buffer_gl0_inv
	s_and_b32 s2, vcc_lo, s2
	s_delay_alu instid0(SALU_CYCLE_1)
	s_and_saveexec_b32 s3, s2
	s_cbranch_execz .LBB21_50
; %bb.16:
	v_cvt_f32_u32_e32 v5, s18
	s_clause 0x1
	s_load_b128 s[8:11], s[0:1], 0x28
	s_load_b64 s[14:15], s[0:1], 0x18
	s_cmp_lg_u32 s4, 0
	v_mov_b32_e32 v47, 0
	v_rcp_iflag_f32_e32 v5, v5
	s_cselect_b32 s6, -1, 0
	s_add_i32 s19, s4, -8
	s_add_i32 s20, s7, -1
	v_mbcnt_lo_u32_b32 v64, -1, 0
	s_mul_i32 s1, s16, s17
	s_mov_b32 s22, 0
	s_waitcnt_depctr 0xfff
	v_dual_mul_f32 v5, 0x4f7ffffe, v5 :: v_dual_lshlrev_b32 v62, 4, v6
	s_delay_alu instid0(VALU_DEP_1)
	v_cvt_u32_f32_e32 v5, v5
	s_waitcnt lgkmcnt(0)
	s_cmp_lg_u64 s[8:9], 0
	s_cselect_b32 s21, -1, 0
	s_sub_i32 s0, 0, s18
	s_lshl_b32 s23, s1, 2
	v_mul_lo_u32 v7, s0, v5
	v_cmp_eq_u32_e64 s0, 31, v6
	s_add_i32 s24, s7, -4
	s_delay_alu instid0(VALU_DEP_2) | instskip(NEXT) | instid1(VALU_DEP_1)
	v_mul_hi_u32 v7, v5, v7
	v_add_nc_u32_e32 v63, v5, v7
	s_branch .LBB21_19
.LBB21_17:                              ;   in Loop: Header=BB21_19 Depth=1
	s_or_b32 exec_lo, exec_lo, s26
	v_mov_b32_e32 v45, s24
.LBB21_18:                              ;   in Loop: Header=BB21_19 Depth=1
	s_or_b32 exec_lo, exec_lo, s25
	s_delay_alu instid0(VALU_DEP_1) | instskip(SKIP_1) | instid1(SALU_CYCLE_1)
	v_cmp_le_u32_e32 vcc_lo, s7, v45
	s_or_b32 s22, vcc_lo, s22
	s_and_not1_b32 exec_lo, exec_lo, s22
	s_cbranch_execz .LBB21_50
.LBB21_19:                              ; =>This Loop Header: Depth=1
                                        ;     Child Loop BB21_24 Depth 2
                                        ;     Child Loop BB21_48 Depth 2
	v_dual_mov_b32 v67, v47 :: v_dual_add_nc_u32 v50, 1, v45
	v_dual_mov_b32 v68, v47 :: v_dual_add_nc_u32 v49, 2, v45
	;; [unrolled: 1-line block ×3, first 2 shown]
	v_mov_b32_e32 v66, v47
	s_and_not1_b32 vcc_lo, exec_lo, s6
	s_cbranch_vccnz .LBB21_34
; %bb.20:                               ;   in Loop: Header=BB21_19 Depth=1
	v_min_u32_e32 v5, s20, v45
	s_waitcnt lgkmcnt(0)
	v_min_u32_e32 v6, s20, v50
	v_min_u32_e32 v7, s20, v49
	;; [unrolled: 1-line block ×3, first 2 shown]
	v_dual_mov_b32 v10, v47 :: v_dual_mov_b32 v67, 0
	v_mul_lo_u32 v46, v5, s5
	v_mul_lo_u32 v5, v6, s5
	;; [unrolled: 1-line block ×4, first 2 shown]
	v_dual_mov_b32 v6, v47 :: v_dual_mov_b32 v65, 0
	v_dual_mov_b32 v8, v47 :: v_dual_mov_b32 v69, v62
	v_lshlrev_b64 v[51:52], 1, v[46:47]
	s_delay_alu instid0(VALU_DEP_3) | instskip(SKIP_1) | instid1(VALU_DEP_4)
	v_lshlrev_b64 v[53:54], 1, v[5:6]
	v_mov_b32_e32 v66, 0
	v_lshlrev_b64 v[55:56], 1, v[7:8]
	v_lshlrev_b64 v[57:58], 1, v[9:10]
	v_mov_b32_e32 v68, 0
	s_mov_b32 s1, 0
	s_branch .LBB21_24
.LBB21_21:                              ;   in Loop: Header=BB21_24 Depth=2
	s_or_b32 exec_lo, exec_lo, s16
.LBB21_22:                              ;   in Loop: Header=BB21_24 Depth=2
	s_delay_alu instid0(SALU_CYCLE_1)
	s_or_b32 exec_lo, exec_lo, s3
.LBB21_23:                              ;   in Loop: Header=BB21_24 Depth=2
	s_delay_alu instid0(SALU_CYCLE_1)
	s_or_b32 exec_lo, exec_lo, s2
	s_waitcnt vmcnt(0) lgkmcnt(0)
	;;#ASMSTART
	v_dot2_f32_f16 v68, v37, v33, v68
	;;#ASMEND
	;;#ASMSTART
	v_dot2_f32_f16 v67, v37, v25, v67
	;;#ASMEND
	;; [unrolled: 3-line block ×12, first 2 shown]
	v_add_nc_u32_e32 v69, 0x400, v69
	;;#ASMSTART
	v_dot2_f32_f16 v68, v40, v36, v68
	;;#ASMEND
	;;#ASMSTART
	v_dot2_f32_f16 v67, v40, v28, v67
	;;#ASMEND
	;; [unrolled: 3-line block ×4, first 2 shown]
	s_addk_i32 s1, 0x200
	;;#ASMSTART
	v_dot2_f32_f16 v68, v41, v17, v68
	;;#ASMEND
	;;#ASMSTART
	v_dot2_f32_f16 v67, v41, v13, v67
	;;#ASMEND
	;; [unrolled: 3-line block ×8, first 2 shown]
	s_cmp_ge_u32 s1, s4
	;;#ASMSTART
	v_dot2_f32_f16 v68, v43, v19, v68
	;;#ASMEND
	;;#ASMSTART
	v_dot2_f32_f16 v67, v43, v15, v67
	;;#ASMEND
	;; [unrolled: 3-line block ×8, first 2 shown]
	s_cbranch_scc1 .LBB21_34
.LBB21_24:                              ;   Parent Loop BB21_19 Depth=1
                                        ; =>  This Inner Loop Header: Depth=2
	v_add_nc_u32_e32 v60, s1, v0
	v_dual_mov_b32 v44, 0 :: v_dual_mov_b32 v43, 0
	v_dual_mov_b32 v42, 0 :: v_dual_mov_b32 v41, 0
	s_delay_alu instid0(VALU_DEP_3) | instskip(SKIP_2) | instid1(VALU_DEP_2)
	v_min_u32_e32 v46, s19, v60
	v_add_nc_u32_e32 v59, 0x100, v60
	s_mov_b32 s2, exec_lo
	v_lshlrev_b64 v[5:6], 1, v[46:47]
	s_delay_alu instid0(VALU_DEP_2) | instskip(SKIP_1) | instid1(VALU_DEP_2)
	v_min_u32_e32 v46, s19, v59
	s_waitcnt vmcnt(0)
	v_add_co_u32 v13, vcc_lo, s14, v5
	s_delay_alu instid0(VALU_DEP_3) | instskip(NEXT) | instid1(VALU_DEP_3)
	v_add_co_ci_u32_e32 v14, vcc_lo, s15, v6, vcc_lo
	v_lshlrev_b64 v[5:6], 1, v[46:47]
	s_delay_alu instid0(VALU_DEP_3) | instskip(NEXT) | instid1(VALU_DEP_3)
	v_add_co_u32 v7, vcc_lo, v13, v51
	v_add_co_ci_u32_e32 v8, vcc_lo, v14, v52, vcc_lo
	v_add_co_u32 v9, vcc_lo, v13, v53
	v_add_co_ci_u32_e32 v10, vcc_lo, v14, v54, vcc_lo
	;; [unrolled: 2-line block ×5, first 2 shown]
	s_clause 0x1
	global_load_b128 v[33:36], v[7:8], off slc dlc
	global_load_b128 v[25:28], v[9:10], off slc dlc
	v_add_co_u32 v7, vcc_lo, v15, v51
	v_add_co_ci_u32_e32 v8, vcc_lo, v16, v52, vcc_lo
	v_add_co_u32 v9, vcc_lo, v15, v53
	v_add_co_ci_u32_e32 v10, vcc_lo, v16, v54, vcc_lo
	;; [unrolled: 2-line block ×4, first 2 shown]
	s_clause 0x5
	global_load_b128 v[29:32], v[11:12], off slc dlc
	global_load_b128 v[21:24], v[5:6], off slc dlc
	;; [unrolled: 1-line block ×6, first 2 shown]
	v_dual_mov_b32 v38, 0 :: v_dual_mov_b32 v37, 0
	v_dual_mov_b32 v39, 0 :: v_dual_mov_b32 v40, 0
	v_cmpx_gt_u32_e64 s4, v60
	s_cbranch_execz .LBB21_23
; %bb.25:                               ;   in Loop: Header=BB21_24 Depth=2
	s_mov_b32 s3, exec_lo
                                        ; implicit-def: $vgpr37
	v_cmpx_lt_u32_e32 0x7fff, v60
	s_xor_b32 s3, exec_lo, s3
	s_cbranch_execz .LBB21_27
; %bb.26:                               ;   in Loop: Header=BB21_24 Depth=2
	v_mov_b32_e32 v61, v47
	s_delay_alu instid0(VALU_DEP_1) | instskip(NEXT) | instid1(VALU_DEP_1)
	v_lshlrev_b64 v[37:38], 1, v[60:61]
	v_add_co_u32 v37, vcc_lo, s12, v37
	s_delay_alu instid0(VALU_DEP_2)
	v_add_co_ci_u32_e32 v38, vcc_lo, s13, v38, vcc_lo
	global_load_b128 v[37:40], v[37:38], off
.LBB21_27:                              ;   in Loop: Header=BB21_24 Depth=2
	s_and_not1_saveexec_b32 s3, s3
	s_cbranch_execz .LBB21_29
; %bb.28:                               ;   in Loop: Header=BB21_24 Depth=2
	s_waitcnt vmcnt(0)
	ds_load_b128 v[37:40], v69
.LBB21_29:                              ;   in Loop: Header=BB21_24 Depth=2
	s_or_b32 exec_lo, exec_lo, s3
	v_dual_mov_b32 v44, 0 :: v_dual_mov_b32 v43, 0
	v_dual_mov_b32 v42, 0 :: v_dual_mov_b32 v41, 0
	s_mov_b32 s3, exec_lo
	v_cmpx_gt_u32_e64 s4, v59
	s_cbranch_execz .LBB21_22
; %bb.30:                               ;   in Loop: Header=BB21_24 Depth=2
	s_mov_b32 s16, exec_lo
                                        ; implicit-def: $vgpr44
	v_cmpx_lt_u32_e32 0x7fff, v59
	s_xor_b32 s16, exec_lo, s16
	s_cbranch_execz .LBB21_32
; %bb.31:                               ;   in Loop: Header=BB21_24 Depth=2
	v_mov_b32_e32 v60, v47
	s_delay_alu instid0(VALU_DEP_1) | instskip(NEXT) | instid1(VALU_DEP_1)
	v_lshlrev_b64 v[41:42], 1, v[59:60]
	v_add_co_u32 v41, vcc_lo, s12, v41
	s_delay_alu instid0(VALU_DEP_2)
	v_add_co_ci_u32_e32 v42, vcc_lo, s13, v42, vcc_lo
	global_load_b128 v[41:44], v[41:42], off
.LBB21_32:                              ;   in Loop: Header=BB21_24 Depth=2
	s_and_not1_saveexec_b32 s16, s16
	s_cbranch_execz .LBB21_21
; %bb.33:                               ;   in Loop: Header=BB21_24 Depth=2
	s_waitcnt vmcnt(0)
	ds_load_b128 v[41:44], v69 offset:512
	s_branch .LBB21_21
.LBB21_34:                              ;   in Loop: Header=BB21_19 Depth=1
	v_cvt_i32_f32_e32 v5, v68
	s_waitcnt lgkmcnt(0)
	v_cvt_i32_f32_e32 v6, v67
	v_cvt_i32_f32_e32 v7, v66
	;; [unrolled: 1-line block ×3, first 2 shown]
	v_cvt_f32_i32_dpp v5, v5 row_shr:8 row_mask:0xf bank_mask:0xf bound_ctrl:1
	s_delay_alu instid0(VALU_DEP_4) | instskip(NEXT) | instid1(VALU_DEP_4)
	v_cvt_f32_i32_dpp v6, v6 row_shr:8 row_mask:0xf bank_mask:0xf bound_ctrl:1
	v_cvt_f32_i32_dpp v7, v7 row_shr:8 row_mask:0xf bank_mask:0xf bound_ctrl:1
	s_delay_alu instid0(VALU_DEP_4) | instskip(NEXT) | instid1(VALU_DEP_3)
	v_cvt_f32_i32_dpp v8, v8 row_shr:8 row_mask:0xf bank_mask:0xf bound_ctrl:1
	v_dual_add_f32 v5, v68, v5 :: v_dual_add_f32 v6, v67, v6
	s_delay_alu instid0(VALU_DEP_2) | instskip(NEXT) | instid1(VALU_DEP_2)
	v_dual_add_f32 v7, v66, v7 :: v_dual_add_f32 v8, v65, v8
	v_cvt_i32_f32_e32 v9, v5
	s_delay_alu instid0(VALU_DEP_3) | instskip(NEXT) | instid1(VALU_DEP_3)
	v_cvt_i32_f32_e32 v10, v6
	v_cvt_i32_f32_e32 v11, v7
	s_delay_alu instid0(VALU_DEP_4) | instskip(NEXT) | instid1(VALU_DEP_4)
	v_cvt_i32_f32_e32 v12, v8
	v_cvt_f32_i32_dpp v9, v9 row_shr:4 row_mask:0xf bank_mask:0xf bound_ctrl:1
	s_delay_alu instid0(VALU_DEP_4) | instskip(NEXT) | instid1(VALU_DEP_4)
	v_cvt_f32_i32_dpp v10, v10 row_shr:4 row_mask:0xf bank_mask:0xf bound_ctrl:1
	v_cvt_f32_i32_dpp v11, v11 row_shr:4 row_mask:0xf bank_mask:0xf bound_ctrl:1
	s_delay_alu instid0(VALU_DEP_4) | instskip(NEXT) | instid1(VALU_DEP_3)
	v_cvt_f32_i32_dpp v12, v12 row_shr:4 row_mask:0xf bank_mask:0xf bound_ctrl:1
	v_dual_add_f32 v5, v5, v9 :: v_dual_add_f32 v6, v6, v10
	s_delay_alu instid0(VALU_DEP_2) | instskip(NEXT) | instid1(VALU_DEP_2)
	v_dual_add_f32 v7, v7, v11 :: v_dual_add_f32 v8, v8, v12
	v_cvt_i32_f32_e32 v9, v5
	s_delay_alu instid0(VALU_DEP_3) | instskip(NEXT) | instid1(VALU_DEP_3)
	v_cvt_i32_f32_e32 v10, v6
	v_cvt_i32_f32_e32 v11, v7
	s_delay_alu instid0(VALU_DEP_4) | instskip(NEXT) | instid1(VALU_DEP_4)
	v_cvt_i32_f32_e32 v12, v8
	v_cvt_f32_i32_dpp v9, v9 row_shr:2 row_mask:0xf bank_mask:0xf bound_ctrl:1
	s_delay_alu instid0(VALU_DEP_4) | instskip(NEXT) | instid1(VALU_DEP_4)
	v_cvt_f32_i32_dpp v10, v10 row_shr:2 row_mask:0xf bank_mask:0xf bound_ctrl:1
	v_cvt_f32_i32_dpp v11, v11 row_shr:2 row_mask:0xf bank_mask:0xf bound_ctrl:1
	s_delay_alu instid0(VALU_DEP_4) | instskip(NEXT) | instid1(VALU_DEP_3)
	v_cvt_f32_i32_dpp v12, v12 row_shr:2 row_mask:0xf bank_mask:0xf bound_ctrl:1
	v_dual_add_f32 v5, v5, v9 :: v_dual_add_f32 v6, v6, v10
	s_delay_alu instid0(VALU_DEP_2) | instskip(SKIP_1) | instid1(VALU_DEP_3)
	v_dual_add_f32 v7, v7, v11 :: v_dual_add_f32 v8, v8, v12
	v_xor_b32_e32 v9, 16, v64
	v_cvt_i32_f32_e32 v10, v5
	s_delay_alu instid0(VALU_DEP_4) | instskip(NEXT) | instid1(VALU_DEP_4)
	v_cvt_i32_f32_e32 v11, v6
	v_cvt_i32_f32_e32 v12, v7
	s_waitcnt vmcnt(0)
	v_cvt_i32_f32_e32 v13, v8
	v_cmp_gt_i32_e32 vcc_lo, 32, v9
	v_cvt_f32_i32_dpp v10, v10 row_shr:1 row_mask:0xf bank_mask:0xf bound_ctrl:1
	v_cvt_f32_i32_dpp v14, v11 row_shr:1 row_mask:0xf bank_mask:0xf bound_ctrl:1
	;; [unrolled: 1-line block ×4, first 2 shown]
	v_cndmask_b32_e32 v9, v64, v9, vcc_lo
	v_add_f32_e32 v11, v5, v10
	s_delay_alu instid0(VALU_DEP_4) | instskip(NEXT) | instid1(VALU_DEP_4)
	v_add_f32_e32 v7, v7, v12
	v_add_f32_e32 v5, v8, v13
	s_delay_alu instid0(VALU_DEP_4)
	v_lshlrev_b32_e32 v15, 2, v9
	v_add_f32_e32 v9, v6, v14
	ds_bpermute_b32 v12, v15, v11
	ds_bpermute_b32 v10, v15, v9
	;; [unrolled: 1-line block ×4, first 2 shown]
	s_and_saveexec_b32 s1, s0
	s_cbranch_execz .LBB21_45
; %bb.35:                               ;   in Loop: Header=BB21_19 Depth=1
	v_dual_mov_b32 v13, 0 :: v_dual_mov_b32 v14, 0
	v_dual_mov_b32 v15, 0 :: v_dual_mov_b32 v16, 0
	s_and_not1_b32 vcc_lo, exec_lo, s21
	s_cbranch_vccnz .LBB21_37
; %bb.36:                               ;   in Loop: Header=BB21_19 Depth=1
	v_mul_hi_u32 v13, v45, v63
	v_mul_hi_u32 v14, v50, v63
	v_mul_hi_u32 v15, v49, v63
	v_mul_hi_u32 v16, v48, v63
	s_delay_alu instid0(VALU_DEP_4) | instskip(NEXT) | instid1(VALU_DEP_4)
	v_mul_lo_u32 v13, v13, s18
	v_mul_lo_u32 v14, v14, s18
	s_delay_alu instid0(VALU_DEP_4) | instskip(NEXT) | instid1(VALU_DEP_4)
	v_mul_lo_u32 v15, v15, s18
	v_mul_lo_u32 v16, v16, s18
	s_delay_alu instid0(VALU_DEP_4) | instskip(NEXT) | instid1(VALU_DEP_4)
	v_sub_nc_u32_e32 v13, v45, v13
	v_sub_nc_u32_e32 v14, v50, v14
	s_delay_alu instid0(VALU_DEP_4) | instskip(NEXT) | instid1(VALU_DEP_4)
	v_sub_nc_u32_e32 v15, v49, v15
	v_sub_nc_u32_e32 v16, v48, v16
	s_delay_alu instid0(VALU_DEP_4) | instskip(SKIP_1) | instid1(VALU_DEP_4)
	v_subrev_nc_u32_e32 v17, s18, v13
	v_cmp_le_u32_e32 vcc_lo, s18, v13
	v_subrev_nc_u32_e32 v18, s18, v15
	s_delay_alu instid0(VALU_DEP_4) | instskip(NEXT) | instid1(VALU_DEP_4)
	v_subrev_nc_u32_e32 v20, s18, v16
	v_cndmask_b32_e32 v13, v13, v17, vcc_lo
	v_subrev_nc_u32_e32 v17, s18, v14
	v_cmp_le_u32_e32 vcc_lo, s18, v14
	s_delay_alu instid0(VALU_DEP_3) | instskip(NEXT) | instid1(VALU_DEP_3)
	v_subrev_nc_u32_e32 v19, s18, v13
	v_cndmask_b32_e32 v17, v14, v17, vcc_lo
	v_cmp_le_u32_e32 vcc_lo, s18, v13
	s_delay_alu instid0(VALU_DEP_3) | instskip(SKIP_1) | instid1(VALU_DEP_2)
	v_cndmask_b32_e32 v46, v13, v19, vcc_lo
	v_cmp_le_u32_e32 vcc_lo, s18, v15
	v_lshlrev_b64 v[13:14], 1, v[46:47]
	v_cndmask_b32_e32 v18, v15, v18, vcc_lo
	v_cmp_le_u32_e32 vcc_lo, s18, v16
	v_subrev_nc_u32_e32 v15, s18, v17
	v_cndmask_b32_e32 v19, v16, v20, vcc_lo
	v_cmp_le_u32_e32 vcc_lo, s18, v17
	s_delay_alu instid0(VALU_DEP_3) | instskip(SKIP_3) | instid1(VALU_DEP_4)
	v_cndmask_b32_e32 v46, v17, v15, vcc_lo
	v_subrev_nc_u32_e32 v17, s18, v18
	v_cmp_le_u32_e32 vcc_lo, s18, v18
	v_subrev_nc_u32_e32 v20, s18, v19
	v_lshlrev_b64 v[15:16], 1, v[46:47]
	s_delay_alu instid0(VALU_DEP_4) | instskip(SKIP_3) | instid1(VALU_DEP_4)
	v_cndmask_b32_e32 v46, v18, v17, vcc_lo
	v_add_co_u32 v13, vcc_lo, s8, v13
	v_add_co_ci_u32_e32 v14, vcc_lo, s9, v14, vcc_lo
	v_cmp_le_u32_e32 vcc_lo, s18, v19
	v_lshlrev_b64 v[17:18], 1, v[46:47]
	v_cndmask_b32_e32 v46, v19, v20, vcc_lo
	v_add_co_u32 v19, vcc_lo, s8, v15
	v_add_co_ci_u32_e32 v20, vcc_lo, s9, v16, vcc_lo
	s_delay_alu instid0(VALU_DEP_3) | instskip(SKIP_2) | instid1(VALU_DEP_3)
	v_lshlrev_b64 v[15:16], 1, v[46:47]
	v_add_co_u32 v17, vcc_lo, s8, v17
	v_add_co_ci_u32_e32 v18, vcc_lo, s9, v18, vcc_lo
	v_add_co_u32 v21, vcc_lo, s8, v15
	s_delay_alu instid0(VALU_DEP_4)
	v_add_co_ci_u32_e32 v22, vcc_lo, s9, v16, vcc_lo
	s_clause 0x3
	global_load_u16 v16, v[13:14], off
	global_load_u16 v15, v[19:20], off
	;; [unrolled: 1-line block ×4, first 2 shown]
.LBB21_37:                              ;   in Loop: Header=BB21_19 Depth=1
	s_mov_b32 s2, exec_lo
	v_cmpx_ne_u32_e32 0, v1
	s_cbranch_execz .LBB21_39
; %bb.38:                               ;   in Loop: Header=BB21_19 Depth=1
	s_waitcnt lgkmcnt(3)
	v_add_f32_e32 v11, v11, v12
	s_waitcnt vmcnt(3)
	v_cvt_f32_f16_e32 v12, v16
	v_mov_b32_e32 v46, v47
	s_delay_alu instid0(VALU_DEP_2) | instskip(NEXT) | instid1(VALU_DEP_2)
	v_add_f32_e32 v16, v11, v12
	v_lshlrev_b64 v[11:12], 1, v[45:46]
	s_delay_alu instid0(VALU_DEP_2) | instskip(NEXT) | instid1(VALU_DEP_2)
	v_cvt_f16_f32_e32 v16, v16
	v_add_co_u32 v11, vcc_lo, s10, v11
	s_delay_alu instid0(VALU_DEP_3)
	v_add_co_ci_u32_e32 v12, vcc_lo, s11, v12, vcc_lo
	global_store_b16 v[11:12], v16, off
.LBB21_39:                              ;   in Loop: Header=BB21_19 Depth=1
	s_or_b32 exec_lo, exec_lo, s2
	s_delay_alu instid0(SALU_CYCLE_1)
	s_mov_b32 s2, exec_lo
	v_cmpx_ne_u32_e32 0, v2
	s_cbranch_execz .LBB21_41
; %bb.40:                               ;   in Loop: Header=BB21_19 Depth=1
	s_waitcnt lgkmcnt(2)
	v_add_f32_e32 v9, v9, v10
	s_waitcnt vmcnt(2)
	v_cvt_f32_f16_e32 v10, v15
	v_mov_b32_e32 v51, v47
	s_delay_alu instid0(VALU_DEP_2) | instskip(NEXT) | instid1(VALU_DEP_2)
	v_add_f32_e32 v11, v9, v10
	v_lshlrev_b64 v[9:10], 1, v[50:51]
	s_delay_alu instid0(VALU_DEP_2) | instskip(NEXT) | instid1(VALU_DEP_2)
	v_cvt_f16_f32_e32 v11, v11
	v_add_co_u32 v9, vcc_lo, s10, v9
	s_delay_alu instid0(VALU_DEP_3)
	v_add_co_ci_u32_e32 v10, vcc_lo, s11, v10, vcc_lo
	global_store_b16 v[9:10], v11, off
.LBB21_41:                              ;   in Loop: Header=BB21_19 Depth=1
	s_or_b32 exec_lo, exec_lo, s2
	s_delay_alu instid0(SALU_CYCLE_1)
	s_mov_b32 s2, exec_lo
	v_cmpx_ne_u32_e32 0, v3
	s_cbranch_execz .LBB21_43
; %bb.42:                               ;   in Loop: Header=BB21_19 Depth=1
	s_waitcnt lgkmcnt(1)
	v_add_f32_e32 v7, v7, v8
	s_waitcnt vmcnt(1)
	v_cvt_f32_f16_e32 v8, v14
	v_mov_b32_e32 v50, v47
	s_delay_alu instid0(VALU_DEP_2) | instskip(NEXT) | instid1(VALU_DEP_2)
	v_add_f32_e32 v9, v7, v8
	v_lshlrev_b64 v[7:8], 1, v[49:50]
	s_delay_alu instid0(VALU_DEP_2) | instskip(NEXT) | instid1(VALU_DEP_2)
	v_cvt_f16_f32_e32 v9, v9
	v_add_co_u32 v7, vcc_lo, s10, v7
	s_delay_alu instid0(VALU_DEP_3)
	v_add_co_ci_u32_e32 v8, vcc_lo, s11, v8, vcc_lo
	global_store_b16 v[7:8], v9, off
.LBB21_43:                              ;   in Loop: Header=BB21_19 Depth=1
	s_or_b32 exec_lo, exec_lo, s2
	v_cmp_ne_u32_e32 vcc_lo, 0, v4
	s_and_b32 exec_lo, exec_lo, vcc_lo
	s_cbranch_execz .LBB21_45
; %bb.44:                               ;   in Loop: Header=BB21_19 Depth=1
	s_waitcnt lgkmcnt(0)
	v_add_f32_e32 v5, v5, v6
	s_waitcnt vmcnt(0)
	v_cvt_f32_f16_e32 v6, v13
	v_mov_b32_e32 v49, v47
	s_delay_alu instid0(VALU_DEP_2) | instskip(NEXT) | instid1(VALU_DEP_2)
	v_add_f32_e32 v7, v5, v6
	v_lshlrev_b64 v[5:6], 1, v[48:49]
	s_delay_alu instid0(VALU_DEP_2) | instskip(NEXT) | instid1(VALU_DEP_2)
	v_cvt_f16_f32_e32 v7, v7
	v_add_co_u32 v5, vcc_lo, s10, v5
	s_delay_alu instid0(VALU_DEP_3)
	v_add_co_ci_u32_e32 v6, vcc_lo, s11, v6, vcc_lo
	global_store_b16 v[5:6], v7, off
.LBB21_45:                              ;   in Loop: Header=BB21_19 Depth=1
	s_or_b32 exec_lo, exec_lo, s1
	v_add_nc_u32_e32 v45, s23, v45
	s_delay_alu instid0(VALU_DEP_1) | instskip(SKIP_1) | instid1(VALU_DEP_2)
	v_add_nc_u32_e32 v5, 4, v45
	v_cmp_gt_u32_e32 vcc_lo, s7, v45
	v_cmp_le_u32_e64 s1, s7, v5
	s_delay_alu instid0(VALU_DEP_1) | instskip(NEXT) | instid1(SALU_CYCLE_1)
	s_and_b32 s1, vcc_lo, s1
	s_and_saveexec_b32 s25, s1
	s_cbranch_execz .LBB21_18
; %bb.46:                               ;   in Loop: Header=BB21_19 Depth=1
	s_mov_b32 s26, exec_lo
	v_cmpx_ne_u32_e64 s24, v45
	s_cbranch_execz .LBB21_17
; %bb.47:                               ;   in Loop: Header=BB21_19 Depth=1
	v_subrev_nc_u32_e32 v5, s24, v45
	s_mov_b32 s27, 0
	s_mov_b64 s[16:17], 0
	s_delay_alu instid0(VALU_DEP_1)
	v_cmp_lt_u32_e32 vcc_lo, 1, v5
	v_cndmask_b32_e32 v5, 1, v5, vcc_lo
	.p2align	6
.LBB21_48:                              ;   Parent Loop BB21_19 Depth=1
                                        ; =>  This Inner Loop Header: Depth=2
	s_cmp_lg_u32 s16, 3
	s_cselect_b32 vcc_lo, -1, 0
	s_cmp_lg_u32 s16, 2
	v_cndmask_b32_e32 v4, 0, v4, vcc_lo
	s_cselect_b32 s1, -1, 0
	s_cmp_lg_u32 s16, 1
	v_cndmask_b32_e64 v3, 0, v3, s1
	s_cselect_b32 s2, -1, 0
	s_cmp_lg_u32 s16, 0
	v_cndmask_b32_e64 v2, 0, v2, s2
	s_cselect_b32 s3, -1, 0
	s_add_u32 s16, s16, 1
	v_cndmask_b32_e64 v1, 0, v1, s3
	v_cmp_eq_u32_e32 vcc_lo, s16, v5
	s_addc_u32 s17, s17, 0
	s_or_b32 s27, vcc_lo, s27
	s_delay_alu instid0(SALU_CYCLE_1)
	s_and_not1_b32 exec_lo, exec_lo, s27
	s_cbranch_execnz .LBB21_48
; %bb.49:                               ;   in Loop: Header=BB21_19 Depth=1
	s_or_b32 exec_lo, exec_lo, s27
	s_branch .LBB21_17
.LBB21_50:
	s_nop 0
	s_sendmsg sendmsg(MSG_DEALLOC_VGPRS)
	s_endpgm
	.section	.rodata,"a",@progbits
	.p2align	6, 0x0
	.amdhsa_kernel _Z12wvSplitK_hf_I6__halfLi32ELi4ELi16ELi8ELi2ELi1EEviiiiiiPKT_S3_S3_PS1_ii
		.amdhsa_group_segment_fixed_size 65536
		.amdhsa_private_segment_fixed_size 0
		.amdhsa_kernarg_size 64
		.amdhsa_user_sgpr_count 15
		.amdhsa_user_sgpr_dispatch_ptr 0
		.amdhsa_user_sgpr_queue_ptr 0
		.amdhsa_user_sgpr_kernarg_segment_ptr 1
		.amdhsa_user_sgpr_dispatch_id 0
		.amdhsa_user_sgpr_private_segment_size 0
		.amdhsa_wavefront_size32 1
		.amdhsa_uses_dynamic_stack 0
		.amdhsa_enable_private_segment 0
		.amdhsa_system_sgpr_workgroup_id_x 1
		.amdhsa_system_sgpr_workgroup_id_y 0
		.amdhsa_system_sgpr_workgroup_id_z 0
		.amdhsa_system_sgpr_workgroup_info 0
		.amdhsa_system_vgpr_workitem_id 1
		.amdhsa_next_free_vgpr 70
		.amdhsa_next_free_sgpr 28
		.amdhsa_reserve_vcc 1
		.amdhsa_float_round_mode_32 0
		.amdhsa_float_round_mode_16_64 0
		.amdhsa_float_denorm_mode_32 3
		.amdhsa_float_denorm_mode_16_64 3
		.amdhsa_dx10_clamp 1
		.amdhsa_ieee_mode 1
		.amdhsa_fp16_overflow 0
		.amdhsa_workgroup_processor_mode 1
		.amdhsa_memory_ordered 1
		.amdhsa_forward_progress 0
		.amdhsa_shared_vgpr_count 0
		.amdhsa_exception_fp_ieee_invalid_op 0
		.amdhsa_exception_fp_denorm_src 0
		.amdhsa_exception_fp_ieee_div_zero 0
		.amdhsa_exception_fp_ieee_overflow 0
		.amdhsa_exception_fp_ieee_underflow 0
		.amdhsa_exception_fp_ieee_inexact 0
		.amdhsa_exception_int_div_zero 0
	.end_amdhsa_kernel
	.section	.text._Z12wvSplitK_hf_I6__halfLi32ELi4ELi16ELi8ELi2ELi1EEviiiiiiPKT_S3_S3_PS1_ii,"axG",@progbits,_Z12wvSplitK_hf_I6__halfLi32ELi4ELi16ELi8ELi2ELi1EEviiiiiiPKT_S3_S3_PS1_ii,comdat
.Lfunc_end21:
	.size	_Z12wvSplitK_hf_I6__halfLi32ELi4ELi16ELi8ELi2ELi1EEviiiiiiPKT_S3_S3_PS1_ii, .Lfunc_end21-_Z12wvSplitK_hf_I6__halfLi32ELi4ELi16ELi8ELi2ELi1EEviiiiiiPKT_S3_S3_PS1_ii
                                        ; -- End function
	.section	.AMDGPU.csdata,"",@progbits
; Kernel info:
; codeLenInByte = 3696
; NumSgprs: 30
; NumVgprs: 70
; ScratchSize: 0
; MemoryBound: 0
; FloatMode: 240
; IeeeMode: 1
; LDSByteSize: 65536 bytes/workgroup (compile time only)
; SGPRBlocks: 3
; VGPRBlocks: 8
; NumSGPRsForWavesPerEU: 30
; NumVGPRsForWavesPerEU: 70
; Occupancy: 8
; WaveLimiterHint : 0
; COMPUTE_PGM_RSRC2:SCRATCH_EN: 0
; COMPUTE_PGM_RSRC2:USER_SGPR: 15
; COMPUTE_PGM_RSRC2:TRAP_HANDLER: 0
; COMPUTE_PGM_RSRC2:TGID_X_EN: 1
; COMPUTE_PGM_RSRC2:TGID_Y_EN: 0
; COMPUTE_PGM_RSRC2:TGID_Z_EN: 0
; COMPUTE_PGM_RSRC2:TIDIG_COMP_CNT: 1
	.section	.text._Z16wvSplitK_hf_big_I6__halfLi32ELi4ELi16ELi8ELi2ELi1EEviiiiiiPKT_S3_S3_PS1_ii,"axG",@progbits,_Z16wvSplitK_hf_big_I6__halfLi32ELi4ELi16ELi8ELi2ELi1EEviiiiiiPKT_S3_S3_PS1_ii,comdat
	.protected	_Z16wvSplitK_hf_big_I6__halfLi32ELi4ELi16ELi8ELi2ELi1EEviiiiiiPKT_S3_S3_PS1_ii ; -- Begin function _Z16wvSplitK_hf_big_I6__halfLi32ELi4ELi16ELi8ELi2ELi1EEviiiiiiPKT_S3_S3_PS1_ii
	.globl	_Z16wvSplitK_hf_big_I6__halfLi32ELi4ELi16ELi8ELi2ELi1EEviiiiiiPKT_S3_S3_PS1_ii
	.p2align	8
	.type	_Z16wvSplitK_hf_big_I6__halfLi32ELi4ELi16ELi8ELi2ELi1EEviiiiiiPKT_S3_S3_PS1_ii,@function
_Z16wvSplitK_hf_big_I6__halfLi32ELi4ELi16ELi8ELi2ELi1EEviiiiiiPKT_S3_S3_PS1_ii: ; @_Z16wvSplitK_hf_big_I6__halfLi32ELi4ELi16ELi8ELi2ELi1EEviiiiiiPKT_S3_S3_PS1_ii
; %bb.0:
	s_load_b64 s[12:13], s[0:1], 0x38
	v_bfe_u32 v5, v0, 10, 10
	s_mov_b32 s2, exec_lo
	s_waitcnt lgkmcnt(0)
	s_delay_alu instid0(VALU_DEP_1)
	v_cmpx_gt_u32_e64 s12, v5
	s_cbranch_execz .LBB22_48
; %bb.1:
	s_load_b128 s[16:19], s[0:1], 0x0
	s_mul_i32 s15, s15, s12
	s_mov_b32 s4, 1
	v_add_lshl_u32 v45, s15, v5, 2
	s_mov_b32 s5, s4
	s_mov_b32 s6, s4
	;; [unrolled: 1-line block ×3, first 2 shown]
	s_delay_alu instid0(VALU_DEP_1) | instskip(SKIP_2) | instid1(VALU_DEP_2)
	v_add_nc_u32_e32 v1, 4, v45
	s_waitcnt lgkmcnt(0)
	v_cmp_gt_u32_e32 vcc_lo, s19, v45
	v_cmp_le_u32_e64 s2, s19, v1
	v_dual_mov_b32 v1, s4 :: v_dual_mov_b32 v4, s7
	v_dual_mov_b32 v2, s5 :: v_dual_mov_b32 v3, s6
	s_delay_alu instid0(VALU_DEP_3) | instskip(NEXT) | instid1(SALU_CYCLE_1)
	s_and_b32 s2, vcc_lo, s2
	s_and_saveexec_b32 s8, s2
	s_cbranch_execz .LBB22_7
; %bb.2:
	v_dual_mov_b32 v1, s4 :: v_dual_mov_b32 v2, s5
	v_dual_mov_b32 v3, s6 :: v_dual_mov_b32 v4, s7
	s_add_i32 s9, s19, -4
	s_mov_b32 s10, exec_lo
	v_cmpx_ne_u32_e64 s9, v45
	s_cbranch_execz .LBB22_6
; %bb.3:
	v_subrev_nc_u32_e32 v1, s9, v45
	s_mov_b32 s11, 0
	s_mov_b64 s[2:3], 0
	s_mov_b32 s5, s4
	s_mov_b32 s6, s4
	v_cmp_lt_u32_e32 vcc_lo, 1, v1
	s_mov_b32 s7, s4
	v_cndmask_b32_e32 v6, 1, v1, vcc_lo
	.p2align	6
.LBB22_4:                               ; =>This Inner Loop Header: Depth=1
	s_cmp_lg_u32 s2, 3
	s_cselect_b32 s7, s7, 0
	s_cmp_lg_u32 s2, 2
	s_cselect_b32 s6, s6, 0
	;; [unrolled: 2-line block ×4, first 2 shown]
	s_add_u32 s2, s2, 1
	v_dual_mov_b32 v1, s4 :: v_dual_mov_b32 v2, s5
	v_cmp_eq_u32_e32 vcc_lo, s2, v6
	v_dual_mov_b32 v3, s6 :: v_dual_mov_b32 v4, s7
	s_addc_u32 s3, s3, 0
	s_or_b32 s11, vcc_lo, s11
	s_delay_alu instid0(SALU_CYCLE_1)
	s_and_not1_b32 exec_lo, exec_lo, s11
	s_cbranch_execnz .LBB22_4
; %bb.5:
	s_or_b32 exec_lo, exec_lo, s11
	v_mov_b32_e32 v45, s9
.LBB22_6:
	s_or_b32 exec_lo, exec_lo, s10
.LBB22_7:
	s_delay_alu instid0(SALU_CYCLE_1)
	s_or_b32 exec_lo, exec_lo, s8
	s_lshl_b32 s2, s12, 2
	s_abs_i32 s6, s19
	s_abs_i32 s3, s2
	s_mov_b32 s15, 0
	v_cvt_f32_u32_e32 v6, s3
	s_sub_i32 s5, 0, s3
	s_delay_alu instid0(VALU_DEP_1) | instskip(SKIP_2) | instid1(VALU_DEP_1)
	v_rcp_iflag_f32_e32 v6, v6
	s_waitcnt_depctr 0xfff
	v_mul_f32_e32 v6, 0x4f7ffffe, v6
	v_cvt_u32_f32_e32 v6, v6
	s_delay_alu instid0(VALU_DEP_1) | instskip(NEXT) | instid1(VALU_DEP_1)
	v_readfirstlane_b32 s4, v6
	s_mul_i32 s5, s5, s4
	s_delay_alu instid0(SALU_CYCLE_1) | instskip(NEXT) | instid1(SALU_CYCLE_1)
	s_mul_hi_u32 s5, s4, s5
	s_add_i32 s4, s4, s5
	s_ashr_i32 s5, s19, 31
	s_mul_hi_u32 s4, s6, s4
	s_delay_alu instid0(SALU_CYCLE_1) | instskip(NEXT) | instid1(SALU_CYCLE_1)
	s_mul_i32 s4, s4, s3
	s_sub_i32 s4, s6, s4
	s_delay_alu instid0(SALU_CYCLE_1) | instskip(SKIP_2) | instid1(SALU_CYCLE_1)
	s_sub_i32 s6, s4, s3
	s_cmp_ge_u32 s4, s3
	s_cselect_b32 s4, s6, s4
	s_sub_i32 s6, s4, s3
	s_cmp_ge_u32 s4, s3
	s_cselect_b32 s3, s6, s4
	s_add_i32 s2, s2, s19
	s_xor_b32 s3, s3, s5
	s_delay_alu instid0(SALU_CYCLE_1) | instskip(NEXT) | instid1(SALU_CYCLE_1)
	s_sub_i32 s3, s3, s5
	s_sub_i32 s2, s2, s3
	s_cmp_eq_u32 s3, 0
	s_cselect_b32 s14, s19, s2
	s_delay_alu instid0(SALU_CYCLE_1)
	v_cmp_gt_u32_e32 vcc_lo, s14, v45
	s_and_b32 exec_lo, exec_lo, vcc_lo
	s_cbranch_execz .LBB22_48
; %bb.8:
	s_clause 0x1
	s_load_b32 s20, s[0:1], 0x10
	s_load_b256 s[4:11], s[0:1], 0x18
	s_min_u32 s21, s18, 0x8000
	s_cmp_lg_u32 s16, 0
	s_mul_i32 s0, s13, s12
	s_cselect_b32 s22, -1, 0
	s_cmp_lg_u32 s18, 0
	v_and_b32_e32 v8, 0x3ff, v0
	s_cselect_b32 s23, -1, 0
	s_lshl_b32 s24, s12, 8
	s_add_i32 s25, s16, -8
	s_add_i32 s26, s19, -1
	s_lshl_b32 s27, s0, 2
	v_lshlrev_b32_e32 v9, 4, v8
	v_lshlrev_b32_e32 v0, 3, v8
	v_mbcnt_lo_u32_b32 v59, -1, 0
	v_mov_b32_e32 v47, 0
	s_delay_alu instid0(VALU_DEP_4) | instskip(NEXT) | instid1(VALU_DEP_4)
	v_lshl_add_u32 v56, v5, 9, v9
	v_lshl_add_u32 v57, v5, 8, v0
	s_waitcnt lgkmcnt(0)
	v_cvt_f32_u32_e32 v6, s20
	s_cmp_lg_u64 s[8:9], 0
	s_cselect_b32 s28, -1, 0
	s_sub_i32 s0, 0, s20
	s_delay_alu instid0(VALU_DEP_1)
	v_rcp_iflag_f32_e32 v6, v6
	s_add_i32 s29, s19, -4
	s_add_u32 s30, s10, 2
	s_addc_u32 s31, s11, 0
	s_lshl_b32 s33, s12, 9
	s_waitcnt_depctr 0xfff
	v_mul_f32_e32 v6, 0x4f7ffffe, v6
	s_delay_alu instid0(VALU_DEP_1) | instskip(NEXT) | instid1(VALU_DEP_1)
	v_cvt_u32_f32_e32 v6, v6
	v_mul_lo_u32 v7, s0, v6
	v_cmp_eq_u32_e64 s0, 31, v8
	s_delay_alu instid0(VALU_DEP_2) | instskip(NEXT) | instid1(VALU_DEP_1)
	v_mul_hi_u32 v7, v6, v7
	v_add_nc_u32_e32 v58, v6, v7
	s_branch .LBB22_12
.LBB22_9:                               ;   in Loop: Header=BB22_12 Depth=1
	s_or_b32 exec_lo, exec_lo, s36
	v_mov_b32_e32 v45, s29
.LBB22_10:                              ;   in Loop: Header=BB22_12 Depth=1
	s_or_b32 exec_lo, exec_lo, s35
.LBB22_11:                              ;   in Loop: Header=BB22_12 Depth=1
	s_delay_alu instid0(SALU_CYCLE_1) | instskip(NEXT) | instid1(VALU_DEP_1)
	s_or_b32 exec_lo, exec_lo, s34
	v_cmp_le_u32_e32 vcc_lo, s14, v45
	s_or_b32 s15, vcc_lo, s15
	s_delay_alu instid0(SALU_CYCLE_1)
	s_and_not1_b32 exec_lo, exec_lo, s15
	s_cbranch_execz .LBB22_48
.LBB22_12:                              ; =>This Loop Header: Depth=1
                                        ;     Child Loop BB22_17 Depth 2
                                        ;       Child Loop BB22_22 Depth 3
                                        ;     Child Loop BB22_46 Depth 2
	v_mov_b32_e32 v63, v47
	v_mov_b32_e32 v62, v47
	;; [unrolled: 1-line block ×4, first 2 shown]
	s_and_not1_b32 vcc_lo, exec_lo, s22
	s_mov_b32 s3, 0
	s_cbranch_vccnz .LBB22_29
; %bb.13:                               ;   in Loop: Header=BB22_12 Depth=1
	v_dual_mov_b32 v61, 0 :: v_dual_add_nc_u32 v6, 2, v45
	v_add_nc_u32_e32 v5, 1, v45
	v_add_nc_u32_e32 v7, 3, v45
	v_min_u32_e32 v8, s26, v45
	s_delay_alu instid0(VALU_DEP_4)
	v_min_u32_e32 v6, s26, v6
	s_waitcnt lgkmcnt(1)
	v_dual_mov_b32 v10, v47 :: v_dual_mov_b32 v63, 0
	v_cmp_gt_u32_e64 s1, s19, v45
	v_mul_lo_u32 v46, v8, s17
	v_mov_b32_e32 v8, v47
	s_waitcnt lgkmcnt(0)
	v_min_u32_e32 v9, s26, v7
	v_mul_lo_u32 v7, v6, s17
	v_mov_b32_e32 v6, v47
	v_min_u32_e32 v5, s26, v5
	v_mov_b32_e32 v60, 0
	v_mul_lo_u32 v9, v9, s17
	v_lshlrev_b64 v[48:49], 1, v[46:47]
	v_mov_b32_e32 v62, 0
	v_mul_lo_u32 v5, v5, s17
	v_lshlrev_b64 v[52:53], 1, v[7:8]
	s_mov_b32 s12, 0
	v_lshlrev_b64 v[54:55], 1, v[9:10]
	s_delay_alu instid0(VALU_DEP_3)
	v_lshlrev_b64 v[50:51], 1, v[5:6]
	s_branch .LBB22_17
.LBB22_14:                              ;   in Loop: Header=BB22_17 Depth=2
	s_or_b32 exec_lo, exec_lo, s34
.LBB22_15:                              ;   in Loop: Header=BB22_17 Depth=2
	s_delay_alu instid0(SALU_CYCLE_1)
	s_or_b32 exec_lo, exec_lo, s13
	s_waitcnt vmcnt(7) lgkmcnt(0)
	;;#ASMSTART
	v_dot2_f32_f16 v63, v37, v41, v63
	;;#ASMEND
	s_waitcnt vmcnt(6)
	;;#ASMSTART
	v_dot2_f32_f16 v62, v37, v29, v62
	;;#ASMEND
	s_waitcnt vmcnt(5)
	;; [unrolled: 4-line block ×3, first 2 shown]
	;;#ASMSTART
	v_dot2_f32_f16 v60, v37, v25, v60
	;;#ASMEND
	;;#ASMSTART
	v_dot2_f32_f16 v63, v38, v42, v63
	;;#ASMEND
	;; [unrolled: 3-line block ×13, first 2 shown]
	s_waitcnt vmcnt(3)
	;;#ASMSTART
	v_dot2_f32_f16 v63, v9, v21, v63
	;;#ASMEND
	s_waitcnt vmcnt(2)
	;;#ASMSTART
	v_dot2_f32_f16 v62, v9, v17, v62
	;;#ASMEND
	;; [unrolled: 4-line block ×4, first 2 shown]
	;;#ASMSTART
	v_dot2_f32_f16 v63, v10, v22, v63
	;;#ASMEND
	;;#ASMSTART
	v_dot2_f32_f16 v62, v10, v18, v62
	;;#ASMEND
	;; [unrolled: 3-line block ×12, first 2 shown]
.LBB22_16:                              ;   in Loop: Header=BB22_17 Depth=2
	s_or_b32 exec_lo, exec_lo, s2
	s_addk_i32 s12, 0x200
	s_delay_alu instid0(SALU_CYCLE_1)
	s_cmp_ge_u32 s12, s16
	s_cbranch_scc1 .LBB22_29
.LBB22_17:                              ;   Parent Loop BB22_12 Depth=1
                                        ; =>  This Loop Header: Depth=2
                                        ;       Child Loop BB22_22 Depth 3
	s_cmp_eq_u32 s12, 0
	s_cselect_b32 s13, -1, 0
	s_add_i32 s2, s3, s21
	s_delay_alu instid0(SALU_CYCLE_1) | instskip(SKIP_1) | instid1(SALU_CYCLE_1)
	s_cmp_eq_u32 s12, s2
	s_cselect_b32 s34, -1, 0
	s_or_b32 s34, s13, s34
	s_delay_alu instid0(SALU_CYCLE_1)
	s_and_not1_b32 vcc_lo, exec_lo, s34
	s_cbranch_vccz .LBB22_19
; %bb.18:                               ;   in Loop: Header=BB22_17 Depth=2
	s_and_saveexec_b32 s2, s1
	s_cbranch_execz .LBB22_16
	s_branch .LBB22_26
.LBB22_19:                              ;   in Loop: Header=BB22_17 Depth=2
	s_and_b32 s13, s13, exec_lo
	s_cselect_b32 s3, s3, s2
	s_and_not1_b32 vcc_lo, exec_lo, s23
	s_waitcnt vmcnt(0)
	s_waitcnt_vscnt null, 0x0
	s_barrier
	buffer_gl0_inv
	s_cbranch_vccnz .LBB22_25
; %bb.20:                               ;   in Loop: Header=BB22_17 Depth=2
	v_dual_mov_b32 v6, v56 :: v_dual_add_nc_u32 v5, s3, v57
	s_mov_b32 s13, 0
	s_mov_b32 s34, 0
                                        ; implicit-def: $sgpr35
	s_set_inst_prefetch_distance 0x1
	s_branch .LBB22_22
	.p2align	6
.LBB22_21:                              ;   in Loop: Header=BB22_22 Depth=3
	s_or_b32 exec_lo, exec_lo, s2
	s_delay_alu instid0(SALU_CYCLE_1) | instskip(NEXT) | instid1(SALU_CYCLE_1)
	s_and_b32 s2, exec_lo, s35
	s_or_b32 s13, s2, s13
	s_delay_alu instid0(SALU_CYCLE_1)
	s_and_not1_b32 exec_lo, exec_lo, s13
	s_cbranch_execz .LBB22_24
.LBB22_22:                              ;   Parent Loop BB22_12 Depth=1
                                        ;     Parent Loop BB22_17 Depth=2
                                        ; =>    This Inner Loop Header: Depth=3
	v_add_nc_u32_e32 v46, s34, v5
	v_add_nc_u32_e32 v7, s34, v57
	s_or_b32 s35, s35, exec_lo
	s_delay_alu instid0(VALU_DEP_2) | instskip(NEXT) | instid1(VALU_DEP_2)
	v_cmp_gt_u32_e32 vcc_lo, s18, v46
	v_cmp_gt_u32_e64 s2, s21, v7
	s_delay_alu instid0(VALU_DEP_1) | instskip(NEXT) | instid1(SALU_CYCLE_1)
	s_and_b32 s36, s2, vcc_lo
	s_and_saveexec_b32 s2, s36
	s_cbranch_execz .LBB22_21
; %bb.23:                               ;   in Loop: Header=BB22_22 Depth=3
	v_lshlrev_b64 v[7:8], 1, v[46:47]
	s_add_i32 s34, s34, s24
	s_delay_alu instid0(SALU_CYCLE_1) | instskip(SKIP_1) | instid1(VALU_DEP_1)
	s_cmp_ge_u32 s34, s21
	s_cselect_b32 s36, -1, 0
	v_add_co_u32 v7, vcc_lo, s6, v7
	s_delay_alu instid0(VALU_DEP_2) | instskip(SKIP_2) | instid1(SALU_CYCLE_1)
	v_add_co_ci_u32_e32 v8, vcc_lo, s7, v8, vcc_lo
	s_and_not1_b32 s35, s35, exec_lo
	s_and_b32 s36, s36, exec_lo
	s_or_b32 s35, s35, s36
	global_load_b128 v[7:10], v[7:8], off
	s_waitcnt vmcnt(0)
	ds_store_b128 v6, v[7:10]
	v_add_nc_u32_e32 v6, s33, v6
	s_branch .LBB22_21
.LBB22_24:                              ;   in Loop: Header=BB22_17 Depth=2
	s_set_inst_prefetch_distance 0x2
	s_or_b32 exec_lo, exec_lo, s13
.LBB22_25:                              ;   in Loop: Header=BB22_17 Depth=2
	s_waitcnt lgkmcnt(0)
	s_barrier
	buffer_gl0_inv
	s_and_saveexec_b32 s2, s1
	s_cbranch_execz .LBB22_16
.LBB22_26:                              ;   in Loop: Header=BB22_17 Depth=2
	v_add_nc_u32_e32 v64, s12, v0
	v_dual_mov_b32 v40, 0 :: v_dual_mov_b32 v39, 0
	s_mov_b32 s13, exec_lo
	s_delay_alu instid0(VALU_DEP_2) | instskip(SKIP_1) | instid1(VALU_DEP_2)
	v_min_u32_e32 v46, s25, v64
	v_add_nc_u32_e32 v65, 0x100, v64
	v_lshlrev_b64 v[5:6], 1, v[46:47]
	s_delay_alu instid0(VALU_DEP_2) | instskip(NEXT) | instid1(VALU_DEP_2)
	v_min_u32_e32 v46, s25, v65
	v_add_co_u32 v13, vcc_lo, s4, v5
	s_delay_alu instid0(VALU_DEP_3) | instskip(NEXT) | instid1(VALU_DEP_3)
	v_add_co_ci_u32_e32 v14, vcc_lo, s5, v6, vcc_lo
	v_lshlrev_b64 v[5:6], 1, v[46:47]
	s_delay_alu instid0(VALU_DEP_3) | instskip(NEXT) | instid1(VALU_DEP_3)
	v_add_co_u32 v7, vcc_lo, v13, v48
	v_add_co_ci_u32_e32 v8, vcc_lo, v14, v49, vcc_lo
	v_add_co_u32 v9, vcc_lo, v13, v50
	v_add_co_ci_u32_e32 v10, vcc_lo, v14, v51, vcc_lo
	;; [unrolled: 2-line block ×3, first 2 shown]
	s_waitcnt vmcnt(0)
	v_add_co_u32 v15, vcc_lo, s4, v5
	v_add_co_ci_u32_e32 v16, vcc_lo, s5, v6, vcc_lo
	v_add_co_u32 v5, vcc_lo, v13, v54
	v_add_co_ci_u32_e32 v6, vcc_lo, v14, v55, vcc_lo
	s_clause 0x1
	global_load_b128 v[41:44], v[7:8], off slc dlc
	global_load_b128 v[29:32], v[9:10], off slc dlc
	v_add_co_u32 v7, vcc_lo, v15, v48
	v_add_co_ci_u32_e32 v8, vcc_lo, v16, v49, vcc_lo
	v_add_co_u32 v9, vcc_lo, v15, v50
	v_add_co_ci_u32_e32 v10, vcc_lo, v16, v51, vcc_lo
	;; [unrolled: 2-line block ×4, first 2 shown]
	s_clause 0x5
	global_load_b128 v[33:36], v[11:12], off slc dlc
	global_load_b128 v[25:28], v[5:6], off slc dlc
	;; [unrolled: 1-line block ×6, first 2 shown]
	v_dual_mov_b32 v10, 0 :: v_dual_mov_b32 v9, 0
	v_dual_mov_b32 v11, 0 :: v_dual_mov_b32 v12, 0
	;; [unrolled: 1-line block ×3, first 2 shown]
	v_cmpx_gt_u32_e64 s16, v64
	s_cbranch_execz .LBB22_15
; %bb.27:                               ;   in Loop: Header=BB22_17 Depth=2
	v_subrev_nc_u32_e32 v9, s3, v64
	v_mov_b32_e32 v12, 0
	v_mov_b32_e32 v10, 0
	s_mov_b32 s34, exec_lo
	s_delay_alu instid0(VALU_DEP_3)
	v_dual_mov_b32 v11, 0 :: v_dual_lshlrev_b32 v46, 1, v9
	v_mov_b32_e32 v9, 0
	ds_load_b128 v[37:40], v46
	v_cmpx_gt_u32_e64 s16, v65
	s_cbranch_execz .LBB22_14
; %bb.28:                               ;   in Loop: Header=BB22_17 Depth=2
	ds_load_b128 v[9:12], v46 offset:512
	s_branch .LBB22_14
.LBB22_29:                              ;   in Loop: Header=BB22_12 Depth=1
	s_mov_b32 s1, exec_lo
	v_cmpx_le_u32_e64 s19, v45
	s_xor_b32 s1, exec_lo, s1
; %bb.30:                               ;   in Loop: Header=BB22_12 Depth=1
	v_add_nc_u32_e32 v45, s27, v45
                                        ; implicit-def: $vgpr63
                                        ; implicit-def: $vgpr62
                                        ; implicit-def: $vgpr61
                                        ; implicit-def: $vgpr60
; %bb.31:                               ;   in Loop: Header=BB22_12 Depth=1
	s_and_not1_saveexec_b32 s34, s1
	s_cbranch_execz .LBB22_11
; %bb.32:                               ;   in Loop: Header=BB22_12 Depth=1
	v_cvt_i32_f32_e32 v5, v63
	v_cvt_i32_f32_e32 v6, v62
	;; [unrolled: 1-line block ×4, first 2 shown]
	s_delay_alu instid0(VALU_DEP_4) | instskip(NEXT) | instid1(VALU_DEP_4)
	v_cvt_f32_i32_dpp v5, v5 row_shr:8 row_mask:0xf bank_mask:0xf bound_ctrl:1
	v_cvt_f32_i32_dpp v6, v6 row_shr:8 row_mask:0xf bank_mask:0xf bound_ctrl:1
	s_delay_alu instid0(VALU_DEP_4) | instskip(NEXT) | instid1(VALU_DEP_4)
	v_cvt_f32_i32_dpp v7, v7 row_shr:8 row_mask:0xf bank_mask:0xf bound_ctrl:1
	v_cvt_f32_i32_dpp v8, v8 row_shr:8 row_mask:0xf bank_mask:0xf bound_ctrl:1
	s_delay_alu instid0(VALU_DEP_3) | instskip(NEXT) | instid1(VALU_DEP_2)
	v_dual_add_f32 v5, v63, v5 :: v_dual_add_f32 v6, v62, v6
	v_dual_add_f32 v7, v61, v7 :: v_dual_add_f32 v8, v60, v8
	s_waitcnt lgkmcnt(0)
	s_delay_alu instid0(VALU_DEP_2) | instskip(NEXT) | instid1(VALU_DEP_3)
	v_cvt_i32_f32_e32 v9, v5
	v_cvt_i32_f32_e32 v10, v6
	s_delay_alu instid0(VALU_DEP_3) | instskip(SKIP_1) | instid1(VALU_DEP_4)
	v_cvt_i32_f32_e32 v11, v7
	v_cvt_i32_f32_e32 v12, v8
	v_cvt_f32_i32_dpp v9, v9 row_shr:4 row_mask:0xf bank_mask:0xf bound_ctrl:1
	s_delay_alu instid0(VALU_DEP_4) | instskip(NEXT) | instid1(VALU_DEP_4)
	v_cvt_f32_i32_dpp v10, v10 row_shr:4 row_mask:0xf bank_mask:0xf bound_ctrl:1
	v_cvt_f32_i32_dpp v11, v11 row_shr:4 row_mask:0xf bank_mask:0xf bound_ctrl:1
	s_delay_alu instid0(VALU_DEP_4) | instskip(NEXT) | instid1(VALU_DEP_3)
	v_cvt_f32_i32_dpp v12, v12 row_shr:4 row_mask:0xf bank_mask:0xf bound_ctrl:1
	v_dual_add_f32 v5, v5, v9 :: v_dual_add_f32 v6, v6, v10
	s_delay_alu instid0(VALU_DEP_2) | instskip(NEXT) | instid1(VALU_DEP_2)
	v_dual_add_f32 v7, v7, v11 :: v_dual_add_f32 v8, v8, v12
	v_cvt_i32_f32_e32 v9, v5
	s_delay_alu instid0(VALU_DEP_3) | instskip(NEXT) | instid1(VALU_DEP_3)
	v_cvt_i32_f32_e32 v10, v6
	v_cvt_i32_f32_e32 v11, v7
	s_delay_alu instid0(VALU_DEP_4) | instskip(NEXT) | instid1(VALU_DEP_4)
	v_cvt_i32_f32_e32 v12, v8
	v_cvt_f32_i32_dpp v9, v9 row_shr:2 row_mask:0xf bank_mask:0xf bound_ctrl:1
	s_delay_alu instid0(VALU_DEP_4) | instskip(NEXT) | instid1(VALU_DEP_4)
	v_cvt_f32_i32_dpp v10, v10 row_shr:2 row_mask:0xf bank_mask:0xf bound_ctrl:1
	v_cvt_f32_i32_dpp v11, v11 row_shr:2 row_mask:0xf bank_mask:0xf bound_ctrl:1
	s_delay_alu instid0(VALU_DEP_4) | instskip(NEXT) | instid1(VALU_DEP_3)
	v_cvt_f32_i32_dpp v12, v12 row_shr:2 row_mask:0xf bank_mask:0xf bound_ctrl:1
	v_dual_add_f32 v5, v5, v9 :: v_dual_add_f32 v6, v6, v10
	s_delay_alu instid0(VALU_DEP_2) | instskip(SKIP_1) | instid1(VALU_DEP_3)
	v_dual_add_f32 v7, v7, v11 :: v_dual_add_f32 v8, v8, v12
	v_xor_b32_e32 v9, 16, v59
	v_cvt_i32_f32_e32 v10, v5
	s_delay_alu instid0(VALU_DEP_4) | instskip(NEXT) | instid1(VALU_DEP_4)
	v_cvt_i32_f32_e32 v11, v6
	v_cvt_i32_f32_e32 v12, v7
	;; [unrolled: 1-line block ×3, first 2 shown]
	v_cmp_gt_i32_e32 vcc_lo, 32, v9
	v_cvt_f32_i32_dpp v10, v10 row_shr:1 row_mask:0xf bank_mask:0xf bound_ctrl:1
	v_cvt_f32_i32_dpp v11, v11 row_shr:1 row_mask:0xf bank_mask:0xf bound_ctrl:1
	;; [unrolled: 1-line block ×4, first 2 shown]
	v_cndmask_b32_e32 v9, v59, v9, vcc_lo
	v_add_f32_e32 v13, v5, v10
	v_add_f32_e32 v11, v6, v11
	s_delay_alu instid0(VALU_DEP_4) | instskip(NEXT) | instid1(VALU_DEP_4)
	v_dual_add_f32 v7, v7, v12 :: v_dual_add_f32 v8, v8, v14
	v_lshlrev_b32_e32 v9, 2, v9
	ds_bpermute_b32 v14, v9, v13
	ds_bpermute_b32 v12, v9, v11
	;; [unrolled: 1-line block ×4, first 2 shown]
	s_and_saveexec_b32 s1, s0
	s_cbranch_execz .LBB22_43
; %bb.33:                               ;   in Loop: Header=BB22_12 Depth=1
	s_waitcnt vmcnt(0)
	v_dual_mov_b32 v15, 0 :: v_dual_add_nc_u32 v6, 2, v45
	v_dual_mov_b32 v16, 0 :: v_dual_add_nc_u32 v5, 3, v45
	v_dual_mov_b32 v17, 0 :: v_dual_mov_b32 v18, 0
	s_and_not1_b32 vcc_lo, exec_lo, s28
	s_cbranch_vccnz .LBB22_35
; %bb.34:                               ;   in Loop: Header=BB22_12 Depth=1
	v_mul_hi_u32 v15, v45, v58
	v_mul_hi_u32 v19, v5, v58
	;; [unrolled: 1-line block ×3, first 2 shown]
	s_delay_alu instid0(VALU_DEP_3) | instskip(NEXT) | instid1(VALU_DEP_3)
	v_mul_lo_u32 v15, v15, s20
	v_mul_lo_u32 v19, v19, s20
	s_delay_alu instid0(VALU_DEP_3) | instskip(NEXT) | instid1(VALU_DEP_3)
	v_mul_lo_u32 v17, v17, s20
	v_sub_nc_u32_e32 v15, v45, v15
	s_delay_alu instid0(VALU_DEP_2) | instskip(NEXT) | instid1(VALU_DEP_2)
	v_sub_nc_u32_e32 v17, v6, v17
	v_subrev_nc_u32_e32 v20, s20, v15
	v_cmp_le_u32_e32 vcc_lo, s20, v15
	s_delay_alu instid0(VALU_DEP_2) | instskip(NEXT) | instid1(VALU_DEP_1)
	v_dual_cndmask_b32 v15, v15, v20 :: v_dual_add_nc_u32 v16, 1, v45
	v_mul_hi_u32 v18, v16, v58
	v_subrev_nc_u32_e32 v20, s20, v17
	s_delay_alu instid0(VALU_DEP_3) | instskip(NEXT) | instid1(VALU_DEP_3)
	v_subrev_nc_u32_e32 v21, s20, v15
	v_mul_lo_u32 v18, v18, s20
	s_delay_alu instid0(VALU_DEP_1) | instskip(SKIP_1) | instid1(VALU_DEP_2)
	v_sub_nc_u32_e32 v16, v16, v18
	v_sub_nc_u32_e32 v18, v5, v19
	v_subrev_nc_u32_e32 v19, s20, v16
	v_cmp_le_u32_e32 vcc_lo, s20, v16
	s_delay_alu instid0(VALU_DEP_3) | instskip(NEXT) | instid1(VALU_DEP_3)
	v_subrev_nc_u32_e32 v22, s20, v18
	v_cndmask_b32_e32 v19, v16, v19, vcc_lo
	v_cmp_le_u32_e32 vcc_lo, s20, v15
	v_cndmask_b32_e32 v46, v15, v21, vcc_lo
	v_cmp_le_u32_e32 vcc_lo, s20, v17
	s_delay_alu instid0(VALU_DEP_2)
	v_lshlrev_b64 v[15:16], 1, v[46:47]
	v_cndmask_b32_e32 v20, v17, v20, vcc_lo
	v_cmp_le_u32_e32 vcc_lo, s20, v18
	v_subrev_nc_u32_e32 v17, s20, v19
	v_cndmask_b32_e32 v21, v18, v22, vcc_lo
	v_cmp_le_u32_e32 vcc_lo, s20, v19
	s_delay_alu instid0(VALU_DEP_2) | instskip(NEXT) | instid1(VALU_DEP_4)
	v_subrev_nc_u32_e32 v22, s20, v21
	v_cndmask_b32_e32 v46, v19, v17, vcc_lo
	v_subrev_nc_u32_e32 v19, s20, v20
	v_cmp_le_u32_e32 vcc_lo, s20, v20
	s_delay_alu instid0(VALU_DEP_3) | instskip(NEXT) | instid1(VALU_DEP_3)
	v_lshlrev_b64 v[17:18], 1, v[46:47]
	v_cndmask_b32_e32 v46, v20, v19, vcc_lo
	v_add_co_u32 v15, vcc_lo, s8, v15
	v_add_co_ci_u32_e32 v16, vcc_lo, s9, v16, vcc_lo
	v_cmp_le_u32_e32 vcc_lo, s20, v21
	s_delay_alu instid0(VALU_DEP_4) | instskip(SKIP_3) | instid1(VALU_DEP_3)
	v_lshlrev_b64 v[19:20], 1, v[46:47]
	v_cndmask_b32_e32 v46, v21, v22, vcc_lo
	v_add_co_u32 v21, vcc_lo, s8, v17
	v_add_co_ci_u32_e32 v22, vcc_lo, s9, v18, vcc_lo
	v_lshlrev_b64 v[17:18], 1, v[46:47]
	v_add_co_u32 v19, vcc_lo, s8, v19
	v_add_co_ci_u32_e32 v20, vcc_lo, s9, v20, vcc_lo
	s_delay_alu instid0(VALU_DEP_3) | instskip(NEXT) | instid1(VALU_DEP_4)
	v_add_co_u32 v23, vcc_lo, s8, v17
	v_add_co_ci_u32_e32 v24, vcc_lo, s9, v18, vcc_lo
	s_clause 0x3
	global_load_u16 v18, v[15:16], off
	global_load_u16 v17, v[21:22], off
	;; [unrolled: 1-line block ×4, first 2 shown]
.LBB22_35:                              ;   in Loop: Header=BB22_12 Depth=1
	s_mov_b32 s2, exec_lo
	v_cmpx_ne_u32_e32 0, v1
	s_cbranch_execz .LBB22_37
; %bb.36:                               ;   in Loop: Header=BB22_12 Depth=1
	s_waitcnt lgkmcnt(3)
	v_dual_add_f32 v13, v13, v14 :: v_dual_mov_b32 v46, v47
	s_waitcnt vmcnt(3)
	v_cvt_f32_f16_e32 v14, v18
	s_delay_alu instid0(VALU_DEP_1) | instskip(NEXT) | instid1(VALU_DEP_3)
	v_add_f32_e32 v18, v13, v14
	v_lshlrev_b64 v[13:14], 1, v[45:46]
	s_delay_alu instid0(VALU_DEP_2) | instskip(NEXT) | instid1(VALU_DEP_2)
	v_cvt_f16_f32_e32 v18, v18
	v_add_co_u32 v13, vcc_lo, s10, v13
	s_delay_alu instid0(VALU_DEP_3)
	v_add_co_ci_u32_e32 v14, vcc_lo, s11, v14, vcc_lo
	global_store_b16 v[13:14], v18, off
.LBB22_37:                              ;   in Loop: Header=BB22_12 Depth=1
	s_or_b32 exec_lo, exec_lo, s2
	s_delay_alu instid0(SALU_CYCLE_1)
	s_mov_b32 s2, exec_lo
	v_cmpx_ne_u32_e32 0, v2
	s_cbranch_execz .LBB22_39
; %bb.38:                               ;   in Loop: Header=BB22_12 Depth=1
	s_waitcnt lgkmcnt(2)
	v_add_f32_e32 v11, v11, v12
	s_waitcnt vmcnt(2)
	v_cvt_f32_f16_e32 v12, v17
	v_mov_b32_e32 v46, v47
	s_delay_alu instid0(VALU_DEP_2) | instskip(NEXT) | instid1(VALU_DEP_2)
	v_add_f32_e32 v13, v11, v12
	v_lshlrev_b64 v[11:12], 1, v[45:46]
	s_delay_alu instid0(VALU_DEP_2) | instskip(NEXT) | instid1(VALU_DEP_2)
	v_cvt_f16_f32_e32 v13, v13
	v_add_co_u32 v11, vcc_lo, s30, v11
	s_delay_alu instid0(VALU_DEP_3)
	v_add_co_ci_u32_e32 v12, vcc_lo, s31, v12, vcc_lo
	global_store_b16 v[11:12], v13, off
.LBB22_39:                              ;   in Loop: Header=BB22_12 Depth=1
	s_or_b32 exec_lo, exec_lo, s2
	s_delay_alu instid0(SALU_CYCLE_1)
	s_mov_b32 s2, exec_lo
	v_cmpx_ne_u32_e32 0, v3
	s_cbranch_execz .LBB22_41
; %bb.40:                               ;   in Loop: Header=BB22_12 Depth=1
	s_waitcnt lgkmcnt(1)
	v_add_f32_e32 v10, v7, v10
	s_waitcnt vmcnt(1)
	v_cvt_f32_f16_e32 v11, v16
	s_delay_alu instid0(VALU_DEP_1) | instskip(NEXT) | instid1(VALU_DEP_1)
	v_dual_mov_b32 v7, v47 :: v_dual_add_f32 v10, v10, v11
	v_lshlrev_b64 v[6:7], 1, v[6:7]
	s_delay_alu instid0(VALU_DEP_2) | instskip(NEXT) | instid1(VALU_DEP_2)
	v_cvt_f16_f32_e32 v10, v10
	v_add_co_u32 v6, vcc_lo, s10, v6
	s_delay_alu instid0(VALU_DEP_3)
	v_add_co_ci_u32_e32 v7, vcc_lo, s11, v7, vcc_lo
	global_store_b16 v[6:7], v10, off
.LBB22_41:                              ;   in Loop: Header=BB22_12 Depth=1
	s_or_b32 exec_lo, exec_lo, s2
	v_cmp_ne_u32_e32 vcc_lo, 0, v4
	s_and_b32 exec_lo, exec_lo, vcc_lo
	s_cbranch_execz .LBB22_43
; %bb.42:                               ;   in Loop: Header=BB22_12 Depth=1
	s_waitcnt lgkmcnt(0)
	v_dual_add_f32 v7, v8, v9 :: v_dual_mov_b32 v6, v47
	s_waitcnt vmcnt(0)
	v_cvt_f32_f16_e32 v8, v15
	s_delay_alu instid0(VALU_DEP_2) | instskip(NEXT) | instid1(VALU_DEP_2)
	v_lshlrev_b64 v[5:6], 1, v[5:6]
	v_add_f32_e32 v7, v7, v8
	s_delay_alu instid0(VALU_DEP_1) | instskip(NEXT) | instid1(VALU_DEP_3)
	v_cvt_f16_f32_e32 v7, v7
	v_add_co_u32 v5, vcc_lo, s10, v5
	s_delay_alu instid0(VALU_DEP_4)
	v_add_co_ci_u32_e32 v6, vcc_lo, s11, v6, vcc_lo
	global_store_b16 v[5:6], v7, off
.LBB22_43:                              ;   in Loop: Header=BB22_12 Depth=1
	s_or_b32 exec_lo, exec_lo, s1
	v_add_nc_u32_e32 v45, s27, v45
	s_delay_alu instid0(VALU_DEP_1) | instskip(SKIP_1) | instid1(VALU_DEP_2)
	v_add_nc_u32_e32 v5, 4, v45
	v_cmp_gt_u32_e32 vcc_lo, s19, v45
	v_cmp_le_u32_e64 s1, s19, v5
	s_delay_alu instid0(VALU_DEP_1) | instskip(NEXT) | instid1(SALU_CYCLE_1)
	s_and_b32 s1, vcc_lo, s1
	s_and_saveexec_b32 s35, s1
	s_cbranch_execz .LBB22_10
; %bb.44:                               ;   in Loop: Header=BB22_12 Depth=1
	s_mov_b32 s36, exec_lo
	v_cmpx_ne_u32_e64 s29, v45
	s_cbranch_execz .LBB22_9
; %bb.45:                               ;   in Loop: Header=BB22_12 Depth=1
	v_subrev_nc_u32_e32 v5, s29, v45
	s_mov_b32 s37, 0
	s_mov_b64 s[12:13], 0
	s_delay_alu instid0(VALU_DEP_1)
	v_cmp_lt_u32_e32 vcc_lo, 1, v5
	v_cndmask_b32_e32 v5, 1, v5, vcc_lo
	.p2align	6
.LBB22_46:                              ;   Parent Loop BB22_12 Depth=1
                                        ; =>  This Inner Loop Header: Depth=2
	s_cmp_lg_u32 s12, 3
	s_cselect_b32 vcc_lo, -1, 0
	s_cmp_lg_u32 s12, 2
	v_cndmask_b32_e32 v4, 0, v4, vcc_lo
	s_cselect_b32 s1, -1, 0
	s_cmp_lg_u32 s12, 1
	v_cndmask_b32_e64 v3, 0, v3, s1
	s_cselect_b32 s2, -1, 0
	s_cmp_lg_u32 s12, 0
	v_cndmask_b32_e64 v2, 0, v2, s2
	s_cselect_b32 s3, -1, 0
	s_add_u32 s12, s12, 1
	v_cndmask_b32_e64 v1, 0, v1, s3
	v_cmp_eq_u32_e32 vcc_lo, s12, v5
	s_addc_u32 s13, s13, 0
	s_or_b32 s37, vcc_lo, s37
	s_delay_alu instid0(SALU_CYCLE_1)
	s_and_not1_b32 exec_lo, exec_lo, s37
	s_cbranch_execnz .LBB22_46
; %bb.47:                               ;   in Loop: Header=BB22_12 Depth=1
	s_or_b32 exec_lo, exec_lo, s37
	s_branch .LBB22_9
.LBB22_48:
	s_nop 0
	s_sendmsg sendmsg(MSG_DEALLOC_VGPRS)
	s_endpgm
	.section	.rodata,"a",@progbits
	.p2align	6, 0x0
	.amdhsa_kernel _Z16wvSplitK_hf_big_I6__halfLi32ELi4ELi16ELi8ELi2ELi1EEviiiiiiPKT_S3_S3_PS1_ii
		.amdhsa_group_segment_fixed_size 65536
		.amdhsa_private_segment_fixed_size 0
		.amdhsa_kernarg_size 64
		.amdhsa_user_sgpr_count 15
		.amdhsa_user_sgpr_dispatch_ptr 0
		.amdhsa_user_sgpr_queue_ptr 0
		.amdhsa_user_sgpr_kernarg_segment_ptr 1
		.amdhsa_user_sgpr_dispatch_id 0
		.amdhsa_user_sgpr_private_segment_size 0
		.amdhsa_wavefront_size32 1
		.amdhsa_uses_dynamic_stack 0
		.amdhsa_enable_private_segment 0
		.amdhsa_system_sgpr_workgroup_id_x 1
		.amdhsa_system_sgpr_workgroup_id_y 0
		.amdhsa_system_sgpr_workgroup_id_z 0
		.amdhsa_system_sgpr_workgroup_info 0
		.amdhsa_system_vgpr_workitem_id 1
		.amdhsa_next_free_vgpr 66
		.amdhsa_next_free_sgpr 38
		.amdhsa_reserve_vcc 1
		.amdhsa_float_round_mode_32 0
		.amdhsa_float_round_mode_16_64 0
		.amdhsa_float_denorm_mode_32 3
		.amdhsa_float_denorm_mode_16_64 3
		.amdhsa_dx10_clamp 1
		.amdhsa_ieee_mode 1
		.amdhsa_fp16_overflow 0
		.amdhsa_workgroup_processor_mode 1
		.amdhsa_memory_ordered 1
		.amdhsa_forward_progress 0
		.amdhsa_shared_vgpr_count 0
		.amdhsa_exception_fp_ieee_invalid_op 0
		.amdhsa_exception_fp_denorm_src 0
		.amdhsa_exception_fp_ieee_div_zero 0
		.amdhsa_exception_fp_ieee_overflow 0
		.amdhsa_exception_fp_ieee_underflow 0
		.amdhsa_exception_fp_ieee_inexact 0
		.amdhsa_exception_int_div_zero 0
	.end_amdhsa_kernel
	.section	.text._Z16wvSplitK_hf_big_I6__halfLi32ELi4ELi16ELi8ELi2ELi1EEviiiiiiPKT_S3_S3_PS1_ii,"axG",@progbits,_Z16wvSplitK_hf_big_I6__halfLi32ELi4ELi16ELi8ELi2ELi1EEviiiiiiPKT_S3_S3_PS1_ii,comdat
.Lfunc_end22:
	.size	_Z16wvSplitK_hf_big_I6__halfLi32ELi4ELi16ELi8ELi2ELi1EEviiiiiiPKT_S3_S3_PS1_ii, .Lfunc_end22-_Z16wvSplitK_hf_big_I6__halfLi32ELi4ELi16ELi8ELi2ELi1EEviiiiiiPKT_S3_S3_PS1_ii
                                        ; -- End function
	.section	.AMDGPU.csdata,"",@progbits
; Kernel info:
; codeLenInByte = 3568
; NumSgprs: 40
; NumVgprs: 66
; ScratchSize: 0
; MemoryBound: 0
; FloatMode: 240
; IeeeMode: 1
; LDSByteSize: 65536 bytes/workgroup (compile time only)
; SGPRBlocks: 4
; VGPRBlocks: 8
; NumSGPRsForWavesPerEU: 40
; NumVGPRsForWavesPerEU: 66
; Occupancy: 8
; WaveLimiterHint : 0
; COMPUTE_PGM_RSRC2:SCRATCH_EN: 0
; COMPUTE_PGM_RSRC2:USER_SGPR: 15
; COMPUTE_PGM_RSRC2:TRAP_HANDLER: 0
; COMPUTE_PGM_RSRC2:TGID_X_EN: 1
; COMPUTE_PGM_RSRC2:TGID_Y_EN: 0
; COMPUTE_PGM_RSRC2:TGID_Z_EN: 0
; COMPUTE_PGM_RSRC2:TIDIG_COMP_CNT: 1
	.section	.text._Z16wvSplitK_hf_sml_I6__halfLi64ELi1ELi16ELi8ELi4ELi1EEviiiiiiPKT_S3_S3_PS1_ii,"axG",@progbits,_Z16wvSplitK_hf_sml_I6__halfLi64ELi1ELi16ELi8ELi4ELi1EEviiiiiiPKT_S3_S3_PS1_ii,comdat
	.protected	_Z16wvSplitK_hf_sml_I6__halfLi64ELi1ELi16ELi8ELi4ELi1EEviiiiiiPKT_S3_S3_PS1_ii ; -- Begin function _Z16wvSplitK_hf_sml_I6__halfLi64ELi1ELi16ELi8ELi4ELi1EEviiiiiiPKT_S3_S3_PS1_ii
	.globl	_Z16wvSplitK_hf_sml_I6__halfLi64ELi1ELi16ELi8ELi4ELi1EEviiiiiiPKT_S3_S3_PS1_ii
	.p2align	8
	.type	_Z16wvSplitK_hf_sml_I6__halfLi64ELi1ELi16ELi8ELi4ELi1EEviiiiiiPKT_S3_S3_PS1_ii,@function
_Z16wvSplitK_hf_sml_I6__halfLi64ELi1ELi16ELi8ELi4ELi1EEviiiiiiPKT_S3_S3_PS1_ii: ; @_Z16wvSplitK_hf_sml_I6__halfLi64ELi1ELi16ELi8ELi4ELi1EEviiiiiiPKT_S3_S3_PS1_ii
; %bb.0:
	s_clause 0x2
	s_load_b128 s[4:7], s[0:1], 0x0
	s_load_b32 s14, s[0:1], 0x10
	s_load_b64 s[8:9], s[0:1], 0x28
	v_and_b32_e32 v3, 0x3ff, v0
	v_bfe_u32 v0, v0, 10, 10
	s_delay_alu instid0(VALU_DEP_2) | instskip(NEXT) | instid1(VALU_DEP_1)
	v_lshlrev_b32_e32 v35, 3, v3
	v_lshl_add_u32 v4, v0, 9, v35
	s_waitcnt lgkmcnt(0)
	s_min_u32 s3, s6, 0x8000
	s_mov_b32 s6, exec_lo
	s_delay_alu instid0(VALU_DEP_1)
	v_cmpx_gt_u32_e64 s3, v4
	s_cbranch_execz .LBB23_3
; %bb.1:
	s_load_b64 s[10:11], s[0:1], 0x20
	v_lshlrev_b32_e32 v5, 10, v0
	v_lshlrev_b32_e32 v6, 4, v3
	s_delay_alu instid0(VALU_DEP_1) | instskip(NEXT) | instid1(VALU_DEP_1)
	v_add_co_u32 v1, s2, v5, v6
	v_add_co_ci_u32_e64 v2, null, 0, 0, s2
	v_add_nc_u32_e32 v5, v5, v6
	s_waitcnt lgkmcnt(0)
	s_delay_alu instid0(VALU_DEP_3) | instskip(NEXT) | instid1(VALU_DEP_3)
	v_add_co_u32 v1, vcc_lo, s10, v1
	v_add_co_ci_u32_e32 v2, vcc_lo, s11, v2, vcc_lo
	s_mov_b32 s10, 0
	.p2align	6
.LBB23_2:                               ; =>This Inner Loop Header: Depth=1
	global_load_b128 v[6:9], v[1:2], off
	v_add_nc_u32_e32 v4, 0x2000, v4
	v_add_co_u32 v1, vcc_lo, 0x4000, v1
	v_add_co_ci_u32_e32 v2, vcc_lo, 0, v2, vcc_lo
	s_delay_alu instid0(VALU_DEP_3) | instskip(NEXT) | instid1(VALU_DEP_1)
	v_cmp_le_u32_e64 s2, s3, v4
	s_or_b32 s10, s2, s10
	s_waitcnt vmcnt(0)
	ds_store_b128 v5, v[6:9]
	v_add_nc_u32_e32 v5, 0x4000, v5
	s_and_not1_b32 exec_lo, exec_lo, s10
	s_cbranch_execnz .LBB23_2
.LBB23_3:
	s_or_b32 exec_lo, exec_lo, s6
	s_load_b64 s[12:13], s[0:1], 0x38
	s_waitcnt lgkmcnt(0)
	s_barrier
	buffer_gl0_inv
	s_mov_b32 s2, exec_lo
	v_cmpx_gt_u32_e64 s12, v0
	s_cbranch_execz .LBB23_24
; %bb.4:
	v_mad_u64_u32 v[32:33], null, s15, s12, v[0:1]
	s_delay_alu instid0(VALU_DEP_1)
	v_cmp_gt_u32_e32 vcc_lo, s7, v32
	s_and_b32 exec_lo, exec_lo, vcc_lo
	s_cbranch_execz .LBB23_24
; %bb.5:
	v_cvt_f32_u32_e32 v0, s14
	s_cmp_lg_u32 s4, 0
	v_lshlrev_b32_e32 v36, 4, v3
	s_cselect_b32 s6, -1, 0
	s_add_i32 s15, s4, -8
	v_rcp_iflag_f32_e32 v0, v0
	s_add_i32 s16, s7, -1
	s_cmp_lg_u64 s[8:9], 0
	v_mbcnt_lo_u32_b32 v38, -1, 0
	s_cselect_b32 s17, -1, 0
	s_sub_i32 s2, 0, s14
	s_mul_i32 s12, s13, s12
	s_waitcnt_depctr 0xfff
	v_mul_f32_e32 v0, 0x4f7ffffe, v0
	s_delay_alu instid0(VALU_DEP_1) | instskip(NEXT) | instid1(VALU_DEP_1)
	v_cvt_u32_f32_e32 v0, v0
	v_mul_lo_u32 v1, s2, v0
	s_clause 0x1
	s_load_b64 s[2:3], s[0:1], 0x18
	s_load_b64 s[10:11], s[0:1], 0x30
	v_cmp_eq_u32_e64 s0, 63, v3
	s_mov_b32 s1, 0
	s_delay_alu instid0(VALU_DEP_2) | instskip(NEXT) | instid1(VALU_DEP_1)
	v_mul_hi_u32 v1, v0, v1
	v_dual_mov_b32 v34, 0 :: v_dual_add_nc_u32 v37, v0, v1
	s_branch .LBB23_8
.LBB23_6:                               ;   in Loop: Header=BB23_8 Depth=1
	s_waitcnt lgkmcnt(0)
	v_add_f32_e32 v0, v0, v1
	s_waitcnt vmcnt(0)
	v_cvt_f32_f16_e32 v1, v2
	s_delay_alu instid0(VALU_DEP_1) | instskip(SKIP_1) | instid1(VALU_DEP_2)
	v_add_f32_e32 v2, v0, v1
	v_lshlrev_b64 v[0:1], 1, v[32:33]
	v_cvt_f16_f32_e32 v2, v2
	s_delay_alu instid0(VALU_DEP_2) | instskip(NEXT) | instid1(VALU_DEP_3)
	v_add_co_u32 v0, vcc_lo, s10, v0
	v_add_co_ci_u32_e32 v1, vcc_lo, s11, v1, vcc_lo
	global_store_b16 v[0:1], v2, off
.LBB23_7:                               ;   in Loop: Header=BB23_8 Depth=1
	s_or_b32 exec_lo, exec_lo, s13
	v_add_nc_u32_e32 v32, s12, v32
	s_delay_alu instid0(VALU_DEP_1) | instskip(SKIP_1) | instid1(SALU_CYCLE_1)
	v_cmp_le_u32_e32 vcc_lo, s7, v32
	s_or_b32 s1, vcc_lo, s1
	s_and_not1_b32 exec_lo, exec_lo, s1
	s_cbranch_execz .LBB23_24
.LBB23_8:                               ; =>This Loop Header: Depth=1
                                        ;     Child Loop BB23_14 Depth 2
	s_delay_alu instid0(VALU_DEP_1)
	v_mov_b32_e32 v39, v34
	s_and_not1_b32 vcc_lo, exec_lo, s6
	s_cbranch_vccnz .LBB23_19
; %bb.9:                                ;   in Loop: Header=BB23_8 Depth=1
	v_min_u32_e32 v0, s16, v32
	v_dual_mov_b32 v39, 0 :: v_dual_mov_b32 v42, v36
	s_mov_b32 s13, 0
	s_delay_alu instid0(VALU_DEP_2) | instskip(SKIP_1) | instid1(VALU_DEP_1)
	v_mul_lo_u32 v33, v0, s5
	s_waitcnt lgkmcnt(0)
	v_lshlrev_b64 v[0:1], 1, v[33:34]
	s_waitcnt lgkmcnt(0)
	s_delay_alu instid0(VALU_DEP_1) | instskip(NEXT) | instid1(VALU_DEP_2)
	v_add_co_u32 v40, vcc_lo, s2, v0
	v_add_co_ci_u32_e32 v41, vcc_lo, s3, v1, vcc_lo
	s_branch .LBB23_14
.LBB23_10:                              ;   in Loop: Header=BB23_14 Depth=2
	s_or_b32 exec_lo, exec_lo, s21
.LBB23_11:                              ;   in Loop: Header=BB23_14 Depth=2
	s_delay_alu instid0(SALU_CYCLE_1)
	s_or_b32 exec_lo, exec_lo, s20
.LBB23_12:                              ;   in Loop: Header=BB23_14 Depth=2
	s_delay_alu instid0(SALU_CYCLE_1)
	s_or_b32 exec_lo, exec_lo, s19
.LBB23_13:                              ;   in Loop: Header=BB23_14 Depth=2
	s_delay_alu instid0(SALU_CYCLE_1)
	s_or_b32 exec_lo, exec_lo, s18
	s_waitcnt vmcnt(3) lgkmcnt(0)
	;;#ASMSTART
	v_dot2_f32_f16 v39, v28, v16, v39
	;;#ASMEND
	;;#ASMSTART
	v_dot2_f32_f16 v39, v29, v17, v39
	;;#ASMEND
	;;#ASMSTART
	v_dot2_f32_f16 v39, v30, v18, v39
	;;#ASMEND
	;;#ASMSTART
	v_dot2_f32_f16 v39, v31, v19, v39
	;;#ASMEND
	s_waitcnt vmcnt(2)
	;;#ASMSTART
	v_dot2_f32_f16 v39, v24, v12, v39
	;;#ASMEND
	;;#ASMSTART
	v_dot2_f32_f16 v39, v25, v13, v39
	;;#ASMEND
	;; [unrolled: 3-line block ×4, first 2 shown]
	s_waitcnt vmcnt(1)
	;;#ASMSTART
	v_dot2_f32_f16 v39, v20, v4, v39
	;;#ASMEND
	;;#ASMSTART
	v_dot2_f32_f16 v39, v21, v5, v39
	;;#ASMEND
	;; [unrolled: 3-line block ×3, first 2 shown]
	v_add_nc_u32_e32 v42, 0x1000, v42
	;;#ASMSTART
	v_dot2_f32_f16 v39, v23, v7, v39
	;;#ASMEND
	s_addk_i32 s13, 0x800
	s_waitcnt vmcnt(0)
	;;#ASMSTART
	v_dot2_f32_f16 v39, v8, v0, v39
	;;#ASMEND
	;;#ASMSTART
	v_dot2_f32_f16 v39, v9, v1, v39
	;;#ASMEND
	s_cmp_ge_u32 s13, s4
	;;#ASMSTART
	v_dot2_f32_f16 v39, v10, v2, v39
	;;#ASMEND
	;;#ASMSTART
	v_dot2_f32_f16 v39, v11, v3, v39
	;;#ASMEND
	s_cbranch_scc1 .LBB23_19
.LBB23_14:                              ;   Parent Loop BB23_8 Depth=1
                                        ; =>  This Inner Loop Header: Depth=2
	v_dual_mov_b32 v25, 0 :: v_dual_add_nc_u32 v10, s13, v35
	v_dual_mov_b32 v20, 0 :: v_dual_mov_b32 v21, 0
	v_dual_mov_b32 v22, 0 :: v_dual_mov_b32 v23, 0
	s_delay_alu instid0(VALU_DEP_3) | instskip(SKIP_2) | instid1(VALU_DEP_3)
	v_min_u32_e32 v33, s15, v10
	v_dual_mov_b32 v24, 0 :: v_dual_add_nc_u32 v45, 0x200, v10
	v_dual_mov_b32 v27, 0 :: v_dual_add_nc_u32 v44, 0x400, v10
	v_lshlrev_b64 v[0:1], 1, v[33:34]
	s_delay_alu instid0(VALU_DEP_3) | instskip(SKIP_2) | instid1(VALU_DEP_3)
	v_min_u32_e32 v33, s15, v45
	v_dual_mov_b32 v26, 0 :: v_dual_add_nc_u32 v43, 0x600, v10
	v_dual_mov_b32 v31, 0 :: v_dual_mov_b32 v30, 0
	v_lshlrev_b64 v[2:3], 1, v[33:34]
	v_min_u32_e32 v33, s15, v44
	v_add_co_u32 v0, vcc_lo, v40, v0
	v_add_co_ci_u32_e32 v1, vcc_lo, v41, v1, vcc_lo
	s_delay_alu instid0(VALU_DEP_3) | instskip(SKIP_3) | instid1(VALU_DEP_3)
	v_lshlrev_b64 v[4:5], 1, v[33:34]
	v_min_u32_e32 v33, s15, v43
	v_add_co_u32 v2, vcc_lo, v40, v2
	v_add_co_ci_u32_e32 v3, vcc_lo, v41, v3, vcc_lo
	v_lshlrev_b64 v[6:7], 1, v[33:34]
	v_add_co_u32 v4, vcc_lo, v40, v4
	v_add_co_ci_u32_e32 v5, vcc_lo, v41, v5, vcc_lo
	v_mov_b32_e32 v11, 0
	s_delay_alu instid0(VALU_DEP_4)
	v_add_co_u32 v8, vcc_lo, v40, v6
	v_add_co_ci_u32_e32 v9, vcc_lo, v41, v7, vcc_lo
	s_clause 0x3
	global_load_b128 v[16:19], v[0:1], off slc dlc
	global_load_b128 v[12:15], v[2:3], off slc dlc
	;; [unrolled: 1-line block ×4, first 2 shown]
	v_cmp_gt_u32_e32 vcc_lo, s4, v10
	v_dual_mov_b32 v8, 0 :: v_dual_mov_b32 v9, 0
	v_dual_mov_b32 v10, 0 :: v_dual_mov_b32 v29, 0
	v_mov_b32_e32 v28, 0
	s_and_saveexec_b32 s18, vcc_lo
	s_cbranch_execz .LBB23_13
; %bb.15:                               ;   in Loop: Header=BB23_14 Depth=2
	ds_load_b128 v[28:31], v42
	v_dual_mov_b32 v11, 0 :: v_dual_mov_b32 v10, 0
	v_dual_mov_b32 v9, 0 :: v_dual_mov_b32 v8, 0
	;; [unrolled: 1-line block ×6, first 2 shown]
	s_mov_b32 s19, exec_lo
	v_cmpx_gt_u32_e64 s4, v45
	s_cbranch_execz .LBB23_12
; %bb.16:                               ;   in Loop: Header=BB23_14 Depth=2
	ds_load_b128 v[24:27], v42 offset:1024
	v_dual_mov_b32 v11, 0 :: v_dual_mov_b32 v10, 0
	v_dual_mov_b32 v9, 0 :: v_dual_mov_b32 v8, 0
	;; [unrolled: 1-line block ×4, first 2 shown]
	s_mov_b32 s20, exec_lo
	v_cmpx_gt_u32_e64 s4, v44
	s_cbranch_execz .LBB23_11
; %bb.17:                               ;   in Loop: Header=BB23_14 Depth=2
	ds_load_b128 v[20:23], v42 offset:2048
	v_dual_mov_b32 v11, 0 :: v_dual_mov_b32 v10, 0
	v_dual_mov_b32 v9, 0 :: v_dual_mov_b32 v8, 0
	s_mov_b32 s21, exec_lo
	v_cmpx_gt_u32_e64 s4, v43
	s_cbranch_execz .LBB23_10
; %bb.18:                               ;   in Loop: Header=BB23_14 Depth=2
	ds_load_b128 v[8:11], v42 offset:3072
	s_branch .LBB23_10
.LBB23_19:                              ;   in Loop: Header=BB23_8 Depth=1
	; sched_barrier mask(0x00000000)
	s_delay_alu instid0(VALU_DEP_1) | instskip(SKIP_1) | instid1(VALU_DEP_2)
	v_cvt_i32_f32_e32 v0, v39
	v_xor_b32_e32 v2, 16, v38
	v_cvt_f32_i32_dpp v0, v0 row_shr:8 row_mask:0xf bank_mask:0xf bound_ctrl:1
	s_delay_alu instid0(VALU_DEP_2) | instskip(SKIP_1) | instid1(VALU_DEP_3)
	v_cmp_gt_i32_e32 vcc_lo, 32, v2
	v_cndmask_b32_e32 v2, v38, v2, vcc_lo
	v_add_f32_e32 v0, v39, v0
	s_waitcnt lgkmcnt(0)
	s_delay_alu instid0(VALU_DEP_1) | instskip(NEXT) | instid1(VALU_DEP_1)
	v_cvt_i32_f32_e32 v1, v0
	v_cvt_f32_i32_dpp v1, v1 row_shr:4 row_mask:0xf bank_mask:0xf bound_ctrl:1
	s_delay_alu instid0(VALU_DEP_1) | instskip(NEXT) | instid1(VALU_DEP_1)
	v_add_f32_e32 v0, v0, v1
	v_cvt_i32_f32_e32 v1, v0
	s_delay_alu instid0(VALU_DEP_1) | instskip(NEXT) | instid1(VALU_DEP_1)
	v_cvt_f32_i32_dpp v1, v1 row_shr:2 row_mask:0xf bank_mask:0xf bound_ctrl:1
	v_add_f32_e32 v0, v0, v1
	s_delay_alu instid0(VALU_DEP_1) | instskip(NEXT) | instid1(VALU_DEP_1)
	v_cvt_i32_f32_e32 v1, v0
	v_cvt_f32_i32_dpp v1, v1 row_shr:1 row_mask:0xf bank_mask:0xf bound_ctrl:1
	s_delay_alu instid0(VALU_DEP_1)
	v_dual_add_f32 v0, v0, v1 :: v_dual_lshlrev_b32 v1, 2, v2
	ds_bpermute_b32 v1, v1, v0
	s_and_saveexec_b32 s13, s0
	s_cbranch_execz .LBB23_7
; %bb.20:                               ;   in Loop: Header=BB23_8 Depth=1
	s_and_b32 vcc_lo, exec_lo, s17
	s_cbranch_vccz .LBB23_22
; %bb.21:                               ;   in Loop: Header=BB23_8 Depth=1
	v_mul_hi_u32 v2, v32, v37
	s_delay_alu instid0(VALU_DEP_1) | instskip(NEXT) | instid1(VALU_DEP_1)
	v_mul_lo_u32 v2, v2, s14
	v_sub_nc_u32_e32 v2, v32, v2
	s_delay_alu instid0(VALU_DEP_1) | instskip(SKIP_1) | instid1(VALU_DEP_2)
	v_subrev_nc_u32_e32 v3, s14, v2
	v_cmp_le_u32_e32 vcc_lo, s14, v2
	v_cndmask_b32_e32 v2, v2, v3, vcc_lo
	s_delay_alu instid0(VALU_DEP_1) | instskip(SKIP_1) | instid1(VALU_DEP_2)
	v_subrev_nc_u32_e32 v3, s14, v2
	v_cmp_le_u32_e32 vcc_lo, s14, v2
	v_cndmask_b32_e32 v33, v2, v3, vcc_lo
	s_delay_alu instid0(VALU_DEP_1) | instskip(SKIP_1) | instid1(VALU_DEP_2)
	v_lshlrev_b64 v[2:3], 1, v[33:34]
	v_mov_b32_e32 v33, v34
	v_add_co_u32 v2, vcc_lo, s8, v2
	s_delay_alu instid0(VALU_DEP_3)
	v_add_co_ci_u32_e32 v3, vcc_lo, s9, v3, vcc_lo
	global_load_u16 v2, v[2:3], off
	s_cbranch_execnz .LBB23_6
	s_branch .LBB23_23
.LBB23_22:                              ;   in Loop: Header=BB23_8 Depth=1
                                        ; implicit-def: $vgpr2
.LBB23_23:                              ;   in Loop: Header=BB23_8 Depth=1
	s_waitcnt vmcnt(0)
	v_dual_mov_b32 v33, v34 :: v_dual_mov_b32 v2, 0
	s_branch .LBB23_6
.LBB23_24:
	s_nop 0
	s_sendmsg sendmsg(MSG_DEALLOC_VGPRS)
	s_endpgm
	.section	.rodata,"a",@progbits
	.p2align	6, 0x0
	.amdhsa_kernel _Z16wvSplitK_hf_sml_I6__halfLi64ELi1ELi16ELi8ELi4ELi1EEviiiiiiPKT_S3_S3_PS1_ii
		.amdhsa_group_segment_fixed_size 65536
		.amdhsa_private_segment_fixed_size 0
		.amdhsa_kernarg_size 64
		.amdhsa_user_sgpr_count 15
		.amdhsa_user_sgpr_dispatch_ptr 0
		.amdhsa_user_sgpr_queue_ptr 0
		.amdhsa_user_sgpr_kernarg_segment_ptr 1
		.amdhsa_user_sgpr_dispatch_id 0
		.amdhsa_user_sgpr_private_segment_size 0
		.amdhsa_wavefront_size32 1
		.amdhsa_uses_dynamic_stack 0
		.amdhsa_enable_private_segment 0
		.amdhsa_system_sgpr_workgroup_id_x 1
		.amdhsa_system_sgpr_workgroup_id_y 0
		.amdhsa_system_sgpr_workgroup_id_z 0
		.amdhsa_system_sgpr_workgroup_info 0
		.amdhsa_system_vgpr_workitem_id 1
		.amdhsa_next_free_vgpr 46
		.amdhsa_next_free_sgpr 22
		.amdhsa_reserve_vcc 1
		.amdhsa_float_round_mode_32 0
		.amdhsa_float_round_mode_16_64 0
		.amdhsa_float_denorm_mode_32 3
		.amdhsa_float_denorm_mode_16_64 3
		.amdhsa_dx10_clamp 1
		.amdhsa_ieee_mode 1
		.amdhsa_fp16_overflow 0
		.amdhsa_workgroup_processor_mode 1
		.amdhsa_memory_ordered 1
		.amdhsa_forward_progress 0
		.amdhsa_shared_vgpr_count 0
		.amdhsa_exception_fp_ieee_invalid_op 0
		.amdhsa_exception_fp_denorm_src 0
		.amdhsa_exception_fp_ieee_div_zero 0
		.amdhsa_exception_fp_ieee_overflow 0
		.amdhsa_exception_fp_ieee_underflow 0
		.amdhsa_exception_fp_ieee_inexact 0
		.amdhsa_exception_int_div_zero 0
	.end_amdhsa_kernel
	.section	.text._Z16wvSplitK_hf_sml_I6__halfLi64ELi1ELi16ELi8ELi4ELi1EEviiiiiiPKT_S3_S3_PS1_ii,"axG",@progbits,_Z16wvSplitK_hf_sml_I6__halfLi64ELi1ELi16ELi8ELi4ELi1EEviiiiiiPKT_S3_S3_PS1_ii,comdat
.Lfunc_end23:
	.size	_Z16wvSplitK_hf_sml_I6__halfLi64ELi1ELi16ELi8ELi4ELi1EEviiiiiiPKT_S3_S3_PS1_ii, .Lfunc_end23-_Z16wvSplitK_hf_sml_I6__halfLi64ELi1ELi16ELi8ELi4ELi1EEviiiiiiPKT_S3_S3_PS1_ii
                                        ; -- End function
	.section	.AMDGPU.csdata,"",@progbits
; Kernel info:
; codeLenInByte = 1688
; NumSgprs: 24
; NumVgprs: 46
; ScratchSize: 0
; MemoryBound: 0
; FloatMode: 240
; IeeeMode: 1
; LDSByteSize: 65536 bytes/workgroup (compile time only)
; SGPRBlocks: 2
; VGPRBlocks: 5
; NumSGPRsForWavesPerEU: 24
; NumVGPRsForWavesPerEU: 46
; Occupancy: 16
; WaveLimiterHint : 0
; COMPUTE_PGM_RSRC2:SCRATCH_EN: 0
; COMPUTE_PGM_RSRC2:USER_SGPR: 15
; COMPUTE_PGM_RSRC2:TRAP_HANDLER: 0
; COMPUTE_PGM_RSRC2:TGID_X_EN: 1
; COMPUTE_PGM_RSRC2:TGID_Y_EN: 0
; COMPUTE_PGM_RSRC2:TGID_Z_EN: 0
; COMPUTE_PGM_RSRC2:TIDIG_COMP_CNT: 1
	.section	.text._Z12wvSplitK_hf_I6__halfLi64ELi1ELi16ELi8ELi4ELi1EEviiiiiiPKT_S3_S3_PS1_ii,"axG",@progbits,_Z12wvSplitK_hf_I6__halfLi64ELi1ELi16ELi8ELi4ELi1EEviiiiiiPKT_S3_S3_PS1_ii,comdat
	.protected	_Z12wvSplitK_hf_I6__halfLi64ELi1ELi16ELi8ELi4ELi1EEviiiiiiPKT_S3_S3_PS1_ii ; -- Begin function _Z12wvSplitK_hf_I6__halfLi64ELi1ELi16ELi8ELi4ELi1EEviiiiiiPKT_S3_S3_PS1_ii
	.globl	_Z12wvSplitK_hf_I6__halfLi64ELi1ELi16ELi8ELi4ELi1EEviiiiiiPKT_S3_S3_PS1_ii
	.p2align	8
	.type	_Z12wvSplitK_hf_I6__halfLi64ELi1ELi16ELi8ELi4ELi1EEviiiiiiPKT_S3_S3_PS1_ii,@function
_Z12wvSplitK_hf_I6__halfLi64ELi1ELi16ELi8ELi4ELi1EEviiiiiiPKT_S3_S3_PS1_ii: ; @_Z12wvSplitK_hf_I6__halfLi64ELi1ELi16ELi8ELi4ELi1EEviiiiiiPKT_S3_S3_PS1_ii
; %bb.0:
	s_clause 0x1
	s_load_b64 s[16:17], s[0:1], 0x38
	s_load_b128 s[4:7], s[0:1], 0x0
	v_bfe_u32 v1, v0, 10, 10
	s_clause 0x1
	s_load_b64 s[8:9], s[0:1], 0x20
	s_load_b32 s3, s[0:1], 0x10
	v_mov_b32_e32 v40, 1
	s_waitcnt lgkmcnt(0)
	v_mad_u64_u32 v[32:33], null, s15, s16, v[1:2]
	s_delay_alu instid0(VALU_DEP_1) | instskip(SKIP_1) | instid1(VALU_DEP_2)
	v_add_nc_u32_e32 v2, 1, v32
	v_cmp_gt_u32_e32 vcc_lo, s7, v32
	v_cmp_le_u32_e64 s2, s7, v2
	s_delay_alu instid0(VALU_DEP_1) | instskip(NEXT) | instid1(SALU_CYCLE_1)
	s_and_b32 s10, vcc_lo, s2
	s_and_saveexec_b32 s2, s10
; %bb.1:
	v_subrev_nc_u32_e32 v2, s7, v32
	s_add_i32 s10, s7, -1
	s_delay_alu instid0(SALU_CYCLE_1) | instskip(NEXT) | instid1(VALU_DEP_2)
	v_mov_b32_e32 v32, s10
	v_cmp_eq_u32_e32 vcc_lo, -1, v2
	v_cndmask_b32_e64 v40, 0, 1, vcc_lo
; %bb.2:
	s_or_b32 exec_lo, exec_lo, s2
	s_load_b64 s[10:11], s[0:1], 0x28
	v_and_b32_e32 v0, 0x3ff, v0
	s_min_u32 s6, s6, 0x8000
	s_mov_b32 s12, exec_lo
	s_delay_alu instid0(VALU_DEP_1) | instskip(NEXT) | instid1(VALU_DEP_1)
	v_lshlrev_b32_e32 v41, 3, v0
	v_lshl_add_u32 v4, v1, 9, v41
	s_delay_alu instid0(VALU_DEP_1)
	v_cmpx_gt_u32_e64 s6, v4
	s_cbranch_execz .LBB24_5
; %bb.3:
	v_lshlrev_b32_e32 v5, 10, v1
	v_lshlrev_b32_e32 v6, 4, v0
	s_mov_b32 s13, 0
	s_delay_alu instid0(VALU_DEP_1) | instskip(NEXT) | instid1(VALU_DEP_1)
	v_add_co_u32 v2, s2, v5, v6
	v_add_co_ci_u32_e64 v3, null, 0, 0, s2
	v_add_nc_u32_e32 v5, v5, v6
	s_delay_alu instid0(VALU_DEP_3) | instskip(NEXT) | instid1(VALU_DEP_3)
	v_add_co_u32 v2, vcc_lo, s8, v2
	v_add_co_ci_u32_e32 v3, vcc_lo, s9, v3, vcc_lo
	.p2align	6
.LBB24_4:                               ; =>This Inner Loop Header: Depth=1
	global_load_b128 v[6:9], v[2:3], off
	v_add_nc_u32_e32 v4, 0x2000, v4
	v_add_co_u32 v2, vcc_lo, 0x4000, v2
	v_add_co_ci_u32_e32 v3, vcc_lo, 0, v3, vcc_lo
	s_delay_alu instid0(VALU_DEP_3) | instskip(NEXT) | instid1(VALU_DEP_1)
	v_cmp_le_u32_e64 s2, s6, v4
	s_or_b32 s13, s2, s13
	s_waitcnt vmcnt(0)
	ds_store_b128 v5, v[6:9]
	v_add_nc_u32_e32 v5, 0x4000, v5
	s_and_not1_b32 exec_lo, exec_lo, s13
	s_cbranch_execnz .LBB24_4
.LBB24_5:
	s_or_b32 exec_lo, exec_lo, s12
	v_cmp_gt_u32_e32 vcc_lo, s16, v1
	v_cmp_gt_u32_e64 s2, s7, v32
	s_waitcnt lgkmcnt(0)
	s_barrier
	buffer_gl0_inv
	s_and_b32 s2, vcc_lo, s2
	s_delay_alu instid0(SALU_CYCLE_1)
	s_and_saveexec_b32 s6, s2
	s_cbranch_execz .LBB24_40
; %bb.6:
	v_cvt_f32_u32_e32 v1, s3
	s_cmp_lg_u32 s4, 0
	s_clause 0x1
	s_load_b64 s[12:13], s[0:1], 0x18
	s_load_b64 s[14:15], s[0:1], 0x30
	s_cselect_b32 s6, -1, 0
	s_add_i32 s18, s4, -8
	v_rcp_iflag_f32_e32 v1, v1
	s_add_i32 s19, s7, -1
	s_cmp_lg_u64 s[10:11], 0
	s_mul_i32 s16, s17, s16
	s_cselect_b32 s20, -1, 0
	s_sub_i32 s2, 0, s3
	v_cmp_eq_u32_e64 s0, 63, v0
	v_lshlrev_b32_e32 v42, 4, v0
	v_mbcnt_lo_u32_b32 v44, -1, 0
	s_sub_i32 s21, s16, s7
	s_waitcnt_depctr 0xfff
	v_dual_mul_f32 v1, 0x4f7ffffe, v1 :: v_dual_mov_b32 v34, 0
	s_mov_b32 s17, 0
	s_add_i32 s21, s21, 2
	s_delay_alu instid0(VALU_DEP_1) | instskip(NEXT) | instid1(VALU_DEP_1)
	v_cvt_u32_f32_e32 v1, v1
	v_mul_lo_u32 v2, s2, v1
	s_delay_alu instid0(VALU_DEP_1) | instskip(NEXT) | instid1(VALU_DEP_1)
	v_mul_hi_u32 v2, v1, v2
	v_add_nc_u32_e32 v43, v1, v2
	s_branch .LBB24_8
.LBB24_7:                               ;   in Loop: Header=BB24_8 Depth=1
	s_or_b32 exec_lo, exec_lo, s1
	v_add_nc_u32_e32 v0, s16, v32
	s_waitcnt lgkmcnt(0)
	s_delay_alu instid0(VALU_DEP_1) | instskip(SKIP_1) | instid1(VALU_DEP_2)
	v_add_nc_u32_e32 v1, 1, v0
	v_cmp_le_u32_e32 vcc_lo, s7, v0
	v_cmp_gt_u32_e64 s1, s7, v1
	v_add_nc_u32_e32 v1, s21, v32
	s_delay_alu instid0(VALU_DEP_2) | instskip(NEXT) | instid1(VALU_DEP_1)
	s_or_b32 vcc_lo, vcc_lo, s1
	v_cmp_eq_u32_e64 s1, 1, v1
	v_cndmask_b32_e32 v32, s19, v0, vcc_lo
	s_delay_alu instid0(VALU_DEP_2) | instskip(NEXT) | instid1(VALU_DEP_1)
	s_or_b32 vcc_lo, vcc_lo, s1
	v_cmp_le_u32_e64 s2, s7, v32
	v_cndmask_b32_e32 v40, 0, v40, vcc_lo
	s_delay_alu instid0(VALU_DEP_2) | instskip(NEXT) | instid1(SALU_CYCLE_1)
	s_or_b32 s17, s2, s17
	s_and_not1_b32 exec_lo, exec_lo, s17
	s_cbranch_execz .LBB24_40
.LBB24_8:                               ; =>This Loop Header: Depth=1
                                        ;     Child Loop BB24_15 Depth 2
	v_mov_b32_e32 v45, v34
	s_and_not1_b32 vcc_lo, exec_lo, s6
	s_cbranch_vccnz .LBB24_35
; %bb.9:                                ;   in Loop: Header=BB24_8 Depth=1
	v_min_u32_e32 v0, s19, v32
	v_dual_mov_b32 v45, 0 :: v_dual_mov_b32 v48, v42
	s_mov_b32 s1, 0
	s_delay_alu instid0(VALU_DEP_2) | instskip(NEXT) | instid1(VALU_DEP_1)
	v_mul_lo_u32 v33, v0, s5
	v_lshlrev_b64 v[0:1], 1, v[33:34]
	s_waitcnt lgkmcnt(0)
	s_delay_alu instid0(VALU_DEP_1) | instskip(NEXT) | instid1(VALU_DEP_2)
	v_add_co_u32 v46, vcc_lo, s12, v0
	v_add_co_ci_u32_e32 v47, vcc_lo, s13, v1, vcc_lo
	s_branch .LBB24_15
.LBB24_10:                              ;   in Loop: Header=BB24_15 Depth=2
	s_or_b32 exec_lo, exec_lo, s25
.LBB24_11:                              ;   in Loop: Header=BB24_15 Depth=2
	s_delay_alu instid0(SALU_CYCLE_1)
	s_or_b32 exec_lo, exec_lo, s24
.LBB24_12:                              ;   in Loop: Header=BB24_15 Depth=2
	s_delay_alu instid0(SALU_CYCLE_1)
	s_or_b32 exec_lo, exec_lo, s23
.LBB24_13:                              ;   in Loop: Header=BB24_15 Depth=2
	s_delay_alu instid0(SALU_CYCLE_1)
	s_or_b32 exec_lo, exec_lo, s22
.LBB24_14:                              ;   in Loop: Header=BB24_15 Depth=2
	s_delay_alu instid0(SALU_CYCLE_1)
	s_or_b32 exec_lo, exec_lo, s2
	s_waitcnt vmcnt(0) lgkmcnt(0)
	;;#ASMSTART
	v_dot2_f32_f16 v45, v16, v12, v45
	;;#ASMEND
	;;#ASMSTART
	v_dot2_f32_f16 v45, v17, v13, v45
	;;#ASMEND
	;; [unrolled: 3-line block ×11, first 2 shown]
	v_add_nc_u32_e32 v48, 0x1000, v48
	;;#ASMSTART
	v_dot2_f32_f16 v45, v27, v7, v45
	;;#ASMEND
	s_addk_i32 s1, 0x800
	;;#ASMSTART
	v_dot2_f32_f16 v45, v28, v0, v45
	;;#ASMEND
	;;#ASMSTART
	v_dot2_f32_f16 v45, v29, v1, v45
	;;#ASMEND
	s_cmp_lt_u32 s1, s4
	;;#ASMSTART
	v_dot2_f32_f16 v45, v30, v2, v45
	;;#ASMEND
	;;#ASMSTART
	v_dot2_f32_f16 v45, v31, v3, v45
	;;#ASMEND
	s_cbranch_scc0 .LBB24_35
.LBB24_15:                              ;   Parent Loop BB24_8 Depth=1
                                        ; =>  This Inner Loop Header: Depth=2
	v_dual_mov_b32 v31, 0 :: v_dual_add_nc_u32 v38, s1, v41
	v_dual_mov_b32 v30, 0 :: v_dual_mov_b32 v29, 0
	v_mov_b32_e32 v28, 0
	s_delay_alu instid0(VALU_DEP_3) | instskip(SKIP_3) | instid1(VALU_DEP_4)
	v_min_u32_e32 v33, s18, v38
	v_add_nc_u32_e32 v37, 0x200, v38
	v_dual_mov_b32 v19, 0 :: v_dual_add_nc_u32 v36, 0x400, v38
	v_dual_mov_b32 v18, 0 :: v_dual_add_nc_u32 v35, 0x600, v38
	v_lshlrev_b64 v[0:1], 1, v[33:34]
	s_delay_alu instid0(VALU_DEP_4) | instskip(SKIP_3) | instid1(VALU_DEP_3)
	v_min_u32_e32 v33, s18, v37
	v_dual_mov_b32 v27, 0 :: v_dual_mov_b32 v26, 0
	v_dual_mov_b32 v25, 0 :: v_dual_mov_b32 v24, 0
	s_waitcnt vmcnt(0)
	v_lshlrev_b64 v[2:3], 1, v[33:34]
	v_min_u32_e32 v33, s18, v36
	v_add_co_u32 v0, vcc_lo, v46, v0
	v_add_co_ci_u32_e32 v1, vcc_lo, v47, v1, vcc_lo
	s_delay_alu instid0(VALU_DEP_3) | instskip(SKIP_3) | instid1(VALU_DEP_3)
	v_lshlrev_b64 v[4:5], 1, v[33:34]
	v_min_u32_e32 v33, s18, v35
	v_add_co_u32 v2, vcc_lo, v46, v2
	v_add_co_ci_u32_e32 v3, vcc_lo, v47, v3, vcc_lo
	v_lshlrev_b64 v[6:7], 1, v[33:34]
	v_add_co_u32 v4, vcc_lo, v46, v4
	v_add_co_ci_u32_e32 v5, vcc_lo, v47, v5, vcc_lo
	v_dual_mov_b32 v23, 0 :: v_dual_mov_b32 v22, 0
	s_delay_alu instid0(VALU_DEP_4)
	v_add_co_u32 v16, vcc_lo, v46, v6
	v_add_co_ci_u32_e32 v17, vcc_lo, v47, v7, vcc_lo
	s_clause 0x3
	global_load_b128 v[12:15], v[0:1], off slc dlc
	global_load_b128 v[8:11], v[2:3], off slc dlc
	;; [unrolled: 1-line block ×4, first 2 shown]
	v_dual_mov_b32 v16, 0 :: v_dual_mov_b32 v17, 0
	v_dual_mov_b32 v21, 0 :: v_dual_mov_b32 v20, 0
	s_mov_b32 s2, exec_lo
	v_cmpx_gt_u32_e64 s4, v38
	s_cbranch_execz .LBB24_14
; %bb.16:                               ;   in Loop: Header=BB24_15 Depth=2
	s_mov_b32 s22, exec_lo
                                        ; implicit-def: $vgpr16
	v_cmpx_lt_u32_e32 0x7fff, v38
	s_xor_b32 s22, exec_lo, s22
	s_cbranch_execz .LBB24_18
; %bb.17:                               ;   in Loop: Header=BB24_15 Depth=2
	v_mov_b32_e32 v39, v34
	s_delay_alu instid0(VALU_DEP_1) | instskip(NEXT) | instid1(VALU_DEP_1)
	v_lshlrev_b64 v[16:17], 1, v[38:39]
	v_add_co_u32 v16, vcc_lo, s8, v16
	s_delay_alu instid0(VALU_DEP_2)
	v_add_co_ci_u32_e32 v17, vcc_lo, s9, v17, vcc_lo
	global_load_b128 v[16:19], v[16:17], off
.LBB24_18:                              ;   in Loop: Header=BB24_15 Depth=2
	s_and_not1_saveexec_b32 s22, s22
	s_cbranch_execz .LBB24_20
; %bb.19:                               ;   in Loop: Header=BB24_15 Depth=2
	s_waitcnt vmcnt(0)
	ds_load_b128 v[16:19], v48
.LBB24_20:                              ;   in Loop: Header=BB24_15 Depth=2
	s_or_b32 exec_lo, exec_lo, s22
	v_dual_mov_b32 v31, 0 :: v_dual_mov_b32 v30, 0
	v_dual_mov_b32 v29, 0 :: v_dual_mov_b32 v28, 0
	;; [unrolled: 1-line block ×6, first 2 shown]
	s_mov_b32 s22, exec_lo
	v_cmpx_gt_u32_e64 s4, v37
	s_cbranch_execz .LBB24_13
; %bb.21:                               ;   in Loop: Header=BB24_15 Depth=2
	s_mov_b32 s23, exec_lo
                                        ; implicit-def: $vgpr23
	v_cmpx_lt_u32_e32 0x7fff, v37
	s_xor_b32 s23, exec_lo, s23
	s_cbranch_execz .LBB24_23
; %bb.22:                               ;   in Loop: Header=BB24_15 Depth=2
	v_mov_b32_e32 v38, v34
	s_delay_alu instid0(VALU_DEP_1) | instskip(NEXT) | instid1(VALU_DEP_1)
	v_lshlrev_b64 v[20:21], 1, v[37:38]
	v_add_co_u32 v20, vcc_lo, s8, v20
	s_delay_alu instid0(VALU_DEP_2)
	v_add_co_ci_u32_e32 v21, vcc_lo, s9, v21, vcc_lo
	global_load_b128 v[20:23], v[20:21], off
.LBB24_23:                              ;   in Loop: Header=BB24_15 Depth=2
	s_and_not1_saveexec_b32 s23, s23
	s_cbranch_execz .LBB24_25
; %bb.24:                               ;   in Loop: Header=BB24_15 Depth=2
	s_waitcnt vmcnt(0)
	ds_load_b128 v[20:23], v48 offset:1024
.LBB24_25:                              ;   in Loop: Header=BB24_15 Depth=2
	s_or_b32 exec_lo, exec_lo, s23
	v_dual_mov_b32 v31, 0 :: v_dual_mov_b32 v30, 0
	v_dual_mov_b32 v29, 0 :: v_dual_mov_b32 v28, 0
	;; [unrolled: 1-line block ×4, first 2 shown]
	s_mov_b32 s23, exec_lo
	v_cmpx_gt_u32_e64 s4, v36
	s_cbranch_execz .LBB24_12
; %bb.26:                               ;   in Loop: Header=BB24_15 Depth=2
	s_mov_b32 s24, exec_lo
                                        ; implicit-def: $vgpr27
	v_cmpx_lt_u32_e32 0x7fff, v36
	s_xor_b32 s24, exec_lo, s24
	s_cbranch_execz .LBB24_28
; %bb.27:                               ;   in Loop: Header=BB24_15 Depth=2
	v_mov_b32_e32 v37, v34
	s_delay_alu instid0(VALU_DEP_1) | instskip(NEXT) | instid1(VALU_DEP_1)
	v_lshlrev_b64 v[24:25], 1, v[36:37]
	v_add_co_u32 v24, vcc_lo, s8, v24
	s_delay_alu instid0(VALU_DEP_2)
	v_add_co_ci_u32_e32 v25, vcc_lo, s9, v25, vcc_lo
	global_load_b128 v[24:27], v[24:25], off
.LBB24_28:                              ;   in Loop: Header=BB24_15 Depth=2
	s_and_not1_saveexec_b32 s24, s24
	s_cbranch_execz .LBB24_30
; %bb.29:                               ;   in Loop: Header=BB24_15 Depth=2
	s_waitcnt vmcnt(0)
	ds_load_b128 v[24:27], v48 offset:2048
.LBB24_30:                              ;   in Loop: Header=BB24_15 Depth=2
	s_or_b32 exec_lo, exec_lo, s24
	v_dual_mov_b32 v31, 0 :: v_dual_mov_b32 v30, 0
	v_dual_mov_b32 v29, 0 :: v_dual_mov_b32 v28, 0
	s_mov_b32 s24, exec_lo
	v_cmpx_gt_u32_e64 s4, v35
	s_cbranch_execz .LBB24_11
; %bb.31:                               ;   in Loop: Header=BB24_15 Depth=2
	s_mov_b32 s25, exec_lo
                                        ; implicit-def: $vgpr31
	v_cmpx_lt_u32_e32 0x7fff, v35
	s_xor_b32 s25, exec_lo, s25
	s_cbranch_execz .LBB24_33
; %bb.32:                               ;   in Loop: Header=BB24_15 Depth=2
	v_mov_b32_e32 v36, v34
	s_delay_alu instid0(VALU_DEP_1) | instskip(NEXT) | instid1(VALU_DEP_1)
	v_lshlrev_b64 v[28:29], 1, v[35:36]
	v_add_co_u32 v28, vcc_lo, s8, v28
	s_delay_alu instid0(VALU_DEP_2)
	v_add_co_ci_u32_e32 v29, vcc_lo, s9, v29, vcc_lo
	global_load_b128 v[28:31], v[28:29], off
.LBB24_33:                              ;   in Loop: Header=BB24_15 Depth=2
	s_and_not1_saveexec_b32 s25, s25
	s_cbranch_execz .LBB24_10
; %bb.34:                               ;   in Loop: Header=BB24_15 Depth=2
	s_waitcnt vmcnt(0)
	ds_load_b128 v[28:31], v48 offset:3072
	s_branch .LBB24_10
.LBB24_35:                              ;   in Loop: Header=BB24_8 Depth=1
	s_delay_alu instid0(VALU_DEP_1) | instskip(SKIP_2) | instid1(VALU_DEP_2)
	v_cvt_i32_f32_e32 v0, v45
	s_waitcnt vmcnt(0)
	v_xor_b32_e32 v2, 16, v44
	v_cvt_f32_i32_dpp v0, v0 row_shr:8 row_mask:0xf bank_mask:0xf bound_ctrl:1
	s_delay_alu instid0(VALU_DEP_2) | instskip(SKIP_1) | instid1(VALU_DEP_3)
	v_cmp_gt_i32_e32 vcc_lo, 32, v2
	v_cndmask_b32_e32 v2, v44, v2, vcc_lo
	v_add_f32_e32 v0, v45, v0
	s_delay_alu instid0(VALU_DEP_1) | instskip(NEXT) | instid1(VALU_DEP_1)
	v_cvt_i32_f32_e32 v1, v0
	v_cvt_f32_i32_dpp v1, v1 row_shr:4 row_mask:0xf bank_mask:0xf bound_ctrl:1
	s_delay_alu instid0(VALU_DEP_1) | instskip(NEXT) | instid1(VALU_DEP_1)
	v_add_f32_e32 v0, v0, v1
	v_cvt_i32_f32_e32 v1, v0
	s_delay_alu instid0(VALU_DEP_1) | instskip(NEXT) | instid1(VALU_DEP_1)
	v_cvt_f32_i32_dpp v1, v1 row_shr:2 row_mask:0xf bank_mask:0xf bound_ctrl:1
	v_add_f32_e32 v0, v0, v1
	s_delay_alu instid0(VALU_DEP_1) | instskip(NEXT) | instid1(VALU_DEP_1)
	v_cvt_i32_f32_e32 v1, v0
	v_cvt_f32_i32_dpp v1, v1 row_shr:1 row_mask:0xf bank_mask:0xf bound_ctrl:1
	s_delay_alu instid0(VALU_DEP_1)
	v_dual_add_f32 v0, v0, v1 :: v_dual_lshlrev_b32 v1, 2, v2
	ds_bpermute_b32 v1, v1, v0
	s_and_saveexec_b32 s1, s0
	s_cbranch_execz .LBB24_7
; %bb.36:                               ;   in Loop: Header=BB24_8 Depth=1
	s_and_not1_b32 vcc_lo, exec_lo, s20
	s_cbranch_vccnz .LBB24_38
; %bb.37:                               ;   in Loop: Header=BB24_8 Depth=1
	v_mul_hi_u32 v2, v32, v43
	s_delay_alu instid0(VALU_DEP_1) | instskip(NEXT) | instid1(VALU_DEP_1)
	v_mul_lo_u32 v2, v2, s3
	v_sub_nc_u32_e32 v2, v32, v2
	s_delay_alu instid0(VALU_DEP_1) | instskip(SKIP_1) | instid1(VALU_DEP_2)
	v_subrev_nc_u32_e32 v3, s3, v2
	v_cmp_le_u32_e32 vcc_lo, s3, v2
	v_cndmask_b32_e32 v2, v2, v3, vcc_lo
	s_delay_alu instid0(VALU_DEP_1) | instskip(SKIP_1) | instid1(VALU_DEP_2)
	v_subrev_nc_u32_e32 v3, s3, v2
	v_cmp_le_u32_e32 vcc_lo, s3, v2
	v_cndmask_b32_e32 v33, v2, v3, vcc_lo
	s_delay_alu instid0(VALU_DEP_1) | instskip(NEXT) | instid1(VALU_DEP_1)
	v_lshlrev_b64 v[2:3], 1, v[33:34]
	v_add_co_u32 v2, vcc_lo, s10, v2
	s_delay_alu instid0(VALU_DEP_2)
	v_add_co_ci_u32_e32 v3, vcc_lo, s11, v3, vcc_lo
	global_load_u16 v2, v[2:3], off
	v_cmp_ne_u32_e32 vcc_lo, 0, v40
	s_and_b32 exec_lo, exec_lo, vcc_lo
	s_cbranch_execz .LBB24_7
	s_branch .LBB24_39
.LBB24_38:                              ;   in Loop: Header=BB24_8 Depth=1
	v_mov_b32_e32 v2, 0
	v_cmp_ne_u32_e32 vcc_lo, 0, v40
	s_and_b32 exec_lo, exec_lo, vcc_lo
	s_cbranch_execz .LBB24_7
.LBB24_39:                              ;   in Loop: Header=BB24_8 Depth=1
	s_waitcnt lgkmcnt(0)
	v_add_f32_e32 v3, v0, v1
	s_waitcnt vmcnt(0)
	v_cvt_f32_f16_e32 v2, v2
	s_delay_alu instid0(VALU_DEP_1) | instskip(NEXT) | instid1(VALU_DEP_1)
	v_dual_mov_b32 v33, v34 :: v_dual_add_f32 v2, v3, v2
	v_lshlrev_b64 v[0:1], 1, v[32:33]
	s_delay_alu instid0(VALU_DEP_2) | instskip(NEXT) | instid1(VALU_DEP_2)
	v_cvt_f16_f32_e32 v2, v2
	v_add_co_u32 v0, vcc_lo, s14, v0
	s_delay_alu instid0(VALU_DEP_3)
	v_add_co_ci_u32_e32 v1, vcc_lo, s15, v1, vcc_lo
	global_store_b16 v[0:1], v2, off
	s_branch .LBB24_7
.LBB24_40:
	s_nop 0
	s_sendmsg sendmsg(MSG_DEALLOC_VGPRS)
	s_endpgm
	.section	.rodata,"a",@progbits
	.p2align	6, 0x0
	.amdhsa_kernel _Z12wvSplitK_hf_I6__halfLi64ELi1ELi16ELi8ELi4ELi1EEviiiiiiPKT_S3_S3_PS1_ii
		.amdhsa_group_segment_fixed_size 65536
		.amdhsa_private_segment_fixed_size 0
		.amdhsa_kernarg_size 64
		.amdhsa_user_sgpr_count 15
		.amdhsa_user_sgpr_dispatch_ptr 0
		.amdhsa_user_sgpr_queue_ptr 0
		.amdhsa_user_sgpr_kernarg_segment_ptr 1
		.amdhsa_user_sgpr_dispatch_id 0
		.amdhsa_user_sgpr_private_segment_size 0
		.amdhsa_wavefront_size32 1
		.amdhsa_uses_dynamic_stack 0
		.amdhsa_enable_private_segment 0
		.amdhsa_system_sgpr_workgroup_id_x 1
		.amdhsa_system_sgpr_workgroup_id_y 0
		.amdhsa_system_sgpr_workgroup_id_z 0
		.amdhsa_system_sgpr_workgroup_info 0
		.amdhsa_system_vgpr_workitem_id 1
		.amdhsa_next_free_vgpr 49
		.amdhsa_next_free_sgpr 26
		.amdhsa_reserve_vcc 1
		.amdhsa_float_round_mode_32 0
		.amdhsa_float_round_mode_16_64 0
		.amdhsa_float_denorm_mode_32 3
		.amdhsa_float_denorm_mode_16_64 3
		.amdhsa_dx10_clamp 1
		.amdhsa_ieee_mode 1
		.amdhsa_fp16_overflow 0
		.amdhsa_workgroup_processor_mode 1
		.amdhsa_memory_ordered 1
		.amdhsa_forward_progress 0
		.amdhsa_shared_vgpr_count 0
		.amdhsa_exception_fp_ieee_invalid_op 0
		.amdhsa_exception_fp_denorm_src 0
		.amdhsa_exception_fp_ieee_div_zero 0
		.amdhsa_exception_fp_ieee_overflow 0
		.amdhsa_exception_fp_ieee_underflow 0
		.amdhsa_exception_fp_ieee_inexact 0
		.amdhsa_exception_int_div_zero 0
	.end_amdhsa_kernel
	.section	.text._Z12wvSplitK_hf_I6__halfLi64ELi1ELi16ELi8ELi4ELi1EEviiiiiiPKT_S3_S3_PS1_ii,"axG",@progbits,_Z12wvSplitK_hf_I6__halfLi64ELi1ELi16ELi8ELi4ELi1EEviiiiiiPKT_S3_S3_PS1_ii,comdat
.Lfunc_end24:
	.size	_Z12wvSplitK_hf_I6__halfLi64ELi1ELi16ELi8ELi4ELi1EEviiiiiiPKT_S3_S3_PS1_ii, .Lfunc_end24-_Z12wvSplitK_hf_I6__halfLi64ELi1ELi16ELi8ELi4ELi1EEviiiiiiPKT_S3_S3_PS1_ii
                                        ; -- End function
	.section	.AMDGPU.csdata,"",@progbits
; Kernel info:
; codeLenInByte = 2136
; NumSgprs: 28
; NumVgprs: 49
; ScratchSize: 0
; MemoryBound: 0
; FloatMode: 240
; IeeeMode: 1
; LDSByteSize: 65536 bytes/workgroup (compile time only)
; SGPRBlocks: 3
; VGPRBlocks: 6
; NumSGPRsForWavesPerEU: 28
; NumVGPRsForWavesPerEU: 49
; Occupancy: 16
; WaveLimiterHint : 0
; COMPUTE_PGM_RSRC2:SCRATCH_EN: 0
; COMPUTE_PGM_RSRC2:USER_SGPR: 15
; COMPUTE_PGM_RSRC2:TRAP_HANDLER: 0
; COMPUTE_PGM_RSRC2:TGID_X_EN: 1
; COMPUTE_PGM_RSRC2:TGID_Y_EN: 0
; COMPUTE_PGM_RSRC2:TGID_Z_EN: 0
; COMPUTE_PGM_RSRC2:TIDIG_COMP_CNT: 1
	.section	.text._Z16wvSplitK_hf_big_I6__halfLi64ELi1ELi16ELi8ELi4ELi1EEviiiiiiPKT_S3_S3_PS1_ii,"axG",@progbits,_Z16wvSplitK_hf_big_I6__halfLi64ELi1ELi16ELi8ELi4ELi1EEviiiiiiPKT_S3_S3_PS1_ii,comdat
	.protected	_Z16wvSplitK_hf_big_I6__halfLi64ELi1ELi16ELi8ELi4ELi1EEviiiiiiPKT_S3_S3_PS1_ii ; -- Begin function _Z16wvSplitK_hf_big_I6__halfLi64ELi1ELi16ELi8ELi4ELi1EEviiiiiiPKT_S3_S3_PS1_ii
	.globl	_Z16wvSplitK_hf_big_I6__halfLi64ELi1ELi16ELi8ELi4ELi1EEviiiiiiPKT_S3_S3_PS1_ii
	.p2align	8
	.type	_Z16wvSplitK_hf_big_I6__halfLi64ELi1ELi16ELi8ELi4ELi1EEviiiiiiPKT_S3_S3_PS1_ii,@function
_Z16wvSplitK_hf_big_I6__halfLi64ELi1ELi16ELi8ELi4ELi1EEviiiiiiPKT_S3_S3_PS1_ii: ; @_Z16wvSplitK_hf_big_I6__halfLi64ELi1ELi16ELi8ELi4ELi1EEviiiiiiPKT_S3_S3_PS1_ii
; %bb.0:
	s_load_b64 s[12:13], s[0:1], 0x38
	v_bfe_u32 v1, v0, 10, 10
	s_mov_b32 s2, exec_lo
	s_waitcnt lgkmcnt(0)
	s_delay_alu instid0(VALU_DEP_1)
	v_cmpx_gt_u32_e64 s12, v1
	s_cbranch_execz .LBB25_38
; %bb.1:
	s_load_b128 s[16:19], s[0:1], 0x0
	v_mad_u64_u32 v[32:33], null, s15, s12, v[1:2]
	s_delay_alu instid0(VALU_DEP_1) | instskip(SKIP_2) | instid1(VALU_DEP_2)
	v_dual_mov_b32 v35, 1 :: v_dual_add_nc_u32 v2, 1, v32
	s_waitcnt lgkmcnt(0)
	v_cmp_gt_u32_e32 vcc_lo, s19, v32
	v_cmp_le_u32_e64 s2, s19, v2
	s_delay_alu instid0(VALU_DEP_1) | instskip(NEXT) | instid1(SALU_CYCLE_1)
	s_and_b32 s3, vcc_lo, s2
	s_and_saveexec_b32 s2, s3
; %bb.2:
	v_subrev_nc_u32_e32 v2, s19, v32
	s_add_i32 s3, s19, -1
	s_delay_alu instid0(SALU_CYCLE_1) | instskip(NEXT) | instid1(VALU_DEP_2)
	v_mov_b32_e32 v32, s3
	v_cmp_eq_u32_e32 vcc_lo, -1, v2
	v_cndmask_b32_e64 v35, 0, 1, vcc_lo
; %bb.3:
	s_or_b32 exec_lo, exec_lo, s2
	s_abs_i32 s2, s12
	s_abs_i32 s5, s19
	v_cvt_f32_u32_e32 v2, s2
	s_sub_i32 s4, 0, s2
	s_mov_b32 s14, 0
	s_delay_alu instid0(VALU_DEP_1) | instskip(SKIP_2) | instid1(VALU_DEP_1)
	v_rcp_iflag_f32_e32 v2, v2
	s_waitcnt_depctr 0xfff
	v_mul_f32_e32 v2, 0x4f7ffffe, v2
	v_cvt_u32_f32_e32 v2, v2
	s_delay_alu instid0(VALU_DEP_1) | instskip(NEXT) | instid1(VALU_DEP_1)
	v_readfirstlane_b32 s3, v2
	s_mul_i32 s4, s4, s3
	s_delay_alu instid0(SALU_CYCLE_1) | instskip(NEXT) | instid1(SALU_CYCLE_1)
	s_mul_hi_u32 s4, s3, s4
	s_add_i32 s3, s3, s4
	s_ashr_i32 s4, s19, 31
	s_mul_hi_u32 s3, s5, s3
	s_delay_alu instid0(SALU_CYCLE_1) | instskip(NEXT) | instid1(SALU_CYCLE_1)
	s_mul_i32 s3, s3, s2
	s_sub_i32 s3, s5, s3
	s_delay_alu instid0(SALU_CYCLE_1) | instskip(SKIP_2) | instid1(SALU_CYCLE_1)
	s_sub_i32 s5, s3, s2
	s_cmp_ge_u32 s3, s2
	s_cselect_b32 s3, s5, s3
	s_sub_i32 s5, s3, s2
	s_cmp_ge_u32 s3, s2
	s_cselect_b32 s2, s5, s3
	s_add_i32 s3, s12, s19
	s_xor_b32 s2, s2, s4
	s_delay_alu instid0(SALU_CYCLE_1) | instskip(NEXT) | instid1(SALU_CYCLE_1)
	s_sub_i32 s2, s2, s4
	s_sub_i32 s3, s3, s2
	s_cmp_eq_u32 s2, 0
	s_cselect_b32 s3, s19, s3
	s_delay_alu instid0(SALU_CYCLE_1)
	v_cmp_gt_u32_e32 vcc_lo, s3, v32
	s_and_b32 exec_lo, exec_lo, vcc_lo
	s_cbranch_execz .LBB25_38
; %bb.4:
	s_clause 0x1
	s_load_b32 s15, s[0:1], 0x10
	s_load_b256 s[4:11], s[0:1], 0x18
	s_min_u32 s20, s18, 0x8000
	s_cmp_lg_u32 s16, 0
	v_and_b32_e32 v0, 0x3ff, v0
	s_cselect_b32 s21, -1, 0
	s_cmp_lg_u32 s18, 0
	s_mul_i32 s13, s13, s12
	s_cselect_b32 s22, -1, 0
	s_lshl_b32 s23, s12, 9
	s_add_i32 s24, s16, -8
	s_add_i32 s25, s19, -1
	v_lshlrev_b32_e32 v4, 4, v0
	v_lshlrev_b32_e32 v36, 3, v0
	v_mbcnt_lo_u32_b32 v40, -1, 0
	s_delay_alu instid0(VALU_DEP_3) | instskip(NEXT) | instid1(VALU_DEP_3)
	v_lshl_add_u32 v37, v1, 10, v4
	v_lshl_add_u32 v38, v1, 9, v36
	s_waitcnt lgkmcnt(0)
	v_cvt_f32_u32_e32 v2, s15
	s_cmp_lg_u64 s[8:9], 0
	s_cselect_b32 s26, -1, 0
	s_sub_i32 s0, 0, s15
	s_delay_alu instid0(VALU_DEP_1)
	v_rcp_iflag_f32_e32 v2, v2
	s_sub_i32 s27, s13, s19
	s_lshl_b32 s12, s12, 10
	s_add_i32 s27, s27, 2
	s_waitcnt_depctr 0xfff
	v_mul_f32_e32 v2, 0x4f7ffffe, v2
	s_delay_alu instid0(VALU_DEP_1) | instskip(NEXT) | instid1(VALU_DEP_1)
	v_cvt_u32_f32_e32 v2, v2
	v_mul_lo_u32 v3, s0, v2
	v_cmp_eq_u32_e64 s0, 63, v0
	s_delay_alu instid0(VALU_DEP_2) | instskip(NEXT) | instid1(VALU_DEP_1)
	v_mul_hi_u32 v3, v2, v3
	v_dual_mov_b32 v34, 0 :: v_dual_add_nc_u32 v39, v2, v3
	s_branch .LBB25_7
.LBB25_5:                               ;   in Loop: Header=BB25_7 Depth=1
	s_or_b32 exec_lo, exec_lo, s1
.LBB25_6:                               ;   in Loop: Header=BB25_7 Depth=1
	s_delay_alu instid0(SALU_CYCLE_1) | instskip(NEXT) | instid1(VALU_DEP_1)
	s_or_b32 exec_lo, exec_lo, s2
	v_cmp_le_u32_e32 vcc_lo, s3, v0
	v_mov_b32_e32 v32, v0
	s_or_b32 s14, vcc_lo, s14
	s_delay_alu instid0(SALU_CYCLE_1)
	s_and_not1_b32 exec_lo, exec_lo, s14
	s_cbranch_execz .LBB25_38
.LBB25_7:                               ; =>This Loop Header: Depth=1
                                        ;     Child Loop BB25_14 Depth 2
                                        ;       Child Loop BB25_19 Depth 3
	s_delay_alu instid0(VALU_DEP_1)
	v_mov_b32_e32 v41, v34
	s_and_not1_b32 vcc_lo, exec_lo, s21
	s_cbranch_vccnz .LBB25_28
; %bb.8:                                ;   in Loop: Header=BB25_7 Depth=1
	v_min_u32_e32 v0, s25, v32
	v_cmp_gt_u32_e64 s1, s19, v32
	v_mov_b32_e32 v41, 0
	s_mov_b32 s28, 0
	s_mov_b32 s29, 0
	v_mul_lo_u32 v33, v0, s17
	s_delay_alu instid0(VALU_DEP_1) | instskip(NEXT) | instid1(VALU_DEP_1)
	v_lshlrev_b64 v[0:1], 1, v[33:34]
	v_add_co_u32 v42, vcc_lo, s4, v0
	s_delay_alu instid0(VALU_DEP_2)
	v_add_co_ci_u32_e32 v43, vcc_lo, s5, v1, vcc_lo
	s_branch .LBB25_14
.LBB25_9:                               ;   in Loop: Header=BB25_14 Depth=2
	s_or_b32 exec_lo, exec_lo, s34
.LBB25_10:                              ;   in Loop: Header=BB25_14 Depth=2
	s_delay_alu instid0(SALU_CYCLE_1)
	s_or_b32 exec_lo, exec_lo, s33
.LBB25_11:                              ;   in Loop: Header=BB25_14 Depth=2
	s_delay_alu instid0(SALU_CYCLE_1)
	s_or_b32 exec_lo, exec_lo, s31
.LBB25_12:                              ;   in Loop: Header=BB25_14 Depth=2
	s_delay_alu instid0(SALU_CYCLE_1)
	s_or_b32 exec_lo, exec_lo, s30
	s_waitcnt vmcnt(3) lgkmcnt(0)
	;;#ASMSTART
	v_dot2_f32_f16 v41, v28, v20, v41
	;;#ASMEND
	;;#ASMSTART
	v_dot2_f32_f16 v41, v29, v21, v41
	;;#ASMEND
	;;#ASMSTART
	v_dot2_f32_f16 v41, v30, v22, v41
	;;#ASMEND
	;;#ASMSTART
	v_dot2_f32_f16 v41, v31, v23, v41
	;;#ASMEND
	s_waitcnt vmcnt(2)
	;;#ASMSTART
	v_dot2_f32_f16 v41, v24, v12, v41
	;;#ASMEND
	;;#ASMSTART
	v_dot2_f32_f16 v41, v25, v13, v41
	;;#ASMEND
	;;#ASMSTART
	v_dot2_f32_f16 v41, v26, v14, v41
	;;#ASMEND
	;;#ASMSTART
	v_dot2_f32_f16 v41, v27, v15, v41
	;;#ASMEND
	s_waitcnt vmcnt(1)
	;; [unrolled: 13-line block ×3, first 2 shown]
	;;#ASMSTART
	v_dot2_f32_f16 v41, v8, v0, v41
	;;#ASMEND
	;;#ASMSTART
	v_dot2_f32_f16 v41, v9, v1, v41
	;;#ASMEND
	;; [unrolled: 3-line block ×4, first 2 shown]
.LBB25_13:                              ;   in Loop: Header=BB25_14 Depth=2
	s_or_b32 exec_lo, exec_lo, s2
	s_addk_i32 s29, 0x800
	s_delay_alu instid0(SALU_CYCLE_1)
	s_cmp_ge_u32 s29, s16
	s_cbranch_scc1 .LBB25_28
.LBB25_14:                              ;   Parent Loop BB25_7 Depth=1
                                        ; =>  This Loop Header: Depth=2
                                        ;       Child Loop BB25_19 Depth 3
	s_cmp_eq_u32 s29, 0
	s_cselect_b32 s30, -1, 0
	s_add_i32 s2, s28, s20
	s_delay_alu instid0(SALU_CYCLE_1) | instskip(SKIP_1) | instid1(SALU_CYCLE_1)
	s_cmp_eq_u32 s29, s2
	s_cselect_b32 s31, -1, 0
	s_or_b32 s31, s30, s31
	s_delay_alu instid0(SALU_CYCLE_1)
	s_and_not1_b32 vcc_lo, exec_lo, s31
	s_cbranch_vccz .LBB25_16
; %bb.15:                               ;   in Loop: Header=BB25_14 Depth=2
	s_and_saveexec_b32 s2, s1
	s_cbranch_execz .LBB25_13
	s_branch .LBB25_23
.LBB25_16:                              ;   in Loop: Header=BB25_14 Depth=2
	s_and_b32 s30, s30, exec_lo
	s_cselect_b32 s28, s28, s2
	s_and_not1_b32 vcc_lo, exec_lo, s22
	s_waitcnt vmcnt(0)
	s_waitcnt_vscnt null, 0x0
	s_barrier
	buffer_gl0_inv
	s_cbranch_vccnz .LBB25_22
; %bb.17:                               ;   in Loop: Header=BB25_14 Depth=2
	v_dual_mov_b32 v1, v37 :: v_dual_add_nc_u32 v0, s28, v38
	s_mov_b32 s30, 0
	s_mov_b32 s31, 0
                                        ; implicit-def: $sgpr33
	s_set_inst_prefetch_distance 0x1
	s_branch .LBB25_19
	.p2align	6
.LBB25_18:                              ;   in Loop: Header=BB25_19 Depth=3
	s_or_b32 exec_lo, exec_lo, s2
	s_delay_alu instid0(SALU_CYCLE_1) | instskip(NEXT) | instid1(SALU_CYCLE_1)
	s_and_b32 s2, exec_lo, s33
	s_or_b32 s30, s2, s30
	s_delay_alu instid0(SALU_CYCLE_1)
	s_and_not1_b32 exec_lo, exec_lo, s30
	s_cbranch_execz .LBB25_21
.LBB25_19:                              ;   Parent Loop BB25_7 Depth=1
                                        ;     Parent Loop BB25_14 Depth=2
                                        ; =>    This Inner Loop Header: Depth=3
	v_add_nc_u32_e32 v33, s31, v0
	v_add_nc_u32_e32 v2, s31, v38
	s_or_b32 s33, s33, exec_lo
	s_delay_alu instid0(VALU_DEP_2) | instskip(NEXT) | instid1(VALU_DEP_2)
	v_cmp_gt_u32_e32 vcc_lo, s18, v33
	v_cmp_gt_u32_e64 s2, s20, v2
	s_delay_alu instid0(VALU_DEP_1) | instskip(NEXT) | instid1(SALU_CYCLE_1)
	s_and_b32 s34, s2, vcc_lo
	s_and_saveexec_b32 s2, s34
	s_cbranch_execz .LBB25_18
; %bb.20:                               ;   in Loop: Header=BB25_19 Depth=3
	v_lshlrev_b64 v[2:3], 1, v[33:34]
	s_add_i32 s31, s31, s23
	s_delay_alu instid0(SALU_CYCLE_1) | instskip(SKIP_1) | instid1(VALU_DEP_1)
	s_cmp_ge_u32 s31, s20
	s_cselect_b32 s34, -1, 0
	v_add_co_u32 v2, vcc_lo, s6, v2
	s_delay_alu instid0(VALU_DEP_2) | instskip(SKIP_2) | instid1(SALU_CYCLE_1)
	v_add_co_ci_u32_e32 v3, vcc_lo, s7, v3, vcc_lo
	s_and_not1_b32 s33, s33, exec_lo
	s_and_b32 s34, s34, exec_lo
	s_or_b32 s33, s33, s34
	global_load_b128 v[2:5], v[2:3], off
	s_waitcnt vmcnt(0)
	ds_store_b128 v1, v[2:5]
	v_add_nc_u32_e32 v1, s12, v1
	s_branch .LBB25_18
.LBB25_21:                              ;   in Loop: Header=BB25_14 Depth=2
	s_set_inst_prefetch_distance 0x2
	s_or_b32 exec_lo, exec_lo, s30
.LBB25_22:                              ;   in Loop: Header=BB25_14 Depth=2
	s_waitcnt lgkmcnt(0)
	s_barrier
	buffer_gl0_inv
	s_and_saveexec_b32 s2, s1
	s_cbranch_execz .LBB25_13
.LBB25_23:                              ;   in Loop: Header=BB25_14 Depth=2
	v_dual_mov_b32 v25, 0 :: v_dual_add_nc_u32 v46, s29, v36
	v_dual_mov_b32 v16, 0 :: v_dual_mov_b32 v17, 0
	v_dual_mov_b32 v18, 0 :: v_dual_mov_b32 v19, 0
	s_delay_alu instid0(VALU_DEP_3) | instskip(SKIP_2) | instid1(VALU_DEP_3)
	v_min_u32_e32 v33, s24, v46
	v_dual_mov_b32 v24, 0 :: v_dual_add_nc_u32 v47, 0x200, v46
	v_dual_mov_b32 v26, 0 :: v_dual_add_nc_u32 v45, 0x400, v46
	v_lshlrev_b64 v[0:1], 1, v[33:34]
	s_delay_alu instid0(VALU_DEP_3) | instskip(SKIP_3) | instid1(VALU_DEP_3)
	v_min_u32_e32 v33, s24, v47
	v_dual_mov_b32 v27, 0 :: v_dual_add_nc_u32 v44, 0x600, v46
	v_dual_mov_b32 v10, 0 :: v_dual_mov_b32 v11, 0
	s_waitcnt vmcnt(0)
	v_lshlrev_b64 v[2:3], 1, v[33:34]
	v_min_u32_e32 v33, s24, v45
	v_add_co_u32 v0, vcc_lo, v42, v0
	v_add_co_ci_u32_e32 v1, vcc_lo, v43, v1, vcc_lo
	s_delay_alu instid0(VALU_DEP_3) | instskip(SKIP_3) | instid1(VALU_DEP_3)
	v_lshlrev_b64 v[4:5], 1, v[33:34]
	v_min_u32_e32 v33, s24, v44
	v_add_co_u32 v2, vcc_lo, v42, v2
	v_add_co_ci_u32_e32 v3, vcc_lo, v43, v3, vcc_lo
	v_lshlrev_b64 v[6:7], 1, v[33:34]
	v_add_co_u32 v4, vcc_lo, v42, v4
	v_add_co_ci_u32_e32 v5, vcc_lo, v43, v5, vcc_lo
	v_dual_mov_b32 v31, 0 :: v_dual_mov_b32 v30, 0
	s_delay_alu instid0(VALU_DEP_4)
	v_add_co_u32 v8, vcc_lo, v42, v6
	v_add_co_ci_u32_e32 v9, vcc_lo, v43, v7, vcc_lo
	s_clause 0x3
	global_load_b128 v[20:23], v[0:1], off slc dlc
	global_load_b128 v[12:15], v[2:3], off slc dlc
	;; [unrolled: 1-line block ×4, first 2 shown]
	v_dual_mov_b32 v8, 0 :: v_dual_mov_b32 v9, 0
	v_dual_mov_b32 v29, 0 :: v_dual_mov_b32 v28, 0
	s_mov_b32 s30, exec_lo
	v_cmpx_gt_u32_e64 s16, v46
	s_cbranch_execz .LBB25_12
; %bb.24:                               ;   in Loop: Header=BB25_14 Depth=2
	v_subrev_nc_u32_e32 v8, s28, v46
	v_mov_b32_e32 v11, 0
	v_dual_mov_b32 v9, 0 :: v_dual_mov_b32 v18, 0
	v_dual_mov_b32 v19, 0 :: v_dual_mov_b32 v16, 0
	s_delay_alu instid0(VALU_DEP_4)
	v_dual_mov_b32 v10, 0 :: v_dual_lshlrev_b32 v33, 1, v8
	v_dual_mov_b32 v8, 0 :: v_dual_mov_b32 v17, 0
	v_mov_b32_e32 v26, 0
	ds_load_b128 v[28:31], v33
	v_dual_mov_b32 v27, 0 :: v_dual_mov_b32 v24, 0
	v_mov_b32_e32 v25, 0
	s_mov_b32 s31, exec_lo
	v_cmpx_gt_u32_e64 s16, v47
	s_cbranch_execz .LBB25_11
; %bb.25:                               ;   in Loop: Header=BB25_14 Depth=2
	ds_load_b128 v[24:27], v33 offset:1024
	v_dual_mov_b32 v11, 0 :: v_dual_mov_b32 v10, 0
	v_dual_mov_b32 v9, 0 :: v_dual_mov_b32 v8, 0
	;; [unrolled: 1-line block ×4, first 2 shown]
	s_mov_b32 s33, exec_lo
	v_cmpx_gt_u32_e64 s16, v45
	s_cbranch_execz .LBB25_10
; %bb.26:                               ;   in Loop: Header=BB25_14 Depth=2
	ds_load_b128 v[16:19], v33 offset:2048
	v_dual_mov_b32 v11, 0 :: v_dual_mov_b32 v10, 0
	v_dual_mov_b32 v9, 0 :: v_dual_mov_b32 v8, 0
	s_mov_b32 s34, exec_lo
	v_cmpx_gt_u32_e64 s16, v44
	s_cbranch_execz .LBB25_9
; %bb.27:                               ;   in Loop: Header=BB25_14 Depth=2
	ds_load_b128 v[8:11], v33 offset:3072
	s_branch .LBB25_9
.LBB25_28:                              ;   in Loop: Header=BB25_7 Depth=1
	s_mov_b32 s1, exec_lo
                                        ; implicit-def: $vgpr0
	v_cmpx_le_u32_e64 s19, v32
	s_xor_b32 s1, exec_lo, s1
; %bb.29:                               ;   in Loop: Header=BB25_7 Depth=1
	v_add_nc_u32_e32 v0, s13, v32
                                        ; implicit-def: $vgpr32
                                        ; implicit-def: $vgpr41
; %bb.30:                               ;   in Loop: Header=BB25_7 Depth=1
	s_and_not1_saveexec_b32 s2, s1
	s_cbranch_execz .LBB25_6
; %bb.31:                               ;   in Loop: Header=BB25_7 Depth=1
	v_cvt_i32_f32_e32 v0, v41
	s_waitcnt vmcnt(0)
	v_xor_b32_e32 v2, 16, v40
	s_delay_alu instid0(VALU_DEP_2) | instskip(NEXT) | instid1(VALU_DEP_2)
	v_cvt_f32_i32_dpp v0, v0 row_shr:8 row_mask:0xf bank_mask:0xf bound_ctrl:1
	v_cmp_gt_i32_e32 vcc_lo, 32, v2
	v_cndmask_b32_e32 v2, v40, v2, vcc_lo
	s_delay_alu instid0(VALU_DEP_3) | instskip(NEXT) | instid1(VALU_DEP_1)
	v_add_f32_e32 v0, v41, v0
	v_cvt_i32_f32_e32 v1, v0
	s_delay_alu instid0(VALU_DEP_1) | instskip(NEXT) | instid1(VALU_DEP_1)
	v_cvt_f32_i32_dpp v1, v1 row_shr:4 row_mask:0xf bank_mask:0xf bound_ctrl:1
	v_add_f32_e32 v0, v0, v1
	s_delay_alu instid0(VALU_DEP_1) | instskip(NEXT) | instid1(VALU_DEP_1)
	v_cvt_i32_f32_e32 v1, v0
	v_cvt_f32_i32_dpp v1, v1 row_shr:2 row_mask:0xf bank_mask:0xf bound_ctrl:1
	s_delay_alu instid0(VALU_DEP_1) | instskip(NEXT) | instid1(VALU_DEP_1)
	v_add_f32_e32 v0, v0, v1
	v_cvt_i32_f32_e32 v1, v0
	s_delay_alu instid0(VALU_DEP_1) | instskip(NEXT) | instid1(VALU_DEP_1)
	v_cvt_f32_i32_dpp v1, v1 row_shr:1 row_mask:0xf bank_mask:0xf bound_ctrl:1
	v_dual_add_f32 v0, v0, v1 :: v_dual_lshlrev_b32 v1, 2, v2
	ds_bpermute_b32 v1, v1, v0
	s_and_saveexec_b32 s1, s0
	s_cbranch_execz .LBB25_35
; %bb.32:                               ;   in Loop: Header=BB25_7 Depth=1
	s_and_not1_b32 vcc_lo, exec_lo, s26
	s_cbranch_vccnz .LBB25_37
; %bb.33:                               ;   in Loop: Header=BB25_7 Depth=1
	v_mul_hi_u32 v2, v32, v39
	s_delay_alu instid0(VALU_DEP_1) | instskip(NEXT) | instid1(VALU_DEP_1)
	v_mul_lo_u32 v2, v2, s15
	v_sub_nc_u32_e32 v2, v32, v2
	s_delay_alu instid0(VALU_DEP_1) | instskip(SKIP_1) | instid1(VALU_DEP_2)
	v_subrev_nc_u32_e32 v3, s15, v2
	v_cmp_le_u32_e32 vcc_lo, s15, v2
	v_cndmask_b32_e32 v2, v2, v3, vcc_lo
	s_delay_alu instid0(VALU_DEP_1) | instskip(SKIP_1) | instid1(VALU_DEP_2)
	v_subrev_nc_u32_e32 v3, s15, v2
	v_cmp_le_u32_e32 vcc_lo, s15, v2
	v_cndmask_b32_e32 v33, v2, v3, vcc_lo
	s_delay_alu instid0(VALU_DEP_1) | instskip(NEXT) | instid1(VALU_DEP_1)
	v_lshlrev_b64 v[2:3], 1, v[33:34]
	v_add_co_u32 v2, vcc_lo, s8, v2
	s_delay_alu instid0(VALU_DEP_2)
	v_add_co_ci_u32_e32 v3, vcc_lo, s9, v3, vcc_lo
	global_load_u16 v2, v[2:3], off
	v_cmp_ne_u32_e32 vcc_lo, 0, v35
	s_and_b32 exec_lo, exec_lo, vcc_lo
	s_cbranch_execz .LBB25_35
.LBB25_34:                              ;   in Loop: Header=BB25_7 Depth=1
	s_waitcnt lgkmcnt(0)
	v_add_f32_e32 v3, v0, v1
	s_waitcnt vmcnt(0)
	v_cvt_f32_f16_e32 v2, v2
	s_delay_alu instid0(VALU_DEP_1) | instskip(NEXT) | instid1(VALU_DEP_1)
	v_dual_mov_b32 v33, v34 :: v_dual_add_f32 v2, v3, v2
	v_lshlrev_b64 v[0:1], 1, v[32:33]
	s_delay_alu instid0(VALU_DEP_2) | instskip(NEXT) | instid1(VALU_DEP_2)
	v_cvt_f16_f32_e32 v2, v2
	v_add_co_u32 v0, vcc_lo, s10, v0
	s_delay_alu instid0(VALU_DEP_3)
	v_add_co_ci_u32_e32 v1, vcc_lo, s11, v1, vcc_lo
	global_store_b16 v[0:1], v2, off
.LBB25_35:                              ;   in Loop: Header=BB25_7 Depth=1
	s_or_b32 exec_lo, exec_lo, s1
	v_add_nc_u32_e32 v0, s13, v32
	s_waitcnt lgkmcnt(0)
	s_delay_alu instid0(VALU_DEP_1) | instskip(SKIP_1) | instid1(VALU_DEP_2)
	v_add_nc_u32_e32 v1, 1, v0
	v_cmp_gt_u32_e32 vcc_lo, s19, v0
	v_cmp_le_u32_e64 s1, s19, v1
	s_delay_alu instid0(VALU_DEP_1) | instskip(NEXT) | instid1(SALU_CYCLE_1)
	s_and_b32 s28, vcc_lo, s1
	s_and_saveexec_b32 s1, s28
	s_cbranch_execz .LBB25_5
; %bb.36:                               ;   in Loop: Header=BB25_7 Depth=1
	v_add_nc_u32_e32 v0, s27, v32
	s_delay_alu instid0(VALU_DEP_1)
	v_cmp_eq_u32_e32 vcc_lo, 1, v0
	v_dual_mov_b32 v0, s25 :: v_dual_cndmask_b32 v35, 0, v35
	s_branch .LBB25_5
.LBB25_37:                              ;   in Loop: Header=BB25_7 Depth=1
	v_mov_b32_e32 v2, 0
	v_cmp_ne_u32_e32 vcc_lo, 0, v35
	s_and_b32 exec_lo, exec_lo, vcc_lo
	s_cbranch_execnz .LBB25_34
	s_branch .LBB25_35
.LBB25_38:
	s_nop 0
	s_sendmsg sendmsg(MSG_DEALLOC_VGPRS)
	s_endpgm
	.section	.rodata,"a",@progbits
	.p2align	6, 0x0
	.amdhsa_kernel _Z16wvSplitK_hf_big_I6__halfLi64ELi1ELi16ELi8ELi4ELi1EEviiiiiiPKT_S3_S3_PS1_ii
		.amdhsa_group_segment_fixed_size 65536
		.amdhsa_private_segment_fixed_size 0
		.amdhsa_kernarg_size 64
		.amdhsa_user_sgpr_count 15
		.amdhsa_user_sgpr_dispatch_ptr 0
		.amdhsa_user_sgpr_queue_ptr 0
		.amdhsa_user_sgpr_kernarg_segment_ptr 1
		.amdhsa_user_sgpr_dispatch_id 0
		.amdhsa_user_sgpr_private_segment_size 0
		.amdhsa_wavefront_size32 1
		.amdhsa_uses_dynamic_stack 0
		.amdhsa_enable_private_segment 0
		.amdhsa_system_sgpr_workgroup_id_x 1
		.amdhsa_system_sgpr_workgroup_id_y 0
		.amdhsa_system_sgpr_workgroup_id_z 0
		.amdhsa_system_sgpr_workgroup_info 0
		.amdhsa_system_vgpr_workitem_id 1
		.amdhsa_next_free_vgpr 48
		.amdhsa_next_free_sgpr 35
		.amdhsa_reserve_vcc 1
		.amdhsa_float_round_mode_32 0
		.amdhsa_float_round_mode_16_64 0
		.amdhsa_float_denorm_mode_32 3
		.amdhsa_float_denorm_mode_16_64 3
		.amdhsa_dx10_clamp 1
		.amdhsa_ieee_mode 1
		.amdhsa_fp16_overflow 0
		.amdhsa_workgroup_processor_mode 1
		.amdhsa_memory_ordered 1
		.amdhsa_forward_progress 0
		.amdhsa_shared_vgpr_count 0
		.amdhsa_exception_fp_ieee_invalid_op 0
		.amdhsa_exception_fp_denorm_src 0
		.amdhsa_exception_fp_ieee_div_zero 0
		.amdhsa_exception_fp_ieee_overflow 0
		.amdhsa_exception_fp_ieee_underflow 0
		.amdhsa_exception_fp_ieee_inexact 0
		.amdhsa_exception_int_div_zero 0
	.end_amdhsa_kernel
	.section	.text._Z16wvSplitK_hf_big_I6__halfLi64ELi1ELi16ELi8ELi4ELi1EEviiiiiiPKT_S3_S3_PS1_ii,"axG",@progbits,_Z16wvSplitK_hf_big_I6__halfLi64ELi1ELi16ELi8ELi4ELi1EEviiiiiiPKT_S3_S3_PS1_ii,comdat
.Lfunc_end25:
	.size	_Z16wvSplitK_hf_big_I6__halfLi64ELi1ELi16ELi8ELi4ELi1EEviiiiiiPKT_S3_S3_PS1_ii, .Lfunc_end25-_Z16wvSplitK_hf_big_I6__halfLi64ELi1ELi16ELi8ELi4ELi1EEviiiiiiPKT_S3_S3_PS1_ii
                                        ; -- End function
	.section	.AMDGPU.csdata,"",@progbits
; Kernel info:
; codeLenInByte = 2176
; NumSgprs: 37
; NumVgprs: 48
; ScratchSize: 0
; MemoryBound: 0
; FloatMode: 240
; IeeeMode: 1
; LDSByteSize: 65536 bytes/workgroup (compile time only)
; SGPRBlocks: 4
; VGPRBlocks: 5
; NumSGPRsForWavesPerEU: 37
; NumVGPRsForWavesPerEU: 48
; Occupancy: 16
; WaveLimiterHint : 0
; COMPUTE_PGM_RSRC2:SCRATCH_EN: 0
; COMPUTE_PGM_RSRC2:USER_SGPR: 15
; COMPUTE_PGM_RSRC2:TRAP_HANDLER: 0
; COMPUTE_PGM_RSRC2:TGID_X_EN: 1
; COMPUTE_PGM_RSRC2:TGID_Y_EN: 0
; COMPUTE_PGM_RSRC2:TGID_Z_EN: 0
; COMPUTE_PGM_RSRC2:TIDIG_COMP_CNT: 1
	.section	.text._Z16wvSplitK_hf_sml_I6__halfLi64ELi2ELi16ELi8ELi2ELi1EEviiiiiiPKT_S3_S3_PS1_ii,"axG",@progbits,_Z16wvSplitK_hf_sml_I6__halfLi64ELi2ELi16ELi8ELi2ELi1EEviiiiiiPKT_S3_S3_PS1_ii,comdat
	.protected	_Z16wvSplitK_hf_sml_I6__halfLi64ELi2ELi16ELi8ELi2ELi1EEviiiiiiPKT_S3_S3_PS1_ii ; -- Begin function _Z16wvSplitK_hf_sml_I6__halfLi64ELi2ELi16ELi8ELi2ELi1EEviiiiiiPKT_S3_S3_PS1_ii
	.globl	_Z16wvSplitK_hf_sml_I6__halfLi64ELi2ELi16ELi8ELi2ELi1EEviiiiiiPKT_S3_S3_PS1_ii
	.p2align	8
	.type	_Z16wvSplitK_hf_sml_I6__halfLi64ELi2ELi16ELi8ELi2ELi1EEviiiiiiPKT_S3_S3_PS1_ii,@function
_Z16wvSplitK_hf_sml_I6__halfLi64ELi2ELi16ELi8ELi2ELi1EEviiiiiiPKT_S3_S3_PS1_ii: ; @_Z16wvSplitK_hf_sml_I6__halfLi64ELi2ELi16ELi8ELi2ELi1EEviiiiiiPKT_S3_S3_PS1_ii
; %bb.0:
	s_clause 0x2
	s_load_b128 s[4:7], s[0:1], 0x0
	s_load_b32 s14, s[0:1], 0x10
	s_load_b64 s[8:9], s[0:1], 0x28
	v_and_b32_e32 v2, 0x3ff, v0
	v_bfe_u32 v3, v0, 10, 10
	s_delay_alu instid0(VALU_DEP_2) | instskip(NEXT) | instid1(VALU_DEP_1)
	v_lshlrev_b32_e32 v32, 3, v2
	v_lshl_add_u32 v4, v3, 9, v32
	s_waitcnt lgkmcnt(0)
	s_min_u32 s3, s6, 0x8000
	s_mov_b32 s6, exec_lo
	s_delay_alu instid0(VALU_DEP_1)
	v_cmpx_gt_u32_e64 s3, v4
	s_cbranch_execz .LBB26_3
; %bb.1:
	s_load_b64 s[10:11], s[0:1], 0x20
	v_lshlrev_b32_e32 v5, 10, v3
	v_lshlrev_b32_e32 v6, 4, v2
	s_delay_alu instid0(VALU_DEP_1) | instskip(NEXT) | instid1(VALU_DEP_1)
	v_add_co_u32 v0, s2, v5, v6
	v_add_co_ci_u32_e64 v1, null, 0, 0, s2
	v_add_nc_u32_e32 v5, v5, v6
	s_waitcnt lgkmcnt(0)
	s_delay_alu instid0(VALU_DEP_3) | instskip(NEXT) | instid1(VALU_DEP_3)
	v_add_co_u32 v0, vcc_lo, s10, v0
	v_add_co_ci_u32_e32 v1, vcc_lo, s11, v1, vcc_lo
	s_mov_b32 s10, 0
	.p2align	6
.LBB26_2:                               ; =>This Inner Loop Header: Depth=1
	global_load_b128 v[6:9], v[0:1], off
	v_add_nc_u32_e32 v4, 0x2000, v4
	v_add_co_u32 v0, vcc_lo, 0x4000, v0
	v_add_co_ci_u32_e32 v1, vcc_lo, 0, v1, vcc_lo
	s_delay_alu instid0(VALU_DEP_3) | instskip(NEXT) | instid1(VALU_DEP_1)
	v_cmp_le_u32_e64 s2, s3, v4
	s_or_b32 s10, s2, s10
	s_waitcnt vmcnt(0)
	ds_store_b128 v5, v[6:9]
	v_add_nc_u32_e32 v5, 0x4000, v5
	s_and_not1_b32 exec_lo, exec_lo, s10
	s_cbranch_execnz .LBB26_2
.LBB26_3:
	s_or_b32 exec_lo, exec_lo, s6
	s_load_b64 s[12:13], s[0:1], 0x38
	s_waitcnt lgkmcnt(0)
	s_barrier
	buffer_gl0_inv
	s_mov_b32 s2, exec_lo
	v_cmpx_gt_u32_e64 s12, v3
	s_cbranch_execz .LBB26_20
; %bb.4:
	s_mul_i32 s15, s15, s12
	s_delay_alu instid0(SALU_CYCLE_1) | instskip(NEXT) | instid1(VALU_DEP_1)
	v_add_lshl_u32 v24, s15, v3, 1
	v_cmp_gt_u32_e32 vcc_lo, s7, v24
	s_and_b32 exec_lo, exec_lo, vcc_lo
	s_cbranch_execz .LBB26_20
; %bb.5:
	v_cvt_f32_u32_e32 v0, s14
	s_cmp_lg_u32 s4, 0
	v_mov_b32_e32 v26, 0
	s_cselect_b32 s6, -1, 0
	s_add_i32 s15, s4, -8
	v_rcp_iflag_f32_e32 v0, v0
	s_add_i32 s16, s7, -1
	s_cmp_lg_u64 s[8:9], 0
	v_mbcnt_lo_u32_b32 v35, -1, 0
	s_cselect_b32 s17, -1, 0
	s_sub_i32 s2, 0, s14
	s_mul_i32 s12, s12, s13
	v_lshlrev_b32_e32 v33, 4, v2
	s_lshl_b32 s12, s12, 1
	s_waitcnt_depctr 0xfff
	v_mul_f32_e32 v0, 0x4f7ffffe, v0
	s_delay_alu instid0(VALU_DEP_1) | instskip(NEXT) | instid1(VALU_DEP_1)
	v_cvt_u32_f32_e32 v0, v0
	v_mul_lo_u32 v1, s2, v0
	s_clause 0x1
	s_load_b64 s[2:3], s[0:1], 0x18
	s_load_b64 s[10:11], s[0:1], 0x30
	v_cmp_eq_u32_e64 s0, 63, v2
	s_mov_b32 s1, 0
	s_delay_alu instid0(VALU_DEP_2) | instskip(NEXT) | instid1(VALU_DEP_1)
	v_mul_hi_u32 v1, v0, v1
	v_add_nc_u32_e32 v34, v0, v1
	s_branch .LBB26_8
.LBB26_6:                               ;   in Loop: Header=BB26_8 Depth=1
	s_waitcnt lgkmcnt(0)
	v_add_f32_e32 v2, v2, v3
	s_waitcnt vmcnt(1)
	v_cvt_f32_f16_e32 v3, v5
	v_add_f32_e32 v5, v0, v1
	v_lshlrev_b64 v[0:1], 1, v[24:25]
	s_waitcnt vmcnt(0)
	v_cvt_f32_f16_e32 v4, v4
	v_add_f32_e32 v6, v2, v3
	v_lshlrev_b64 v[2:3], 1, v[27:28]
	s_delay_alu instid0(VALU_DEP_3) | instskip(SKIP_2) | instid1(VALU_DEP_4)
	v_add_f32_e32 v4, v5, v4
	v_add_co_u32 v0, vcc_lo, s10, v0
	v_add_co_ci_u32_e32 v1, vcc_lo, s11, v1, vcc_lo
	v_add_co_u32 v2, vcc_lo, s10, v2
	v_cvt_f16_f32_e32 v5, v6
	v_cvt_f16_f32_e32 v4, v4
	v_add_co_ci_u32_e32 v3, vcc_lo, s11, v3, vcc_lo
	s_clause 0x1
	global_store_b16 v[0:1], v5, off
	global_store_b16 v[2:3], v4, off
.LBB26_7:                               ;   in Loop: Header=BB26_8 Depth=1
	s_or_b32 exec_lo, exec_lo, s13
	v_add_nc_u32_e32 v24, s12, v24
	s_delay_alu instid0(VALU_DEP_1) | instskip(SKIP_1) | instid1(SALU_CYCLE_1)
	v_cmp_le_u32_e32 vcc_lo, s7, v24
	s_or_b32 s1, vcc_lo, s1
	s_and_not1_b32 exec_lo, exec_lo, s1
	s_cbranch_execz .LBB26_20
.LBB26_8:                               ; =>This Loop Header: Depth=1
                                        ;     Child Loop BB26_12 Depth 2
	v_or_b32_e32 v27, 1, v24
	v_mov_b32_e32 v37, v26
	v_mov_b32_e32 v36, v26
	s_and_not1_b32 vcc_lo, exec_lo, s6
	s_cbranch_vccnz .LBB26_15
; %bb.9:                                ;   in Loop: Header=BB26_8 Depth=1
	v_min_u32_e32 v0, s16, v24
	s_waitcnt lgkmcnt(0)
	v_min_u32_e32 v1, s16, v27
	v_dual_mov_b32 v38, v33 :: v_dual_mov_b32 v37, 0
	s_mov_b32 s13, 0
	v_mul_lo_u32 v25, v0, s5
	s_delay_alu instid0(VALU_DEP_3) | instskip(SKIP_1) | instid1(VALU_DEP_3)
	v_mul_lo_u32 v0, v1, s5
	v_dual_mov_b32 v1, v26 :: v_dual_mov_b32 v36, 0
	v_lshlrev_b64 v[28:29], 1, v[25:26]
	s_delay_alu instid0(VALU_DEP_2)
	v_lshlrev_b64 v[30:31], 1, v[0:1]
	s_branch .LBB26_12
.LBB26_10:                              ;   in Loop: Header=BB26_12 Depth=2
	s_or_b32 exec_lo, exec_lo, s19
.LBB26_11:                              ;   in Loop: Header=BB26_12 Depth=2
	s_delay_alu instid0(SALU_CYCLE_1)
	s_or_b32 exec_lo, exec_lo, s18
	s_waitcnt vmcnt(3) lgkmcnt(0)
	;;#ASMSTART
	v_dot2_f32_f16 v36, v16, v20, v36
	;;#ASMEND
	s_waitcnt vmcnt(2)
	;;#ASMSTART
	v_dot2_f32_f16 v37, v16, v12, v37
	;;#ASMEND
	;;#ASMSTART
	v_dot2_f32_f16 v36, v17, v21, v36
	;;#ASMEND
	;; [unrolled: 3-line block ×5, first 2 shown]
	v_add_nc_u32_e32 v38, 0x800, v38
	;;#ASMSTART
	v_dot2_f32_f16 v36, v19, v23, v36
	;;#ASMEND
	;;#ASMSTART
	v_dot2_f32_f16 v37, v19, v15, v37
	;;#ASMEND
	s_addk_i32 s13, 0x400
	s_waitcnt vmcnt(1)
	;;#ASMSTART
	v_dot2_f32_f16 v36, v4, v8, v36
	;;#ASMEND
	s_waitcnt vmcnt(0)
	;;#ASMSTART
	v_dot2_f32_f16 v37, v4, v0, v37
	;;#ASMEND
	;;#ASMSTART
	v_dot2_f32_f16 v36, v5, v9, v36
	;;#ASMEND
	;; [unrolled: 3-line block ×3, first 2 shown]
	s_cmp_ge_u32 s13, s4
	;;#ASMSTART
	v_dot2_f32_f16 v36, v6, v10, v36
	;;#ASMEND
	;;#ASMSTART
	v_dot2_f32_f16 v37, v6, v2, v37
	;;#ASMEND
	;; [unrolled: 3-line block ×4, first 2 shown]
	s_cbranch_scc1 .LBB26_15
.LBB26_12:                              ;   Parent Loop BB26_8 Depth=1
                                        ; =>  This Inner Loop Header: Depth=2
	v_dual_mov_b32 v19, 0 :: v_dual_add_nc_u32 v16, s13, v32
	v_dual_mov_b32 v17, 0 :: v_dual_mov_b32 v18, 0
	s_delay_alu instid0(VALU_DEP_2) | instskip(SKIP_1) | instid1(VALU_DEP_2)
	v_min_u32_e32 v25, s15, v16
	v_add_nc_u32_e32 v39, 0x200, v16
	v_lshlrev_b64 v[0:1], 1, v[25:26]
	s_delay_alu instid0(VALU_DEP_2) | instskip(SKIP_1) | instid1(VALU_DEP_2)
	v_min_u32_e32 v25, s15, v39
	s_waitcnt lgkmcnt(0)
	v_add_co_u32 v4, vcc_lo, s2, v0
	s_delay_alu instid0(VALU_DEP_3) | instskip(NEXT) | instid1(VALU_DEP_3)
	v_add_co_ci_u32_e32 v5, vcc_lo, s3, v1, vcc_lo
	v_lshlrev_b64 v[0:1], 1, v[25:26]
	s_delay_alu instid0(VALU_DEP_3) | instskip(NEXT) | instid1(VALU_DEP_3)
	v_add_co_u32 v2, vcc_lo, v4, v28
	v_add_co_ci_u32_e32 v3, vcc_lo, v5, v29, vcc_lo
	s_delay_alu instid0(VALU_DEP_3) | instskip(NEXT) | instid1(VALU_DEP_4)
	v_add_co_u32 v6, vcc_lo, s2, v0
	v_add_co_ci_u32_e32 v7, vcc_lo, s3, v1, vcc_lo
	v_add_co_u32 v0, vcc_lo, v4, v30
	v_add_co_ci_u32_e32 v1, vcc_lo, v5, v31, vcc_lo
	s_delay_alu instid0(VALU_DEP_4) | instskip(NEXT) | instid1(VALU_DEP_4)
	v_add_co_u32 v4, vcc_lo, v6, v28
	v_add_co_ci_u32_e32 v5, vcc_lo, v7, v29, vcc_lo
	v_add_co_u32 v6, vcc_lo, v6, v30
	v_add_co_ci_u32_e32 v7, vcc_lo, v7, v31, vcc_lo
	s_clause 0x3
	global_load_b128 v[20:23], v[2:3], off slc dlc
	global_load_b128 v[12:15], v[0:1], off slc dlc
	;; [unrolled: 1-line block ×4, first 2 shown]
	v_cmp_gt_u32_e32 vcc_lo, s4, v16
	v_dual_mov_b32 v4, 0 :: v_dual_mov_b32 v5, 0
	v_dual_mov_b32 v6, 0 :: v_dual_mov_b32 v7, 0
	v_mov_b32_e32 v16, 0
	s_and_saveexec_b32 s18, vcc_lo
	s_cbranch_execz .LBB26_11
; %bb.13:                               ;   in Loop: Header=BB26_12 Depth=2
	ds_load_b128 v[16:19], v38
	v_dual_mov_b32 v7, 0 :: v_dual_mov_b32 v6, 0
	v_dual_mov_b32 v5, 0 :: v_dual_mov_b32 v4, 0
	s_mov_b32 s19, exec_lo
	v_cmpx_gt_u32_e64 s4, v39
	s_cbranch_execz .LBB26_10
; %bb.14:                               ;   in Loop: Header=BB26_12 Depth=2
	ds_load_b128 v[4:7], v38 offset:1024
	s_branch .LBB26_10
.LBB26_15:                              ;   in Loop: Header=BB26_8 Depth=1
	; sched_barrier mask(0x00000000)
	s_delay_alu instid0(VALU_DEP_1) | instskip(SKIP_2) | instid1(VALU_DEP_2)
	v_cvt_i32_f32_e32 v0, v36
	s_waitcnt lgkmcnt(0)
	v_cvt_i32_f32_e32 v1, v37
	v_cvt_f32_i32_dpp v0, v0 row_shr:8 row_mask:0xf bank_mask:0xf bound_ctrl:1
	s_delay_alu instid0(VALU_DEP_2) | instskip(NEXT) | instid1(VALU_DEP_1)
	v_cvt_f32_i32_dpp v1, v1 row_shr:8 row_mask:0xf bank_mask:0xf bound_ctrl:1
	v_dual_add_f32 v0, v36, v0 :: v_dual_add_f32 v1, v37, v1
	s_delay_alu instid0(VALU_DEP_1) | instskip(NEXT) | instid1(VALU_DEP_2)
	v_cvt_i32_f32_e32 v2, v0
	v_cvt_i32_f32_e32 v3, v1
	s_delay_alu instid0(VALU_DEP_2) | instskip(NEXT) | instid1(VALU_DEP_2)
	v_cvt_f32_i32_dpp v2, v2 row_shr:4 row_mask:0xf bank_mask:0xf bound_ctrl:1
	v_cvt_f32_i32_dpp v3, v3 row_shr:4 row_mask:0xf bank_mask:0xf bound_ctrl:1
	s_delay_alu instid0(VALU_DEP_1) | instskip(NEXT) | instid1(VALU_DEP_1)
	v_dual_add_f32 v0, v0, v2 :: v_dual_add_f32 v1, v1, v3
	v_cvt_i32_f32_e32 v2, v0
	s_delay_alu instid0(VALU_DEP_2) | instskip(NEXT) | instid1(VALU_DEP_2)
	v_cvt_i32_f32_e32 v3, v1
	v_cvt_f32_i32_dpp v2, v2 row_shr:2 row_mask:0xf bank_mask:0xf bound_ctrl:1
	s_delay_alu instid0(VALU_DEP_2) | instskip(NEXT) | instid1(VALU_DEP_1)
	v_cvt_f32_i32_dpp v3, v3 row_shr:2 row_mask:0xf bank_mask:0xf bound_ctrl:1
	v_dual_add_f32 v0, v0, v2 :: v_dual_add_f32 v1, v1, v3
	v_xor_b32_e32 v2, 16, v35
	s_delay_alu instid0(VALU_DEP_2) | instskip(NEXT) | instid1(VALU_DEP_3)
	v_cvt_i32_f32_e32 v3, v0
	v_cvt_i32_f32_e32 v4, v1
	s_delay_alu instid0(VALU_DEP_3) | instskip(NEXT) | instid1(VALU_DEP_3)
	v_cmp_gt_i32_e32 vcc_lo, 32, v2
	v_cvt_f32_i32_dpp v3, v3 row_shr:1 row_mask:0xf bank_mask:0xf bound_ctrl:1
	s_delay_alu instid0(VALU_DEP_3) | instskip(SKIP_1) | instid1(VALU_DEP_1)
	v_cvt_f32_i32_dpp v4, v4 row_shr:1 row_mask:0xf bank_mask:0xf bound_ctrl:1
	v_cndmask_b32_e32 v2, v35, v2, vcc_lo
	v_dual_add_f32 v2, v0, v3 :: v_dual_lshlrev_b32 v5, 2, v2
	s_delay_alu instid0(VALU_DEP_3)
	v_add_f32_e32 v0, v1, v4
	ds_bpermute_b32 v3, v5, v2
	ds_bpermute_b32 v1, v5, v0
	s_and_saveexec_b32 s13, s0
	s_cbranch_execz .LBB26_7
; %bb.16:                               ;   in Loop: Header=BB26_8 Depth=1
	s_and_b32 vcc_lo, exec_lo, s17
	s_cbranch_vccz .LBB26_18
; %bb.17:                               ;   in Loop: Header=BB26_8 Depth=1
	v_mul_hi_u32 v4, v24, v34
	v_mul_hi_u32 v5, v27, v34
	v_mov_b32_e32 v28, v26
	s_delay_alu instid0(VALU_DEP_3) | instskip(NEXT) | instid1(VALU_DEP_3)
	v_mul_lo_u32 v4, v4, s14
	v_mul_lo_u32 v5, v5, s14
	s_delay_alu instid0(VALU_DEP_2) | instskip(NEXT) | instid1(VALU_DEP_2)
	v_sub_nc_u32_e32 v4, v24, v4
	v_sub_nc_u32_e32 v5, v27, v5
	s_delay_alu instid0(VALU_DEP_2) | instskip(SKIP_1) | instid1(VALU_DEP_2)
	v_subrev_nc_u32_e32 v6, s14, v4
	v_cmp_le_u32_e32 vcc_lo, s14, v4
	v_cndmask_b32_e32 v4, v4, v6, vcc_lo
	s_delay_alu instid0(VALU_DEP_4) | instskip(SKIP_1) | instid1(VALU_DEP_3)
	v_subrev_nc_u32_e32 v6, s14, v5
	v_cmp_le_u32_e32 vcc_lo, s14, v5
	v_subrev_nc_u32_e32 v7, s14, v4
	s_delay_alu instid0(VALU_DEP_3) | instskip(SKIP_1) | instid1(VALU_DEP_3)
	v_cndmask_b32_e32 v6, v5, v6, vcc_lo
	v_cmp_le_u32_e32 vcc_lo, s14, v4
	v_cndmask_b32_e32 v25, v4, v7, vcc_lo
	s_delay_alu instid0(VALU_DEP_3) | instskip(SKIP_1) | instid1(VALU_DEP_3)
	v_subrev_nc_u32_e32 v7, s14, v6
	v_cmp_le_u32_e32 vcc_lo, s14, v6
	v_lshlrev_b64 v[4:5], 1, v[25:26]
	s_delay_alu instid0(VALU_DEP_3) | instskip(NEXT) | instid1(VALU_DEP_2)
	v_cndmask_b32_e32 v25, v6, v7, vcc_lo
	v_add_co_u32 v4, vcc_lo, s8, v4
	s_delay_alu instid0(VALU_DEP_2) | instskip(NEXT) | instid1(VALU_DEP_4)
	v_lshlrev_b64 v[6:7], 1, v[25:26]
	v_add_co_ci_u32_e32 v5, vcc_lo, s9, v5, vcc_lo
	v_mov_b32_e32 v25, v26
	s_delay_alu instid0(VALU_DEP_3) | instskip(NEXT) | instid1(VALU_DEP_4)
	v_add_co_u32 v6, vcc_lo, s8, v6
	v_add_co_ci_u32_e32 v7, vcc_lo, s9, v7, vcc_lo
	s_clause 0x1
	global_load_u16 v5, v[4:5], off
	global_load_u16 v4, v[6:7], off
	s_cbranch_execnz .LBB26_6
	s_branch .LBB26_19
.LBB26_18:                              ;   in Loop: Header=BB26_8 Depth=1
                                        ; implicit-def: $vgpr5
                                        ; implicit-def: $vgpr4
.LBB26_19:                              ;   in Loop: Header=BB26_8 Depth=1
	s_waitcnt vmcnt(0)
	v_dual_mov_b32 v25, v26 :: v_dual_mov_b32 v4, 0
	v_dual_mov_b32 v28, v26 :: v_dual_mov_b32 v5, 0
	s_branch .LBB26_6
.LBB26_20:
	s_nop 0
	s_sendmsg sendmsg(MSG_DEALLOC_VGPRS)
	s_endpgm
	.section	.rodata,"a",@progbits
	.p2align	6, 0x0
	.amdhsa_kernel _Z16wvSplitK_hf_sml_I6__halfLi64ELi2ELi16ELi8ELi2ELi1EEviiiiiiPKT_S3_S3_PS1_ii
		.amdhsa_group_segment_fixed_size 65536
		.amdhsa_private_segment_fixed_size 0
		.amdhsa_kernarg_size 64
		.amdhsa_user_sgpr_count 15
		.amdhsa_user_sgpr_dispatch_ptr 0
		.amdhsa_user_sgpr_queue_ptr 0
		.amdhsa_user_sgpr_kernarg_segment_ptr 1
		.amdhsa_user_sgpr_dispatch_id 0
		.amdhsa_user_sgpr_private_segment_size 0
		.amdhsa_wavefront_size32 1
		.amdhsa_uses_dynamic_stack 0
		.amdhsa_enable_private_segment 0
		.amdhsa_system_sgpr_workgroup_id_x 1
		.amdhsa_system_sgpr_workgroup_id_y 0
		.amdhsa_system_sgpr_workgroup_id_z 0
		.amdhsa_system_sgpr_workgroup_info 0
		.amdhsa_system_vgpr_workitem_id 1
		.amdhsa_next_free_vgpr 40
		.amdhsa_next_free_sgpr 20
		.amdhsa_reserve_vcc 1
		.amdhsa_float_round_mode_32 0
		.amdhsa_float_round_mode_16_64 0
		.amdhsa_float_denorm_mode_32 3
		.amdhsa_float_denorm_mode_16_64 3
		.amdhsa_dx10_clamp 1
		.amdhsa_ieee_mode 1
		.amdhsa_fp16_overflow 0
		.amdhsa_workgroup_processor_mode 1
		.amdhsa_memory_ordered 1
		.amdhsa_forward_progress 0
		.amdhsa_shared_vgpr_count 0
		.amdhsa_exception_fp_ieee_invalid_op 0
		.amdhsa_exception_fp_denorm_src 0
		.amdhsa_exception_fp_ieee_div_zero 0
		.amdhsa_exception_fp_ieee_overflow 0
		.amdhsa_exception_fp_ieee_underflow 0
		.amdhsa_exception_fp_ieee_inexact 0
		.amdhsa_exception_int_div_zero 0
	.end_amdhsa_kernel
	.section	.text._Z16wvSplitK_hf_sml_I6__halfLi64ELi2ELi16ELi8ELi2ELi1EEviiiiiiPKT_S3_S3_PS1_ii,"axG",@progbits,_Z16wvSplitK_hf_sml_I6__halfLi64ELi2ELi16ELi8ELi2ELi1EEviiiiiiPKT_S3_S3_PS1_ii,comdat
.Lfunc_end26:
	.size	_Z16wvSplitK_hf_sml_I6__halfLi64ELi2ELi16ELi8ELi2ELi1EEviiiiiiPKT_S3_S3_PS1_ii, .Lfunc_end26-_Z16wvSplitK_hf_sml_I6__halfLi64ELi2ELi16ELi8ELi2ELi1EEviiiiiiPKT_S3_S3_PS1_ii
                                        ; -- End function
	.section	.AMDGPU.csdata,"",@progbits
; Kernel info:
; codeLenInByte = 1772
; NumSgprs: 22
; NumVgprs: 40
; ScratchSize: 0
; MemoryBound: 0
; FloatMode: 240
; IeeeMode: 1
; LDSByteSize: 65536 bytes/workgroup (compile time only)
; SGPRBlocks: 2
; VGPRBlocks: 4
; NumSGPRsForWavesPerEU: 22
; NumVGPRsForWavesPerEU: 40
; Occupancy: 16
; WaveLimiterHint : 0
; COMPUTE_PGM_RSRC2:SCRATCH_EN: 0
; COMPUTE_PGM_RSRC2:USER_SGPR: 15
; COMPUTE_PGM_RSRC2:TRAP_HANDLER: 0
; COMPUTE_PGM_RSRC2:TGID_X_EN: 1
; COMPUTE_PGM_RSRC2:TGID_Y_EN: 0
; COMPUTE_PGM_RSRC2:TGID_Z_EN: 0
; COMPUTE_PGM_RSRC2:TIDIG_COMP_CNT: 1
	.section	.text._Z12wvSplitK_hf_I6__halfLi64ELi2ELi16ELi8ELi2ELi1EEviiiiiiPKT_S3_S3_PS1_ii,"axG",@progbits,_Z12wvSplitK_hf_I6__halfLi64ELi2ELi16ELi8ELi2ELi1EEviiiiiiPKT_S3_S3_PS1_ii,comdat
	.protected	_Z12wvSplitK_hf_I6__halfLi64ELi2ELi16ELi8ELi2ELi1EEviiiiiiPKT_S3_S3_PS1_ii ; -- Begin function _Z12wvSplitK_hf_I6__halfLi64ELi2ELi16ELi8ELi2ELi1EEviiiiiiPKT_S3_S3_PS1_ii
	.globl	_Z12wvSplitK_hf_I6__halfLi64ELi2ELi16ELi8ELi2ELi1EEviiiiiiPKT_S3_S3_PS1_ii
	.p2align	8
	.type	_Z12wvSplitK_hf_I6__halfLi64ELi2ELi16ELi8ELi2ELi1EEviiiiiiPKT_S3_S3_PS1_ii,@function
_Z12wvSplitK_hf_I6__halfLi64ELi2ELi16ELi8ELi2ELi1EEviiiiiiPKT_S3_S3_PS1_ii: ; @_Z12wvSplitK_hf_I6__halfLi64ELi2ELi16ELi8ELi2ELi1EEviiiiiiPKT_S3_S3_PS1_ii
; %bb.0:
	s_clause 0x1
	s_load_b64 s[16:17], s[0:1], 0x38
	s_load_b128 s[4:7], s[0:1], 0x0
	v_bfe_u32 v2, v0, 10, 10
	s_clause 0x1
	s_load_b64 s[8:9], s[0:1], 0x20
	s_load_b32 s18, s[0:1], 0x10
	s_mov_b32 s10, 1
	s_delay_alu instid0(SALU_CYCLE_1) | instskip(NEXT) | instid1(SALU_CYCLE_1)
	s_mov_b32 s11, s10
	v_dual_mov_b32 v25, s11 :: v_dual_mov_b32 v24, s10
	s_waitcnt lgkmcnt(0)
	s_mul_i32 s15, s15, s16
	s_delay_alu instid0(SALU_CYCLE_1) | instskip(NEXT) | instid1(VALU_DEP_1)
	v_add_lshl_u32 v26, s15, v2, 1
	v_add_nc_u32_e32 v1, 2, v26
	v_cmp_gt_u32_e32 vcc_lo, s7, v26
	s_delay_alu instid0(VALU_DEP_2) | instskip(NEXT) | instid1(VALU_DEP_1)
	v_cmp_le_u32_e64 s2, s7, v1
	s_and_b32 s2, vcc_lo, s2
	s_delay_alu instid0(SALU_CYCLE_1)
	s_and_saveexec_b32 s12, s2
	s_cbranch_execz .LBB27_6
; %bb.1:
	v_dual_mov_b32 v25, s11 :: v_dual_mov_b32 v24, s10
	s_add_i32 s13, s7, -2
	s_mov_b32 s14, exec_lo
	v_cmpx_ne_u32_e64 s13, v26
	s_cbranch_execz .LBB27_5
; %bb.2:
	v_subrev_nc_u32_e32 v1, s13, v26
	s_mov_b32 s2, 1
	s_mov_b32 s15, 0
	s_mov_b64 s[10:11], 0
	s_mov_b32 s3, s2
	v_cmp_lt_u32_e32 vcc_lo, 1, v1
	v_cndmask_b32_e32 v1, 1, v1, vcc_lo
.LBB27_3:                               ; =>This Inner Loop Header: Depth=1
	s_cmp_lg_u32 s10, 1
	s_cselect_b32 s3, s3, 0
	s_cmp_lg_u32 s10, 0
	s_cselect_b32 s2, s2, 0
	s_add_u32 s10, s10, 1
	v_dual_mov_b32 v25, s3 :: v_dual_mov_b32 v24, s2
	v_cmp_eq_u32_e32 vcc_lo, s10, v1
	s_addc_u32 s11, s11, 0
	s_or_b32 s15, vcc_lo, s15
	s_delay_alu instid0(SALU_CYCLE_1)
	s_and_not1_b32 exec_lo, exec_lo, s15
	s_cbranch_execnz .LBB27_3
; %bb.4:
	s_or_b32 exec_lo, exec_lo, s15
	v_mov_b32_e32 v26, s13
.LBB27_5:
	s_or_b32 exec_lo, exec_lo, s14
.LBB27_6:
	s_delay_alu instid0(SALU_CYCLE_1) | instskip(SKIP_4) | instid1(VALU_DEP_1)
	s_or_b32 exec_lo, exec_lo, s12
	s_load_b64 s[10:11], s[0:1], 0x28
	v_and_b32_e32 v3, 0x3ff, v0
	s_min_u32 s3, s6, 0x8000
	s_mov_b32 s6, exec_lo
	v_lshlrev_b32_e32 v37, 3, v3
	s_delay_alu instid0(VALU_DEP_1) | instskip(NEXT) | instid1(VALU_DEP_1)
	v_lshl_add_u32 v4, v2, 9, v37
	v_cmpx_gt_u32_e64 s3, v4
	s_cbranch_execz .LBB27_9
; %bb.7:
	v_lshlrev_b32_e32 v5, 10, v2
	v_lshlrev_b32_e32 v6, 4, v3
	s_mov_b32 s12, 0
	s_delay_alu instid0(VALU_DEP_1) | instskip(NEXT) | instid1(VALU_DEP_1)
	v_add_co_u32 v0, s2, v5, v6
	v_add_co_ci_u32_e64 v1, null, 0, 0, s2
	v_add_nc_u32_e32 v5, v5, v6
	s_delay_alu instid0(VALU_DEP_3) | instskip(NEXT) | instid1(VALU_DEP_3)
	v_add_co_u32 v0, vcc_lo, s8, v0
	v_add_co_ci_u32_e32 v1, vcc_lo, s9, v1, vcc_lo
	.p2align	6
.LBB27_8:                               ; =>This Inner Loop Header: Depth=1
	global_load_b128 v[6:9], v[0:1], off
	v_add_nc_u32_e32 v4, 0x2000, v4
	v_add_co_u32 v0, vcc_lo, 0x4000, v0
	v_add_co_ci_u32_e32 v1, vcc_lo, 0, v1, vcc_lo
	s_delay_alu instid0(VALU_DEP_3) | instskip(NEXT) | instid1(VALU_DEP_1)
	v_cmp_le_u32_e64 s2, s3, v4
	s_or_b32 s12, s2, s12
	s_waitcnt vmcnt(0)
	ds_store_b128 v5, v[6:9]
	v_add_nc_u32_e32 v5, 0x4000, v5
	s_and_not1_b32 exec_lo, exec_lo, s12
	s_cbranch_execnz .LBB27_8
.LBB27_9:
	s_or_b32 exec_lo, exec_lo, s6
	v_cmp_gt_u32_e32 vcc_lo, s16, v2
	v_cmp_gt_u32_e64 s2, s7, v26
	s_waitcnt lgkmcnt(0)
	s_barrier
	buffer_gl0_inv
	s_and_b32 s2, vcc_lo, s2
	s_delay_alu instid0(SALU_CYCLE_1)
	s_and_saveexec_b32 s3, s2
	s_cbranch_execz .LBB27_40
; %bb.10:
	v_cvt_f32_u32_e32 v0, s18
	s_cmp_lg_u32 s4, 0
	s_clause 0x1
	s_load_b64 s[12:13], s[0:1], 0x18
	s_load_b64 s[14:15], s[0:1], 0x30
	s_cselect_b32 s3, -1, 0
	s_add_i32 s6, s4, -8
	v_rcp_iflag_f32_e32 v0, v0
	s_add_i32 s19, s7, -1
	s_cmp_lg_u64 s[10:11], 0
	v_cmp_eq_u32_e64 s0, 63, v3
	s_cselect_b32 s20, -1, 0
	s_sub_i32 s2, 0, s18
	v_lshlrev_b32_e32 v38, 4, v3
	v_mbcnt_lo_u32_b32 v40, -1, 0
	s_mul_i32 s1, s16, s17
	s_mov_b32 s21, 0
	s_waitcnt_depctr 0xfff
	v_mul_f32_e32 v0, 0x4f7ffffe, v0
	s_lshl_b32 s22, s1, 1
	s_add_i32 s23, s7, -2
	s_delay_alu instid0(VALU_DEP_1) | instskip(NEXT) | instid1(VALU_DEP_1)
	v_cvt_u32_f32_e32 v0, v0
	v_mul_lo_u32 v1, s2, v0
	s_delay_alu instid0(VALU_DEP_1) | instskip(NEXT) | instid1(VALU_DEP_1)
	v_mul_hi_u32 v1, v0, v1
	v_dual_mov_b32 v28, 0 :: v_dual_add_nc_u32 v39, v0, v1
	s_branch .LBB27_13
.LBB27_11:                              ;   in Loop: Header=BB27_13 Depth=1
	s_or_b32 exec_lo, exec_lo, s25
	v_mov_b32_e32 v26, s23
.LBB27_12:                              ;   in Loop: Header=BB27_13 Depth=1
	s_or_b32 exec_lo, exec_lo, s24
	s_delay_alu instid0(VALU_DEP_1) | instskip(SKIP_1) | instid1(SALU_CYCLE_1)
	v_cmp_le_u32_e32 vcc_lo, s7, v26
	s_or_b32 s21, vcc_lo, s21
	s_and_not1_b32 exec_lo, exec_lo, s21
	s_cbranch_execz .LBB27_40
.LBB27_13:                              ; =>This Loop Header: Depth=1
                                        ;     Child Loop BB27_18 Depth 2
                                        ;     Child Loop BB27_38 Depth 2
	s_delay_alu instid0(VALU_DEP_1)
	v_dual_mov_b32 v42, v28 :: v_dual_add_nc_u32 v29, 1, v26
	v_mov_b32_e32 v41, v28
	s_and_not1_b32 vcc_lo, exec_lo, s3
	s_cbranch_vccnz .LBB27_28
; %bb.14:                               ;   in Loop: Header=BB27_13 Depth=1
	v_min_u32_e32 v0, s19, v26
	s_waitcnt lgkmcnt(0)
	v_min_u32_e32 v1, s19, v29
	v_mov_b32_e32 v41, 0
	v_mov_b32_e32 v43, v38
	s_mov_b32 s1, 0
	v_mul_lo_u32 v27, v0, s5
	v_mul_lo_u32 v0, v1, s5
	v_dual_mov_b32 v1, v28 :: v_dual_mov_b32 v42, 0
	s_delay_alu instid0(VALU_DEP_3) | instskip(NEXT) | instid1(VALU_DEP_2)
	v_lshlrev_b64 v[30:31], 1, v[27:28]
	v_lshlrev_b64 v[32:33], 1, v[0:1]
	s_branch .LBB27_18
.LBB27_15:                              ;   in Loop: Header=BB27_18 Depth=2
	s_or_b32 exec_lo, exec_lo, s17
.LBB27_16:                              ;   in Loop: Header=BB27_18 Depth=2
	s_delay_alu instid0(SALU_CYCLE_1)
	s_or_b32 exec_lo, exec_lo, s16
.LBB27_17:                              ;   in Loop: Header=BB27_18 Depth=2
	s_delay_alu instid0(SALU_CYCLE_1)
	s_or_b32 exec_lo, exec_lo, s2
	s_waitcnt vmcnt(0) lgkmcnt(0)
	;;#ASMSTART
	v_dot2_f32_f16 v41, v16, v12, v41
	;;#ASMEND
	;;#ASMSTART
	v_dot2_f32_f16 v42, v16, v8, v42
	;;#ASMEND
	;; [unrolled: 3-line block ×6, first 2 shown]
	v_add_nc_u32_e32 v43, 0x800, v43
	;;#ASMSTART
	v_dot2_f32_f16 v41, v19, v15, v41
	;;#ASMEND
	;;#ASMSTART
	v_dot2_f32_f16 v42, v19, v11, v42
	;;#ASMEND
	s_addk_i32 s1, 0x400
	;;#ASMSTART
	v_dot2_f32_f16 v41, v20, v4, v41
	;;#ASMEND
	;;#ASMSTART
	v_dot2_f32_f16 v42, v20, v0, v42
	;;#ASMEND
	;; [unrolled: 3-line block ×4, first 2 shown]
	s_cmp_ge_u32 s1, s4
	;;#ASMSTART
	v_dot2_f32_f16 v41, v22, v6, v41
	;;#ASMEND
	;;#ASMSTART
	v_dot2_f32_f16 v42, v22, v2, v42
	;;#ASMEND
	;; [unrolled: 3-line block ×4, first 2 shown]
	s_cbranch_scc1 .LBB27_28
.LBB27_18:                              ;   Parent Loop BB27_13 Depth=1
                                        ; =>  This Inner Loop Header: Depth=2
	v_add_nc_u32_e32 v35, s1, v37
	v_dual_mov_b32 v23, 0 :: v_dual_mov_b32 v22, 0
	v_dual_mov_b32 v21, 0 :: v_dual_mov_b32 v20, 0
	s_delay_alu instid0(VALU_DEP_3) | instskip(SKIP_3) | instid1(VALU_DEP_3)
	v_min_u32_e32 v27, s6, v35
	v_dual_mov_b32 v19, 0 :: v_dual_add_nc_u32 v34, 0x200, v35
	v_mov_b32_e32 v18, 0
	s_mov_b32 s2, exec_lo
	v_lshlrev_b64 v[0:1], 1, v[27:28]
	s_delay_alu instid0(VALU_DEP_3) | instskip(SKIP_1) | instid1(VALU_DEP_2)
	v_min_u32_e32 v27, s6, v34
	s_waitcnt vmcnt(0) lgkmcnt(0)
	v_add_co_u32 v4, vcc_lo, s12, v0
	s_delay_alu instid0(VALU_DEP_3) | instskip(NEXT) | instid1(VALU_DEP_3)
	v_add_co_ci_u32_e32 v5, vcc_lo, s13, v1, vcc_lo
	v_lshlrev_b64 v[0:1], 1, v[27:28]
	s_delay_alu instid0(VALU_DEP_3) | instskip(NEXT) | instid1(VALU_DEP_3)
	v_add_co_u32 v2, vcc_lo, v4, v30
	v_add_co_ci_u32_e32 v3, vcc_lo, v5, v31, vcc_lo
	s_delay_alu instid0(VALU_DEP_3) | instskip(NEXT) | instid1(VALU_DEP_4)
	v_add_co_u32 v6, vcc_lo, s12, v0
	v_add_co_ci_u32_e32 v7, vcc_lo, s13, v1, vcc_lo
	v_add_co_u32 v0, vcc_lo, v4, v32
	v_add_co_ci_u32_e32 v1, vcc_lo, v5, v33, vcc_lo
	s_delay_alu instid0(VALU_DEP_4) | instskip(NEXT) | instid1(VALU_DEP_4)
	v_add_co_u32 v4, vcc_lo, v6, v30
	v_add_co_ci_u32_e32 v5, vcc_lo, v7, v31, vcc_lo
	v_add_co_u32 v16, vcc_lo, v6, v32
	v_add_co_ci_u32_e32 v17, vcc_lo, v7, v33, vcc_lo
	s_clause 0x3
	global_load_b128 v[12:15], v[2:3], off slc dlc
	global_load_b128 v[8:11], v[0:1], off slc dlc
	;; [unrolled: 1-line block ×4, first 2 shown]
	v_dual_mov_b32 v16, 0 :: v_dual_mov_b32 v17, 0
	v_cmpx_gt_u32_e64 s4, v35
	s_cbranch_execz .LBB27_17
; %bb.19:                               ;   in Loop: Header=BB27_18 Depth=2
	s_mov_b32 s16, exec_lo
                                        ; implicit-def: $vgpr16
	v_cmpx_lt_u32_e32 0x7fff, v35
	s_xor_b32 s16, exec_lo, s16
	s_cbranch_execz .LBB27_21
; %bb.20:                               ;   in Loop: Header=BB27_18 Depth=2
	v_mov_b32_e32 v36, v28
	s_delay_alu instid0(VALU_DEP_1) | instskip(NEXT) | instid1(VALU_DEP_1)
	v_lshlrev_b64 v[16:17], 1, v[35:36]
	v_add_co_u32 v16, vcc_lo, s8, v16
	s_delay_alu instid0(VALU_DEP_2)
	v_add_co_ci_u32_e32 v17, vcc_lo, s9, v17, vcc_lo
	global_load_b128 v[16:19], v[16:17], off
.LBB27_21:                              ;   in Loop: Header=BB27_18 Depth=2
	s_and_not1_saveexec_b32 s16, s16
	s_cbranch_execz .LBB27_23
; %bb.22:                               ;   in Loop: Header=BB27_18 Depth=2
	s_waitcnt vmcnt(0)
	ds_load_b128 v[16:19], v43
.LBB27_23:                              ;   in Loop: Header=BB27_18 Depth=2
	s_or_b32 exec_lo, exec_lo, s16
	v_dual_mov_b32 v23, 0 :: v_dual_mov_b32 v22, 0
	v_dual_mov_b32 v21, 0 :: v_dual_mov_b32 v20, 0
	s_mov_b32 s16, exec_lo
	v_cmpx_gt_u32_e64 s4, v34
	s_cbranch_execz .LBB27_16
; %bb.24:                               ;   in Loop: Header=BB27_18 Depth=2
	s_mov_b32 s17, exec_lo
                                        ; implicit-def: $vgpr23
	v_cmpx_lt_u32_e32 0x7fff, v34
	s_xor_b32 s17, exec_lo, s17
	s_cbranch_execz .LBB27_26
; %bb.25:                               ;   in Loop: Header=BB27_18 Depth=2
	v_mov_b32_e32 v35, v28
	s_delay_alu instid0(VALU_DEP_1) | instskip(NEXT) | instid1(VALU_DEP_1)
	v_lshlrev_b64 v[20:21], 1, v[34:35]
	v_add_co_u32 v20, vcc_lo, s8, v20
	s_delay_alu instid0(VALU_DEP_2)
	v_add_co_ci_u32_e32 v21, vcc_lo, s9, v21, vcc_lo
	global_load_b128 v[20:23], v[20:21], off
.LBB27_26:                              ;   in Loop: Header=BB27_18 Depth=2
	s_and_not1_saveexec_b32 s17, s17
	s_cbranch_execz .LBB27_15
; %bb.27:                               ;   in Loop: Header=BB27_18 Depth=2
	s_waitcnt vmcnt(0)
	ds_load_b128 v[20:23], v43 offset:1024
	s_branch .LBB27_15
.LBB27_28:                              ;   in Loop: Header=BB27_13 Depth=1
	s_delay_alu instid0(VALU_DEP_1) | instskip(SKIP_2) | instid1(VALU_DEP_2)
	v_cvt_i32_f32_e32 v0, v41
	s_waitcnt lgkmcnt(0)
	v_cvt_i32_f32_e32 v1, v42
	v_cvt_f32_i32_dpp v0, v0 row_shr:8 row_mask:0xf bank_mask:0xf bound_ctrl:1
	s_delay_alu instid0(VALU_DEP_2) | instskip(NEXT) | instid1(VALU_DEP_1)
	v_cvt_f32_i32_dpp v1, v1 row_shr:8 row_mask:0xf bank_mask:0xf bound_ctrl:1
	v_dual_add_f32 v0, v41, v0 :: v_dual_add_f32 v1, v42, v1
	s_delay_alu instid0(VALU_DEP_1) | instskip(NEXT) | instid1(VALU_DEP_2)
	v_cvt_i32_f32_e32 v2, v0
	v_cvt_i32_f32_e32 v3, v1
	s_delay_alu instid0(VALU_DEP_2) | instskip(NEXT) | instid1(VALU_DEP_2)
	v_cvt_f32_i32_dpp v2, v2 row_shr:4 row_mask:0xf bank_mask:0xf bound_ctrl:1
	v_cvt_f32_i32_dpp v3, v3 row_shr:4 row_mask:0xf bank_mask:0xf bound_ctrl:1
	s_delay_alu instid0(VALU_DEP_1) | instskip(NEXT) | instid1(VALU_DEP_1)
	v_dual_add_f32 v0, v0, v2 :: v_dual_add_f32 v1, v1, v3
	v_cvt_i32_f32_e32 v2, v0
	s_delay_alu instid0(VALU_DEP_2) | instskip(NEXT) | instid1(VALU_DEP_2)
	v_cvt_i32_f32_e32 v3, v1
	v_cvt_f32_i32_dpp v2, v2 row_shr:2 row_mask:0xf bank_mask:0xf bound_ctrl:1
	s_delay_alu instid0(VALU_DEP_2) | instskip(NEXT) | instid1(VALU_DEP_1)
	v_cvt_f32_i32_dpp v3, v3 row_shr:2 row_mask:0xf bank_mask:0xf bound_ctrl:1
	v_dual_add_f32 v0, v0, v2 :: v_dual_add_f32 v1, v1, v3
	v_xor_b32_e32 v2, 16, v40
	s_delay_alu instid0(VALU_DEP_2) | instskip(SKIP_1) | instid1(VALU_DEP_3)
	v_cvt_i32_f32_e32 v3, v0
	s_waitcnt vmcnt(0)
	v_cvt_i32_f32_e32 v4, v1
	s_delay_alu instid0(VALU_DEP_3) | instskip(NEXT) | instid1(VALU_DEP_3)
	v_cmp_gt_i32_e32 vcc_lo, 32, v2
	v_cvt_f32_i32_dpp v3, v3 row_shr:1 row_mask:0xf bank_mask:0xf bound_ctrl:1
	s_delay_alu instid0(VALU_DEP_3) | instskip(SKIP_1) | instid1(VALU_DEP_1)
	v_cvt_f32_i32_dpp v4, v4 row_shr:1 row_mask:0xf bank_mask:0xf bound_ctrl:1
	v_cndmask_b32_e32 v2, v40, v2, vcc_lo
	v_dual_add_f32 v2, v0, v3 :: v_dual_lshlrev_b32 v5, 2, v2
	s_delay_alu instid0(VALU_DEP_3)
	v_add_f32_e32 v0, v1, v4
	ds_bpermute_b32 v3, v5, v2
	ds_bpermute_b32 v1, v5, v0
	s_and_saveexec_b32 s1, s0
	s_cbranch_execz .LBB27_35
; %bb.29:                               ;   in Loop: Header=BB27_13 Depth=1
	v_dual_mov_b32 v4, 0 :: v_dual_mov_b32 v5, 0
	s_and_not1_b32 vcc_lo, exec_lo, s20
	s_cbranch_vccnz .LBB27_31
; %bb.30:                               ;   in Loop: Header=BB27_13 Depth=1
	v_mul_hi_u32 v4, v26, v39
	v_mul_hi_u32 v5, v29, v39
	s_delay_alu instid0(VALU_DEP_2) | instskip(NEXT) | instid1(VALU_DEP_2)
	v_mul_lo_u32 v4, v4, s18
	v_mul_lo_u32 v5, v5, s18
	s_delay_alu instid0(VALU_DEP_2) | instskip(NEXT) | instid1(VALU_DEP_2)
	v_sub_nc_u32_e32 v4, v26, v4
	v_sub_nc_u32_e32 v5, v29, v5
	s_delay_alu instid0(VALU_DEP_2) | instskip(SKIP_1) | instid1(VALU_DEP_2)
	v_subrev_nc_u32_e32 v6, s18, v4
	v_cmp_le_u32_e32 vcc_lo, s18, v4
	v_cndmask_b32_e32 v4, v4, v6, vcc_lo
	s_delay_alu instid0(VALU_DEP_4) | instskip(SKIP_1) | instid1(VALU_DEP_3)
	v_subrev_nc_u32_e32 v6, s18, v5
	v_cmp_le_u32_e32 vcc_lo, s18, v5
	v_subrev_nc_u32_e32 v7, s18, v4
	s_delay_alu instid0(VALU_DEP_3) | instskip(SKIP_1) | instid1(VALU_DEP_3)
	v_cndmask_b32_e32 v6, v5, v6, vcc_lo
	v_cmp_le_u32_e32 vcc_lo, s18, v4
	v_cndmask_b32_e32 v27, v4, v7, vcc_lo
	s_delay_alu instid0(VALU_DEP_3) | instskip(SKIP_1) | instid1(VALU_DEP_3)
	v_subrev_nc_u32_e32 v7, s18, v6
	v_cmp_le_u32_e32 vcc_lo, s18, v6
	v_lshlrev_b64 v[4:5], 1, v[27:28]
	s_delay_alu instid0(VALU_DEP_3) | instskip(NEXT) | instid1(VALU_DEP_2)
	v_cndmask_b32_e32 v27, v6, v7, vcc_lo
	v_add_co_u32 v4, vcc_lo, s10, v4
	s_delay_alu instid0(VALU_DEP_2) | instskip(NEXT) | instid1(VALU_DEP_4)
	v_lshlrev_b64 v[6:7], 1, v[27:28]
	v_add_co_ci_u32_e32 v5, vcc_lo, s11, v5, vcc_lo
	s_delay_alu instid0(VALU_DEP_2) | instskip(NEXT) | instid1(VALU_DEP_3)
	v_add_co_u32 v6, vcc_lo, s10, v6
	v_add_co_ci_u32_e32 v7, vcc_lo, s11, v7, vcc_lo
	s_clause 0x1
	global_load_u16 v5, v[4:5], off
	global_load_u16 v4, v[6:7], off
.LBB27_31:                              ;   in Loop: Header=BB27_13 Depth=1
	s_mov_b32 s2, exec_lo
	v_cmpx_ne_u32_e32 0, v24
	s_cbranch_execz .LBB27_33
; %bb.32:                               ;   in Loop: Header=BB27_13 Depth=1
	s_waitcnt lgkmcnt(0)
	v_dual_add_f32 v2, v2, v3 :: v_dual_mov_b32 v27, v28
	s_waitcnt vmcnt(1)
	v_cvt_f32_f16_e32 v3, v5
	s_delay_alu instid0(VALU_DEP_1) | instskip(NEXT) | instid1(VALU_DEP_3)
	v_add_f32_e32 v5, v2, v3
	v_lshlrev_b64 v[2:3], 1, v[26:27]
	s_delay_alu instid0(VALU_DEP_2) | instskip(NEXT) | instid1(VALU_DEP_2)
	v_cvt_f16_f32_e32 v5, v5
	v_add_co_u32 v2, vcc_lo, s14, v2
	s_delay_alu instid0(VALU_DEP_3)
	v_add_co_ci_u32_e32 v3, vcc_lo, s15, v3, vcc_lo
	global_store_b16 v[2:3], v5, off
.LBB27_33:                              ;   in Loop: Header=BB27_13 Depth=1
	s_or_b32 exec_lo, exec_lo, s2
	v_cmp_ne_u32_e32 vcc_lo, 0, v25
	s_and_b32 exec_lo, exec_lo, vcc_lo
	s_cbranch_execz .LBB27_35
; %bb.34:                               ;   in Loop: Header=BB27_13 Depth=1
	s_waitcnt lgkmcnt(0)
	v_add_f32_e32 v0, v0, v1
	s_waitcnt vmcnt(0)
	v_cvt_f32_f16_e32 v1, v4
	v_mov_b32_e32 v30, v28
	s_delay_alu instid0(VALU_DEP_2) | instskip(NEXT) | instid1(VALU_DEP_2)
	v_add_f32_e32 v2, v0, v1
	v_lshlrev_b64 v[0:1], 1, v[29:30]
	s_delay_alu instid0(VALU_DEP_2) | instskip(NEXT) | instid1(VALU_DEP_2)
	v_cvt_f16_f32_e32 v2, v2
	v_add_co_u32 v0, vcc_lo, s14, v0
	s_delay_alu instid0(VALU_DEP_3)
	v_add_co_ci_u32_e32 v1, vcc_lo, s15, v1, vcc_lo
	global_store_b16 v[0:1], v2, off
.LBB27_35:                              ;   in Loop: Header=BB27_13 Depth=1
	s_or_b32 exec_lo, exec_lo, s1
	v_add_nc_u32_e32 v26, s22, v26
	s_delay_alu instid0(VALU_DEP_1) | instskip(SKIP_1) | instid1(VALU_DEP_2)
	v_add_nc_u32_e32 v0, 2, v26
	v_cmp_gt_u32_e32 vcc_lo, s7, v26
	v_cmp_le_u32_e64 s1, s7, v0
	s_delay_alu instid0(VALU_DEP_1) | instskip(NEXT) | instid1(SALU_CYCLE_1)
	s_and_b32 s1, vcc_lo, s1
	s_and_saveexec_b32 s24, s1
	s_cbranch_execz .LBB27_12
; %bb.36:                               ;   in Loop: Header=BB27_13 Depth=1
	s_mov_b32 s25, exec_lo
	v_cmpx_ne_u32_e64 s23, v26
	s_cbranch_execz .LBB27_11
; %bb.37:                               ;   in Loop: Header=BB27_13 Depth=1
	v_subrev_nc_u32_e32 v0, s23, v26
	s_mov_b32 s26, 0
	s_mov_b64 s[16:17], 0
	s_delay_alu instid0(VALU_DEP_1)
	v_cmp_lt_u32_e32 vcc_lo, 1, v0
	v_cndmask_b32_e32 v0, 1, v0, vcc_lo
.LBB27_38:                              ;   Parent Loop BB27_13 Depth=1
                                        ; =>  This Inner Loop Header: Depth=2
	s_cmp_lg_u32 s16, 1
	s_cselect_b32 vcc_lo, -1, 0
	s_cmp_lg_u32 s16, 0
	v_cndmask_b32_e32 v25, 0, v25, vcc_lo
	s_cselect_b32 s1, -1, 0
	s_add_u32 s16, s16, 1
	v_cndmask_b32_e64 v24, 0, v24, s1
	v_cmp_eq_u32_e64 s2, s16, v0
	s_addc_u32 s17, s17, 0
	s_delay_alu instid0(VALU_DEP_1) | instskip(NEXT) | instid1(SALU_CYCLE_1)
	s_or_b32 s26, s2, s26
	s_and_not1_b32 exec_lo, exec_lo, s26
	s_cbranch_execnz .LBB27_38
; %bb.39:                               ;   in Loop: Header=BB27_13 Depth=1
	s_or_b32 exec_lo, exec_lo, s26
	s_branch .LBB27_11
.LBB27_40:
	s_nop 0
	s_sendmsg sendmsg(MSG_DEALLOC_VGPRS)
	s_endpgm
	.section	.rodata,"a",@progbits
	.p2align	6, 0x0
	.amdhsa_kernel _Z12wvSplitK_hf_I6__halfLi64ELi2ELi16ELi8ELi2ELi1EEviiiiiiPKT_S3_S3_PS1_ii
		.amdhsa_group_segment_fixed_size 65536
		.amdhsa_private_segment_fixed_size 0
		.amdhsa_kernarg_size 64
		.amdhsa_user_sgpr_count 15
		.amdhsa_user_sgpr_dispatch_ptr 0
		.amdhsa_user_sgpr_queue_ptr 0
		.amdhsa_user_sgpr_kernarg_segment_ptr 1
		.amdhsa_user_sgpr_dispatch_id 0
		.amdhsa_user_sgpr_private_segment_size 0
		.amdhsa_wavefront_size32 1
		.amdhsa_uses_dynamic_stack 0
		.amdhsa_enable_private_segment 0
		.amdhsa_system_sgpr_workgroup_id_x 1
		.amdhsa_system_sgpr_workgroup_id_y 0
		.amdhsa_system_sgpr_workgroup_id_z 0
		.amdhsa_system_sgpr_workgroup_info 0
		.amdhsa_system_vgpr_workitem_id 1
		.amdhsa_next_free_vgpr 44
		.amdhsa_next_free_sgpr 27
		.amdhsa_reserve_vcc 1
		.amdhsa_float_round_mode_32 0
		.amdhsa_float_round_mode_16_64 0
		.amdhsa_float_denorm_mode_32 3
		.amdhsa_float_denorm_mode_16_64 3
		.amdhsa_dx10_clamp 1
		.amdhsa_ieee_mode 1
		.amdhsa_fp16_overflow 0
		.amdhsa_workgroup_processor_mode 1
		.amdhsa_memory_ordered 1
		.amdhsa_forward_progress 0
		.amdhsa_shared_vgpr_count 0
		.amdhsa_exception_fp_ieee_invalid_op 0
		.amdhsa_exception_fp_denorm_src 0
		.amdhsa_exception_fp_ieee_div_zero 0
		.amdhsa_exception_fp_ieee_overflow 0
		.amdhsa_exception_fp_ieee_underflow 0
		.amdhsa_exception_fp_ieee_inexact 0
		.amdhsa_exception_int_div_zero 0
	.end_amdhsa_kernel
	.section	.text._Z12wvSplitK_hf_I6__halfLi64ELi2ELi16ELi8ELi2ELi1EEviiiiiiPKT_S3_S3_PS1_ii,"axG",@progbits,_Z12wvSplitK_hf_I6__halfLi64ELi2ELi16ELi8ELi2ELi1EEviiiiiiPKT_S3_S3_PS1_ii,comdat
.Lfunc_end27:
	.size	_Z12wvSplitK_hf_I6__halfLi64ELi2ELi16ELi8ELi2ELi1EEviiiiiiPKT_S3_S3_PS1_ii, .Lfunc_end27-_Z12wvSplitK_hf_I6__halfLi64ELi2ELi16ELi8ELi2ELi1EEviiiiiiPKT_S3_S3_PS1_ii
                                        ; -- End function
	.section	.AMDGPU.csdata,"",@progbits
; Kernel info:
; codeLenInByte = 2288
; NumSgprs: 29
; NumVgprs: 44
; ScratchSize: 0
; MemoryBound: 0
; FloatMode: 240
; IeeeMode: 1
; LDSByteSize: 65536 bytes/workgroup (compile time only)
; SGPRBlocks: 3
; VGPRBlocks: 5
; NumSGPRsForWavesPerEU: 29
; NumVGPRsForWavesPerEU: 44
; Occupancy: 16
; WaveLimiterHint : 0
; COMPUTE_PGM_RSRC2:SCRATCH_EN: 0
; COMPUTE_PGM_RSRC2:USER_SGPR: 15
; COMPUTE_PGM_RSRC2:TRAP_HANDLER: 0
; COMPUTE_PGM_RSRC2:TGID_X_EN: 1
; COMPUTE_PGM_RSRC2:TGID_Y_EN: 0
; COMPUTE_PGM_RSRC2:TGID_Z_EN: 0
; COMPUTE_PGM_RSRC2:TIDIG_COMP_CNT: 1
	.section	.text._Z16wvSplitK_hf_big_I6__halfLi64ELi2ELi16ELi8ELi2ELi1EEviiiiiiPKT_S3_S3_PS1_ii,"axG",@progbits,_Z16wvSplitK_hf_big_I6__halfLi64ELi2ELi16ELi8ELi2ELi1EEviiiiiiPKT_S3_S3_PS1_ii,comdat
	.protected	_Z16wvSplitK_hf_big_I6__halfLi64ELi2ELi16ELi8ELi2ELi1EEviiiiiiPKT_S3_S3_PS1_ii ; -- Begin function _Z16wvSplitK_hf_big_I6__halfLi64ELi2ELi16ELi8ELi2ELi1EEviiiiiiPKT_S3_S3_PS1_ii
	.globl	_Z16wvSplitK_hf_big_I6__halfLi64ELi2ELi16ELi8ELi2ELi1EEviiiiiiPKT_S3_S3_PS1_ii
	.p2align	8
	.type	_Z16wvSplitK_hf_big_I6__halfLi64ELi2ELi16ELi8ELi2ELi1EEviiiiiiPKT_S3_S3_PS1_ii,@function
_Z16wvSplitK_hf_big_I6__halfLi64ELi2ELi16ELi8ELi2ELi1EEviiiiiiPKT_S3_S3_PS1_ii: ; @_Z16wvSplitK_hf_big_I6__halfLi64ELi2ELi16ELi8ELi2ELi1EEviiiiiiPKT_S3_S3_PS1_ii
; %bb.0:
	s_load_b64 s[12:13], s[0:1], 0x38
	v_bfe_u32 v1, v0, 10, 10
	s_mov_b32 s2, exec_lo
	s_waitcnt lgkmcnt(0)
	s_delay_alu instid0(VALU_DEP_1)
	v_cmpx_gt_u32_e64 s12, v1
	s_cbranch_execz .LBB28_44
; %bb.1:
	s_load_b128 s[16:19], s[0:1], 0x0
	s_mul_i32 s15, s15, s12
	s_mov_b32 s4, 1
	v_add_lshl_u32 v26, s15, v1, 1
	s_mov_b32 s5, s4
	s_delay_alu instid0(SALU_CYCLE_1) | instskip(NEXT) | instid1(VALU_DEP_2)
	v_dual_mov_b32 v25, s5 :: v_dual_mov_b32 v24, s4
	v_add_nc_u32_e32 v2, 2, v26
	s_waitcnt lgkmcnt(0)
	v_cmp_gt_u32_e32 vcc_lo, s19, v26
	s_delay_alu instid0(VALU_DEP_2) | instskip(NEXT) | instid1(VALU_DEP_1)
	v_cmp_le_u32_e64 s2, s19, v2
	s_and_b32 s2, vcc_lo, s2
	s_delay_alu instid0(SALU_CYCLE_1)
	s_and_saveexec_b32 s6, s2
	s_cbranch_execz .LBB28_7
; %bb.2:
	v_dual_mov_b32 v25, s5 :: v_dual_mov_b32 v24, s4
	s_add_i32 s7, s19, -2
	s_mov_b32 s8, exec_lo
	v_cmpx_ne_u32_e64 s7, v26
	s_cbranch_execz .LBB28_6
; %bb.3:
	v_subrev_nc_u32_e32 v2, s7, v26
	s_mov_b32 s2, 1
	s_mov_b32 s9, 0
	s_mov_b64 s[4:5], 0
	s_mov_b32 s3, s2
	v_cmp_lt_u32_e32 vcc_lo, 1, v2
	v_cndmask_b32_e32 v2, 1, v2, vcc_lo
.LBB28_4:                               ; =>This Inner Loop Header: Depth=1
	s_cmp_lg_u32 s4, 1
	s_cselect_b32 s3, s3, 0
	s_cmp_lg_u32 s4, 0
	s_cselect_b32 s2, s2, 0
	s_add_u32 s4, s4, 1
	v_dual_mov_b32 v25, s3 :: v_dual_mov_b32 v24, s2
	v_cmp_eq_u32_e32 vcc_lo, s4, v2
	s_addc_u32 s5, s5, 0
	s_or_b32 s9, vcc_lo, s9
	s_delay_alu instid0(SALU_CYCLE_1)
	s_and_not1_b32 exec_lo, exec_lo, s9
	s_cbranch_execnz .LBB28_4
; %bb.5:
	s_or_b32 exec_lo, exec_lo, s9
	v_mov_b32_e32 v26, s7
.LBB28_6:
	s_or_b32 exec_lo, exec_lo, s8
.LBB28_7:
	s_delay_alu instid0(SALU_CYCLE_1)
	s_or_b32 exec_lo, exec_lo, s6
	s_lshl_b32 s2, s12, 1
	s_abs_i32 s6, s19
	s_abs_i32 s3, s2
	s_mov_b32 s14, 0
	v_cvt_f32_u32_e32 v2, s3
	s_sub_i32 s5, 0, s3
	s_delay_alu instid0(VALU_DEP_1) | instskip(SKIP_2) | instid1(VALU_DEP_1)
	v_rcp_iflag_f32_e32 v2, v2
	s_waitcnt_depctr 0xfff
	v_mul_f32_e32 v2, 0x4f7ffffe, v2
	v_cvt_u32_f32_e32 v2, v2
	s_delay_alu instid0(VALU_DEP_1) | instskip(NEXT) | instid1(VALU_DEP_1)
	v_readfirstlane_b32 s4, v2
	s_mul_i32 s5, s5, s4
	s_delay_alu instid0(SALU_CYCLE_1) | instskip(NEXT) | instid1(SALU_CYCLE_1)
	s_mul_hi_u32 s5, s4, s5
	s_add_i32 s4, s4, s5
	s_ashr_i32 s5, s19, 31
	s_mul_hi_u32 s4, s6, s4
	s_delay_alu instid0(SALU_CYCLE_1) | instskip(NEXT) | instid1(SALU_CYCLE_1)
	s_mul_i32 s4, s4, s3
	s_sub_i32 s4, s6, s4
	s_delay_alu instid0(SALU_CYCLE_1) | instskip(SKIP_2) | instid1(SALU_CYCLE_1)
	s_sub_i32 s6, s4, s3
	s_cmp_ge_u32 s4, s3
	s_cselect_b32 s4, s6, s4
	s_sub_i32 s6, s4, s3
	s_cmp_ge_u32 s4, s3
	s_cselect_b32 s3, s6, s4
	s_add_i32 s2, s2, s19
	s_xor_b32 s3, s3, s5
	s_delay_alu instid0(SALU_CYCLE_1) | instskip(NEXT) | instid1(SALU_CYCLE_1)
	s_sub_i32 s3, s3, s5
	s_sub_i32 s2, s2, s3
	s_cmp_eq_u32 s3, 0
	s_cselect_b32 s3, s19, s2
	s_delay_alu instid0(SALU_CYCLE_1)
	v_cmp_gt_u32_e32 vcc_lo, s3, v26
	s_and_b32 exec_lo, exec_lo, vcc_lo
	s_cbranch_execz .LBB28_44
; %bb.8:
	s_clause 0x1
	s_load_b32 s15, s[0:1], 0x10
	s_load_b256 s[4:11], s[0:1], 0x18
	s_min_u32 s20, s18, 0x8000
	v_and_b32_e32 v0, 0x3ff, v0
	s_cmp_lg_u32 s16, 0
	s_mul_i32 s0, s13, s12
	s_cselect_b32 s21, -1, 0
	s_cmp_lg_u32 s18, 0
	v_lshlrev_b32_e32 v4, 4, v0
	s_cselect_b32 s22, -1, 0
	s_lshl_b32 s23, s12, 9
	s_add_i32 s24, s16, -8
	s_add_i32 s25, s19, -1
	s_lshl_b32 s26, s0, 1
	v_mov_b32_e32 v28, 0
	v_lshl_add_u32 v34, v1, 10, v4
	v_mbcnt_lo_u32_b32 v37, -1, 0
	v_lshlrev_b32_e32 v33, 3, v0
	s_waitcnt lgkmcnt(0)
	v_cvt_f32_u32_e32 v2, s15
	s_cmp_lg_u64 s[8:9], 0
	s_delay_alu instid0(VALU_DEP_2)
	v_lshl_add_u32 v35, v1, 9, v33
	s_cselect_b32 s27, -1, 0
	s_sub_i32 s0, 0, s15
	v_rcp_iflag_f32_e32 v2, v2
	s_add_i32 s28, s19, -2
	s_add_u32 s29, s10, 2
	s_addc_u32 s30, s11, 0
	s_lshl_b32 s31, s12, 10
	s_waitcnt_depctr 0xfff
	v_mul_f32_e32 v2, 0x4f7ffffe, v2
	s_delay_alu instid0(VALU_DEP_1) | instskip(NEXT) | instid1(VALU_DEP_1)
	v_cvt_u32_f32_e32 v2, v2
	v_mul_lo_u32 v3, s0, v2
	v_cmp_eq_u32_e64 s0, 63, v0
	s_delay_alu instid0(VALU_DEP_2) | instskip(NEXT) | instid1(VALU_DEP_1)
	v_mul_hi_u32 v3, v2, v3
	v_add_nc_u32_e32 v36, v2, v3
	s_branch .LBB28_12
.LBB28_9:                               ;   in Loop: Header=BB28_12 Depth=1
	s_or_b32 exec_lo, exec_lo, s35
	v_mov_b32_e32 v26, s28
.LBB28_10:                              ;   in Loop: Header=BB28_12 Depth=1
	s_or_b32 exec_lo, exec_lo, s34
.LBB28_11:                              ;   in Loop: Header=BB28_12 Depth=1
	s_delay_alu instid0(SALU_CYCLE_1) | instskip(NEXT) | instid1(VALU_DEP_1)
	s_or_b32 exec_lo, exec_lo, s33
	v_cmp_le_u32_e32 vcc_lo, s3, v26
	s_or_b32 s14, vcc_lo, s14
	s_delay_alu instid0(SALU_CYCLE_1)
	s_and_not1_b32 exec_lo, exec_lo, s14
	s_cbranch_execz .LBB28_44
.LBB28_12:                              ; =>This Loop Header: Depth=1
                                        ;     Child Loop BB28_17 Depth 2
                                        ;       Child Loop BB28_22 Depth 3
                                        ;     Child Loop BB28_42 Depth 2
	v_mov_b32_e32 v39, v28
	v_mov_b32_e32 v38, v28
	s_and_not1_b32 vcc_lo, exec_lo, s21
	s_mov_b32 s12, 0
	s_cbranch_vccnz .LBB28_29
; %bb.13:                               ;   in Loop: Header=BB28_12 Depth=1
	v_add_nc_u32_e32 v0, 1, v26
	s_waitcnt lgkmcnt(0)
	v_min_u32_e32 v1, s25, v26
	v_cmp_gt_u32_e64 s1, s19, v26
	v_dual_mov_b32 v38, 0 :: v_dual_mov_b32 v39, 0
	s_mov_b32 s13, 0
	s_delay_alu instid0(VALU_DEP_3) | instskip(SKIP_2) | instid1(VALU_DEP_1)
	v_mul_lo_u32 v27, v1, s17
	v_mov_b32_e32 v1, v28
	v_min_u32_e32 v0, s25, v0
	v_mul_lo_u32 v0, v0, s17
	s_delay_alu instid0(VALU_DEP_4) | instskip(NEXT) | instid1(VALU_DEP_2)
	v_lshlrev_b64 v[29:30], 1, v[27:28]
	v_lshlrev_b64 v[31:32], 1, v[0:1]
	s_branch .LBB28_17
.LBB28_14:                              ;   in Loop: Header=BB28_17 Depth=2
	s_or_b32 exec_lo, exec_lo, s34
.LBB28_15:                              ;   in Loop: Header=BB28_17 Depth=2
	s_delay_alu instid0(SALU_CYCLE_1)
	s_or_b32 exec_lo, exec_lo, s33
	s_waitcnt vmcnt(3) lgkmcnt(0)
	;;#ASMSTART
	v_dot2_f32_f16 v38, v16, v20, v38
	;;#ASMEND
	s_waitcnt vmcnt(2)
	;;#ASMSTART
	v_dot2_f32_f16 v39, v16, v12, v39
	;;#ASMEND
	;;#ASMSTART
	v_dot2_f32_f16 v38, v17, v21, v38
	;;#ASMEND
	;; [unrolled: 3-line block ×7, first 2 shown]
	s_waitcnt vmcnt(1)
	;;#ASMSTART
	v_dot2_f32_f16 v38, v4, v8, v38
	;;#ASMEND
	s_waitcnt vmcnt(0)
	;;#ASMSTART
	v_dot2_f32_f16 v39, v4, v0, v39
	;;#ASMEND
	;;#ASMSTART
	v_dot2_f32_f16 v38, v5, v9, v38
	;;#ASMEND
	;; [unrolled: 3-line block ×7, first 2 shown]
.LBB28_16:                              ;   in Loop: Header=BB28_17 Depth=2
	s_or_b32 exec_lo, exec_lo, s2
	s_addk_i32 s13, 0x400
	s_delay_alu instid0(SALU_CYCLE_1)
	s_cmp_ge_u32 s13, s16
	s_cbranch_scc1 .LBB28_29
.LBB28_17:                              ;   Parent Loop BB28_12 Depth=1
                                        ; =>  This Loop Header: Depth=2
                                        ;       Child Loop BB28_22 Depth 3
	s_cmp_eq_u32 s13, 0
	s_cselect_b32 s33, -1, 0
	s_add_i32 s2, s12, s20
	s_delay_alu instid0(SALU_CYCLE_1) | instskip(SKIP_1) | instid1(SALU_CYCLE_1)
	s_cmp_eq_u32 s13, s2
	s_cselect_b32 s34, -1, 0
	s_or_b32 s34, s33, s34
	s_delay_alu instid0(SALU_CYCLE_1)
	s_and_not1_b32 vcc_lo, exec_lo, s34
	s_cbranch_vccz .LBB28_19
; %bb.18:                               ;   in Loop: Header=BB28_17 Depth=2
	s_and_saveexec_b32 s2, s1
	s_cbranch_execz .LBB28_16
	s_branch .LBB28_26
.LBB28_19:                              ;   in Loop: Header=BB28_17 Depth=2
	s_and_b32 s33, s33, exec_lo
	s_cselect_b32 s12, s12, s2
	s_and_not1_b32 vcc_lo, exec_lo, s22
	s_waitcnt vmcnt(0)
	s_waitcnt_vscnt null, 0x0
	s_barrier
	buffer_gl0_inv
	s_cbranch_vccnz .LBB28_25
; %bb.20:                               ;   in Loop: Header=BB28_17 Depth=2
	v_dual_mov_b32 v1, v34 :: v_dual_add_nc_u32 v0, s12, v35
	s_mov_b32 s33, 0
	s_mov_b32 s34, 0
                                        ; implicit-def: $sgpr35
	s_set_inst_prefetch_distance 0x1
	s_branch .LBB28_22
	.p2align	6
.LBB28_21:                              ;   in Loop: Header=BB28_22 Depth=3
	s_or_b32 exec_lo, exec_lo, s2
	s_delay_alu instid0(SALU_CYCLE_1) | instskip(NEXT) | instid1(SALU_CYCLE_1)
	s_and_b32 s2, exec_lo, s35
	s_or_b32 s33, s2, s33
	s_delay_alu instid0(SALU_CYCLE_1)
	s_and_not1_b32 exec_lo, exec_lo, s33
	s_cbranch_execz .LBB28_24
.LBB28_22:                              ;   Parent Loop BB28_12 Depth=1
                                        ;     Parent Loop BB28_17 Depth=2
                                        ; =>    This Inner Loop Header: Depth=3
	v_add_nc_u32_e32 v27, s34, v0
	v_add_nc_u32_e32 v2, s34, v35
	s_or_b32 s35, s35, exec_lo
	s_delay_alu instid0(VALU_DEP_2) | instskip(NEXT) | instid1(VALU_DEP_2)
	v_cmp_gt_u32_e32 vcc_lo, s18, v27
	v_cmp_gt_u32_e64 s2, s20, v2
	s_delay_alu instid0(VALU_DEP_1) | instskip(NEXT) | instid1(SALU_CYCLE_1)
	s_and_b32 s36, s2, vcc_lo
	s_and_saveexec_b32 s2, s36
	s_cbranch_execz .LBB28_21
; %bb.23:                               ;   in Loop: Header=BB28_22 Depth=3
	v_lshlrev_b64 v[2:3], 1, v[27:28]
	s_add_i32 s34, s34, s23
	s_delay_alu instid0(SALU_CYCLE_1) | instskip(SKIP_1) | instid1(VALU_DEP_1)
	s_cmp_ge_u32 s34, s20
	s_cselect_b32 s36, -1, 0
	v_add_co_u32 v2, vcc_lo, s6, v2
	s_delay_alu instid0(VALU_DEP_2) | instskip(SKIP_2) | instid1(SALU_CYCLE_1)
	v_add_co_ci_u32_e32 v3, vcc_lo, s7, v3, vcc_lo
	s_and_not1_b32 s35, s35, exec_lo
	s_and_b32 s36, s36, exec_lo
	s_or_b32 s35, s35, s36
	global_load_b128 v[2:5], v[2:3], off
	s_waitcnt vmcnt(0)
	ds_store_b128 v1, v[2:5]
	v_add_nc_u32_e32 v1, s31, v1
	s_branch .LBB28_21
.LBB28_24:                              ;   in Loop: Header=BB28_17 Depth=2
	s_set_inst_prefetch_distance 0x2
	s_or_b32 exec_lo, exec_lo, s33
.LBB28_25:                              ;   in Loop: Header=BB28_17 Depth=2
	s_waitcnt lgkmcnt(0)
	s_barrier
	buffer_gl0_inv
	s_and_saveexec_b32 s2, s1
	s_cbranch_execz .LBB28_16
.LBB28_26:                              ;   in Loop: Header=BB28_17 Depth=2
	v_dual_mov_b32 v19, 0 :: v_dual_add_nc_u32 v40, s13, v33
	v_dual_mov_b32 v17, 0 :: v_dual_mov_b32 v16, 0
	s_mov_b32 s33, exec_lo
	s_delay_alu instid0(VALU_DEP_2) | instskip(SKIP_1) | instid1(VALU_DEP_2)
	v_min_u32_e32 v27, s24, v40
	v_dual_mov_b32 v18, 0 :: v_dual_add_nc_u32 v41, 0x200, v40
	v_lshlrev_b64 v[0:1], 1, v[27:28]
	s_delay_alu instid0(VALU_DEP_2) | instskip(SKIP_1) | instid1(VALU_DEP_2)
	v_min_u32_e32 v27, s24, v41
	s_waitcnt vmcnt(0)
	v_add_co_u32 v4, vcc_lo, s4, v0
	s_delay_alu instid0(VALU_DEP_3) | instskip(NEXT) | instid1(VALU_DEP_3)
	v_add_co_ci_u32_e32 v5, vcc_lo, s5, v1, vcc_lo
	v_lshlrev_b64 v[0:1], 1, v[27:28]
	s_delay_alu instid0(VALU_DEP_3) | instskip(NEXT) | instid1(VALU_DEP_3)
	v_add_co_u32 v2, vcc_lo, v4, v29
	v_add_co_ci_u32_e32 v3, vcc_lo, v5, v30, vcc_lo
	s_delay_alu instid0(VALU_DEP_3) | instskip(NEXT) | instid1(VALU_DEP_4)
	v_add_co_u32 v6, vcc_lo, s4, v0
	v_add_co_ci_u32_e32 v7, vcc_lo, s5, v1, vcc_lo
	v_add_co_u32 v0, vcc_lo, v4, v31
	v_add_co_ci_u32_e32 v1, vcc_lo, v5, v32, vcc_lo
	s_delay_alu instid0(VALU_DEP_4) | instskip(NEXT) | instid1(VALU_DEP_4)
	v_add_co_u32 v4, vcc_lo, v6, v29
	v_add_co_ci_u32_e32 v5, vcc_lo, v7, v30, vcc_lo
	v_add_co_u32 v6, vcc_lo, v6, v31
	v_add_co_ci_u32_e32 v7, vcc_lo, v7, v32, vcc_lo
	s_clause 0x3
	global_load_b128 v[20:23], v[2:3], off slc dlc
	global_load_b128 v[12:15], v[0:1], off slc dlc
	global_load_b128 v[8:11], v[4:5], off slc dlc
	global_load_b128 v[0:3], v[6:7], off slc dlc
	v_dual_mov_b32 v4, 0 :: v_dual_mov_b32 v5, 0
	v_dual_mov_b32 v6, 0 :: v_dual_mov_b32 v7, 0
	v_cmpx_gt_u32_e64 s16, v40
	s_cbranch_execz .LBB28_15
; %bb.27:                               ;   in Loop: Header=BB28_17 Depth=2
	v_subrev_nc_u32_e32 v4, s12, v40
	v_mov_b32_e32 v7, 0
	v_mov_b32_e32 v5, 0
	s_mov_b32 s34, exec_lo
	s_delay_alu instid0(VALU_DEP_3)
	v_dual_mov_b32 v6, 0 :: v_dual_lshlrev_b32 v27, 1, v4
	v_mov_b32_e32 v4, 0
	ds_load_b128 v[16:19], v27
	v_cmpx_gt_u32_e64 s16, v41
	s_cbranch_execz .LBB28_14
; %bb.28:                               ;   in Loop: Header=BB28_17 Depth=2
	ds_load_b128 v[4:7], v27 offset:1024
	s_branch .LBB28_14
.LBB28_29:                              ;   in Loop: Header=BB28_12 Depth=1
	s_mov_b32 s1, exec_lo
	v_cmpx_le_u32_e64 s19, v26
	s_xor_b32 s1, exec_lo, s1
; %bb.30:                               ;   in Loop: Header=BB28_12 Depth=1
	v_add_nc_u32_e32 v26, s26, v26
                                        ; implicit-def: $vgpr38
                                        ; implicit-def: $vgpr39
; %bb.31:                               ;   in Loop: Header=BB28_12 Depth=1
	s_and_not1_saveexec_b32 s33, s1
	s_cbranch_execz .LBB28_11
; %bb.32:                               ;   in Loop: Header=BB28_12 Depth=1
	v_cvt_i32_f32_e32 v0, v38
	s_waitcnt lgkmcnt(0)
	v_cvt_i32_f32_e32 v1, v39
	s_delay_alu instid0(VALU_DEP_2) | instskip(NEXT) | instid1(VALU_DEP_2)
	v_cvt_f32_i32_dpp v0, v0 row_shr:8 row_mask:0xf bank_mask:0xf bound_ctrl:1
	v_cvt_f32_i32_dpp v1, v1 row_shr:8 row_mask:0xf bank_mask:0xf bound_ctrl:1
	s_delay_alu instid0(VALU_DEP_1) | instskip(NEXT) | instid1(VALU_DEP_1)
	v_dual_add_f32 v0, v38, v0 :: v_dual_add_f32 v1, v39, v1
	v_cvt_i32_f32_e32 v2, v0
	s_delay_alu instid0(VALU_DEP_2) | instskip(NEXT) | instid1(VALU_DEP_2)
	v_cvt_i32_f32_e32 v3, v1
	v_cvt_f32_i32_dpp v2, v2 row_shr:4 row_mask:0xf bank_mask:0xf bound_ctrl:1
	s_delay_alu instid0(VALU_DEP_2) | instskip(NEXT) | instid1(VALU_DEP_1)
	v_cvt_f32_i32_dpp v3, v3 row_shr:4 row_mask:0xf bank_mask:0xf bound_ctrl:1
	v_dual_add_f32 v0, v0, v2 :: v_dual_add_f32 v1, v1, v3
	s_delay_alu instid0(VALU_DEP_1) | instskip(NEXT) | instid1(VALU_DEP_2)
	v_cvt_i32_f32_e32 v2, v0
	v_cvt_i32_f32_e32 v3, v1
	s_delay_alu instid0(VALU_DEP_2) | instskip(NEXT) | instid1(VALU_DEP_2)
	v_cvt_f32_i32_dpp v2, v2 row_shr:2 row_mask:0xf bank_mask:0xf bound_ctrl:1
	v_cvt_f32_i32_dpp v3, v3 row_shr:2 row_mask:0xf bank_mask:0xf bound_ctrl:1
	s_delay_alu instid0(VALU_DEP_1) | instskip(SKIP_1) | instid1(VALU_DEP_2)
	v_dual_add_f32 v0, v0, v2 :: v_dual_add_f32 v1, v1, v3
	v_xor_b32_e32 v2, 16, v37
	v_cvt_i32_f32_e32 v3, v0
	s_waitcnt vmcnt(0)
	s_delay_alu instid0(VALU_DEP_3) | instskip(NEXT) | instid1(VALU_DEP_3)
	v_cvt_i32_f32_e32 v4, v1
	v_cmp_gt_i32_e32 vcc_lo, 32, v2
	s_delay_alu instid0(VALU_DEP_3) | instskip(NEXT) | instid1(VALU_DEP_3)
	v_cvt_f32_i32_dpp v3, v3 row_shr:1 row_mask:0xf bank_mask:0xf bound_ctrl:1
	v_cvt_f32_i32_dpp v4, v4 row_shr:1 row_mask:0xf bank_mask:0xf bound_ctrl:1
	v_cndmask_b32_e32 v2, v37, v2, vcc_lo
	s_delay_alu instid0(VALU_DEP_1) | instskip(NEXT) | instid1(VALU_DEP_3)
	v_dual_add_f32 v2, v0, v3 :: v_dual_lshlrev_b32 v5, 2, v2
	v_add_f32_e32 v0, v1, v4
	ds_bpermute_b32 v3, v5, v2
	ds_bpermute_b32 v1, v5, v0
	s_and_saveexec_b32 s1, s0
	s_cbranch_execz .LBB28_39
; %bb.33:                               ;   in Loop: Header=BB28_12 Depth=1
	v_dual_mov_b32 v4, 0 :: v_dual_mov_b32 v5, 0
	s_and_not1_b32 vcc_lo, exec_lo, s27
	s_cbranch_vccnz .LBB28_35
; %bb.34:                               ;   in Loop: Header=BB28_12 Depth=1
	v_mul_hi_u32 v4, v26, v36
	s_delay_alu instid0(VALU_DEP_1) | instskip(NEXT) | instid1(VALU_DEP_1)
	v_mul_lo_u32 v4, v4, s15
	v_sub_nc_u32_e32 v4, v26, v4
	s_delay_alu instid0(VALU_DEP_1) | instskip(SKIP_1) | instid1(VALU_DEP_2)
	v_subrev_nc_u32_e32 v7, s15, v4
	v_cmp_le_u32_e32 vcc_lo, s15, v4
	v_dual_cndmask_b32 v4, v4, v7 :: v_dual_add_nc_u32 v5, 1, v26
	s_delay_alu instid0(VALU_DEP_1) | instskip(NEXT) | instid1(VALU_DEP_2)
	v_mul_hi_u32 v6, v5, v36
	v_subrev_nc_u32_e32 v7, s15, v4
	s_delay_alu instid0(VALU_DEP_2) | instskip(NEXT) | instid1(VALU_DEP_1)
	v_mul_lo_u32 v6, v6, s15
	v_sub_nc_u32_e32 v5, v5, v6
	s_delay_alu instid0(VALU_DEP_1) | instskip(SKIP_1) | instid1(VALU_DEP_2)
	v_subrev_nc_u32_e32 v6, s15, v5
	v_cmp_le_u32_e32 vcc_lo, s15, v5
	v_cndmask_b32_e32 v6, v5, v6, vcc_lo
	v_cmp_le_u32_e32 vcc_lo, s15, v4
	v_cndmask_b32_e32 v27, v4, v7, vcc_lo
	s_delay_alu instid0(VALU_DEP_3) | instskip(SKIP_1) | instid1(VALU_DEP_3)
	v_subrev_nc_u32_e32 v7, s15, v6
	v_cmp_le_u32_e32 vcc_lo, s15, v6
	v_lshlrev_b64 v[4:5], 1, v[27:28]
	s_delay_alu instid0(VALU_DEP_3) | instskip(NEXT) | instid1(VALU_DEP_2)
	v_cndmask_b32_e32 v27, v6, v7, vcc_lo
	v_add_co_u32 v4, vcc_lo, s8, v4
	s_delay_alu instid0(VALU_DEP_2) | instskip(NEXT) | instid1(VALU_DEP_4)
	v_lshlrev_b64 v[6:7], 1, v[27:28]
	v_add_co_ci_u32_e32 v5, vcc_lo, s9, v5, vcc_lo
	s_delay_alu instid0(VALU_DEP_2) | instskip(NEXT) | instid1(VALU_DEP_3)
	v_add_co_u32 v6, vcc_lo, s8, v6
	v_add_co_ci_u32_e32 v7, vcc_lo, s9, v7, vcc_lo
	s_clause 0x1
	global_load_u16 v5, v[4:5], off
	global_load_u16 v4, v[6:7], off
.LBB28_35:                              ;   in Loop: Header=BB28_12 Depth=1
	s_mov_b32 s2, exec_lo
	v_cmpx_ne_u32_e32 0, v24
	s_cbranch_execz .LBB28_37
; %bb.36:                               ;   in Loop: Header=BB28_12 Depth=1
	s_waitcnt lgkmcnt(1)
	v_dual_add_f32 v2, v2, v3 :: v_dual_mov_b32 v27, v28
	s_waitcnt vmcnt(1)
	v_cvt_f32_f16_e32 v3, v5
	s_delay_alu instid0(VALU_DEP_1) | instskip(NEXT) | instid1(VALU_DEP_3)
	v_add_f32_e32 v5, v2, v3
	v_lshlrev_b64 v[2:3], 1, v[26:27]
	s_delay_alu instid0(VALU_DEP_2) | instskip(NEXT) | instid1(VALU_DEP_2)
	v_cvt_f16_f32_e32 v5, v5
	v_add_co_u32 v2, vcc_lo, s10, v2
	s_delay_alu instid0(VALU_DEP_3)
	v_add_co_ci_u32_e32 v3, vcc_lo, s11, v3, vcc_lo
	global_store_b16 v[2:3], v5, off
.LBB28_37:                              ;   in Loop: Header=BB28_12 Depth=1
	s_or_b32 exec_lo, exec_lo, s2
	v_cmp_ne_u32_e32 vcc_lo, 0, v25
	s_and_b32 exec_lo, exec_lo, vcc_lo
	s_cbranch_execz .LBB28_39
; %bb.38:                               ;   in Loop: Header=BB28_12 Depth=1
	s_waitcnt lgkmcnt(0)
	v_add_f32_e32 v0, v0, v1
	s_waitcnt vmcnt(0)
	v_cvt_f32_f16_e32 v1, v4
	v_mov_b32_e32 v27, v28
	s_delay_alu instid0(VALU_DEP_2) | instskip(NEXT) | instid1(VALU_DEP_2)
	v_add_f32_e32 v2, v0, v1
	v_lshlrev_b64 v[0:1], 1, v[26:27]
	s_delay_alu instid0(VALU_DEP_2) | instskip(NEXT) | instid1(VALU_DEP_2)
	v_cvt_f16_f32_e32 v2, v2
	v_add_co_u32 v0, vcc_lo, s29, v0
	s_delay_alu instid0(VALU_DEP_3)
	v_add_co_ci_u32_e32 v1, vcc_lo, s30, v1, vcc_lo
	global_store_b16 v[0:1], v2, off
.LBB28_39:                              ;   in Loop: Header=BB28_12 Depth=1
	s_or_b32 exec_lo, exec_lo, s1
	v_add_nc_u32_e32 v26, s26, v26
	s_delay_alu instid0(VALU_DEP_1) | instskip(SKIP_1) | instid1(VALU_DEP_2)
	v_add_nc_u32_e32 v0, 2, v26
	v_cmp_gt_u32_e32 vcc_lo, s19, v26
	v_cmp_le_u32_e64 s1, s19, v0
	s_delay_alu instid0(VALU_DEP_1) | instskip(NEXT) | instid1(SALU_CYCLE_1)
	s_and_b32 s1, vcc_lo, s1
	s_and_saveexec_b32 s34, s1
	s_cbranch_execz .LBB28_10
; %bb.40:                               ;   in Loop: Header=BB28_12 Depth=1
	s_mov_b32 s35, exec_lo
	v_cmpx_ne_u32_e64 s28, v26
	s_cbranch_execz .LBB28_9
; %bb.41:                               ;   in Loop: Header=BB28_12 Depth=1
	v_subrev_nc_u32_e32 v0, s28, v26
	s_mov_b32 s36, 0
	s_mov_b64 s[12:13], 0
	s_delay_alu instid0(VALU_DEP_1)
	v_cmp_lt_u32_e32 vcc_lo, 1, v0
	v_cndmask_b32_e32 v0, 1, v0, vcc_lo
.LBB28_42:                              ;   Parent Loop BB28_12 Depth=1
                                        ; =>  This Inner Loop Header: Depth=2
	s_cmp_lg_u32 s12, 1
	s_cselect_b32 vcc_lo, -1, 0
	s_cmp_lg_u32 s12, 0
	v_cndmask_b32_e32 v25, 0, v25, vcc_lo
	s_cselect_b32 s1, -1, 0
	s_add_u32 s12, s12, 1
	v_cndmask_b32_e64 v24, 0, v24, s1
	v_cmp_eq_u32_e64 s2, s12, v0
	s_addc_u32 s13, s13, 0
	s_delay_alu instid0(VALU_DEP_1) | instskip(NEXT) | instid1(SALU_CYCLE_1)
	s_or_b32 s36, s2, s36
	s_and_not1_b32 exec_lo, exec_lo, s36
	s_cbranch_execnz .LBB28_42
; %bb.43:                               ;   in Loop: Header=BB28_12 Depth=1
	s_or_b32 exec_lo, exec_lo, s36
	s_branch .LBB28_9
.LBB28_44:
	s_nop 0
	s_sendmsg sendmsg(MSG_DEALLOC_VGPRS)
	s_endpgm
	.section	.rodata,"a",@progbits
	.p2align	6, 0x0
	.amdhsa_kernel _Z16wvSplitK_hf_big_I6__halfLi64ELi2ELi16ELi8ELi2ELi1EEviiiiiiPKT_S3_S3_PS1_ii
		.amdhsa_group_segment_fixed_size 65536
		.amdhsa_private_segment_fixed_size 0
		.amdhsa_kernarg_size 64
		.amdhsa_user_sgpr_count 15
		.amdhsa_user_sgpr_dispatch_ptr 0
		.amdhsa_user_sgpr_queue_ptr 0
		.amdhsa_user_sgpr_kernarg_segment_ptr 1
		.amdhsa_user_sgpr_dispatch_id 0
		.amdhsa_user_sgpr_private_segment_size 0
		.amdhsa_wavefront_size32 1
		.amdhsa_uses_dynamic_stack 0
		.amdhsa_enable_private_segment 0
		.amdhsa_system_sgpr_workgroup_id_x 1
		.amdhsa_system_sgpr_workgroup_id_y 0
		.amdhsa_system_sgpr_workgroup_id_z 0
		.amdhsa_system_sgpr_workgroup_info 0
		.amdhsa_system_vgpr_workitem_id 1
		.amdhsa_next_free_vgpr 42
		.amdhsa_next_free_sgpr 37
		.amdhsa_reserve_vcc 1
		.amdhsa_float_round_mode_32 0
		.amdhsa_float_round_mode_16_64 0
		.amdhsa_float_denorm_mode_32 3
		.amdhsa_float_denorm_mode_16_64 3
		.amdhsa_dx10_clamp 1
		.amdhsa_ieee_mode 1
		.amdhsa_fp16_overflow 0
		.amdhsa_workgroup_processor_mode 1
		.amdhsa_memory_ordered 1
		.amdhsa_forward_progress 0
		.amdhsa_shared_vgpr_count 0
		.amdhsa_exception_fp_ieee_invalid_op 0
		.amdhsa_exception_fp_denorm_src 0
		.amdhsa_exception_fp_ieee_div_zero 0
		.amdhsa_exception_fp_ieee_overflow 0
		.amdhsa_exception_fp_ieee_underflow 0
		.amdhsa_exception_fp_ieee_inexact 0
		.amdhsa_exception_int_div_zero 0
	.end_amdhsa_kernel
	.section	.text._Z16wvSplitK_hf_big_I6__halfLi64ELi2ELi16ELi8ELi2ELi1EEviiiiiiPKT_S3_S3_PS1_ii,"axG",@progbits,_Z16wvSplitK_hf_big_I6__halfLi64ELi2ELi16ELi8ELi2ELi1EEviiiiiiPKT_S3_S3_PS1_ii,comdat
.Lfunc_end28:
	.size	_Z16wvSplitK_hf_big_I6__halfLi64ELi2ELi16ELi8ELi2ELi1EEviiiiiiPKT_S3_S3_PS1_ii, .Lfunc_end28-_Z16wvSplitK_hf_big_I6__halfLi64ELi2ELi16ELi8ELi2ELi1EEviiiiiiPKT_S3_S3_PS1_ii
                                        ; -- End function
	.section	.AMDGPU.csdata,"",@progbits
; Kernel info:
; codeLenInByte = 2488
; NumSgprs: 39
; NumVgprs: 42
; ScratchSize: 0
; MemoryBound: 0
; FloatMode: 240
; IeeeMode: 1
; LDSByteSize: 65536 bytes/workgroup (compile time only)
; SGPRBlocks: 4
; VGPRBlocks: 5
; NumSGPRsForWavesPerEU: 39
; NumVGPRsForWavesPerEU: 42
; Occupancy: 16
; WaveLimiterHint : 0
; COMPUTE_PGM_RSRC2:SCRATCH_EN: 0
; COMPUTE_PGM_RSRC2:USER_SGPR: 15
; COMPUTE_PGM_RSRC2:TRAP_HANDLER: 0
; COMPUTE_PGM_RSRC2:TGID_X_EN: 1
; COMPUTE_PGM_RSRC2:TGID_Y_EN: 0
; COMPUTE_PGM_RSRC2:TGID_Z_EN: 0
; COMPUTE_PGM_RSRC2:TIDIG_COMP_CNT: 1
	.section	.text._Z16wvSplitK_hf_sml_I6__halfLi64ELi3ELi16ELi8ELi2ELi1EEviiiiiiPKT_S3_S3_PS1_ii,"axG",@progbits,_Z16wvSplitK_hf_sml_I6__halfLi64ELi3ELi16ELi8ELi2ELi1EEviiiiiiPKT_S3_S3_PS1_ii,comdat
	.protected	_Z16wvSplitK_hf_sml_I6__halfLi64ELi3ELi16ELi8ELi2ELi1EEviiiiiiPKT_S3_S3_PS1_ii ; -- Begin function _Z16wvSplitK_hf_sml_I6__halfLi64ELi3ELi16ELi8ELi2ELi1EEviiiiiiPKT_S3_S3_PS1_ii
	.globl	_Z16wvSplitK_hf_sml_I6__halfLi64ELi3ELi16ELi8ELi2ELi1EEviiiiiiPKT_S3_S3_PS1_ii
	.p2align	8
	.type	_Z16wvSplitK_hf_sml_I6__halfLi64ELi3ELi16ELi8ELi2ELi1EEviiiiiiPKT_S3_S3_PS1_ii,@function
_Z16wvSplitK_hf_sml_I6__halfLi64ELi3ELi16ELi8ELi2ELi1EEviiiiiiPKT_S3_S3_PS1_ii: ; @_Z16wvSplitK_hf_sml_I6__halfLi64ELi3ELi16ELi8ELi2ELi1EEviiiiiiPKT_S3_S3_PS1_ii
; %bb.0:
	s_clause 0x2
	s_load_b128 s[4:7], s[0:1], 0x0
	s_load_b32 s14, s[0:1], 0x10
	s_load_b64 s[8:9], s[0:1], 0x28
	v_and_b32_e32 v3, 0x3ff, v0
	v_bfe_u32 v0, v0, 10, 10
	s_delay_alu instid0(VALU_DEP_2) | instskip(NEXT) | instid1(VALU_DEP_1)
	v_lshlrev_b32_e32 v44, 3, v3
	v_lshl_add_u32 v4, v0, 9, v44
	s_waitcnt lgkmcnt(0)
	s_min_u32 s3, s6, 0x8000
	s_mov_b32 s6, exec_lo
	s_delay_alu instid0(VALU_DEP_1)
	v_cmpx_gt_u32_e64 s3, v4
	s_cbranch_execz .LBB29_3
; %bb.1:
	s_load_b64 s[10:11], s[0:1], 0x20
	v_lshlrev_b32_e32 v5, 10, v0
	v_lshlrev_b32_e32 v6, 4, v3
	s_delay_alu instid0(VALU_DEP_1) | instskip(NEXT) | instid1(VALU_DEP_1)
	v_add_co_u32 v1, s2, v5, v6
	v_add_co_ci_u32_e64 v2, null, 0, 0, s2
	v_add_nc_u32_e32 v5, v5, v6
	s_waitcnt lgkmcnt(0)
	s_delay_alu instid0(VALU_DEP_3) | instskip(NEXT) | instid1(VALU_DEP_3)
	v_add_co_u32 v1, vcc_lo, s10, v1
	v_add_co_ci_u32_e32 v2, vcc_lo, s11, v2, vcc_lo
	s_mov_b32 s10, 0
	.p2align	6
.LBB29_2:                               ; =>This Inner Loop Header: Depth=1
	global_load_b128 v[6:9], v[1:2], off
	v_add_nc_u32_e32 v4, 0x2000, v4
	v_add_co_u32 v1, vcc_lo, 0x4000, v1
	v_add_co_ci_u32_e32 v2, vcc_lo, 0, v2, vcc_lo
	s_delay_alu instid0(VALU_DEP_3) | instskip(NEXT) | instid1(VALU_DEP_1)
	v_cmp_le_u32_e64 s2, s3, v4
	s_or_b32 s10, s2, s10
	s_waitcnt vmcnt(0)
	ds_store_b128 v5, v[6:9]
	v_add_nc_u32_e32 v5, 0x4000, v5
	s_and_not1_b32 exec_lo, exec_lo, s10
	s_cbranch_execnz .LBB29_2
.LBB29_3:
	s_or_b32 exec_lo, exec_lo, s6
	s_load_b64 s[12:13], s[0:1], 0x38
	s_waitcnt lgkmcnt(0)
	s_barrier
	buffer_gl0_inv
	s_mov_b32 s2, exec_lo
	v_cmpx_gt_u32_e64 s12, v0
	s_cbranch_execz .LBB29_20
; %bb.4:
	v_mad_u64_u32 v[1:2], null, s15, s12, v[0:1]
	s_delay_alu instid0(VALU_DEP_1) | instskip(NEXT) | instid1(VALU_DEP_1)
	v_lshl_add_u32 v32, v1, 1, v1
	v_cmp_gt_u32_e32 vcc_lo, s7, v32
	s_and_b32 exec_lo, exec_lo, vcc_lo
	s_cbranch_execz .LBB29_20
; %bb.5:
	v_cvt_f32_u32_e32 v0, s14
	s_cmp_lg_u32 s4, 0
	v_mov_b32_e32 v34, 0
	s_cselect_b32 s6, -1, 0
	s_add_i32 s15, s4, -8
	v_rcp_iflag_f32_e32 v0, v0
	s_add_i32 s16, s7, -1
	s_cmp_lg_u64 s[8:9], 0
	v_mbcnt_lo_u32_b32 v47, -1, 0
	s_cselect_b32 s17, -1, 0
	s_sub_i32 s2, 0, s14
	s_mul_i32 s12, s12, s13
	v_lshlrev_b32_e32 v45, 4, v3
	s_mul_i32 s12, s12, 3
	s_waitcnt_depctr 0xfff
	v_mul_f32_e32 v0, 0x4f7ffffe, v0
	s_delay_alu instid0(VALU_DEP_1) | instskip(NEXT) | instid1(VALU_DEP_1)
	v_cvt_u32_f32_e32 v0, v0
	v_mul_lo_u32 v1, s2, v0
	s_clause 0x1
	s_load_b64 s[2:3], s[0:1], 0x18
	s_load_b64 s[10:11], s[0:1], 0x30
	v_cmp_eq_u32_e64 s0, 63, v3
	s_mov_b32 s1, 0
	s_delay_alu instid0(VALU_DEP_2) | instskip(NEXT) | instid1(VALU_DEP_1)
	v_mul_hi_u32 v1, v0, v1
	v_add_nc_u32_e32 v46, v0, v1
	s_branch .LBB29_8
.LBB29_6:                               ;   in Loop: Header=BB29_8 Depth=1
	s_waitcnt lgkmcnt(0)
	v_dual_add_f32 v4, v4, v5 :: v_dual_add_f32 v9, v1, v3
	s_waitcnt vmcnt(2)
	v_cvt_f32_f16_e32 v5, v8
	v_add_f32_e32 v8, v0, v2
	v_lshlrev_b64 v[0:1], 1, v[32:33]
	s_waitcnt vmcnt(1)
	v_cvt_f32_f16_e32 v7, v7
	v_lshlrev_b64 v[2:3], 1, v[37:38]
	v_add_f32_e32 v4, v4, v5
	s_waitcnt vmcnt(0)
	v_cvt_f32_f16_e32 v5, v6
	v_add_f32_e32 v6, v8, v7
	v_add_co_u32 v0, vcc_lo, s10, v0
	v_cvt_f16_f32_e32 v7, v4
	s_delay_alu instid0(VALU_DEP_4) | instskip(SKIP_4) | instid1(VALU_DEP_4)
	v_add_f32_e32 v8, v9, v5
	v_lshlrev_b64 v[4:5], 1, v[35:36]
	v_add_co_ci_u32_e32 v1, vcc_lo, s11, v1, vcc_lo
	v_add_co_u32 v2, vcc_lo, s10, v2
	v_add_co_ci_u32_e32 v3, vcc_lo, s11, v3, vcc_lo
	v_add_co_u32 v4, vcc_lo, s10, v4
	v_cvt_f16_f32_e32 v6, v6
	v_cvt_f16_f32_e32 v8, v8
	v_add_co_ci_u32_e32 v5, vcc_lo, s11, v5, vcc_lo
	s_clause 0x2
	global_store_b16 v[0:1], v7, off
	global_store_b16 v[2:3], v6, off
	;; [unrolled: 1-line block ×3, first 2 shown]
.LBB29_7:                               ;   in Loop: Header=BB29_8 Depth=1
	s_or_b32 exec_lo, exec_lo, s13
	v_add_nc_u32_e32 v32, s12, v32
	s_delay_alu instid0(VALU_DEP_1) | instskip(SKIP_1) | instid1(SALU_CYCLE_1)
	v_cmp_le_u32_e32 vcc_lo, s7, v32
	s_or_b32 s1, vcc_lo, s1
	s_and_not1_b32 exec_lo, exec_lo, s1
	s_cbranch_execz .LBB29_20
.LBB29_8:                               ; =>This Loop Header: Depth=1
                                        ;     Child Loop BB29_12 Depth 2
	v_dual_mov_b32 v48, v34 :: v_dual_add_nc_u32 v37, 1, v32
	v_dual_mov_b32 v36, v34 :: v_dual_add_nc_u32 v35, 2, v32
	v_mov_b32_e32 v49, v34
	s_and_not1_b32 vcc_lo, exec_lo, s6
	s_cbranch_vccnz .LBB29_15
; %bb.9:                                ;   in Loop: Header=BB29_8 Depth=1
	v_min_u32_e32 v0, s16, v32
	v_min_u32_e32 v1, s16, v37
	s_waitcnt lgkmcnt(0)
	v_min_u32_e32 v2, s16, v35
	v_dual_mov_b32 v3, v34 :: v_dual_mov_b32 v50, v45
	v_mul_lo_u32 v33, v0, s5
	v_mul_lo_u32 v0, v1, s5
	s_delay_alu instid0(VALU_DEP_4) | instskip(SKIP_4) | instid1(VALU_DEP_3)
	v_mul_lo_u32 v2, v2, s5
	v_dual_mov_b32 v1, v34 :: v_dual_mov_b32 v36, 0
	v_dual_mov_b32 v48, 0 :: v_dual_mov_b32 v49, 0
	s_mov_b32 s13, 0
	v_lshlrev_b64 v[38:39], 1, v[33:34]
	v_lshlrev_b64 v[40:41], 1, v[0:1]
	;; [unrolled: 1-line block ×3, first 2 shown]
	s_branch .LBB29_12
.LBB29_10:                              ;   in Loop: Header=BB29_12 Depth=2
	s_or_b32 exec_lo, exec_lo, s19
.LBB29_11:                              ;   in Loop: Header=BB29_12 Depth=2
	s_delay_alu instid0(SALU_CYCLE_1)
	s_or_b32 exec_lo, exec_lo, s18
	s_waitcnt vmcnt(5) lgkmcnt(0)
	;;#ASMSTART
	v_dot2_f32_f16 v49, v20, v28, v49
	;;#ASMEND
	s_waitcnt vmcnt(4)
	;;#ASMSTART
	v_dot2_f32_f16 v48, v20, v24, v48
	;;#ASMEND
	s_waitcnt vmcnt(3)
	;;#ASMSTART
	v_dot2_f32_f16 v36, v20, v16, v36
	;;#ASMEND
	;;#ASMSTART
	v_dot2_f32_f16 v49, v21, v29, v49
	;;#ASMEND
	;; [unrolled: 3-line block ×7, first 2 shown]
	v_add_nc_u32_e32 v50, 0x800, v50
	;;#ASMSTART
	v_dot2_f32_f16 v49, v23, v31, v49
	;;#ASMEND
	;;#ASMSTART
	v_dot2_f32_f16 v48, v23, v27, v48
	;;#ASMEND
	;; [unrolled: 3-line block ×3, first 2 shown]
	s_addk_i32 s13, 0x400
	s_waitcnt vmcnt(2)
	;;#ASMSTART
	v_dot2_f32_f16 v49, v4, v12, v49
	;;#ASMEND
	s_waitcnt vmcnt(1)
	;;#ASMSTART
	v_dot2_f32_f16 v48, v4, v8, v48
	;;#ASMEND
	;; [unrolled: 4-line block ×3, first 2 shown]
	;;#ASMSTART
	v_dot2_f32_f16 v49, v5, v13, v49
	;;#ASMEND
	;;#ASMSTART
	v_dot2_f32_f16 v48, v5, v9, v48
	;;#ASMEND
	;; [unrolled: 3-line block ×3, first 2 shown]
	s_cmp_ge_u32 s13, s4
	;;#ASMSTART
	v_dot2_f32_f16 v49, v6, v14, v49
	;;#ASMEND
	;;#ASMSTART
	v_dot2_f32_f16 v48, v6, v10, v48
	;;#ASMEND
	;; [unrolled: 3-line block ×6, first 2 shown]
	s_cbranch_scc1 .LBB29_15
.LBB29_12:                              ;   Parent Loop BB29_8 Depth=1
                                        ; =>  This Inner Loop Header: Depth=2
	v_dual_mov_b32 v23, 0 :: v_dual_add_nc_u32 v22, s13, v44
	s_delay_alu instid0(VALU_DEP_1) | instskip(SKIP_1) | instid1(VALU_DEP_2)
	v_min_u32_e32 v33, s15, v22
	v_add_nc_u32_e32 v51, 0x200, v22
	v_lshlrev_b64 v[0:1], 1, v[33:34]
	s_delay_alu instid0(VALU_DEP_2) | instskip(SKIP_1) | instid1(VALU_DEP_2)
	v_min_u32_e32 v33, s15, v51
	s_waitcnt lgkmcnt(0)
	v_add_co_u32 v6, vcc_lo, s2, v0
	s_delay_alu instid0(VALU_DEP_3) | instskip(NEXT) | instid1(VALU_DEP_3)
	v_add_co_ci_u32_e32 v7, vcc_lo, s3, v1, vcc_lo
	v_lshlrev_b64 v[0:1], 1, v[33:34]
	s_delay_alu instid0(VALU_DEP_3) | instskip(NEXT) | instid1(VALU_DEP_3)
	v_add_co_u32 v2, vcc_lo, v6, v38
	v_add_co_ci_u32_e32 v3, vcc_lo, v7, v39, vcc_lo
	v_add_co_u32 v4, vcc_lo, v6, v40
	v_add_co_ci_u32_e32 v5, vcc_lo, v7, v41, vcc_lo
	;; [unrolled: 2-line block ×4, first 2 shown]
	s_delay_alu instid0(VALU_DEP_4) | instskip(NEXT) | instid1(VALU_DEP_4)
	v_add_co_u32 v6, vcc_lo, v10, v38
	v_add_co_ci_u32_e32 v7, vcc_lo, v11, v39, vcc_lo
	v_add_co_u32 v8, vcc_lo, v10, v40
	v_add_co_ci_u32_e32 v9, vcc_lo, v11, v41, vcc_lo
	;; [unrolled: 2-line block ×3, first 2 shown]
	s_clause 0x5
	global_load_b128 v[28:31], v[2:3], off slc dlc
	global_load_b128 v[24:27], v[4:5], off slc dlc
	;; [unrolled: 1-line block ×6, first 2 shown]
	v_mov_b32_e32 v4, 0
	v_cmp_gt_u32_e32 vcc_lo, s4, v22
	v_dual_mov_b32 v5, 0 :: v_dual_mov_b32 v6, 0
	v_dual_mov_b32 v7, 0 :: v_dual_mov_b32 v22, 0
	;; [unrolled: 1-line block ×3, first 2 shown]
	s_and_saveexec_b32 s18, vcc_lo
	s_cbranch_execz .LBB29_11
; %bb.13:                               ;   in Loop: Header=BB29_12 Depth=2
	ds_load_b128 v[20:23], v50
	v_dual_mov_b32 v7, 0 :: v_dual_mov_b32 v6, 0
	v_dual_mov_b32 v5, 0 :: v_dual_mov_b32 v4, 0
	s_mov_b32 s19, exec_lo
	v_cmpx_gt_u32_e64 s4, v51
	s_cbranch_execz .LBB29_10
; %bb.14:                               ;   in Loop: Header=BB29_12 Depth=2
	ds_load_b128 v[4:7], v50 offset:1024
	s_branch .LBB29_10
.LBB29_15:                              ;   in Loop: Header=BB29_8 Depth=1
	; sched_barrier mask(0x00000000)
	s_delay_alu instid0(VALU_DEP_1) | instskip(SKIP_3) | instid1(VALU_DEP_3)
	v_cvt_i32_f32_e32 v0, v49
	v_cvt_i32_f32_e32 v1, v48
	s_waitcnt lgkmcnt(0)
	v_cvt_i32_f32_e32 v2, v36
	v_cvt_f32_i32_dpp v0, v0 row_shr:8 row_mask:0xf bank_mask:0xf bound_ctrl:1
	s_delay_alu instid0(VALU_DEP_3) | instskip(NEXT) | instid1(VALU_DEP_3)
	v_cvt_f32_i32_dpp v1, v1 row_shr:8 row_mask:0xf bank_mask:0xf bound_ctrl:1
	v_cvt_f32_i32_dpp v2, v2 row_shr:8 row_mask:0xf bank_mask:0xf bound_ctrl:1
	s_delay_alu instid0(VALU_DEP_2) | instskip(NEXT) | instid1(VALU_DEP_1)
	v_dual_add_f32 v0, v49, v0 :: v_dual_add_f32 v1, v48, v1
	v_cvt_i32_f32_e32 v3, v0
	s_delay_alu instid0(VALU_DEP_2) | instskip(NEXT) | instid1(VALU_DEP_2)
	v_cvt_i32_f32_e32 v4, v1
	v_cvt_f32_i32_dpp v3, v3 row_shr:4 row_mask:0xf bank_mask:0xf bound_ctrl:1
	s_delay_alu instid0(VALU_DEP_2) | instskip(NEXT) | instid1(VALU_DEP_1)
	v_cvt_f32_i32_dpp v4, v4 row_shr:4 row_mask:0xf bank_mask:0xf bound_ctrl:1
	v_dual_add_f32 v2, v36, v2 :: v_dual_add_f32 v1, v1, v4
	s_delay_alu instid0(VALU_DEP_1) | instskip(NEXT) | instid1(VALU_DEP_2)
	v_cvt_i32_f32_e32 v5, v2
	v_cvt_i32_f32_e32 v4, v1
	s_delay_alu instid0(VALU_DEP_2) | instskip(NEXT) | instid1(VALU_DEP_2)
	v_cvt_f32_i32_dpp v5, v5 row_shr:4 row_mask:0xf bank_mask:0xf bound_ctrl:1
	v_cvt_f32_i32_dpp v4, v4 row_shr:2 row_mask:0xf bank_mask:0xf bound_ctrl:1
	s_delay_alu instid0(VALU_DEP_1) | instskip(NEXT) | instid1(VALU_DEP_1)
	v_dual_add_f32 v0, v0, v3 :: v_dual_add_f32 v1, v1, v4
	v_cvt_i32_f32_e32 v3, v0
	s_delay_alu instid0(VALU_DEP_1) | instskip(NEXT) | instid1(VALU_DEP_1)
	v_cvt_f32_i32_dpp v3, v3 row_shr:2 row_mask:0xf bank_mask:0xf bound_ctrl:1
	v_add_f32_e32 v0, v0, v3
	v_xor_b32_e32 v3, 16, v47
	s_delay_alu instid0(VALU_DEP_2) | instskip(NEXT) | instid1(VALU_DEP_2)
	v_cvt_i32_f32_e32 v4, v0
	v_cmp_gt_i32_e32 vcc_lo, 32, v3
	v_add_f32_e32 v2, v2, v5
	s_delay_alu instid0(VALU_DEP_3) | instskip(SKIP_1) | instid1(VALU_DEP_3)
	v_cvt_f32_i32_dpp v4, v4 row_shr:1 row_mask:0xf bank_mask:0xf bound_ctrl:1
	v_cndmask_b32_e32 v3, v47, v3, vcc_lo
	v_cvt_i32_f32_e32 v5, v2
	s_delay_alu instid0(VALU_DEP_2) | instskip(NEXT) | instid1(VALU_DEP_2)
	v_dual_add_f32 v4, v0, v4 :: v_dual_lshlrev_b32 v3, 2, v3
	v_cvt_f32_i32_dpp v5, v5 row_shr:2 row_mask:0xf bank_mask:0xf bound_ctrl:1
	s_delay_alu instid0(VALU_DEP_1) | instskip(SKIP_1) | instid1(VALU_DEP_2)
	v_add_f32_e32 v2, v2, v5
	v_cvt_i32_f32_e32 v5, v1
	v_cvt_i32_f32_e32 v6, v2
	s_delay_alu instid0(VALU_DEP_2) | instskip(NEXT) | instid1(VALU_DEP_2)
	v_cvt_f32_i32_dpp v5, v5 row_shr:1 row_mask:0xf bank_mask:0xf bound_ctrl:1
	v_cvt_f32_i32_dpp v6, v6 row_shr:1 row_mask:0xf bank_mask:0xf bound_ctrl:1
	s_delay_alu instid0(VALU_DEP_2)
	v_add_f32_e32 v0, v1, v5
	ds_bpermute_b32 v5, v3, v4
	v_add_f32_e32 v1, v2, v6
	ds_bpermute_b32 v2, v3, v0
	ds_bpermute_b32 v3, v3, v1
	s_and_saveexec_b32 s13, s0
	s_cbranch_execz .LBB29_7
; %bb.16:                               ;   in Loop: Header=BB29_8 Depth=1
	s_and_b32 vcc_lo, exec_lo, s17
	s_cbranch_vccz .LBB29_18
; %bb.17:                               ;   in Loop: Header=BB29_8 Depth=1
	v_mul_hi_u32 v6, v32, v46
	v_mul_hi_u32 v7, v37, v46
	;; [unrolled: 1-line block ×3, first 2 shown]
	v_mov_b32_e32 v38, v34
	v_mov_b32_e32 v36, v34
	v_mul_lo_u32 v6, v6, s14
	v_mul_lo_u32 v7, v7, s14
	;; [unrolled: 1-line block ×3, first 2 shown]
	s_delay_alu instid0(VALU_DEP_3) | instskip(NEXT) | instid1(VALU_DEP_3)
	v_sub_nc_u32_e32 v6, v32, v6
	v_sub_nc_u32_e32 v7, v37, v7
	s_delay_alu instid0(VALU_DEP_3) | instskip(NEXT) | instid1(VALU_DEP_3)
	v_sub_nc_u32_e32 v8, v35, v8
	v_subrev_nc_u32_e32 v9, s14, v6
	v_cmp_le_u32_e32 vcc_lo, s14, v6
	s_delay_alu instid0(VALU_DEP_2) | instskip(SKIP_2) | instid1(VALU_DEP_3)
	v_cndmask_b32_e32 v6, v6, v9, vcc_lo
	v_subrev_nc_u32_e32 v9, s14, v7
	v_cmp_le_u32_e32 vcc_lo, s14, v7
	v_subrev_nc_u32_e32 v10, s14, v6
	s_delay_alu instid0(VALU_DEP_3) | instskip(SKIP_2) | instid1(VALU_DEP_4)
	v_cndmask_b32_e32 v9, v7, v9, vcc_lo
	v_cmp_le_u32_e32 vcc_lo, s14, v6
	v_subrev_nc_u32_e32 v7, s14, v8
	v_cndmask_b32_e32 v33, v6, v10, vcc_lo
	v_cmp_le_u32_e32 vcc_lo, s14, v8
	v_subrev_nc_u32_e32 v10, s14, v9
	s_delay_alu instid0(VALU_DEP_4) | instskip(SKIP_2) | instid1(VALU_DEP_4)
	v_cndmask_b32_e32 v11, v8, v7, vcc_lo
	v_cmp_le_u32_e32 vcc_lo, s14, v9
	v_lshlrev_b64 v[6:7], 1, v[33:34]
	v_cndmask_b32_e32 v33, v9, v10, vcc_lo
	s_delay_alu instid0(VALU_DEP_4) | instskip(SKIP_1) | instid1(VALU_DEP_3)
	v_subrev_nc_u32_e32 v10, s14, v11
	v_cmp_le_u32_e32 vcc_lo, s14, v11
	v_lshlrev_b64 v[8:9], 1, v[33:34]
	s_delay_alu instid0(VALU_DEP_3) | instskip(SKIP_2) | instid1(VALU_DEP_3)
	v_cndmask_b32_e32 v33, v11, v10, vcc_lo
	v_add_co_u32 v6, vcc_lo, s8, v6
	v_add_co_ci_u32_e32 v7, vcc_lo, s9, v7, vcc_lo
	v_lshlrev_b64 v[10:11], 1, v[33:34]
	v_add_co_u32 v12, vcc_lo, s8, v8
	v_add_co_ci_u32_e32 v13, vcc_lo, s9, v9, vcc_lo
	v_mov_b32_e32 v33, v34
	s_delay_alu instid0(VALU_DEP_4)
	v_add_co_u32 v9, vcc_lo, s8, v10
	v_add_co_ci_u32_e32 v10, vcc_lo, s9, v11, vcc_lo
	s_clause 0x2
	global_load_u16 v8, v[6:7], off
	global_load_u16 v7, v[12:13], off
	;; [unrolled: 1-line block ×3, first 2 shown]
	s_cbranch_execnz .LBB29_6
	s_branch .LBB29_19
.LBB29_18:                              ;   in Loop: Header=BB29_8 Depth=1
                                        ; implicit-def: $vgpr6
                                        ; implicit-def: $vgpr7
                                        ; implicit-def: $vgpr8
.LBB29_19:                              ;   in Loop: Header=BB29_8 Depth=1
	s_waitcnt vmcnt(2)
	v_dual_mov_b32 v33, v34 :: v_dual_mov_b32 v8, 0
	s_waitcnt vmcnt(1)
	v_dual_mov_b32 v38, v34 :: v_dual_mov_b32 v7, 0
	v_mov_b32_e32 v36, v34
	s_waitcnt vmcnt(0)
	v_mov_b32_e32 v6, 0
	s_branch .LBB29_6
.LBB29_20:
	s_nop 0
	s_sendmsg sendmsg(MSG_DEALLOC_VGPRS)
	s_endpgm
	.section	.rodata,"a",@progbits
	.p2align	6, 0x0
	.amdhsa_kernel _Z16wvSplitK_hf_sml_I6__halfLi64ELi3ELi16ELi8ELi2ELi1EEviiiiiiPKT_S3_S3_PS1_ii
		.amdhsa_group_segment_fixed_size 65536
		.amdhsa_private_segment_fixed_size 0
		.amdhsa_kernarg_size 64
		.amdhsa_user_sgpr_count 15
		.amdhsa_user_sgpr_dispatch_ptr 0
		.amdhsa_user_sgpr_queue_ptr 0
		.amdhsa_user_sgpr_kernarg_segment_ptr 1
		.amdhsa_user_sgpr_dispatch_id 0
		.amdhsa_user_sgpr_private_segment_size 0
		.amdhsa_wavefront_size32 1
		.amdhsa_uses_dynamic_stack 0
		.amdhsa_enable_private_segment 0
		.amdhsa_system_sgpr_workgroup_id_x 1
		.amdhsa_system_sgpr_workgroup_id_y 0
		.amdhsa_system_sgpr_workgroup_id_z 0
		.amdhsa_system_sgpr_workgroup_info 0
		.amdhsa_system_vgpr_workitem_id 1
		.amdhsa_next_free_vgpr 52
		.amdhsa_next_free_sgpr 20
		.amdhsa_reserve_vcc 1
		.amdhsa_float_round_mode_32 0
		.amdhsa_float_round_mode_16_64 0
		.amdhsa_float_denorm_mode_32 3
		.amdhsa_float_denorm_mode_16_64 3
		.amdhsa_dx10_clamp 1
		.amdhsa_ieee_mode 1
		.amdhsa_fp16_overflow 0
		.amdhsa_workgroup_processor_mode 1
		.amdhsa_memory_ordered 1
		.amdhsa_forward_progress 0
		.amdhsa_shared_vgpr_count 0
		.amdhsa_exception_fp_ieee_invalid_op 0
		.amdhsa_exception_fp_denorm_src 0
		.amdhsa_exception_fp_ieee_div_zero 0
		.amdhsa_exception_fp_ieee_overflow 0
		.amdhsa_exception_fp_ieee_underflow 0
		.amdhsa_exception_fp_ieee_inexact 0
		.amdhsa_exception_int_div_zero 0
	.end_amdhsa_kernel
	.section	.text._Z16wvSplitK_hf_sml_I6__halfLi64ELi3ELi16ELi8ELi2ELi1EEviiiiiiPKT_S3_S3_PS1_ii,"axG",@progbits,_Z16wvSplitK_hf_sml_I6__halfLi64ELi3ELi16ELi8ELi2ELi1EEviiiiiiPKT_S3_S3_PS1_ii,comdat
.Lfunc_end29:
	.size	_Z16wvSplitK_hf_sml_I6__halfLi64ELi3ELi16ELi8ELi2ELi1EEviiiiiiPKT_S3_S3_PS1_ii, .Lfunc_end29-_Z16wvSplitK_hf_sml_I6__halfLi64ELi3ELi16ELi8ELi2ELi1EEviiiiiiPKT_S3_S3_PS1_ii
                                        ; -- End function
	.section	.AMDGPU.csdata,"",@progbits
; Kernel info:
; codeLenInByte = 2236
; NumSgprs: 22
; NumVgprs: 52
; ScratchSize: 0
; MemoryBound: 0
; FloatMode: 240
; IeeeMode: 1
; LDSByteSize: 65536 bytes/workgroup (compile time only)
; SGPRBlocks: 2
; VGPRBlocks: 6
; NumSGPRsForWavesPerEU: 22
; NumVGPRsForWavesPerEU: 52
; Occupancy: 16
; WaveLimiterHint : 0
; COMPUTE_PGM_RSRC2:SCRATCH_EN: 0
; COMPUTE_PGM_RSRC2:USER_SGPR: 15
; COMPUTE_PGM_RSRC2:TRAP_HANDLER: 0
; COMPUTE_PGM_RSRC2:TGID_X_EN: 1
; COMPUTE_PGM_RSRC2:TGID_Y_EN: 0
; COMPUTE_PGM_RSRC2:TGID_Z_EN: 0
; COMPUTE_PGM_RSRC2:TIDIG_COMP_CNT: 1
	.section	.text._Z12wvSplitK_hf_I6__halfLi64ELi3ELi16ELi8ELi2ELi1EEviiiiiiPKT_S3_S3_PS1_ii,"axG",@progbits,_Z12wvSplitK_hf_I6__halfLi64ELi3ELi16ELi8ELi2ELi1EEviiiiiiPKT_S3_S3_PS1_ii,comdat
	.protected	_Z12wvSplitK_hf_I6__halfLi64ELi3ELi16ELi8ELi2ELi1EEviiiiiiPKT_S3_S3_PS1_ii ; -- Begin function _Z12wvSplitK_hf_I6__halfLi64ELi3ELi16ELi8ELi2ELi1EEviiiiiiPKT_S3_S3_PS1_ii
	.globl	_Z12wvSplitK_hf_I6__halfLi64ELi3ELi16ELi8ELi2ELi1EEviiiiiiPKT_S3_S3_PS1_ii
	.p2align	8
	.type	_Z12wvSplitK_hf_I6__halfLi64ELi3ELi16ELi8ELi2ELi1EEviiiiiiPKT_S3_S3_PS1_ii,@function
_Z12wvSplitK_hf_I6__halfLi64ELi3ELi16ELi8ELi2ELi1EEviiiiiiPKT_S3_S3_PS1_ii: ; @_Z12wvSplitK_hf_I6__halfLi64ELi3ELi16ELi8ELi2ELi1EEviiiiiiPKT_S3_S3_PS1_ii
; %bb.0:
	s_clause 0x1
	s_load_b64 s[16:17], s[0:1], 0x38
	s_load_b128 s[4:7], s[0:1], 0x0
	v_bfe_u32 v1, v0, 10, 10
	s_clause 0x1
	s_load_b64 s[12:13], s[0:1], 0x20
	s_load_b32 s18, s[0:1], 0x10
	s_mov_b32 s8, 1
	s_delay_alu instid0(SALU_CYCLE_1) | instskip(SKIP_1) | instid1(SALU_CYCLE_1)
	s_mov_b32 s9, s8
	s_mov_b32 s10, s8
	v_mov_b32_e32 v34, s10
	v_dual_mov_b32 v32, s8 :: v_dual_mov_b32 v33, s9
	s_waitcnt lgkmcnt(0)
	v_mad_u64_u32 v[2:3], null, s15, s16, v[1:2]
	s_delay_alu instid0(VALU_DEP_1) | instskip(NEXT) | instid1(VALU_DEP_1)
	v_lshl_add_u32 v35, v2, 1, v2
	v_add_nc_u32_e32 v2, 3, v35
	v_cmp_gt_u32_e32 vcc_lo, s7, v35
	s_delay_alu instid0(VALU_DEP_2) | instskip(NEXT) | instid1(VALU_DEP_1)
	v_cmp_le_u32_e64 s2, s7, v2
	s_and_b32 s2, vcc_lo, s2
	s_delay_alu instid0(SALU_CYCLE_1)
	s_and_saveexec_b32 s11, s2
	s_cbranch_execz .LBB30_6
; %bb.1:
	v_dual_mov_b32 v34, s10 :: v_dual_mov_b32 v33, s9
	v_mov_b32_e32 v32, s8
	s_add_i32 s14, s7, -3
	s_mov_b32 s15, exec_lo
	v_cmpx_ne_u32_e64 s14, v35
	s_cbranch_execz .LBB30_5
; %bb.2:
	v_subrev_nc_u32_e32 v2, s14, v35
	s_mov_b32 s19, 0
	s_mov_b64 s[2:3], 0
	s_mov_b32 s9, s8
	s_mov_b32 s10, s8
	v_cmp_lt_u32_e32 vcc_lo, 1, v2
	v_cndmask_b32_e32 v2, 1, v2, vcc_lo
.LBB30_3:                               ; =>This Inner Loop Header: Depth=1
	s_cmp_lg_u32 s2, 2
	s_cselect_b32 s10, s10, 0
	s_cmp_lg_u32 s2, 1
	s_cselect_b32 s9, s9, 0
	;; [unrolled: 2-line block ×3, first 2 shown]
	s_add_u32 s2, s2, 1
	v_dual_mov_b32 v34, s10 :: v_dual_mov_b32 v33, s9
	v_cmp_eq_u32_e32 vcc_lo, s2, v2
	v_mov_b32_e32 v32, s8
	s_addc_u32 s3, s3, 0
	s_or_b32 s19, vcc_lo, s19
	s_delay_alu instid0(SALU_CYCLE_1)
	s_and_not1_b32 exec_lo, exec_lo, s19
	s_cbranch_execnz .LBB30_3
; %bb.4:
	s_or_b32 exec_lo, exec_lo, s19
	v_mov_b32_e32 v35, s14
.LBB30_5:
	s_or_b32 exec_lo, exec_lo, s15
.LBB30_6:
	s_delay_alu instid0(SALU_CYCLE_1) | instskip(SKIP_4) | instid1(VALU_DEP_1)
	s_or_b32 exec_lo, exec_lo, s11
	s_load_b64 s[8:9], s[0:1], 0x28
	v_and_b32_e32 v0, 0x3ff, v0
	s_min_u32 s3, s6, 0x8000
	s_mov_b32 s6, exec_lo
	v_lshlrev_b32_e32 v49, 3, v0
	s_delay_alu instid0(VALU_DEP_1) | instskip(NEXT) | instid1(VALU_DEP_1)
	v_lshl_add_u32 v4, v1, 9, v49
	v_cmpx_gt_u32_e64 s3, v4
	s_cbranch_execz .LBB30_9
; %bb.7:
	v_lshlrev_b32_e32 v5, 10, v1
	v_lshlrev_b32_e32 v6, 4, v0
	s_mov_b32 s10, 0
	s_delay_alu instid0(VALU_DEP_1) | instskip(NEXT) | instid1(VALU_DEP_1)
	v_add_co_u32 v2, s2, v5, v6
	v_add_co_ci_u32_e64 v3, null, 0, 0, s2
	v_add_nc_u32_e32 v5, v5, v6
	s_delay_alu instid0(VALU_DEP_3) | instskip(NEXT) | instid1(VALU_DEP_3)
	v_add_co_u32 v2, vcc_lo, s12, v2
	v_add_co_ci_u32_e32 v3, vcc_lo, s13, v3, vcc_lo
	.p2align	6
.LBB30_8:                               ; =>This Inner Loop Header: Depth=1
	global_load_b128 v[6:9], v[2:3], off
	v_add_nc_u32_e32 v4, 0x2000, v4
	v_add_co_u32 v2, vcc_lo, 0x4000, v2
	v_add_co_ci_u32_e32 v3, vcc_lo, 0, v3, vcc_lo
	s_delay_alu instid0(VALU_DEP_3) | instskip(NEXT) | instid1(VALU_DEP_1)
	v_cmp_le_u32_e64 s2, s3, v4
	s_or_b32 s10, s2, s10
	s_waitcnt vmcnt(0)
	ds_store_b128 v5, v[6:9]
	v_add_nc_u32_e32 v5, 0x4000, v5
	s_and_not1_b32 exec_lo, exec_lo, s10
	s_cbranch_execnz .LBB30_8
.LBB30_9:
	s_or_b32 exec_lo, exec_lo, s6
	v_cmp_gt_u32_e32 vcc_lo, s16, v1
	v_cmp_gt_u32_e64 s2, s7, v35
	s_waitcnt lgkmcnt(0)
	s_barrier
	buffer_gl0_inv
	s_and_b32 s2, vcc_lo, s2
	s_delay_alu instid0(SALU_CYCLE_1)
	s_and_saveexec_b32 s3, s2
	s_cbranch_execz .LBB30_42
; %bb.10:
	v_cvt_f32_u32_e32 v1, s18
	s_cmp_lg_u32 s4, 0
	s_clause 0x1
	s_load_b64 s[10:11], s[0:1], 0x18
	s_load_b64 s[14:15], s[0:1], 0x30
	s_cselect_b32 s6, -1, 0
	s_add_i32 s19, s4, -8
	v_rcp_iflag_f32_e32 v1, v1
	s_add_i32 s20, s7, -1
	s_cmp_lg_u64 s[8:9], 0
	v_cmp_eq_u32_e64 s0, 63, v0
	s_cselect_b32 s21, -1, 0
	s_sub_i32 s2, 0, s18
	v_mov_b32_e32 v37, 0
	v_mbcnt_lo_u32_b32 v52, -1, 0
	s_mul_i32 s23, s16, s17
	s_mov_b32 s22, 0
	s_waitcnt_depctr 0xfff
	v_dual_mul_f32 v1, 0x4f7ffffe, v1 :: v_dual_lshlrev_b32 v50, 4, v0
	s_mul_i32 s23, s23, 3
	s_add_i32 s24, s7, -3
	s_delay_alu instid0(VALU_DEP_1) | instskip(NEXT) | instid1(VALU_DEP_1)
	v_cvt_u32_f32_e32 v1, v1
	v_mul_lo_u32 v2, s2, v1
	s_delay_alu instid0(VALU_DEP_1) | instskip(NEXT) | instid1(VALU_DEP_1)
	v_mul_hi_u32 v2, v1, v2
	v_add_nc_u32_e32 v51, v1, v2
	s_branch .LBB30_13
.LBB30_11:                              ;   in Loop: Header=BB30_13 Depth=1
	s_or_b32 exec_lo, exec_lo, s26
	v_mov_b32_e32 v35, s24
.LBB30_12:                              ;   in Loop: Header=BB30_13 Depth=1
	s_or_b32 exec_lo, exec_lo, s25
	s_delay_alu instid0(VALU_DEP_1) | instskip(SKIP_1) | instid1(SALU_CYCLE_1)
	v_cmp_le_u32_e32 vcc_lo, s7, v35
	s_or_b32 s22, vcc_lo, s22
	s_and_not1_b32 exec_lo, exec_lo, s22
	s_cbranch_execz .LBB30_42
.LBB30_13:                              ; =>This Loop Header: Depth=1
                                        ;     Child Loop BB30_18 Depth 2
                                        ;     Child Loop BB30_40 Depth 2
	v_dual_mov_b32 v54, v37 :: v_dual_add_nc_u32 v39, 1, v35
	v_dual_mov_b32 v55, v37 :: v_dual_add_nc_u32 v38, 2, v35
	v_mov_b32_e32 v53, v37
	s_and_not1_b32 vcc_lo, exec_lo, s6
	s_cbranch_vccnz .LBB30_28
; %bb.14:                               ;   in Loop: Header=BB30_13 Depth=1
	v_min_u32_e32 v0, s20, v35
	s_waitcnt lgkmcnt(0)
	v_min_u32_e32 v1, s20, v39
	v_min_u32_e32 v2, s20, v38
	v_dual_mov_b32 v3, v37 :: v_dual_mov_b32 v54, 0
	v_mul_lo_u32 v36, v0, s5
	s_delay_alu instid0(VALU_DEP_4) | instskip(NEXT) | instid1(VALU_DEP_4)
	v_mul_lo_u32 v0, v1, s5
	v_mul_lo_u32 v2, v2, s5
	v_dual_mov_b32 v1, v37 :: v_dual_mov_b32 v56, v50
	v_mov_b32_e32 v53, 0
	v_mov_b32_e32 v55, 0
	s_mov_b32 s1, 0
	v_lshlrev_b64 v[40:41], 1, v[36:37]
	v_lshlrev_b64 v[42:43], 1, v[0:1]
	;; [unrolled: 1-line block ×3, first 2 shown]
	s_branch .LBB30_18
.LBB30_15:                              ;   in Loop: Header=BB30_18 Depth=2
	s_or_b32 exec_lo, exec_lo, s16
.LBB30_16:                              ;   in Loop: Header=BB30_18 Depth=2
	s_delay_alu instid0(SALU_CYCLE_1)
	s_or_b32 exec_lo, exec_lo, s3
.LBB30_17:                              ;   in Loop: Header=BB30_18 Depth=2
	s_delay_alu instid0(SALU_CYCLE_1)
	s_or_b32 exec_lo, exec_lo, s2
	s_waitcnt vmcnt(0) lgkmcnt(0)
	;;#ASMSTART
	v_dot2_f32_f16 v55, v20, v24, v55
	;;#ASMEND
	;;#ASMSTART
	v_dot2_f32_f16 v54, v20, v16, v54
	;;#ASMEND
	;; [unrolled: 3-line block ×9, first 2 shown]
	v_add_nc_u32_e32 v56, 0x800, v56
	;;#ASMSTART
	v_dot2_f32_f16 v55, v23, v27, v55
	;;#ASMEND
	;;#ASMSTART
	v_dot2_f32_f16 v54, v23, v19, v54
	;;#ASMEND
	;; [unrolled: 3-line block ×3, first 2 shown]
	s_addk_i32 s1, 0x400
	;;#ASMSTART
	v_dot2_f32_f16 v55, v28, v8, v55
	;;#ASMEND
	;;#ASMSTART
	v_dot2_f32_f16 v54, v28, v4, v54
	;;#ASMEND
	;; [unrolled: 3-line block ×6, first 2 shown]
	s_cmp_ge_u32 s1, s4
	;;#ASMSTART
	v_dot2_f32_f16 v55, v30, v10, v55
	;;#ASMEND
	;;#ASMSTART
	v_dot2_f32_f16 v54, v30, v6, v54
	;;#ASMEND
	;; [unrolled: 3-line block ×6, first 2 shown]
	s_cbranch_scc1 .LBB30_28
.LBB30_18:                              ;   Parent Loop BB30_13 Depth=1
                                        ; =>  This Inner Loop Header: Depth=2
	v_dual_mov_b32 v30, 0 :: v_dual_add_nc_u32 v47, s1, v49
	v_dual_mov_b32 v29, 0 :: v_dual_mov_b32 v28, 0
	s_mov_b32 s2, exec_lo
	s_delay_alu instid0(VALU_DEP_2) | instskip(SKIP_1) | instid1(VALU_DEP_2)
	v_min_u32_e32 v36, s19, v47
	v_dual_mov_b32 v31, 0 :: v_dual_add_nc_u32 v46, 0x200, v47
	v_lshlrev_b64 v[0:1], 1, v[36:37]
	s_delay_alu instid0(VALU_DEP_2) | instskip(SKIP_1) | instid1(VALU_DEP_2)
	v_min_u32_e32 v36, s19, v46
	s_waitcnt vmcnt(0) lgkmcnt(0)
	v_add_co_u32 v6, vcc_lo, s10, v0
	s_delay_alu instid0(VALU_DEP_3) | instskip(NEXT) | instid1(VALU_DEP_3)
	v_add_co_ci_u32_e32 v7, vcc_lo, s11, v1, vcc_lo
	v_lshlrev_b64 v[0:1], 1, v[36:37]
	s_delay_alu instid0(VALU_DEP_3) | instskip(NEXT) | instid1(VALU_DEP_3)
	v_add_co_u32 v2, vcc_lo, v6, v40
	v_add_co_ci_u32_e32 v3, vcc_lo, v7, v41, vcc_lo
	v_add_co_u32 v4, vcc_lo, v6, v42
	v_add_co_ci_u32_e32 v5, vcc_lo, v7, v43, vcc_lo
	;; [unrolled: 2-line block ×4, first 2 shown]
	s_delay_alu instid0(VALU_DEP_4) | instskip(NEXT) | instid1(VALU_DEP_4)
	v_add_co_u32 v6, vcc_lo, v8, v40
	v_add_co_ci_u32_e32 v7, vcc_lo, v9, v41, vcc_lo
	v_add_co_u32 v20, vcc_lo, v8, v42
	v_add_co_ci_u32_e32 v21, vcc_lo, v9, v43, vcc_lo
	;; [unrolled: 2-line block ×3, first 2 shown]
	s_clause 0x5
	global_load_b128 v[24:27], v[2:3], off slc dlc
	global_load_b128 v[16:19], v[4:5], off slc dlc
	;; [unrolled: 1-line block ×6, first 2 shown]
	v_dual_mov_b32 v21, 0 :: v_dual_mov_b32 v20, 0
	v_dual_mov_b32 v22, 0 :: v_dual_mov_b32 v23, 0
	v_cmpx_gt_u32_e64 s4, v47
	s_cbranch_execz .LBB30_17
; %bb.19:                               ;   in Loop: Header=BB30_18 Depth=2
	s_mov_b32 s3, exec_lo
                                        ; implicit-def: $vgpr20
	v_cmpx_lt_u32_e32 0x7fff, v47
	s_xor_b32 s3, exec_lo, s3
	s_cbranch_execz .LBB30_21
; %bb.20:                               ;   in Loop: Header=BB30_18 Depth=2
	v_mov_b32_e32 v48, v37
	s_delay_alu instid0(VALU_DEP_1) | instskip(NEXT) | instid1(VALU_DEP_1)
	v_lshlrev_b64 v[20:21], 1, v[47:48]
	v_add_co_u32 v20, vcc_lo, s12, v20
	s_delay_alu instid0(VALU_DEP_2)
	v_add_co_ci_u32_e32 v21, vcc_lo, s13, v21, vcc_lo
	global_load_b128 v[20:23], v[20:21], off
.LBB30_21:                              ;   in Loop: Header=BB30_18 Depth=2
	s_and_not1_saveexec_b32 s3, s3
	s_cbranch_execz .LBB30_23
; %bb.22:                               ;   in Loop: Header=BB30_18 Depth=2
	s_waitcnt vmcnt(0)
	ds_load_b128 v[20:23], v56
.LBB30_23:                              ;   in Loop: Header=BB30_18 Depth=2
	s_or_b32 exec_lo, exec_lo, s3
	v_dual_mov_b32 v31, 0 :: v_dual_mov_b32 v30, 0
	v_dual_mov_b32 v29, 0 :: v_dual_mov_b32 v28, 0
	s_mov_b32 s3, exec_lo
	v_cmpx_gt_u32_e64 s4, v46
	s_cbranch_execz .LBB30_16
; %bb.24:                               ;   in Loop: Header=BB30_18 Depth=2
	s_mov_b32 s16, exec_lo
                                        ; implicit-def: $vgpr31
	v_cmpx_lt_u32_e32 0x7fff, v46
	s_xor_b32 s16, exec_lo, s16
	s_cbranch_execz .LBB30_26
; %bb.25:                               ;   in Loop: Header=BB30_18 Depth=2
	v_mov_b32_e32 v47, v37
	s_delay_alu instid0(VALU_DEP_1) | instskip(NEXT) | instid1(VALU_DEP_1)
	v_lshlrev_b64 v[28:29], 1, v[46:47]
	v_add_co_u32 v28, vcc_lo, s12, v28
	s_delay_alu instid0(VALU_DEP_2)
	v_add_co_ci_u32_e32 v29, vcc_lo, s13, v29, vcc_lo
	global_load_b128 v[28:31], v[28:29], off
.LBB30_26:                              ;   in Loop: Header=BB30_18 Depth=2
	s_and_not1_saveexec_b32 s16, s16
	s_cbranch_execz .LBB30_15
; %bb.27:                               ;   in Loop: Header=BB30_18 Depth=2
	s_waitcnt vmcnt(0)
	ds_load_b128 v[28:31], v56 offset:1024
	s_branch .LBB30_15
.LBB30_28:                              ;   in Loop: Header=BB30_13 Depth=1
	s_delay_alu instid0(VALU_DEP_2) | instskip(SKIP_3) | instid1(VALU_DEP_3)
	v_cvt_i32_f32_e32 v0, v55
	s_waitcnt lgkmcnt(0)
	v_cvt_i32_f32_e32 v1, v54
	v_cvt_i32_f32_e32 v2, v53
	v_cvt_f32_i32_dpp v0, v0 row_shr:8 row_mask:0xf bank_mask:0xf bound_ctrl:1
	s_delay_alu instid0(VALU_DEP_3) | instskip(NEXT) | instid1(VALU_DEP_3)
	v_cvt_f32_i32_dpp v1, v1 row_shr:8 row_mask:0xf bank_mask:0xf bound_ctrl:1
	v_cvt_f32_i32_dpp v2, v2 row_shr:8 row_mask:0xf bank_mask:0xf bound_ctrl:1
	s_delay_alu instid0(VALU_DEP_2) | instskip(NEXT) | instid1(VALU_DEP_2)
	v_dual_add_f32 v0, v55, v0 :: v_dual_add_f32 v1, v54, v1
	v_add_f32_e32 v2, v53, v2
	s_delay_alu instid0(VALU_DEP_2) | instskip(NEXT) | instid1(VALU_DEP_3)
	v_cvt_i32_f32_e32 v3, v0
	v_cvt_i32_f32_e32 v4, v1
	s_delay_alu instid0(VALU_DEP_3) | instskip(NEXT) | instid1(VALU_DEP_3)
	v_cvt_i32_f32_e32 v5, v2
	v_cvt_f32_i32_dpp v3, v3 row_shr:4 row_mask:0xf bank_mask:0xf bound_ctrl:1
	s_delay_alu instid0(VALU_DEP_3) | instskip(NEXT) | instid1(VALU_DEP_3)
	v_cvt_f32_i32_dpp v4, v4 row_shr:4 row_mask:0xf bank_mask:0xf bound_ctrl:1
	v_cvt_f32_i32_dpp v5, v5 row_shr:4 row_mask:0xf bank_mask:0xf bound_ctrl:1
	s_delay_alu instid0(VALU_DEP_2) | instskip(NEXT) | instid1(VALU_DEP_1)
	v_dual_add_f32 v0, v0, v3 :: v_dual_add_f32 v1, v1, v4
	v_cvt_i32_f32_e32 v3, v0
	s_delay_alu instid0(VALU_DEP_2) | instskip(NEXT) | instid1(VALU_DEP_2)
	v_cvt_i32_f32_e32 v4, v1
	v_cvt_f32_i32_dpp v3, v3 row_shr:2 row_mask:0xf bank_mask:0xf bound_ctrl:1
	s_delay_alu instid0(VALU_DEP_2) | instskip(NEXT) | instid1(VALU_DEP_1)
	v_cvt_f32_i32_dpp v4, v4 row_shr:2 row_mask:0xf bank_mask:0xf bound_ctrl:1
	v_dual_add_f32 v2, v2, v5 :: v_dual_add_f32 v1, v1, v4
	s_delay_alu instid0(VALU_DEP_1) | instskip(NEXT) | instid1(VALU_DEP_1)
	v_cvt_i32_f32_e32 v5, v2
	v_cvt_f32_i32_dpp v5, v5 row_shr:2 row_mask:0xf bank_mask:0xf bound_ctrl:1
	s_delay_alu instid0(VALU_DEP_1) | instskip(SKIP_1) | instid1(VALU_DEP_2)
	v_dual_add_f32 v0, v0, v3 :: v_dual_add_f32 v3, v2, v5
	v_xor_b32_e32 v2, 16, v52
	v_cvt_i32_f32_e32 v4, v0
	v_cvt_i32_f32_e32 v5, v1
	s_waitcnt vmcnt(0)
	v_cvt_i32_f32_e32 v6, v3
	v_cmp_gt_i32_e32 vcc_lo, 32, v2
	v_cvt_f32_i32_dpp v4, v4 row_shr:1 row_mask:0xf bank_mask:0xf bound_ctrl:1
	v_cvt_f32_i32_dpp v5, v5 row_shr:1 row_mask:0xf bank_mask:0xf bound_ctrl:1
	s_delay_alu instid0(VALU_DEP_4) | instskip(SKIP_1) | instid1(VALU_DEP_4)
	v_cvt_f32_i32_dpp v6, v6 row_shr:1 row_mask:0xf bank_mask:0xf bound_ctrl:1
	v_cndmask_b32_e32 v2, v52, v2, vcc_lo
	v_add_f32_e32 v4, v0, v4
	s_delay_alu instid0(VALU_DEP_3) | instskip(NEXT) | instid1(VALU_DEP_3)
	v_add_f32_e32 v0, v3, v6
	v_dual_add_f32 v2, v1, v5 :: v_dual_lshlrev_b32 v7, 2, v2
	ds_bpermute_b32 v5, v7, v4
	ds_bpermute_b32 v3, v7, v2
	;; [unrolled: 1-line block ×3, first 2 shown]
	s_and_saveexec_b32 s1, s0
	s_cbranch_execz .LBB30_37
; %bb.29:                               ;   in Loop: Header=BB30_13 Depth=1
	v_dual_mov_b32 v8, 0 :: v_dual_mov_b32 v7, 0
	v_mov_b32_e32 v6, 0
	s_and_not1_b32 vcc_lo, exec_lo, s21
	s_cbranch_vccnz .LBB30_31
; %bb.30:                               ;   in Loop: Header=BB30_13 Depth=1
	v_mul_hi_u32 v6, v35, v51
	v_mul_hi_u32 v7, v39, v51
	;; [unrolled: 1-line block ×3, first 2 shown]
	s_delay_alu instid0(VALU_DEP_3) | instskip(NEXT) | instid1(VALU_DEP_3)
	v_mul_lo_u32 v6, v6, s18
	v_mul_lo_u32 v7, v7, s18
	s_delay_alu instid0(VALU_DEP_3) | instskip(NEXT) | instid1(VALU_DEP_3)
	v_mul_lo_u32 v8, v8, s18
	v_sub_nc_u32_e32 v6, v35, v6
	s_delay_alu instid0(VALU_DEP_3) | instskip(NEXT) | instid1(VALU_DEP_3)
	v_sub_nc_u32_e32 v7, v39, v7
	v_sub_nc_u32_e32 v8, v38, v8
	s_delay_alu instid0(VALU_DEP_3) | instskip(SKIP_1) | instid1(VALU_DEP_2)
	v_subrev_nc_u32_e32 v9, s18, v6
	v_cmp_le_u32_e32 vcc_lo, s18, v6
	v_cndmask_b32_e32 v6, v6, v9, vcc_lo
	v_subrev_nc_u32_e32 v9, s18, v7
	v_cmp_le_u32_e32 vcc_lo, s18, v7
	s_delay_alu instid0(VALU_DEP_3) | instskip(NEXT) | instid1(VALU_DEP_3)
	v_subrev_nc_u32_e32 v10, s18, v6
	v_cndmask_b32_e32 v9, v7, v9, vcc_lo
	v_cmp_le_u32_e32 vcc_lo, s18, v6
	v_subrev_nc_u32_e32 v7, s18, v8
	s_delay_alu instid0(VALU_DEP_4) | instskip(SKIP_2) | instid1(VALU_DEP_4)
	v_cndmask_b32_e32 v36, v6, v10, vcc_lo
	v_cmp_le_u32_e32 vcc_lo, s18, v8
	v_subrev_nc_u32_e32 v10, s18, v9
	v_cndmask_b32_e32 v11, v8, v7, vcc_lo
	v_cmp_le_u32_e32 vcc_lo, s18, v9
	v_lshlrev_b64 v[6:7], 1, v[36:37]
	s_delay_alu instid0(VALU_DEP_4) | instskip(NEXT) | instid1(VALU_DEP_4)
	v_cndmask_b32_e32 v36, v9, v10, vcc_lo
	v_subrev_nc_u32_e32 v10, s18, v11
	v_cmp_le_u32_e32 vcc_lo, s18, v11
	s_delay_alu instid0(VALU_DEP_3) | instskip(NEXT) | instid1(VALU_DEP_3)
	v_lshlrev_b64 v[8:9], 1, v[36:37]
	v_cndmask_b32_e32 v36, v11, v10, vcc_lo
	v_add_co_u32 v6, vcc_lo, s8, v6
	v_add_co_ci_u32_e32 v7, vcc_lo, s9, v7, vcc_lo
	s_delay_alu instid0(VALU_DEP_3) | instskip(SKIP_2) | instid1(VALU_DEP_3)
	v_lshlrev_b64 v[10:11], 1, v[36:37]
	v_add_co_u32 v12, vcc_lo, s8, v8
	v_add_co_ci_u32_e32 v13, vcc_lo, s9, v9, vcc_lo
	v_add_co_u32 v9, vcc_lo, s8, v10
	s_delay_alu instid0(VALU_DEP_4)
	v_add_co_ci_u32_e32 v10, vcc_lo, s9, v11, vcc_lo
	s_clause 0x2
	global_load_u16 v8, v[6:7], off
	global_load_u16 v7, v[12:13], off
	;; [unrolled: 1-line block ×3, first 2 shown]
.LBB30_31:                              ;   in Loop: Header=BB30_13 Depth=1
	s_mov_b32 s2, exec_lo
	v_cmpx_ne_u32_e32 0, v32
	s_cbranch_execz .LBB30_33
; %bb.32:                               ;   in Loop: Header=BB30_13 Depth=1
	s_waitcnt lgkmcnt(0)
	v_add_f32_e32 v4, v4, v5
	s_waitcnt vmcnt(2)
	v_cvt_f32_f16_e32 v5, v8
	v_mov_b32_e32 v36, v37
	s_delay_alu instid0(VALU_DEP_2) | instskip(NEXT) | instid1(VALU_DEP_2)
	v_add_f32_e32 v8, v4, v5
	v_lshlrev_b64 v[4:5], 1, v[35:36]
	s_delay_alu instid0(VALU_DEP_2) | instskip(NEXT) | instid1(VALU_DEP_2)
	v_cvt_f16_f32_e32 v8, v8
	v_add_co_u32 v4, vcc_lo, s14, v4
	s_delay_alu instid0(VALU_DEP_3)
	v_add_co_ci_u32_e32 v5, vcc_lo, s15, v5, vcc_lo
	global_store_b16 v[4:5], v8, off
.LBB30_33:                              ;   in Loop: Header=BB30_13 Depth=1
	s_or_b32 exec_lo, exec_lo, s2
	s_delay_alu instid0(SALU_CYCLE_1)
	s_mov_b32 s2, exec_lo
	v_cmpx_ne_u32_e32 0, v33
	s_cbranch_execz .LBB30_35
; %bb.34:                               ;   in Loop: Header=BB30_13 Depth=1
	s_waitcnt lgkmcnt(0)
	v_add_f32_e32 v2, v2, v3
	s_waitcnt vmcnt(1)
	v_cvt_f32_f16_e32 v3, v7
	v_mov_b32_e32 v40, v37
	s_delay_alu instid0(VALU_DEP_2) | instskip(NEXT) | instid1(VALU_DEP_2)
	v_add_f32_e32 v4, v2, v3
	v_lshlrev_b64 v[2:3], 1, v[39:40]
	s_delay_alu instid0(VALU_DEP_2) | instskip(NEXT) | instid1(VALU_DEP_2)
	v_cvt_f16_f32_e32 v4, v4
	v_add_co_u32 v2, vcc_lo, s14, v2
	s_delay_alu instid0(VALU_DEP_3)
	v_add_co_ci_u32_e32 v3, vcc_lo, s15, v3, vcc_lo
	global_store_b16 v[2:3], v4, off
.LBB30_35:                              ;   in Loop: Header=BB30_13 Depth=1
	s_or_b32 exec_lo, exec_lo, s2
	v_cmp_ne_u32_e32 vcc_lo, 0, v34
	s_and_b32 exec_lo, exec_lo, vcc_lo
	s_cbranch_execz .LBB30_37
; %bb.36:                               ;   in Loop: Header=BB30_13 Depth=1
	s_waitcnt lgkmcnt(0)
	v_dual_add_f32 v0, v0, v1 :: v_dual_mov_b32 v39, v37
	s_waitcnt vmcnt(0)
	v_cvt_f32_f16_e32 v1, v6
	s_delay_alu instid0(VALU_DEP_1) | instskip(NEXT) | instid1(VALU_DEP_3)
	v_add_f32_e32 v2, v0, v1
	v_lshlrev_b64 v[0:1], 1, v[38:39]
	s_delay_alu instid0(VALU_DEP_2) | instskip(NEXT) | instid1(VALU_DEP_2)
	v_cvt_f16_f32_e32 v2, v2
	v_add_co_u32 v0, vcc_lo, s14, v0
	s_delay_alu instid0(VALU_DEP_3)
	v_add_co_ci_u32_e32 v1, vcc_lo, s15, v1, vcc_lo
	global_store_b16 v[0:1], v2, off
.LBB30_37:                              ;   in Loop: Header=BB30_13 Depth=1
	s_or_b32 exec_lo, exec_lo, s1
	v_add_nc_u32_e32 v35, s23, v35
	s_delay_alu instid0(VALU_DEP_1) | instskip(SKIP_1) | instid1(VALU_DEP_2)
	v_add_nc_u32_e32 v0, 3, v35
	v_cmp_gt_u32_e32 vcc_lo, s7, v35
	v_cmp_le_u32_e64 s1, s7, v0
	s_delay_alu instid0(VALU_DEP_1) | instskip(NEXT) | instid1(SALU_CYCLE_1)
	s_and_b32 s1, vcc_lo, s1
	s_and_saveexec_b32 s25, s1
	s_cbranch_execz .LBB30_12
; %bb.38:                               ;   in Loop: Header=BB30_13 Depth=1
	s_mov_b32 s26, exec_lo
	v_cmpx_ne_u32_e64 s24, v35
	s_cbranch_execz .LBB30_11
; %bb.39:                               ;   in Loop: Header=BB30_13 Depth=1
	v_subrev_nc_u32_e32 v0, s24, v35
	s_mov_b32 s27, 0
	s_mov_b64 s[16:17], 0
	s_delay_alu instid0(VALU_DEP_1)
	v_cmp_lt_u32_e32 vcc_lo, 1, v0
	v_cndmask_b32_e32 v0, 1, v0, vcc_lo
	.p2align	6
.LBB30_40:                              ;   Parent Loop BB30_13 Depth=1
                                        ; =>  This Inner Loop Header: Depth=2
	s_cmp_lg_u32 s16, 2
	s_cselect_b32 vcc_lo, -1, 0
	s_cmp_lg_u32 s16, 1
	v_cndmask_b32_e32 v34, 0, v34, vcc_lo
	s_cselect_b32 s1, -1, 0
	s_cmp_lg_u32 s16, 0
	v_cndmask_b32_e64 v33, 0, v33, s1
	s_cselect_b32 s2, -1, 0
	s_add_u32 s16, s16, 1
	v_cndmask_b32_e64 v32, 0, v32, s2
	v_cmp_eq_u32_e64 s3, s16, v0
	s_addc_u32 s17, s17, 0
	s_delay_alu instid0(VALU_DEP_1) | instskip(NEXT) | instid1(SALU_CYCLE_1)
	s_or_b32 s27, s3, s27
	s_and_not1_b32 exec_lo, exec_lo, s27
	s_cbranch_execnz .LBB30_40
; %bb.41:                               ;   in Loop: Header=BB30_13 Depth=1
	s_or_b32 exec_lo, exec_lo, s27
	s_branch .LBB30_11
.LBB30_42:
	s_nop 0
	s_sendmsg sendmsg(MSG_DEALLOC_VGPRS)
	s_endpgm
	.section	.rodata,"a",@progbits
	.p2align	6, 0x0
	.amdhsa_kernel _Z12wvSplitK_hf_I6__halfLi64ELi3ELi16ELi8ELi2ELi1EEviiiiiiPKT_S3_S3_PS1_ii
		.amdhsa_group_segment_fixed_size 65536
		.amdhsa_private_segment_fixed_size 0
		.amdhsa_kernarg_size 64
		.amdhsa_user_sgpr_count 15
		.amdhsa_user_sgpr_dispatch_ptr 0
		.amdhsa_user_sgpr_queue_ptr 0
		.amdhsa_user_sgpr_kernarg_segment_ptr 1
		.amdhsa_user_sgpr_dispatch_id 0
		.amdhsa_user_sgpr_private_segment_size 0
		.amdhsa_wavefront_size32 1
		.amdhsa_uses_dynamic_stack 0
		.amdhsa_enable_private_segment 0
		.amdhsa_system_sgpr_workgroup_id_x 1
		.amdhsa_system_sgpr_workgroup_id_y 0
		.amdhsa_system_sgpr_workgroup_id_z 0
		.amdhsa_system_sgpr_workgroup_info 0
		.amdhsa_system_vgpr_workitem_id 1
		.amdhsa_next_free_vgpr 57
		.amdhsa_next_free_sgpr 28
		.amdhsa_reserve_vcc 1
		.amdhsa_float_round_mode_32 0
		.amdhsa_float_round_mode_16_64 0
		.amdhsa_float_denorm_mode_32 3
		.amdhsa_float_denorm_mode_16_64 3
		.amdhsa_dx10_clamp 1
		.amdhsa_ieee_mode 1
		.amdhsa_fp16_overflow 0
		.amdhsa_workgroup_processor_mode 1
		.amdhsa_memory_ordered 1
		.amdhsa_forward_progress 0
		.amdhsa_shared_vgpr_count 0
		.amdhsa_exception_fp_ieee_invalid_op 0
		.amdhsa_exception_fp_denorm_src 0
		.amdhsa_exception_fp_ieee_div_zero 0
		.amdhsa_exception_fp_ieee_overflow 0
		.amdhsa_exception_fp_ieee_underflow 0
		.amdhsa_exception_fp_ieee_inexact 0
		.amdhsa_exception_int_div_zero 0
	.end_amdhsa_kernel
	.section	.text._Z12wvSplitK_hf_I6__halfLi64ELi3ELi16ELi8ELi2ELi1EEviiiiiiPKT_S3_S3_PS1_ii,"axG",@progbits,_Z12wvSplitK_hf_I6__halfLi64ELi3ELi16ELi8ELi2ELi1EEviiiiiiPKT_S3_S3_PS1_ii,comdat
.Lfunc_end30:
	.size	_Z12wvSplitK_hf_I6__halfLi64ELi3ELi16ELi8ELi2ELi1EEviiiiiiPKT_S3_S3_PS1_ii, .Lfunc_end30-_Z12wvSplitK_hf_I6__halfLi64ELi3ELi16ELi8ELi2ELi1EEviiiiiiPKT_S3_S3_PS1_ii
                                        ; -- End function
	.section	.AMDGPU.csdata,"",@progbits
; Kernel info:
; codeLenInByte = 2808
; NumSgprs: 30
; NumVgprs: 57
; ScratchSize: 0
; MemoryBound: 0
; FloatMode: 240
; IeeeMode: 1
; LDSByteSize: 65536 bytes/workgroup (compile time only)
; SGPRBlocks: 3
; VGPRBlocks: 7
; NumSGPRsForWavesPerEU: 30
; NumVGPRsForWavesPerEU: 57
; Occupancy: 16
; WaveLimiterHint : 0
; COMPUTE_PGM_RSRC2:SCRATCH_EN: 0
; COMPUTE_PGM_RSRC2:USER_SGPR: 15
; COMPUTE_PGM_RSRC2:TRAP_HANDLER: 0
; COMPUTE_PGM_RSRC2:TGID_X_EN: 1
; COMPUTE_PGM_RSRC2:TGID_Y_EN: 0
; COMPUTE_PGM_RSRC2:TGID_Z_EN: 0
; COMPUTE_PGM_RSRC2:TIDIG_COMP_CNT: 1
	.section	.text._Z16wvSplitK_hf_big_I6__halfLi64ELi3ELi16ELi8ELi2ELi1EEviiiiiiPKT_S3_S3_PS1_ii,"axG",@progbits,_Z16wvSplitK_hf_big_I6__halfLi64ELi3ELi16ELi8ELi2ELi1EEviiiiiiPKT_S3_S3_PS1_ii,comdat
	.protected	_Z16wvSplitK_hf_big_I6__halfLi64ELi3ELi16ELi8ELi2ELi1EEviiiiiiPKT_S3_S3_PS1_ii ; -- Begin function _Z16wvSplitK_hf_big_I6__halfLi64ELi3ELi16ELi8ELi2ELi1EEviiiiiiPKT_S3_S3_PS1_ii
	.globl	_Z16wvSplitK_hf_big_I6__halfLi64ELi3ELi16ELi8ELi2ELi1EEviiiiiiPKT_S3_S3_PS1_ii
	.p2align	8
	.type	_Z16wvSplitK_hf_big_I6__halfLi64ELi3ELi16ELi8ELi2ELi1EEviiiiiiPKT_S3_S3_PS1_ii,@function
_Z16wvSplitK_hf_big_I6__halfLi64ELi3ELi16ELi8ELi2ELi1EEviiiiiiPKT_S3_S3_PS1_ii: ; @_Z16wvSplitK_hf_big_I6__halfLi64ELi3ELi16ELi8ELi2ELi1EEviiiiiiPKT_S3_S3_PS1_ii
; %bb.0:
	s_load_b64 s[12:13], s[0:1], 0x38
	v_bfe_u32 v1, v0, 10, 10
	s_mov_b32 s2, exec_lo
	s_waitcnt lgkmcnt(0)
	s_delay_alu instid0(VALU_DEP_1)
	v_cmpx_gt_u32_e64 s12, v1
	s_cbranch_execz .LBB31_46
; %bb.1:
	s_load_b128 s[16:19], s[0:1], 0x0
	v_mad_u64_u32 v[2:3], null, s15, s12, v[1:2]
	s_mov_b32 s4, 1
	s_delay_alu instid0(SALU_CYCLE_1) | instskip(SKIP_1) | instid1(SALU_CYCLE_1)
	s_mov_b32 s5, s4
	s_mov_b32 s6, s4
	v_mov_b32_e32 v34, s6
	s_delay_alu instid0(VALU_DEP_2) | instskip(SKIP_1) | instid1(VALU_DEP_2)
	v_lshl_add_u32 v35, v2, 1, v2
	v_dual_mov_b32 v32, s4 :: v_dual_mov_b32 v33, s5
	v_add_nc_u32_e32 v2, 3, v35
	s_waitcnt lgkmcnt(0)
	v_cmp_gt_u32_e32 vcc_lo, s19, v35
	s_delay_alu instid0(VALU_DEP_2) | instskip(NEXT) | instid1(VALU_DEP_1)
	v_cmp_le_u32_e64 s2, s19, v2
	s_and_b32 s2, vcc_lo, s2
	s_delay_alu instid0(SALU_CYCLE_1)
	s_and_saveexec_b32 s7, s2
	s_cbranch_execz .LBB31_7
; %bb.2:
	v_dual_mov_b32 v34, s6 :: v_dual_mov_b32 v33, s5
	v_mov_b32_e32 v32, s4
	s_add_i32 s8, s19, -3
	s_mov_b32 s9, exec_lo
	v_cmpx_ne_u32_e64 s8, v35
	s_cbranch_execz .LBB31_6
; %bb.3:
	v_subrev_nc_u32_e32 v2, s8, v35
	s_mov_b32 s10, 0
	s_mov_b64 s[2:3], 0
	s_mov_b32 s5, s4
	s_mov_b32 s6, s4
	v_cmp_lt_u32_e32 vcc_lo, 1, v2
	v_cndmask_b32_e32 v2, 1, v2, vcc_lo
.LBB31_4:                               ; =>This Inner Loop Header: Depth=1
	s_cmp_lg_u32 s2, 2
	s_cselect_b32 s6, s6, 0
	s_cmp_lg_u32 s2, 1
	s_cselect_b32 s5, s5, 0
	;; [unrolled: 2-line block ×3, first 2 shown]
	s_add_u32 s2, s2, 1
	v_dual_mov_b32 v34, s6 :: v_dual_mov_b32 v33, s5
	v_cmp_eq_u32_e32 vcc_lo, s2, v2
	v_mov_b32_e32 v32, s4
	s_addc_u32 s3, s3, 0
	s_or_b32 s10, vcc_lo, s10
	s_delay_alu instid0(SALU_CYCLE_1)
	s_and_not1_b32 exec_lo, exec_lo, s10
	s_cbranch_execnz .LBB31_4
; %bb.5:
	s_or_b32 exec_lo, exec_lo, s10
	v_mov_b32_e32 v35, s8
.LBB31_6:
	s_or_b32 exec_lo, exec_lo, s9
.LBB31_7:
	s_delay_alu instid0(SALU_CYCLE_1)
	s_or_b32 exec_lo, exec_lo, s7
	s_mul_i32 s28, s12, 3
	s_abs_i32 s5, s19
	s_abs_i32 s2, s28
	s_mov_b32 s15, 0
	v_cvt_f32_u32_e32 v2, s2
	s_sub_i32 s4, 0, s2
	s_delay_alu instid0(VALU_DEP_1) | instskip(SKIP_2) | instid1(VALU_DEP_1)
	v_rcp_iflag_f32_e32 v2, v2
	s_waitcnt_depctr 0xfff
	v_mul_f32_e32 v2, 0x4f7ffffe, v2
	v_cvt_u32_f32_e32 v2, v2
	s_delay_alu instid0(VALU_DEP_1) | instskip(NEXT) | instid1(VALU_DEP_1)
	v_readfirstlane_b32 s3, v2
	s_mul_i32 s4, s4, s3
	s_delay_alu instid0(SALU_CYCLE_1) | instskip(NEXT) | instid1(SALU_CYCLE_1)
	s_mul_hi_u32 s4, s3, s4
	s_add_i32 s3, s3, s4
	s_ashr_i32 s4, s19, 31
	s_mul_hi_u32 s3, s5, s3
	s_delay_alu instid0(SALU_CYCLE_1) | instskip(NEXT) | instid1(SALU_CYCLE_1)
	s_mul_i32 s3, s3, s2
	s_sub_i32 s3, s5, s3
	s_delay_alu instid0(SALU_CYCLE_1) | instskip(SKIP_2) | instid1(SALU_CYCLE_1)
	s_sub_i32 s5, s3, s2
	s_cmp_ge_u32 s3, s2
	s_cselect_b32 s3, s5, s3
	s_sub_i32 s5, s3, s2
	s_cmp_ge_u32 s3, s2
	s_cselect_b32 s2, s5, s3
	s_add_i32 s3, s28, s19
	s_xor_b32 s2, s2, s4
	s_delay_alu instid0(SALU_CYCLE_1) | instskip(NEXT) | instid1(SALU_CYCLE_1)
	s_sub_i32 s2, s2, s4
	s_sub_i32 s3, s3, s2
	s_cmp_eq_u32 s2, 0
	s_cselect_b32 s14, s19, s3
	s_delay_alu instid0(SALU_CYCLE_1)
	v_cmp_gt_u32_e32 vcc_lo, s14, v35
	s_and_b32 exec_lo, exec_lo, vcc_lo
	s_cbranch_execz .LBB31_46
; %bb.8:
	s_clause 0x1
	s_load_b32 s20, s[0:1], 0x10
	s_load_b256 s[4:11], s[0:1], 0x18
	s_min_u32 s21, s18, 0x8000
	s_cmp_lg_u32 s16, 0
	v_and_b32_e32 v0, 0x3ff, v0
	s_cselect_b32 s22, -1, 0
	s_cmp_lg_u32 s18, 0
	v_mbcnt_lo_u32_b32 v48, -1, 0
	s_cselect_b32 s23, -1, 0
	s_lshl_b32 s24, s12, 9
	s_add_i32 s25, s16, -8
	s_add_i32 s26, s19, -1
	v_lshlrev_b32_e32 v4, 4, v0
	v_lshlrev_b32_e32 v44, 3, v0
	s_mul_i32 s28, s28, s13
	v_mov_b32_e32 v37, 0
	s_delay_alu instid0(VALU_DEP_3) | instskip(NEXT) | instid1(VALU_DEP_3)
	v_lshl_add_u32 v45, v1, 10, v4
	v_lshl_add_u32 v46, v1, 9, v44
	s_waitcnt lgkmcnt(0)
	v_cvt_f32_u32_e32 v2, s20
	s_cmp_lg_u64 s[8:9], 0
	s_cselect_b32 s27, -1, 0
	s_sub_i32 s0, 0, s20
	s_delay_alu instid0(VALU_DEP_1)
	v_rcp_iflag_f32_e32 v2, v2
	s_add_i32 s29, s19, -3
	s_add_u32 s30, s10, 2
	s_addc_u32 s31, s11, 0
	s_lshl_b32 s33, s12, 10
	s_waitcnt_depctr 0xfff
	v_mul_f32_e32 v2, 0x4f7ffffe, v2
	s_delay_alu instid0(VALU_DEP_1) | instskip(NEXT) | instid1(VALU_DEP_1)
	v_cvt_u32_f32_e32 v2, v2
	v_mul_lo_u32 v3, s0, v2
	v_cmp_eq_u32_e64 s0, 63, v0
	s_delay_alu instid0(VALU_DEP_2) | instskip(NEXT) | instid1(VALU_DEP_1)
	v_mul_hi_u32 v3, v2, v3
	v_add_nc_u32_e32 v47, v2, v3
	s_branch .LBB31_12
.LBB31_9:                               ;   in Loop: Header=BB31_12 Depth=1
	s_or_b32 exec_lo, exec_lo, s36
	v_mov_b32_e32 v35, s29
.LBB31_10:                              ;   in Loop: Header=BB31_12 Depth=1
	s_or_b32 exec_lo, exec_lo, s35
.LBB31_11:                              ;   in Loop: Header=BB31_12 Depth=1
	s_delay_alu instid0(SALU_CYCLE_1) | instskip(NEXT) | instid1(VALU_DEP_1)
	s_or_b32 exec_lo, exec_lo, s34
	v_cmp_le_u32_e32 vcc_lo, s14, v35
	s_or_b32 s15, vcc_lo, s15
	s_delay_alu instid0(SALU_CYCLE_1)
	s_and_not1_b32 exec_lo, exec_lo, s15
	s_cbranch_execz .LBB31_46
.LBB31_12:                              ; =>This Loop Header: Depth=1
                                        ;     Child Loop BB31_17 Depth 2
                                        ;       Child Loop BB31_22 Depth 3
                                        ;     Child Loop BB31_44 Depth 2
	v_mov_b32_e32 v51, v37
	v_mov_b32_e32 v50, v37
	;; [unrolled: 1-line block ×3, first 2 shown]
	s_and_not1_b32 vcc_lo, exec_lo, s22
	s_mov_b32 s3, 0
	s_cbranch_vccnz .LBB31_29
; %bb.13:                               ;   in Loop: Header=BB31_12 Depth=1
	v_dual_mov_b32 v50, 0 :: v_dual_add_nc_u32 v1, 2, v35
	v_add_nc_u32_e32 v0, 1, v35
	s_waitcnt lgkmcnt(2)
	v_min_u32_e32 v2, s26, v35
	v_mov_b32_e32 v3, v37
	v_min_u32_e32 v1, s26, v1
	v_cmp_gt_u32_e64 s1, s19, v35
	v_mov_b32_e32 v49, 0
	v_mul_lo_u32 v36, v2, s17
	v_mov_b32_e32 v51, 0
	v_mul_lo_u32 v2, v1, s17
	v_mov_b32_e32 v1, v37
	v_min_u32_e32 v0, s26, v0
	s_mov_b32 s12, 0
	v_lshlrev_b64 v[38:39], 1, v[36:37]
	s_delay_alu instid0(VALU_DEP_2) | instskip(SKIP_1) | instid1(VALU_DEP_2)
	v_mul_lo_u32 v0, v0, s17
	v_lshlrev_b64 v[42:43], 1, v[2:3]
	v_lshlrev_b64 v[40:41], 1, v[0:1]
	s_branch .LBB31_17
.LBB31_14:                              ;   in Loop: Header=BB31_17 Depth=2
	s_or_b32 exec_lo, exec_lo, s34
.LBB31_15:                              ;   in Loop: Header=BB31_17 Depth=2
	s_delay_alu instid0(SALU_CYCLE_1)
	s_or_b32 exec_lo, exec_lo, s13
	s_waitcnt vmcnt(5) lgkmcnt(0)
	;;#ASMSTART
	v_dot2_f32_f16 v51, v20, v28, v51
	;;#ASMEND
	s_waitcnt vmcnt(4)
	;;#ASMSTART
	v_dot2_f32_f16 v50, v20, v24, v50
	;;#ASMEND
	s_waitcnt vmcnt(3)
	;;#ASMSTART
	v_dot2_f32_f16 v49, v20, v16, v49
	;;#ASMEND
	;;#ASMSTART
	v_dot2_f32_f16 v51, v21, v29, v51
	;;#ASMEND
	;; [unrolled: 3-line block ×10, first 2 shown]
	s_waitcnt vmcnt(2)
	;;#ASMSTART
	v_dot2_f32_f16 v51, v4, v12, v51
	;;#ASMEND
	s_waitcnt vmcnt(1)
	;;#ASMSTART
	v_dot2_f32_f16 v50, v4, v8, v50
	;;#ASMEND
	;; [unrolled: 4-line block ×3, first 2 shown]
	;;#ASMSTART
	v_dot2_f32_f16 v51, v5, v13, v51
	;;#ASMEND
	;;#ASMSTART
	v_dot2_f32_f16 v50, v5, v9, v50
	;;#ASMEND
	;; [unrolled: 3-line block ×9, first 2 shown]
.LBB31_16:                              ;   in Loop: Header=BB31_17 Depth=2
	s_or_b32 exec_lo, exec_lo, s2
	s_addk_i32 s12, 0x400
	s_delay_alu instid0(SALU_CYCLE_1)
	s_cmp_ge_u32 s12, s16
	s_cbranch_scc1 .LBB31_29
.LBB31_17:                              ;   Parent Loop BB31_12 Depth=1
                                        ; =>  This Loop Header: Depth=2
                                        ;       Child Loop BB31_22 Depth 3
	s_cmp_eq_u32 s12, 0
	s_cselect_b32 s13, -1, 0
	s_add_i32 s2, s3, s21
	s_delay_alu instid0(SALU_CYCLE_1) | instskip(SKIP_1) | instid1(SALU_CYCLE_1)
	s_cmp_eq_u32 s12, s2
	s_cselect_b32 s34, -1, 0
	s_or_b32 s34, s13, s34
	s_delay_alu instid0(SALU_CYCLE_1)
	s_and_not1_b32 vcc_lo, exec_lo, s34
	s_cbranch_vccz .LBB31_19
; %bb.18:                               ;   in Loop: Header=BB31_17 Depth=2
	s_and_saveexec_b32 s2, s1
	s_cbranch_execz .LBB31_16
	s_branch .LBB31_26
.LBB31_19:                              ;   in Loop: Header=BB31_17 Depth=2
	s_and_b32 s13, s13, exec_lo
	s_cselect_b32 s3, s3, s2
	s_and_not1_b32 vcc_lo, exec_lo, s23
	s_waitcnt vmcnt(0) lgkmcnt(0)
	s_waitcnt_vscnt null, 0x0
	s_barrier
	buffer_gl0_inv
	s_cbranch_vccnz .LBB31_25
; %bb.20:                               ;   in Loop: Header=BB31_17 Depth=2
	v_dual_mov_b32 v1, v45 :: v_dual_add_nc_u32 v0, s3, v46
	s_mov_b32 s13, 0
	s_mov_b32 s34, 0
                                        ; implicit-def: $sgpr35
	s_set_inst_prefetch_distance 0x1
	s_branch .LBB31_22
	.p2align	6
.LBB31_21:                              ;   in Loop: Header=BB31_22 Depth=3
	s_or_b32 exec_lo, exec_lo, s2
	s_delay_alu instid0(SALU_CYCLE_1) | instskip(NEXT) | instid1(SALU_CYCLE_1)
	s_and_b32 s2, exec_lo, s35
	s_or_b32 s13, s2, s13
	s_delay_alu instid0(SALU_CYCLE_1)
	s_and_not1_b32 exec_lo, exec_lo, s13
	s_cbranch_execz .LBB31_24
.LBB31_22:                              ;   Parent Loop BB31_12 Depth=1
                                        ;     Parent Loop BB31_17 Depth=2
                                        ; =>    This Inner Loop Header: Depth=3
	v_add_nc_u32_e32 v36, s34, v0
	v_add_nc_u32_e32 v2, s34, v46
	s_or_b32 s35, s35, exec_lo
	s_delay_alu instid0(VALU_DEP_2) | instskip(NEXT) | instid1(VALU_DEP_2)
	v_cmp_gt_u32_e32 vcc_lo, s18, v36
	v_cmp_gt_u32_e64 s2, s21, v2
	s_delay_alu instid0(VALU_DEP_1) | instskip(NEXT) | instid1(SALU_CYCLE_1)
	s_and_b32 s36, s2, vcc_lo
	s_and_saveexec_b32 s2, s36
	s_cbranch_execz .LBB31_21
; %bb.23:                               ;   in Loop: Header=BB31_22 Depth=3
	v_lshlrev_b64 v[2:3], 1, v[36:37]
	s_add_i32 s34, s34, s24
	s_delay_alu instid0(SALU_CYCLE_1) | instskip(SKIP_1) | instid1(VALU_DEP_1)
	s_cmp_ge_u32 s34, s21
	s_cselect_b32 s36, -1, 0
	v_add_co_u32 v2, vcc_lo, s6, v2
	s_delay_alu instid0(VALU_DEP_2) | instskip(SKIP_2) | instid1(SALU_CYCLE_1)
	v_add_co_ci_u32_e32 v3, vcc_lo, s7, v3, vcc_lo
	s_and_not1_b32 s35, s35, exec_lo
	s_and_b32 s36, s36, exec_lo
	s_or_b32 s35, s35, s36
	global_load_b128 v[2:5], v[2:3], off
	s_waitcnt vmcnt(0)
	ds_store_b128 v1, v[2:5]
	v_add_nc_u32_e32 v1, s33, v1
	s_branch .LBB31_21
.LBB31_24:                              ;   in Loop: Header=BB31_17 Depth=2
	s_set_inst_prefetch_distance 0x2
	s_or_b32 exec_lo, exec_lo, s13
.LBB31_25:                              ;   in Loop: Header=BB31_17 Depth=2
	s_waitcnt lgkmcnt(0)
	s_barrier
	buffer_gl0_inv
	s_and_saveexec_b32 s2, s1
	s_cbranch_execz .LBB31_16
.LBB31_26:                              ;   in Loop: Header=BB31_17 Depth=2
	v_dual_mov_b32 v23, 0 :: v_dual_add_nc_u32 v52, s12, v44
	s_mov_b32 s13, exec_lo
	v_mov_b32_e32 v22, 0
	s_delay_alu instid0(VALU_DEP_2) | instskip(SKIP_1) | instid1(VALU_DEP_2)
	v_min_u32_e32 v36, s25, v52
	v_add_nc_u32_e32 v53, 0x200, v52
	v_lshlrev_b64 v[0:1], 1, v[36:37]
	s_delay_alu instid0(VALU_DEP_2) | instskip(SKIP_1) | instid1(VALU_DEP_2)
	v_min_u32_e32 v36, s25, v53
	s_waitcnt lgkmcnt(0)
	v_add_co_u32 v6, vcc_lo, s4, v0
	s_waitcnt vmcnt(0)
	s_delay_alu instid0(VALU_DEP_3) | instskip(SKIP_1) | instid1(VALU_DEP_3)
	v_add_co_ci_u32_e32 v7, vcc_lo, s5, v1, vcc_lo
	v_lshlrev_b64 v[0:1], 1, v[36:37]
	v_add_co_u32 v2, vcc_lo, v6, v38
	s_delay_alu instid0(VALU_DEP_3)
	v_add_co_ci_u32_e32 v3, vcc_lo, v7, v39, vcc_lo
	v_add_co_u32 v4, vcc_lo, v6, v40
	v_add_co_ci_u32_e32 v5, vcc_lo, v7, v41, vcc_lo
	v_add_co_u32 v10, vcc_lo, s4, v0
	;; [unrolled: 2-line block ×3, first 2 shown]
	v_add_co_ci_u32_e32 v1, vcc_lo, v7, v43, vcc_lo
	s_delay_alu instid0(VALU_DEP_4) | instskip(NEXT) | instid1(VALU_DEP_4)
	v_add_co_u32 v6, vcc_lo, v10, v38
	v_add_co_ci_u32_e32 v7, vcc_lo, v11, v39, vcc_lo
	v_add_co_u32 v8, vcc_lo, v10, v40
	v_add_co_ci_u32_e32 v9, vcc_lo, v11, v41, vcc_lo
	;; [unrolled: 2-line block ×3, first 2 shown]
	s_clause 0x5
	global_load_b128 v[28:31], v[2:3], off slc dlc
	global_load_b128 v[24:27], v[4:5], off slc dlc
	;; [unrolled: 1-line block ×6, first 2 shown]
	v_dual_mov_b32 v4, 0 :: v_dual_mov_b32 v5, 0
	v_dual_mov_b32 v6, 0 :: v_dual_mov_b32 v7, 0
	;; [unrolled: 1-line block ×3, first 2 shown]
	v_cmpx_gt_u32_e64 s16, v52
	s_cbranch_execz .LBB31_15
; %bb.27:                               ;   in Loop: Header=BB31_17 Depth=2
	v_subrev_nc_u32_e32 v4, s3, v52
	v_dual_mov_b32 v6, 0 :: v_dual_mov_b32 v5, 0
	s_mov_b32 s34, exec_lo
	s_delay_alu instid0(VALU_DEP_2)
	v_dual_mov_b32 v7, 0 :: v_dual_lshlrev_b32 v36, 1, v4
	v_mov_b32_e32 v4, 0
	ds_load_b128 v[20:23], v36
	v_cmpx_gt_u32_e64 s16, v53
	s_cbranch_execz .LBB31_14
; %bb.28:                               ;   in Loop: Header=BB31_17 Depth=2
	ds_load_b128 v[4:7], v36 offset:1024
	s_branch .LBB31_14
.LBB31_29:                              ;   in Loop: Header=BB31_12 Depth=1
	s_mov_b32 s1, exec_lo
	v_cmpx_le_u32_e64 s19, v35
	s_xor_b32 s1, exec_lo, s1
; %bb.30:                               ;   in Loop: Header=BB31_12 Depth=1
	v_add_nc_u32_e32 v35, s28, v35
                                        ; implicit-def: $vgpr51
                                        ; implicit-def: $vgpr50
                                        ; implicit-def: $vgpr49
; %bb.31:                               ;   in Loop: Header=BB31_12 Depth=1
	s_and_not1_saveexec_b32 s34, s1
	s_cbranch_execz .LBB31_11
; %bb.32:                               ;   in Loop: Header=BB31_12 Depth=1
	v_cvt_i32_f32_e32 v0, v51
	v_cvt_i32_f32_e32 v1, v50
	s_waitcnt lgkmcnt(2)
	v_cvt_i32_f32_e32 v2, v49
	s_delay_alu instid0(VALU_DEP_3) | instskip(NEXT) | instid1(VALU_DEP_3)
	v_cvt_f32_i32_dpp v0, v0 row_shr:8 row_mask:0xf bank_mask:0xf bound_ctrl:1
	v_cvt_f32_i32_dpp v1, v1 row_shr:8 row_mask:0xf bank_mask:0xf bound_ctrl:1
	s_delay_alu instid0(VALU_DEP_3) | instskip(NEXT) | instid1(VALU_DEP_2)
	v_cvt_f32_i32_dpp v2, v2 row_shr:8 row_mask:0xf bank_mask:0xf bound_ctrl:1
	v_dual_add_f32 v0, v51, v0 :: v_dual_add_f32 v1, v50, v1
	s_delay_alu instid0(VALU_DEP_1) | instskip(SKIP_1) | instid1(VALU_DEP_2)
	v_cvt_i32_f32_e32 v3, v0
	s_waitcnt lgkmcnt(1)
	v_cvt_i32_f32_e32 v4, v1
	s_delay_alu instid0(VALU_DEP_2) | instskip(NEXT) | instid1(VALU_DEP_2)
	v_cvt_f32_i32_dpp v3, v3 row_shr:4 row_mask:0xf bank_mask:0xf bound_ctrl:1
	v_cvt_f32_i32_dpp v4, v4 row_shr:4 row_mask:0xf bank_mask:0xf bound_ctrl:1
	s_delay_alu instid0(VALU_DEP_1) | instskip(NEXT) | instid1(VALU_DEP_1)
	v_dual_add_f32 v0, v0, v3 :: v_dual_add_f32 v1, v1, v4
	v_cvt_i32_f32_e32 v3, v0
	s_delay_alu instid0(VALU_DEP_2) | instskip(NEXT) | instid1(VALU_DEP_2)
	v_cvt_i32_f32_e32 v4, v1
	v_cvt_f32_i32_dpp v3, v3 row_shr:2 row_mask:0xf bank_mask:0xf bound_ctrl:1
	s_delay_alu instid0(VALU_DEP_2) | instskip(NEXT) | instid1(VALU_DEP_2)
	v_cvt_f32_i32_dpp v4, v4 row_shr:2 row_mask:0xf bank_mask:0xf bound_ctrl:1
	v_add_f32_e32 v0, v0, v3
	v_xor_b32_e32 v3, 16, v48
	s_delay_alu instid0(VALU_DEP_3) | instskip(NEXT) | instid1(VALU_DEP_2)
	v_add_f32_e32 v1, v1, v4
	v_cmp_gt_i32_e32 vcc_lo, 32, v3
	v_dual_add_f32 v2, v49, v2 :: v_dual_cndmask_b32 v3, v48, v3
	s_delay_alu instid0(VALU_DEP_1) | instskip(SKIP_1) | instid1(VALU_DEP_2)
	v_cvt_i32_f32_e32 v5, v2
	s_waitcnt vmcnt(1)
	v_lshlrev_b32_e32 v8, 2, v3
	s_delay_alu instid0(VALU_DEP_2) | instskip(NEXT) | instid1(VALU_DEP_1)
	v_cvt_f32_i32_dpp v5, v5 row_shr:4 row_mask:0xf bank_mask:0xf bound_ctrl:1
	v_add_f32_e32 v2, v2, v5
	s_delay_alu instid0(VALU_DEP_1) | instskip(NEXT) | instid1(VALU_DEP_1)
	v_cvt_i32_f32_e32 v5, v2
	v_cvt_f32_i32_dpp v5, v5 row_shr:2 row_mask:0xf bank_mask:0xf bound_ctrl:1
	s_delay_alu instid0(VALU_DEP_1) | instskip(SKIP_2) | instid1(VALU_DEP_2)
	v_add_f32_e32 v2, v2, v5
	v_cvt_i32_f32_e32 v5, v1
	s_waitcnt lgkmcnt(0)
	v_cvt_i32_f32_e32 v6, v2
	s_waitcnt vmcnt(0)
	s_delay_alu instid0(VALU_DEP_2) | instskip(NEXT) | instid1(VALU_DEP_2)
	v_cvt_f32_i32_dpp v7, v5 row_shr:1 row_mask:0xf bank_mask:0xf bound_ctrl:1
	v_cvt_f32_i32_dpp v6, v6 row_shr:1 row_mask:0xf bank_mask:0xf bound_ctrl:1
	s_delay_alu instid0(VALU_DEP_2) | instskip(NEXT) | instid1(VALU_DEP_2)
	v_add_f32_e32 v3, v1, v7
	v_add_f32_e32 v1, v2, v6
	v_cvt_i32_f32_e32 v4, v0
	ds_bpermute_b32 v2, v8, v1
	v_cvt_f32_i32_dpp v4, v4 row_shr:1 row_mask:0xf bank_mask:0xf bound_ctrl:1
	s_delay_alu instid0(VALU_DEP_1)
	v_add_f32_e32 v5, v0, v4
	ds_bpermute_b32 v4, v8, v3
	ds_bpermute_b32 v6, v8, v5
	s_and_saveexec_b32 s1, s0
	s_cbranch_execz .LBB31_41
; %bb.33:                               ;   in Loop: Header=BB31_12 Depth=1
	v_dual_mov_b32 v9, 0 :: v_dual_add_nc_u32 v0, 2, v35
	v_dual_mov_b32 v8, 0 :: v_dual_mov_b32 v7, 0
	s_and_not1_b32 vcc_lo, exec_lo, s27
	s_cbranch_vccnz .LBB31_35
; %bb.34:                               ;   in Loop: Header=BB31_12 Depth=1
	v_mul_hi_u32 v7, v35, v47
	v_add_nc_u32_e32 v8, 1, v35
	v_mul_hi_u32 v10, v0, v47
	s_delay_alu instid0(VALU_DEP_2) | instskip(NEXT) | instid1(VALU_DEP_4)
	v_mul_hi_u32 v9, v8, v47
	v_mul_lo_u32 v7, v7, s20
	s_delay_alu instid0(VALU_DEP_3) | instskip(NEXT) | instid1(VALU_DEP_3)
	v_mul_lo_u32 v10, v10, s20
	v_mul_lo_u32 v9, v9, s20
	s_delay_alu instid0(VALU_DEP_3) | instskip(NEXT) | instid1(VALU_DEP_3)
	v_sub_nc_u32_e32 v7, v35, v7
	v_sub_nc_u32_e32 v10, v0, v10
	s_delay_alu instid0(VALU_DEP_2) | instskip(NEXT) | instid1(VALU_DEP_4)
	v_subrev_nc_u32_e32 v11, s20, v7
	v_sub_nc_u32_e32 v8, v8, v9
	v_cmp_le_u32_e32 vcc_lo, s20, v7
	s_delay_alu instid0(VALU_DEP_2) | instskip(NEXT) | instid1(VALU_DEP_4)
	v_subrev_nc_u32_e32 v9, s20, v8
	v_cndmask_b32_e32 v7, v7, v11, vcc_lo
	v_cmp_le_u32_e32 vcc_lo, s20, v8
	s_delay_alu instid0(VALU_DEP_2) | instskip(NEXT) | instid1(VALU_DEP_4)
	v_subrev_nc_u32_e32 v11, s20, v7
	v_cndmask_b32_e32 v9, v8, v9, vcc_lo
	v_cmp_le_u32_e32 vcc_lo, s20, v7
	v_subrev_nc_u32_e32 v8, s20, v10
	s_delay_alu instid0(VALU_DEP_4) | instskip(SKIP_2) | instid1(VALU_DEP_4)
	v_cndmask_b32_e32 v36, v7, v11, vcc_lo
	v_cmp_le_u32_e32 vcc_lo, s20, v10
	v_subrev_nc_u32_e32 v11, s20, v9
	v_cndmask_b32_e32 v12, v10, v8, vcc_lo
	v_cmp_le_u32_e32 vcc_lo, s20, v9
	v_lshlrev_b64 v[7:8], 1, v[36:37]
	s_delay_alu instid0(VALU_DEP_4) | instskip(NEXT) | instid1(VALU_DEP_4)
	v_cndmask_b32_e32 v36, v9, v11, vcc_lo
	v_subrev_nc_u32_e32 v11, s20, v12
	v_cmp_le_u32_e32 vcc_lo, s20, v12
	s_delay_alu instid0(VALU_DEP_3) | instskip(NEXT) | instid1(VALU_DEP_3)
	v_lshlrev_b64 v[9:10], 1, v[36:37]
	v_cndmask_b32_e32 v36, v12, v11, vcc_lo
	v_add_co_u32 v7, vcc_lo, s8, v7
	v_add_co_ci_u32_e32 v8, vcc_lo, s9, v8, vcc_lo
	s_delay_alu instid0(VALU_DEP_3) | instskip(SKIP_2) | instid1(VALU_DEP_3)
	v_lshlrev_b64 v[11:12], 1, v[36:37]
	v_add_co_u32 v13, vcc_lo, s8, v9
	v_add_co_ci_u32_e32 v14, vcc_lo, s9, v10, vcc_lo
	v_add_co_u32 v10, vcc_lo, s8, v11
	s_delay_alu instid0(VALU_DEP_4)
	v_add_co_ci_u32_e32 v11, vcc_lo, s9, v12, vcc_lo
	s_clause 0x2
	global_load_u16 v9, v[7:8], off
	global_load_u16 v8, v[13:14], off
	;; [unrolled: 1-line block ×3, first 2 shown]
.LBB31_35:                              ;   in Loop: Header=BB31_12 Depth=1
	s_mov_b32 s2, exec_lo
	v_cmpx_ne_u32_e32 0, v32
	s_cbranch_execz .LBB31_37
; %bb.36:                               ;   in Loop: Header=BB31_12 Depth=1
	s_waitcnt lgkmcnt(0)
	v_add_f32_e32 v5, v5, v6
	s_waitcnt vmcnt(2)
	v_cvt_f32_f16_e32 v6, v9
	v_mov_b32_e32 v36, v37
	s_delay_alu instid0(VALU_DEP_2) | instskip(NEXT) | instid1(VALU_DEP_2)
	v_add_f32_e32 v9, v5, v6
	v_lshlrev_b64 v[5:6], 1, v[35:36]
	s_delay_alu instid0(VALU_DEP_2) | instskip(NEXT) | instid1(VALU_DEP_2)
	v_cvt_f16_f32_e32 v9, v9
	v_add_co_u32 v5, vcc_lo, s10, v5
	s_delay_alu instid0(VALU_DEP_3)
	v_add_co_ci_u32_e32 v6, vcc_lo, s11, v6, vcc_lo
	global_store_b16 v[5:6], v9, off
.LBB31_37:                              ;   in Loop: Header=BB31_12 Depth=1
	s_or_b32 exec_lo, exec_lo, s2
	s_delay_alu instid0(SALU_CYCLE_1)
	s_mov_b32 s2, exec_lo
	v_cmpx_ne_u32_e32 0, v33
	s_cbranch_execz .LBB31_39
; %bb.38:                               ;   in Loop: Header=BB31_12 Depth=1
	s_waitcnt lgkmcnt(1)
	v_dual_add_f32 v3, v3, v4 :: v_dual_mov_b32 v36, v37
	s_waitcnt vmcnt(1)
	v_cvt_f32_f16_e32 v4, v8
	s_delay_alu instid0(VALU_DEP_1) | instskip(NEXT) | instid1(VALU_DEP_3)
	v_add_f32_e32 v5, v3, v4
	v_lshlrev_b64 v[3:4], 1, v[35:36]
	s_delay_alu instid0(VALU_DEP_2) | instskip(NEXT) | instid1(VALU_DEP_2)
	v_cvt_f16_f32_e32 v5, v5
	v_add_co_u32 v3, vcc_lo, s30, v3
	s_delay_alu instid0(VALU_DEP_3)
	v_add_co_ci_u32_e32 v4, vcc_lo, s31, v4, vcc_lo
	global_store_b16 v[3:4], v5, off
.LBB31_39:                              ;   in Loop: Header=BB31_12 Depth=1
	s_or_b32 exec_lo, exec_lo, s2
	v_cmp_ne_u32_e32 vcc_lo, 0, v34
	s_and_b32 exec_lo, exec_lo, vcc_lo
	s_cbranch_execz .LBB31_41
; %bb.40:                               ;   in Loop: Header=BB31_12 Depth=1
	s_waitcnt lgkmcnt(2)
	v_add_f32_e32 v2, v1, v2
	s_waitcnt vmcnt(0)
	v_cvt_f32_f16_e32 v3, v7
	s_delay_alu instid0(VALU_DEP_1) | instskip(NEXT) | instid1(VALU_DEP_1)
	v_dual_mov_b32 v1, v37 :: v_dual_add_f32 v2, v2, v3
	v_lshlrev_b64 v[0:1], 1, v[0:1]
	s_delay_alu instid0(VALU_DEP_2) | instskip(NEXT) | instid1(VALU_DEP_2)
	v_cvt_f16_f32_e32 v2, v2
	v_add_co_u32 v0, vcc_lo, s10, v0
	s_delay_alu instid0(VALU_DEP_3)
	v_add_co_ci_u32_e32 v1, vcc_lo, s11, v1, vcc_lo
	global_store_b16 v[0:1], v2, off
.LBB31_41:                              ;   in Loop: Header=BB31_12 Depth=1
	s_or_b32 exec_lo, exec_lo, s1
	v_add_nc_u32_e32 v35, s28, v35
	s_delay_alu instid0(VALU_DEP_1) | instskip(SKIP_1) | instid1(VALU_DEP_2)
	v_add_nc_u32_e32 v0, 3, v35
	v_cmp_gt_u32_e32 vcc_lo, s19, v35
	v_cmp_le_u32_e64 s1, s19, v0
	s_delay_alu instid0(VALU_DEP_1) | instskip(NEXT) | instid1(SALU_CYCLE_1)
	s_and_b32 s1, vcc_lo, s1
	s_and_saveexec_b32 s35, s1
	s_cbranch_execz .LBB31_10
; %bb.42:                               ;   in Loop: Header=BB31_12 Depth=1
	s_mov_b32 s36, exec_lo
	v_cmpx_ne_u32_e64 s29, v35
	s_cbranch_execz .LBB31_9
; %bb.43:                               ;   in Loop: Header=BB31_12 Depth=1
	v_subrev_nc_u32_e32 v0, s29, v35
	s_mov_b32 s37, 0
	s_mov_b64 s[12:13], 0
	s_delay_alu instid0(VALU_DEP_1)
	v_cmp_lt_u32_e32 vcc_lo, 1, v0
	v_cndmask_b32_e32 v0, 1, v0, vcc_lo
	.p2align	6
.LBB31_44:                              ;   Parent Loop BB31_12 Depth=1
                                        ; =>  This Inner Loop Header: Depth=2
	s_cmp_lg_u32 s12, 2
	s_cselect_b32 vcc_lo, -1, 0
	s_cmp_lg_u32 s12, 1
	v_cndmask_b32_e32 v34, 0, v34, vcc_lo
	s_cselect_b32 s1, -1, 0
	s_cmp_lg_u32 s12, 0
	v_cndmask_b32_e64 v33, 0, v33, s1
	s_cselect_b32 s2, -1, 0
	s_add_u32 s12, s12, 1
	v_cndmask_b32_e64 v32, 0, v32, s2
	v_cmp_eq_u32_e64 s3, s12, v0
	s_addc_u32 s13, s13, 0
	s_delay_alu instid0(VALU_DEP_1) | instskip(NEXT) | instid1(SALU_CYCLE_1)
	s_or_b32 s37, s3, s37
	s_and_not1_b32 exec_lo, exec_lo, s37
	s_cbranch_execnz .LBB31_44
; %bb.45:                               ;   in Loop: Header=BB31_12 Depth=1
	s_or_b32 exec_lo, exec_lo, s37
	s_branch .LBB31_9
.LBB31_46:
	s_nop 0
	s_sendmsg sendmsg(MSG_DEALLOC_VGPRS)
	s_endpgm
	.section	.rodata,"a",@progbits
	.p2align	6, 0x0
	.amdhsa_kernel _Z16wvSplitK_hf_big_I6__halfLi64ELi3ELi16ELi8ELi2ELi1EEviiiiiiPKT_S3_S3_PS1_ii
		.amdhsa_group_segment_fixed_size 65536
		.amdhsa_private_segment_fixed_size 0
		.amdhsa_kernarg_size 64
		.amdhsa_user_sgpr_count 15
		.amdhsa_user_sgpr_dispatch_ptr 0
		.amdhsa_user_sgpr_queue_ptr 0
		.amdhsa_user_sgpr_kernarg_segment_ptr 1
		.amdhsa_user_sgpr_dispatch_id 0
		.amdhsa_user_sgpr_private_segment_size 0
		.amdhsa_wavefront_size32 1
		.amdhsa_uses_dynamic_stack 0
		.amdhsa_enable_private_segment 0
		.amdhsa_system_sgpr_workgroup_id_x 1
		.amdhsa_system_sgpr_workgroup_id_y 0
		.amdhsa_system_sgpr_workgroup_id_z 0
		.amdhsa_system_sgpr_workgroup_info 0
		.amdhsa_system_vgpr_workitem_id 1
		.amdhsa_next_free_vgpr 54
		.amdhsa_next_free_sgpr 38
		.amdhsa_reserve_vcc 1
		.amdhsa_float_round_mode_32 0
		.amdhsa_float_round_mode_16_64 0
		.amdhsa_float_denorm_mode_32 3
		.amdhsa_float_denorm_mode_16_64 3
		.amdhsa_dx10_clamp 1
		.amdhsa_ieee_mode 1
		.amdhsa_fp16_overflow 0
		.amdhsa_workgroup_processor_mode 1
		.amdhsa_memory_ordered 1
		.amdhsa_forward_progress 0
		.amdhsa_shared_vgpr_count 0
		.amdhsa_exception_fp_ieee_invalid_op 0
		.amdhsa_exception_fp_denorm_src 0
		.amdhsa_exception_fp_ieee_div_zero 0
		.amdhsa_exception_fp_ieee_overflow 0
		.amdhsa_exception_fp_ieee_underflow 0
		.amdhsa_exception_fp_ieee_inexact 0
		.amdhsa_exception_int_div_zero 0
	.end_amdhsa_kernel
	.section	.text._Z16wvSplitK_hf_big_I6__halfLi64ELi3ELi16ELi8ELi2ELi1EEviiiiiiPKT_S3_S3_PS1_ii,"axG",@progbits,_Z16wvSplitK_hf_big_I6__halfLi64ELi3ELi16ELi8ELi2ELi1EEviiiiiiPKT_S3_S3_PS1_ii,comdat
.Lfunc_end31:
	.size	_Z16wvSplitK_hf_big_I6__halfLi64ELi3ELi16ELi8ELi2ELi1EEviiiiiiPKT_S3_S3_PS1_ii, .Lfunc_end31-_Z16wvSplitK_hf_big_I6__halfLi64ELi3ELi16ELi8ELi2ELi1EEviiiiiiPKT_S3_S3_PS1_ii
                                        ; -- End function
	.section	.AMDGPU.csdata,"",@progbits
; Kernel info:
; codeLenInByte = 3056
; NumSgprs: 40
; NumVgprs: 54
; ScratchSize: 0
; MemoryBound: 0
; FloatMode: 240
; IeeeMode: 1
; LDSByteSize: 65536 bytes/workgroup (compile time only)
; SGPRBlocks: 4
; VGPRBlocks: 6
; NumSGPRsForWavesPerEU: 40
; NumVGPRsForWavesPerEU: 54
; Occupancy: 16
; WaveLimiterHint : 0
; COMPUTE_PGM_RSRC2:SCRATCH_EN: 0
; COMPUTE_PGM_RSRC2:USER_SGPR: 15
; COMPUTE_PGM_RSRC2:TRAP_HANDLER: 0
; COMPUTE_PGM_RSRC2:TGID_X_EN: 1
; COMPUTE_PGM_RSRC2:TGID_Y_EN: 0
; COMPUTE_PGM_RSRC2:TGID_Z_EN: 0
; COMPUTE_PGM_RSRC2:TIDIG_COMP_CNT: 1
	.section	.text._Z16wvSplitK_hf_sml_I6__halfLi64ELi4ELi16ELi8ELi1ELi1EEviiiiiiPKT_S3_S3_PS1_ii,"axG",@progbits,_Z16wvSplitK_hf_sml_I6__halfLi64ELi4ELi16ELi8ELi1ELi1EEviiiiiiPKT_S3_S3_PS1_ii,comdat
	.protected	_Z16wvSplitK_hf_sml_I6__halfLi64ELi4ELi16ELi8ELi1ELi1EEviiiiiiPKT_S3_S3_PS1_ii ; -- Begin function _Z16wvSplitK_hf_sml_I6__halfLi64ELi4ELi16ELi8ELi1ELi1EEviiiiiiPKT_S3_S3_PS1_ii
	.globl	_Z16wvSplitK_hf_sml_I6__halfLi64ELi4ELi16ELi8ELi1ELi1EEviiiiiiPKT_S3_S3_PS1_ii
	.p2align	8
	.type	_Z16wvSplitK_hf_sml_I6__halfLi64ELi4ELi16ELi8ELi1ELi1EEviiiiiiPKT_S3_S3_PS1_ii,@function
_Z16wvSplitK_hf_sml_I6__halfLi64ELi4ELi16ELi8ELi1ELi1EEviiiiiiPKT_S3_S3_PS1_ii: ; @_Z16wvSplitK_hf_sml_I6__halfLi64ELi4ELi16ELi8ELi1ELi1EEviiiiiiPKT_S3_S3_PS1_ii
; %bb.0:
	s_clause 0x2
	s_load_b128 s[4:7], s[0:1], 0x0
	s_load_b32 s14, s[0:1], 0x10
	s_load_b64 s[8:9], s[0:1], 0x28
	v_and_b32_e32 v2, 0x3ff, v0
	v_bfe_u32 v3, v0, 10, 10
	s_delay_alu instid0(VALU_DEP_2) | instskip(NEXT) | instid1(VALU_DEP_1)
	v_lshlrev_b32_e32 v36, 3, v2
	v_lshl_add_u32 v4, v3, 9, v36
	s_waitcnt lgkmcnt(0)
	s_min_u32 s3, s6, 0x8000
	s_mov_b32 s6, exec_lo
	s_delay_alu instid0(VALU_DEP_1)
	v_cmpx_gt_u32_e64 s3, v4
	s_cbranch_execz .LBB32_3
; %bb.1:
	s_load_b64 s[10:11], s[0:1], 0x20
	v_lshlrev_b32_e32 v5, 10, v3
	v_lshlrev_b32_e32 v6, 4, v2
	s_delay_alu instid0(VALU_DEP_1) | instskip(NEXT) | instid1(VALU_DEP_1)
	v_add_co_u32 v0, s2, v5, v6
	v_add_co_ci_u32_e64 v1, null, 0, 0, s2
	v_add_nc_u32_e32 v5, v5, v6
	s_waitcnt lgkmcnt(0)
	s_delay_alu instid0(VALU_DEP_3) | instskip(NEXT) | instid1(VALU_DEP_3)
	v_add_co_u32 v0, vcc_lo, s10, v0
	v_add_co_ci_u32_e32 v1, vcc_lo, s11, v1, vcc_lo
	s_mov_b32 s10, 0
	.p2align	6
.LBB32_2:                               ; =>This Inner Loop Header: Depth=1
	global_load_b128 v[6:9], v[0:1], off
	v_add_nc_u32_e32 v4, 0x2000, v4
	v_add_co_u32 v0, vcc_lo, 0x4000, v0
	v_add_co_ci_u32_e32 v1, vcc_lo, 0, v1, vcc_lo
	s_delay_alu instid0(VALU_DEP_3) | instskip(NEXT) | instid1(VALU_DEP_1)
	v_cmp_le_u32_e64 s2, s3, v4
	s_or_b32 s10, s2, s10
	s_waitcnt vmcnt(0)
	ds_store_b128 v5, v[6:9]
	v_add_nc_u32_e32 v5, 0x4000, v5
	s_and_not1_b32 exec_lo, exec_lo, s10
	s_cbranch_execnz .LBB32_2
.LBB32_3:
	s_or_b32 exec_lo, exec_lo, s6
	s_load_b64 s[12:13], s[0:1], 0x38
	s_waitcnt lgkmcnt(0)
	s_barrier
	buffer_gl0_inv
	s_mov_b32 s2, exec_lo
	v_cmpx_gt_u32_e64 s12, v3
	s_cbranch_execz .LBB32_18
; %bb.4:
	s_mul_i32 s15, s15, s12
	s_delay_alu instid0(SALU_CYCLE_1) | instskip(NEXT) | instid1(VALU_DEP_1)
	v_add_lshl_u32 v20, s15, v3, 2
	v_cmp_gt_u32_e32 vcc_lo, s7, v20
	s_and_b32 exec_lo, exec_lo, vcc_lo
	s_cbranch_execz .LBB32_18
; %bb.5:
	v_cvt_f32_u32_e32 v0, s14
	s_cmp_lg_u32 s4, 0
	v_mbcnt_lo_u32_b32 v37, -1, 0
	s_cselect_b32 s6, -1, 0
	s_add_i32 s15, s4, -8
	v_rcp_iflag_f32_e32 v0, v0
	s_add_i32 s16, s7, -1
	s_cmp_lg_u64 s[8:9], 0
	v_lshlrev_b32_e32 v38, 4, v2
	s_cselect_b32 s17, -1, 0
	s_sub_i32 s2, 0, s14
	v_xor_b32_e32 v40, 16, v37
	s_mul_i32 s12, s12, s13
	s_delay_alu instid0(SALU_CYCLE_1) | instskip(SKIP_2) | instid1(VALU_DEP_1)
	s_lshl_b32 s12, s12, 2
	s_waitcnt_depctr 0xfff
	v_mul_f32_e32 v0, 0x4f7ffffe, v0
	v_cvt_u32_f32_e32 v0, v0
	s_delay_alu instid0(VALU_DEP_1)
	v_mul_lo_u32 v1, s2, v0
	s_clause 0x1
	s_load_b64 s[2:3], s[0:1], 0x18
	s_load_b64 s[10:11], s[0:1], 0x30
	v_cmp_eq_u32_e64 s0, 63, v2
	s_mov_b32 s1, 0
	s_delay_alu instid0(VALU_DEP_2) | instskip(NEXT) | instid1(VALU_DEP_1)
	v_mul_hi_u32 v1, v0, v1
	v_dual_mov_b32 v22, 0 :: v_dual_add_nc_u32 v39, v0, v1
	s_branch .LBB32_8
.LBB32_6:                               ;   in Loop: Header=BB32_8 Depth=1
	s_waitcnt lgkmcnt(0)
	v_dual_add_f32 v6, v6, v7 :: v_dual_add_f32 v5, v3, v5
	s_waitcnt vmcnt(3)
	v_cvt_f32_f16_e32 v7, v11
	v_add_f32_e32 v4, v2, v4
	v_lshlrev_b64 v[2:3], 1, v[20:21]
	s_waitcnt vmcnt(2)
	v_cvt_f32_f16_e32 v10, v10
	s_waitcnt vmcnt(1)
	v_cvt_f32_f16_e32 v9, v9
	v_dual_add_f32 v6, v6, v7 :: v_dual_add_f32 v7, v0, v1
	s_waitcnt vmcnt(0)
	v_cvt_f32_f16_e32 v8, v8
	v_add_f32_e32 v4, v4, v10
	v_add_co_u32 v0, vcc_lo, s10, v2
	v_add_co_ci_u32_e32 v1, vcc_lo, s11, v3, vcc_lo
	v_lshlrev_b64 v[2:3], 1, v[27:28]
	v_cvt_f16_f32_e32 v10, v6
	v_add_f32_e32 v6, v5, v9
	v_cvt_f16_f32_e32 v11, v4
	v_lshlrev_b64 v[4:5], 1, v[25:26]
	v_add_f32_e32 v8, v7, v8
	v_add_co_u32 v2, vcc_lo, s10, v2
	v_cvt_f16_f32_e32 v9, v6
	v_lshlrev_b64 v[6:7], 1, v[23:24]
	v_add_co_ci_u32_e32 v3, vcc_lo, s11, v3, vcc_lo
	v_add_co_u32 v4, vcc_lo, s10, v4
	v_add_co_ci_u32_e32 v5, vcc_lo, s11, v5, vcc_lo
	s_delay_alu instid0(VALU_DEP_4)
	v_add_co_u32 v6, vcc_lo, s10, v6
	v_cvt_f16_f32_e32 v8, v8
	v_add_co_ci_u32_e32 v7, vcc_lo, s11, v7, vcc_lo
	s_clause 0x3
	global_store_b16 v[0:1], v10, off
	global_store_b16 v[2:3], v11, off
	;; [unrolled: 1-line block ×4, first 2 shown]
.LBB32_7:                               ;   in Loop: Header=BB32_8 Depth=1
	s_or_b32 exec_lo, exec_lo, s13
	v_add_nc_u32_e32 v20, s12, v20
	s_delay_alu instid0(VALU_DEP_1) | instskip(SKIP_1) | instid1(SALU_CYCLE_1)
	v_cmp_le_u32_e32 vcc_lo, s7, v20
	s_or_b32 s1, vcc_lo, s1
	s_and_not1_b32 exec_lo, exec_lo, s1
	s_cbranch_execz .LBB32_18
.LBB32_8:                               ; =>This Loop Header: Depth=1
                                        ;     Child Loop BB32_11 Depth 2
	v_or_b32_e32 v27, 1, v20
	v_or_b32_e32 v25, 2, v20
	;; [unrolled: 1-line block ×3, first 2 shown]
	v_mov_b32_e32 v42, v22
	v_mov_b32_e32 v41, v22
	v_mov_b32_e32 v26, v22
	v_mov_b32_e32 v24, v22
	s_and_not1_b32 vcc_lo, exec_lo, s6
	s_cbranch_vccnz .LBB32_13
; %bb.9:                                ;   in Loop: Header=BB32_8 Depth=1
	v_min_u32_e32 v0, s16, v20
	s_waitcnt lgkmcnt(0)
	v_min_u32_e32 v1, s16, v27
	v_min_u32_e32 v2, s16, v25
	;; [unrolled: 1-line block ×3, first 2 shown]
	v_dual_mov_b32 v5, v22 :: v_dual_mov_b32 v42, 0
	v_mul_lo_u32 v21, v0, s5
	v_mul_lo_u32 v0, v1, s5
	;; [unrolled: 1-line block ×4, first 2 shown]
	v_dual_mov_b32 v1, v22 :: v_dual_mov_b32 v24, 0
	v_dual_mov_b32 v3, v22 :: v_dual_mov_b32 v26, 0
	v_lshlrev_b64 v[28:29], 1, v[21:22]
	s_delay_alu instid0(VALU_DEP_3) | instskip(SKIP_1) | instid1(VALU_DEP_4)
	v_lshlrev_b64 v[30:31], 1, v[0:1]
	v_mov_b32_e32 v43, v38
	v_lshlrev_b64 v[32:33], 1, v[2:3]
	v_lshlrev_b64 v[34:35], 1, v[4:5]
	v_mov_b32_e32 v41, 0
	s_mov_b32 s13, 0
	s_branch .LBB32_11
.LBB32_10:                              ;   in Loop: Header=BB32_11 Depth=2
	s_or_b32 exec_lo, exec_lo, s18
	v_add_nc_u32_e32 v43, 0x400, v43
	s_addk_i32 s13, 0x200
	s_waitcnt vmcnt(3) lgkmcnt(0)
	;;#ASMSTART
	v_dot2_f32_f16 v42, v4, v16, v42
	;;#ASMEND
	s_waitcnt vmcnt(2)
	;;#ASMSTART
	v_dot2_f32_f16 v41, v4, v12, v41
	;;#ASMEND
	s_waitcnt vmcnt(1)
	;; [unrolled: 4-line block ×3, first 2 shown]
	;;#ASMSTART
	v_dot2_f32_f16 v24, v4, v0, v24
	;;#ASMEND
	;;#ASMSTART
	v_dot2_f32_f16 v42, v5, v17, v42
	;;#ASMEND
	;; [unrolled: 3-line block ×5, first 2 shown]
	s_cmp_ge_u32 s13, s4
	;;#ASMSTART
	v_dot2_f32_f16 v42, v6, v18, v42
	;;#ASMEND
	;;#ASMSTART
	v_dot2_f32_f16 v41, v6, v14, v41
	;;#ASMEND
	;; [unrolled: 3-line block ×8, first 2 shown]
	s_cbranch_scc1 .LBB32_13
.LBB32_11:                              ;   Parent Loop BB32_8 Depth=1
                                        ; =>  This Inner Loop Header: Depth=2
	v_add_nc_u32_e32 v44, s13, v36
	s_mov_b32 s18, exec_lo
	s_delay_alu instid0(VALU_DEP_1) | instskip(NEXT) | instid1(VALU_DEP_1)
	v_min_u32_e32 v21, s15, v44
	v_lshlrev_b64 v[0:1], 1, v[21:22]
	s_waitcnt lgkmcnt(0)
	s_delay_alu instid0(VALU_DEP_1) | instskip(NEXT) | instid1(VALU_DEP_2)
	v_add_co_u32 v6, vcc_lo, s2, v0
	v_add_co_ci_u32_e32 v7, vcc_lo, s3, v1, vcc_lo
	s_delay_alu instid0(VALU_DEP_2) | instskip(NEXT) | instid1(VALU_DEP_2)
	v_add_co_u32 v0, vcc_lo, v6, v28
	v_add_co_ci_u32_e32 v1, vcc_lo, v7, v29, vcc_lo
	v_add_co_u32 v2, vcc_lo, v6, v30
	v_add_co_ci_u32_e32 v3, vcc_lo, v7, v31, vcc_lo
	;; [unrolled: 2-line block ×4, first 2 shown]
	s_clause 0x3
	global_load_b128 v[16:19], v[0:1], off slc dlc
	global_load_b128 v[12:15], v[2:3], off slc dlc
	;; [unrolled: 1-line block ×4, first 2 shown]
	v_dual_mov_b32 v5, 0 :: v_dual_mov_b32 v4, 0
	v_dual_mov_b32 v7, 0 :: v_dual_mov_b32 v6, 0
	v_cmpx_gt_u32_e64 s4, v44
	s_cbranch_execz .LBB32_10
; %bb.12:                               ;   in Loop: Header=BB32_11 Depth=2
	ds_load_b128 v[4:7], v43
	s_branch .LBB32_10
.LBB32_13:                              ;   in Loop: Header=BB32_8 Depth=1
	; sched_barrier mask(0x00000000)
	v_cvt_i32_f32_e32 v0, v42
	s_waitcnt lgkmcnt(0)
	v_cvt_i32_f32_e32 v1, v41
	v_cvt_i32_f32_e32 v2, v26
	v_cvt_i32_f32_e32 v3, v24
	v_cmp_gt_i32_e32 vcc_lo, 32, v40
	v_cvt_f32_i32_dpp v0, v0 row_shr:8 row_mask:0xf bank_mask:0xf bound_ctrl:1
	v_cvt_f32_i32_dpp v1, v1 row_shr:8 row_mask:0xf bank_mask:0xf bound_ctrl:1
	v_cvt_f32_i32_dpp v2, v2 row_shr:8 row_mask:0xf bank_mask:0xf bound_ctrl:1
	v_cvt_f32_i32_dpp v3, v3 row_shr:8 row_mask:0xf bank_mask:0xf bound_ctrl:1
	s_delay_alu instid0(VALU_DEP_3) | instskip(NEXT) | instid1(VALU_DEP_2)
	v_dual_add_f32 v0, v42, v0 :: v_dual_add_f32 v1, v41, v1
	v_dual_add_f32 v2, v26, v2 :: v_dual_add_f32 v3, v24, v3
	s_delay_alu instid0(VALU_DEP_2) | instskip(NEXT) | instid1(VALU_DEP_3)
	v_cvt_i32_f32_e32 v4, v0
	v_cvt_i32_f32_e32 v5, v1
	s_delay_alu instid0(VALU_DEP_3) | instskip(NEXT) | instid1(VALU_DEP_4)
	v_cvt_i32_f32_e32 v6, v2
	v_cvt_i32_f32_e32 v7, v3
	s_delay_alu instid0(VALU_DEP_4) | instskip(NEXT) | instid1(VALU_DEP_4)
	v_cvt_f32_i32_dpp v4, v4 row_shr:4 row_mask:0xf bank_mask:0xf bound_ctrl:1
	v_cvt_f32_i32_dpp v5, v5 row_shr:4 row_mask:0xf bank_mask:0xf bound_ctrl:1
	s_delay_alu instid0(VALU_DEP_4) | instskip(NEXT) | instid1(VALU_DEP_4)
	v_cvt_f32_i32_dpp v6, v6 row_shr:4 row_mask:0xf bank_mask:0xf bound_ctrl:1
	v_cvt_f32_i32_dpp v7, v7 row_shr:4 row_mask:0xf bank_mask:0xf bound_ctrl:1
	s_delay_alu instid0(VALU_DEP_3) | instskip(NEXT) | instid1(VALU_DEP_2)
	v_dual_add_f32 v0, v0, v4 :: v_dual_add_f32 v1, v1, v5
	v_dual_add_f32 v2, v2, v6 :: v_dual_add_f32 v3, v3, v7
	s_delay_alu instid0(VALU_DEP_2) | instskip(NEXT) | instid1(VALU_DEP_3)
	v_cvt_i32_f32_e32 v4, v0
	v_cvt_i32_f32_e32 v5, v1
	s_delay_alu instid0(VALU_DEP_3) | instskip(NEXT) | instid1(VALU_DEP_4)
	v_cvt_i32_f32_e32 v6, v2
	v_cvt_i32_f32_e32 v7, v3
	s_delay_alu instid0(VALU_DEP_4) | instskip(NEXT) | instid1(VALU_DEP_4)
	v_cvt_f32_i32_dpp v4, v4 row_shr:2 row_mask:0xf bank_mask:0xf bound_ctrl:1
	v_cvt_f32_i32_dpp v5, v5 row_shr:2 row_mask:0xf bank_mask:0xf bound_ctrl:1
	s_delay_alu instid0(VALU_DEP_4) | instskip(NEXT) | instid1(VALU_DEP_4)
	v_cvt_f32_i32_dpp v6, v6 row_shr:2 row_mask:0xf bank_mask:0xf bound_ctrl:1
	v_cvt_f32_i32_dpp v7, v7 row_shr:2 row_mask:0xf bank_mask:0xf bound_ctrl:1
	s_delay_alu instid0(VALU_DEP_3) | instskip(NEXT) | instid1(VALU_DEP_2)
	v_dual_add_f32 v0, v0, v4 :: v_dual_add_f32 v1, v1, v5
	v_dual_add_f32 v4, v2, v6 :: v_dual_add_f32 v5, v3, v7
	s_delay_alu instid0(VALU_DEP_2) | instskip(NEXT) | instid1(VALU_DEP_3)
	v_cvt_i32_f32_e32 v2, v0
	v_cvt_i32_f32_e32 v3, v1
	s_delay_alu instid0(VALU_DEP_3) | instskip(NEXT) | instid1(VALU_DEP_4)
	v_cvt_i32_f32_e32 v6, v4
	v_cvt_i32_f32_e32 v7, v5
	s_delay_alu instid0(VALU_DEP_4) | instskip(NEXT) | instid1(VALU_DEP_4)
	v_cvt_f32_i32_dpp v2, v2 row_shr:1 row_mask:0xf bank_mask:0xf bound_ctrl:1
	v_cvt_f32_i32_dpp v3, v3 row_shr:1 row_mask:0xf bank_mask:0xf bound_ctrl:1
	s_delay_alu instid0(VALU_DEP_4) | instskip(SKIP_3) | instid1(VALU_DEP_4)
	v_cvt_f32_i32_dpp v9, v6 row_shr:1 row_mask:0xf bank_mask:0xf bound_ctrl:1
	v_cndmask_b32_e32 v8, v37, v40, vcc_lo
	v_cvt_f32_i32_dpp v7, v7 row_shr:1 row_mask:0xf bank_mask:0xf bound_ctrl:1
	v_add_f32_e32 v6, v0, v2
	v_dual_add_f32 v2, v1, v3 :: v_dual_add_f32 v3, v4, v9
	s_delay_alu instid0(VALU_DEP_4) | instskip(NEXT) | instid1(VALU_DEP_4)
	v_lshlrev_b32_e32 v8, 2, v8
	v_add_f32_e32 v0, v5, v7
	ds_bpermute_b32 v7, v8, v6
	ds_bpermute_b32 v4, v8, v2
	;; [unrolled: 1-line block ×4, first 2 shown]
	s_and_saveexec_b32 s13, s0
	s_cbranch_execz .LBB32_7
; %bb.14:                               ;   in Loop: Header=BB32_8 Depth=1
	s_and_b32 vcc_lo, exec_lo, s17
	s_cbranch_vccz .LBB32_16
; %bb.15:                               ;   in Loop: Header=BB32_8 Depth=1
	v_mul_hi_u32 v8, v20, v39
	v_mul_hi_u32 v9, v27, v39
	;; [unrolled: 1-line block ×4, first 2 shown]
	v_mov_b32_e32 v26, v22
	v_mov_b32_e32 v24, v22
	;; [unrolled: 1-line block ×3, first 2 shown]
	v_mul_lo_u32 v8, v8, s14
	v_mul_lo_u32 v9, v9, s14
	;; [unrolled: 1-line block ×4, first 2 shown]
	s_delay_alu instid0(VALU_DEP_4) | instskip(NEXT) | instid1(VALU_DEP_4)
	v_sub_nc_u32_e32 v8, v20, v8
	v_sub_nc_u32_e32 v9, v27, v9
	s_delay_alu instid0(VALU_DEP_4) | instskip(NEXT) | instid1(VALU_DEP_4)
	v_sub_nc_u32_e32 v10, v25, v10
	v_sub_nc_u32_e32 v11, v23, v11
	s_delay_alu instid0(VALU_DEP_4) | instskip(SKIP_1) | instid1(VALU_DEP_4)
	v_subrev_nc_u32_e32 v12, s14, v8
	v_cmp_le_u32_e32 vcc_lo, s14, v8
	v_subrev_nc_u32_e32 v13, s14, v10
	s_delay_alu instid0(VALU_DEP_4) | instskip(NEXT) | instid1(VALU_DEP_4)
	v_subrev_nc_u32_e32 v15, s14, v11
	v_cndmask_b32_e32 v8, v8, v12, vcc_lo
	v_subrev_nc_u32_e32 v12, s14, v9
	v_cmp_le_u32_e32 vcc_lo, s14, v9
	s_delay_alu instid0(VALU_DEP_3) | instskip(NEXT) | instid1(VALU_DEP_3)
	v_subrev_nc_u32_e32 v14, s14, v8
	v_cndmask_b32_e32 v12, v9, v12, vcc_lo
	v_cmp_le_u32_e32 vcc_lo, s14, v8
	s_delay_alu instid0(VALU_DEP_3) | instskip(SKIP_1) | instid1(VALU_DEP_2)
	v_cndmask_b32_e32 v21, v8, v14, vcc_lo
	v_cmp_le_u32_e32 vcc_lo, s14, v10
	v_lshlrev_b64 v[8:9], 1, v[21:22]
	v_cndmask_b32_e32 v13, v10, v13, vcc_lo
	v_cmp_le_u32_e32 vcc_lo, s14, v11
	v_subrev_nc_u32_e32 v10, s14, v12
	v_cndmask_b32_e32 v14, v11, v15, vcc_lo
	v_cmp_le_u32_e32 vcc_lo, s14, v12
	s_delay_alu instid0(VALU_DEP_3) | instskip(SKIP_3) | instid1(VALU_DEP_4)
	v_cndmask_b32_e32 v21, v12, v10, vcc_lo
	v_subrev_nc_u32_e32 v12, s14, v13
	v_cmp_le_u32_e32 vcc_lo, s14, v13
	v_subrev_nc_u32_e32 v15, s14, v14
	v_lshlrev_b64 v[10:11], 1, v[21:22]
	s_delay_alu instid0(VALU_DEP_4) | instskip(SKIP_3) | instid1(VALU_DEP_4)
	v_cndmask_b32_e32 v21, v13, v12, vcc_lo
	v_add_co_u32 v8, vcc_lo, s8, v8
	v_add_co_ci_u32_e32 v9, vcc_lo, s9, v9, vcc_lo
	v_cmp_le_u32_e32 vcc_lo, s14, v14
	v_lshlrev_b64 v[12:13], 1, v[21:22]
	v_cndmask_b32_e32 v21, v14, v15, vcc_lo
	v_add_co_u32 v14, vcc_lo, s8, v10
	v_add_co_ci_u32_e32 v15, vcc_lo, s9, v11, vcc_lo
	s_delay_alu instid0(VALU_DEP_3) | instskip(SKIP_3) | instid1(VALU_DEP_4)
	v_lshlrev_b64 v[10:11], 1, v[21:22]
	v_add_co_u32 v12, vcc_lo, s8, v12
	v_add_co_ci_u32_e32 v13, vcc_lo, s9, v13, vcc_lo
	v_mov_b32_e32 v21, v22
	v_add_co_u32 v16, vcc_lo, s8, v10
	v_add_co_ci_u32_e32 v17, vcc_lo, s9, v11, vcc_lo
	s_clause 0x3
	global_load_u16 v11, v[8:9], off
	global_load_u16 v10, v[14:15], off
	;; [unrolled: 1-line block ×4, first 2 shown]
	s_cbranch_execnz .LBB32_6
	s_branch .LBB32_17
.LBB32_16:                              ;   in Loop: Header=BB32_8 Depth=1
                                        ; implicit-def: $vgpr11
                                        ; implicit-def: $vgpr10
                                        ; implicit-def: $vgpr9
                                        ; implicit-def: $vgpr8
.LBB32_17:                              ;   in Loop: Header=BB32_8 Depth=1
	s_waitcnt vmcnt(0)
	v_dual_mov_b32 v21, v22 :: v_dual_mov_b32 v8, 0
	v_dual_mov_b32 v28, v22 :: v_dual_mov_b32 v9, 0
	;; [unrolled: 1-line block ×3, first 2 shown]
	v_mov_b32_e32 v24, v22
	v_mov_b32_e32 v10, 0
	s_branch .LBB32_6
.LBB32_18:
	s_nop 0
	s_sendmsg sendmsg(MSG_DEALLOC_VGPRS)
	s_endpgm
	.section	.rodata,"a",@progbits
	.p2align	6, 0x0
	.amdhsa_kernel _Z16wvSplitK_hf_sml_I6__halfLi64ELi4ELi16ELi8ELi1ELi1EEviiiiiiPKT_S3_S3_PS1_ii
		.amdhsa_group_segment_fixed_size 65536
		.amdhsa_private_segment_fixed_size 0
		.amdhsa_kernarg_size 64
		.amdhsa_user_sgpr_count 15
		.amdhsa_user_sgpr_dispatch_ptr 0
		.amdhsa_user_sgpr_queue_ptr 0
		.amdhsa_user_sgpr_kernarg_segment_ptr 1
		.amdhsa_user_sgpr_dispatch_id 0
		.amdhsa_user_sgpr_private_segment_size 0
		.amdhsa_wavefront_size32 1
		.amdhsa_uses_dynamic_stack 0
		.amdhsa_enable_private_segment 0
		.amdhsa_system_sgpr_workgroup_id_x 1
		.amdhsa_system_sgpr_workgroup_id_y 0
		.amdhsa_system_sgpr_workgroup_id_z 0
		.amdhsa_system_sgpr_workgroup_info 0
		.amdhsa_system_vgpr_workitem_id 1
		.amdhsa_next_free_vgpr 45
		.amdhsa_next_free_sgpr 19
		.amdhsa_reserve_vcc 1
		.amdhsa_float_round_mode_32 0
		.amdhsa_float_round_mode_16_64 0
		.amdhsa_float_denorm_mode_32 3
		.amdhsa_float_denorm_mode_16_64 3
		.amdhsa_dx10_clamp 1
		.amdhsa_ieee_mode 1
		.amdhsa_fp16_overflow 0
		.amdhsa_workgroup_processor_mode 1
		.amdhsa_memory_ordered 1
		.amdhsa_forward_progress 0
		.amdhsa_shared_vgpr_count 0
		.amdhsa_exception_fp_ieee_invalid_op 0
		.amdhsa_exception_fp_denorm_src 0
		.amdhsa_exception_fp_ieee_div_zero 0
		.amdhsa_exception_fp_ieee_overflow 0
		.amdhsa_exception_fp_ieee_underflow 0
		.amdhsa_exception_fp_ieee_inexact 0
		.amdhsa_exception_int_div_zero 0
	.end_amdhsa_kernel
	.section	.text._Z16wvSplitK_hf_sml_I6__halfLi64ELi4ELi16ELi8ELi1ELi1EEviiiiiiPKT_S3_S3_PS1_ii,"axG",@progbits,_Z16wvSplitK_hf_sml_I6__halfLi64ELi4ELi16ELi8ELi1ELi1EEviiiiiiPKT_S3_S3_PS1_ii,comdat
.Lfunc_end32:
	.size	_Z16wvSplitK_hf_sml_I6__halfLi64ELi4ELi16ELi8ELi1ELi1EEviiiiiiPKT_S3_S3_PS1_ii, .Lfunc_end32-_Z16wvSplitK_hf_sml_I6__halfLi64ELi4ELi16ELi8ELi1ELi1EEviiiiiiPKT_S3_S3_PS1_ii
                                        ; -- End function
	.section	.AMDGPU.csdata,"",@progbits
; Kernel info:
; codeLenInByte = 2168
; NumSgprs: 21
; NumVgprs: 45
; ScratchSize: 0
; MemoryBound: 0
; FloatMode: 240
; IeeeMode: 1
; LDSByteSize: 65536 bytes/workgroup (compile time only)
; SGPRBlocks: 2
; VGPRBlocks: 5
; NumSGPRsForWavesPerEU: 21
; NumVGPRsForWavesPerEU: 45
; Occupancy: 16
; WaveLimiterHint : 0
; COMPUTE_PGM_RSRC2:SCRATCH_EN: 0
; COMPUTE_PGM_RSRC2:USER_SGPR: 15
; COMPUTE_PGM_RSRC2:TRAP_HANDLER: 0
; COMPUTE_PGM_RSRC2:TGID_X_EN: 1
; COMPUTE_PGM_RSRC2:TGID_Y_EN: 0
; COMPUTE_PGM_RSRC2:TGID_Z_EN: 0
; COMPUTE_PGM_RSRC2:TIDIG_COMP_CNT: 1
	.section	.text._Z12wvSplitK_hf_I6__halfLi64ELi4ELi16ELi8ELi1ELi1EEviiiiiiPKT_S3_S3_PS1_ii,"axG",@progbits,_Z12wvSplitK_hf_I6__halfLi64ELi4ELi16ELi8ELi1ELi1EEviiiiiiPKT_S3_S3_PS1_ii,comdat
	.protected	_Z12wvSplitK_hf_I6__halfLi64ELi4ELi16ELi8ELi1ELi1EEviiiiiiPKT_S3_S3_PS1_ii ; -- Begin function _Z12wvSplitK_hf_I6__halfLi64ELi4ELi16ELi8ELi1ELi1EEviiiiiiPKT_S3_S3_PS1_ii
	.globl	_Z12wvSplitK_hf_I6__halfLi64ELi4ELi16ELi8ELi1ELi1EEviiiiiiPKT_S3_S3_PS1_ii
	.p2align	8
	.type	_Z12wvSplitK_hf_I6__halfLi64ELi4ELi16ELi8ELi1ELi1EEviiiiiiPKT_S3_S3_PS1_ii,@function
_Z12wvSplitK_hf_I6__halfLi64ELi4ELi16ELi8ELi1ELi1EEviiiiiiPKT_S3_S3_PS1_ii: ; @_Z12wvSplitK_hf_I6__halfLi64ELi4ELi16ELi8ELi1ELi1EEviiiiiiPKT_S3_S3_PS1_ii
; %bb.0:
	s_clause 0x1
	s_load_b64 s[16:17], s[0:1], 0x38
	s_load_b128 s[4:7], s[0:1], 0x0
	v_bfe_u32 v7, v0, 10, 10
	s_clause 0x1
	s_load_b64 s[12:13], s[0:1], 0x20
	s_load_b32 s18, s[0:1], 0x10
	s_mov_b32 s8, 1
	s_delay_alu instid0(SALU_CYCLE_1) | instskip(SKIP_4) | instid1(SALU_CYCLE_1)
	s_mov_b32 s9, s8
	s_mov_b32 s10, s8
	;; [unrolled: 1-line block ×3, first 2 shown]
	s_waitcnt lgkmcnt(0)
	s_mul_i32 s15, s15, s16
	v_add_lshl_u32 v25, s15, v7, 2
	s_delay_alu instid0(VALU_DEP_1) | instskip(SKIP_1) | instid1(VALU_DEP_2)
	v_add_nc_u32_e32 v1, 4, v25
	v_cmp_gt_u32_e32 vcc_lo, s7, v25
	v_cmp_le_u32_e64 s2, s7, v1
	v_dual_mov_b32 v1, s8 :: v_dual_mov_b32 v4, s11
	v_dual_mov_b32 v2, s9 :: v_dual_mov_b32 v3, s10
	s_delay_alu instid0(VALU_DEP_3) | instskip(NEXT) | instid1(SALU_CYCLE_1)
	s_and_b32 s2, vcc_lo, s2
	s_and_saveexec_b32 s14, s2
	s_cbranch_execz .LBB33_6
; %bb.1:
	v_dual_mov_b32 v1, s8 :: v_dual_mov_b32 v2, s9
	v_dual_mov_b32 v3, s10 :: v_dual_mov_b32 v4, s11
	s_add_i32 s15, s7, -4
	s_mov_b32 s19, exec_lo
	v_cmpx_ne_u32_e64 s15, v25
	s_cbranch_execz .LBB33_5
; %bb.2:
	v_subrev_nc_u32_e32 v1, s15, v25
	s_mov_b32 s20, 0
	s_mov_b64 s[2:3], 0
	s_mov_b32 s9, s8
	s_mov_b32 s10, s8
	v_cmp_lt_u32_e32 vcc_lo, 1, v1
	s_mov_b32 s11, s8
	v_cndmask_b32_e32 v5, 1, v1, vcc_lo
	.p2align	6
.LBB33_3:                               ; =>This Inner Loop Header: Depth=1
	s_cmp_lg_u32 s2, 3
	s_cselect_b32 s11, s11, 0
	s_cmp_lg_u32 s2, 2
	s_cselect_b32 s10, s10, 0
	;; [unrolled: 2-line block ×4, first 2 shown]
	s_add_u32 s2, s2, 1
	v_dual_mov_b32 v1, s8 :: v_dual_mov_b32 v2, s9
	v_cmp_eq_u32_e32 vcc_lo, s2, v5
	v_dual_mov_b32 v3, s10 :: v_dual_mov_b32 v4, s11
	s_addc_u32 s3, s3, 0
	s_or_b32 s20, vcc_lo, s20
	s_delay_alu instid0(SALU_CYCLE_1)
	s_and_not1_b32 exec_lo, exec_lo, s20
	s_cbranch_execnz .LBB33_3
; %bb.4:
	s_or_b32 exec_lo, exec_lo, s20
	v_mov_b32_e32 v25, s15
.LBB33_5:
	s_or_b32 exec_lo, exec_lo, s19
.LBB33_6:
	s_delay_alu instid0(SALU_CYCLE_1) | instskip(SKIP_4) | instid1(VALU_DEP_1)
	s_or_b32 exec_lo, exec_lo, s14
	s_load_b64 s[8:9], s[0:1], 0x28
	v_and_b32_e32 v8, 0x3ff, v0
	s_min_u32 s3, s6, 0x8000
	s_mov_b32 s6, exec_lo
	v_lshlrev_b32_e32 v0, 3, v8
	s_delay_alu instid0(VALU_DEP_1) | instskip(NEXT) | instid1(VALU_DEP_1)
	v_lshl_add_u32 v9, v7, 9, v0
	v_cmpx_gt_u32_e64 s3, v9
	s_cbranch_execz .LBB33_9
; %bb.7:
	v_lshlrev_b32_e32 v10, 10, v7
	v_lshlrev_b32_e32 v11, 4, v8
	s_mov_b32 s10, 0
	s_delay_alu instid0(VALU_DEP_1) | instskip(NEXT) | instid1(VALU_DEP_1)
	v_add_co_u32 v5, s2, v10, v11
	v_add_co_ci_u32_e64 v6, null, 0, 0, s2
	v_add_nc_u32_e32 v10, v10, v11
	s_delay_alu instid0(VALU_DEP_3) | instskip(NEXT) | instid1(VALU_DEP_3)
	v_add_co_u32 v5, vcc_lo, s12, v5
	v_add_co_ci_u32_e32 v6, vcc_lo, s13, v6, vcc_lo
	.p2align	6
.LBB33_8:                               ; =>This Inner Loop Header: Depth=1
	global_load_b128 v[11:14], v[5:6], off
	v_add_nc_u32_e32 v9, 0x2000, v9
	v_add_co_u32 v5, vcc_lo, 0x4000, v5
	v_add_co_ci_u32_e32 v6, vcc_lo, 0, v6, vcc_lo
	s_delay_alu instid0(VALU_DEP_3) | instskip(NEXT) | instid1(VALU_DEP_1)
	v_cmp_le_u32_e64 s2, s3, v9
	s_or_b32 s10, s2, s10
	s_waitcnt vmcnt(0)
	ds_store_b128 v10, v[11:14]
	v_add_nc_u32_e32 v10, 0x4000, v10
	s_and_not1_b32 exec_lo, exec_lo, s10
	s_cbranch_execnz .LBB33_8
.LBB33_9:
	s_or_b32 exec_lo, exec_lo, s6
	v_cmp_gt_u32_e32 vcc_lo, s16, v7
	v_cmp_gt_u32_e64 s2, s7, v25
	s_waitcnt lgkmcnt(0)
	s_barrier
	buffer_gl0_inv
	s_and_b32 s2, vcc_lo, s2
	s_delay_alu instid0(SALU_CYCLE_1)
	s_and_saveexec_b32 s3, s2
	s_cbranch_execz .LBB33_38
; %bb.10:
	v_cvt_f32_u32_e32 v5, s18
	s_cmp_lg_u32 s4, 0
	s_clause 0x1
	s_load_b64 s[10:11], s[0:1], 0x18
	s_load_b64 s[14:15], s[0:1], 0x30
	s_cselect_b32 s6, -1, 0
	s_add_i32 s19, s4, -8
	v_rcp_iflag_f32_e32 v5, v5
	s_add_i32 s20, s7, -1
	s_cmp_lg_u64 s[8:9], 0
	v_cmp_eq_u32_e64 s0, 63, v8
	s_cselect_b32 s21, -1, 0
	s_sub_i32 s2, 0, s18
	v_lshlrev_b32_e32 v41, 4, v8
	v_mbcnt_lo_u32_b32 v43, -1, 0
	s_mul_i32 s1, s16, s17
	s_mov_b32 s22, 0
	s_waitcnt_depctr 0xfff
	v_mul_f32_e32 v5, 0x4f7ffffe, v5
	s_lshl_b32 s23, s1, 2
	s_add_i32 s24, s7, -4
	s_delay_alu instid0(VALU_DEP_1) | instskip(NEXT) | instid1(VALU_DEP_1)
	v_cvt_u32_f32_e32 v5, v5
	v_mul_lo_u32 v6, s2, v5
	s_delay_alu instid0(VALU_DEP_1) | instskip(NEXT) | instid1(VALU_DEP_1)
	v_mul_hi_u32 v6, v5, v6
	v_dual_mov_b32 v27, 0 :: v_dual_add_nc_u32 v42, v5, v6
	s_branch .LBB33_13
.LBB33_11:                              ;   in Loop: Header=BB33_13 Depth=1
	s_or_b32 exec_lo, exec_lo, s26
	v_mov_b32_e32 v25, s24
.LBB33_12:                              ;   in Loop: Header=BB33_13 Depth=1
	s_or_b32 exec_lo, exec_lo, s25
	s_delay_alu instid0(VALU_DEP_1) | instskip(SKIP_1) | instid1(SALU_CYCLE_1)
	v_cmp_le_u32_e32 vcc_lo, s7, v25
	s_or_b32 s22, vcc_lo, s22
	s_and_not1_b32 exec_lo, exec_lo, s22
	s_cbranch_execz .LBB33_38
.LBB33_13:                              ; =>This Loop Header: Depth=1
                                        ;     Child Loop BB33_17 Depth 2
                                        ;     Child Loop BB33_36 Depth 2
	s_delay_alu instid0(VALU_DEP_1)
	v_dual_mov_b32 v47, v27 :: v_dual_add_nc_u32 v30, 1, v25
	v_dual_mov_b32 v46, v27 :: v_dual_add_nc_u32 v29, 2, v25
	;; [unrolled: 1-line block ×3, first 2 shown]
	v_mov_b32_e32 v44, v27
	s_and_not1_b32 vcc_lo, exec_lo, s6
	s_cbranch_vccnz .LBB33_22
; %bb.14:                               ;   in Loop: Header=BB33_13 Depth=1
	v_min_u32_e32 v5, s20, v25
	s_waitcnt lgkmcnt(0)
	v_min_u32_e32 v6, s20, v30
	v_min_u32_e32 v7, s20, v29
	v_min_u32_e32 v8, s20, v28
	v_mov_b32_e32 v10, v27
	v_mul_lo_u32 v26, v5, s5
	v_mul_lo_u32 v5, v6, s5
	;; [unrolled: 1-line block ×4, first 2 shown]
	v_dual_mov_b32 v6, v27 :: v_dual_mov_b32 v45, 0
	v_dual_mov_b32 v8, v27 :: v_dual_mov_b32 v47, 0
	v_lshlrev_b64 v[31:32], 1, v[26:27]
	s_delay_alu instid0(VALU_DEP_3) | instskip(SKIP_1) | instid1(VALU_DEP_4)
	v_lshlrev_b64 v[33:34], 1, v[5:6]
	v_mov_b32_e32 v44, 0
	v_lshlrev_b64 v[35:36], 1, v[7:8]
	v_lshlrev_b64 v[37:38], 1, v[9:10]
	v_mov_b32_e32 v48, v41
	v_mov_b32_e32 v46, 0
	s_mov_b32 s1, 0
	s_branch .LBB33_17
.LBB33_15:                              ;   in Loop: Header=BB33_17 Depth=2
	s_or_b32 exec_lo, exec_lo, s3
.LBB33_16:                              ;   in Loop: Header=BB33_17 Depth=2
	s_delay_alu instid0(SALU_CYCLE_1)
	s_or_b32 exec_lo, exec_lo, s2
	v_add_nc_u32_e32 v48, 0x400, v48
	s_addk_i32 s1, 0x200
	s_waitcnt vmcnt(0) lgkmcnt(0)
	;;#ASMSTART
	v_dot2_f32_f16 v47, v9, v21, v47
	;;#ASMEND
	;;#ASMSTART
	v_dot2_f32_f16 v46, v9, v17, v46
	;;#ASMEND
	;; [unrolled: 3-line block ×8, first 2 shown]
	s_cmp_ge_u32 s1, s4
	;;#ASMSTART
	v_dot2_f32_f16 v47, v11, v23, v47
	;;#ASMEND
	;;#ASMSTART
	v_dot2_f32_f16 v46, v11, v19, v46
	;;#ASMEND
	;; [unrolled: 3-line block ×8, first 2 shown]
	s_cbranch_scc1 .LBB33_22
.LBB33_17:                              ;   Parent Loop BB33_13 Depth=1
                                        ; =>  This Inner Loop Header: Depth=2
	v_add_nc_u32_e32 v39, s1, v0
	s_mov_b32 s2, exec_lo
	s_delay_alu instid0(VALU_DEP_1) | instskip(NEXT) | instid1(VALU_DEP_1)
	v_min_u32_e32 v26, s19, v39
	v_lshlrev_b64 v[5:6], 1, v[26:27]
	s_waitcnt lgkmcnt(0)
	s_delay_alu instid0(VALU_DEP_1) | instskip(NEXT) | instid1(VALU_DEP_2)
	v_add_co_u32 v11, vcc_lo, s10, v5
	v_add_co_ci_u32_e32 v12, vcc_lo, s11, v6, vcc_lo
	s_delay_alu instid0(VALU_DEP_2) | instskip(NEXT) | instid1(VALU_DEP_2)
	v_add_co_u32 v5, vcc_lo, v11, v31
	v_add_co_ci_u32_e32 v6, vcc_lo, v12, v32, vcc_lo
	v_add_co_u32 v7, vcc_lo, v11, v33
	v_add_co_ci_u32_e32 v8, vcc_lo, v12, v34, vcc_lo
	;; [unrolled: 2-line block ×4, first 2 shown]
	s_clause 0x3
	global_load_b128 v[21:24], v[5:6], off slc dlc
	global_load_b128 v[17:20], v[7:8], off slc dlc
	;; [unrolled: 1-line block ×4, first 2 shown]
	v_dual_mov_b32 v10, 0 :: v_dual_mov_b32 v9, 0
	v_dual_mov_b32 v12, 0 :: v_dual_mov_b32 v11, 0
	v_cmpx_gt_u32_e64 s4, v39
	s_cbranch_execz .LBB33_16
; %bb.18:                               ;   in Loop: Header=BB33_17 Depth=2
	s_mov_b32 s3, exec_lo
                                        ; implicit-def: $vgpr12
	v_cmpx_lt_u32_e32 0x7fff, v39
	s_xor_b32 s3, exec_lo, s3
	s_cbranch_execz .LBB33_20
; %bb.19:                               ;   in Loop: Header=BB33_17 Depth=2
	v_mov_b32_e32 v40, v27
	s_delay_alu instid0(VALU_DEP_1) | instskip(NEXT) | instid1(VALU_DEP_1)
	v_lshlrev_b64 v[9:10], 1, v[39:40]
	v_add_co_u32 v9, vcc_lo, s12, v9
	s_delay_alu instid0(VALU_DEP_2)
	v_add_co_ci_u32_e32 v10, vcc_lo, s13, v10, vcc_lo
	global_load_b128 v[9:12], v[9:10], off
.LBB33_20:                              ;   in Loop: Header=BB33_17 Depth=2
	s_and_not1_saveexec_b32 s3, s3
	s_cbranch_execz .LBB33_15
; %bb.21:                               ;   in Loop: Header=BB33_17 Depth=2
	s_waitcnt vmcnt(0)
	ds_load_b128 v[9:12], v48
	s_branch .LBB33_15
.LBB33_22:                              ;   in Loop: Header=BB33_13 Depth=1
	v_cvt_i32_f32_e32 v5, v47
	s_waitcnt lgkmcnt(0)
	v_cvt_i32_f32_e32 v6, v46
	v_cvt_i32_f32_e32 v7, v45
	v_cvt_i32_f32_e32 v8, v44
	v_cvt_f32_i32_dpp v5, v5 row_shr:8 row_mask:0xf bank_mask:0xf bound_ctrl:1
	s_delay_alu instid0(VALU_DEP_4) | instskip(NEXT) | instid1(VALU_DEP_4)
	v_cvt_f32_i32_dpp v6, v6 row_shr:8 row_mask:0xf bank_mask:0xf bound_ctrl:1
	v_cvt_f32_i32_dpp v7, v7 row_shr:8 row_mask:0xf bank_mask:0xf bound_ctrl:1
	s_delay_alu instid0(VALU_DEP_4) | instskip(NEXT) | instid1(VALU_DEP_3)
	v_cvt_f32_i32_dpp v8, v8 row_shr:8 row_mask:0xf bank_mask:0xf bound_ctrl:1
	v_dual_add_f32 v5, v47, v5 :: v_dual_add_f32 v6, v46, v6
	s_delay_alu instid0(VALU_DEP_2) | instskip(NEXT) | instid1(VALU_DEP_2)
	v_dual_add_f32 v7, v45, v7 :: v_dual_add_f32 v8, v44, v8
	v_cvt_i32_f32_e32 v9, v5
	s_delay_alu instid0(VALU_DEP_3) | instskip(NEXT) | instid1(VALU_DEP_3)
	v_cvt_i32_f32_e32 v10, v6
	v_cvt_i32_f32_e32 v11, v7
	s_delay_alu instid0(VALU_DEP_4) | instskip(NEXT) | instid1(VALU_DEP_4)
	v_cvt_i32_f32_e32 v12, v8
	v_cvt_f32_i32_dpp v9, v9 row_shr:4 row_mask:0xf bank_mask:0xf bound_ctrl:1
	s_delay_alu instid0(VALU_DEP_4) | instskip(NEXT) | instid1(VALU_DEP_4)
	v_cvt_f32_i32_dpp v10, v10 row_shr:4 row_mask:0xf bank_mask:0xf bound_ctrl:1
	v_cvt_f32_i32_dpp v11, v11 row_shr:4 row_mask:0xf bank_mask:0xf bound_ctrl:1
	s_delay_alu instid0(VALU_DEP_4) | instskip(NEXT) | instid1(VALU_DEP_3)
	v_cvt_f32_i32_dpp v12, v12 row_shr:4 row_mask:0xf bank_mask:0xf bound_ctrl:1
	v_dual_add_f32 v5, v5, v9 :: v_dual_add_f32 v6, v6, v10
	s_delay_alu instid0(VALU_DEP_2) | instskip(NEXT) | instid1(VALU_DEP_2)
	v_dual_add_f32 v7, v7, v11 :: v_dual_add_f32 v8, v8, v12
	v_cvt_i32_f32_e32 v9, v5
	s_delay_alu instid0(VALU_DEP_3) | instskip(NEXT) | instid1(VALU_DEP_3)
	v_cvt_i32_f32_e32 v10, v6
	v_cvt_i32_f32_e32 v11, v7
	s_delay_alu instid0(VALU_DEP_4) | instskip(NEXT) | instid1(VALU_DEP_4)
	v_cvt_i32_f32_e32 v12, v8
	v_cvt_f32_i32_dpp v9, v9 row_shr:2 row_mask:0xf bank_mask:0xf bound_ctrl:1
	s_delay_alu instid0(VALU_DEP_4) | instskip(NEXT) | instid1(VALU_DEP_4)
	v_cvt_f32_i32_dpp v10, v10 row_shr:2 row_mask:0xf bank_mask:0xf bound_ctrl:1
	v_cvt_f32_i32_dpp v11, v11 row_shr:2 row_mask:0xf bank_mask:0xf bound_ctrl:1
	s_delay_alu instid0(VALU_DEP_4) | instskip(NEXT) | instid1(VALU_DEP_3)
	v_cvt_f32_i32_dpp v12, v12 row_shr:2 row_mask:0xf bank_mask:0xf bound_ctrl:1
	v_dual_add_f32 v5, v5, v9 :: v_dual_add_f32 v6, v6, v10
	s_delay_alu instid0(VALU_DEP_2) | instskip(SKIP_1) | instid1(VALU_DEP_3)
	v_dual_add_f32 v7, v7, v11 :: v_dual_add_f32 v8, v8, v12
	v_xor_b32_e32 v9, 16, v43
	v_cvt_i32_f32_e32 v10, v5
	s_delay_alu instid0(VALU_DEP_4) | instskip(NEXT) | instid1(VALU_DEP_4)
	v_cvt_i32_f32_e32 v11, v6
	v_cvt_i32_f32_e32 v12, v7
	s_waitcnt vmcnt(0)
	v_cvt_i32_f32_e32 v13, v8
	v_cmp_gt_i32_e32 vcc_lo, 32, v9
	v_cvt_f32_i32_dpp v10, v10 row_shr:1 row_mask:0xf bank_mask:0xf bound_ctrl:1
	v_cvt_f32_i32_dpp v14, v11 row_shr:1 row_mask:0xf bank_mask:0xf bound_ctrl:1
	;; [unrolled: 1-line block ×4, first 2 shown]
	v_cndmask_b32_e32 v9, v43, v9, vcc_lo
	v_add_f32_e32 v11, v5, v10
	s_delay_alu instid0(VALU_DEP_4) | instskip(NEXT) | instid1(VALU_DEP_4)
	v_add_f32_e32 v7, v7, v12
	v_add_f32_e32 v5, v8, v13
	s_delay_alu instid0(VALU_DEP_4)
	v_lshlrev_b32_e32 v15, 2, v9
	v_add_f32_e32 v9, v6, v14
	ds_bpermute_b32 v12, v15, v11
	ds_bpermute_b32 v10, v15, v9
	;; [unrolled: 1-line block ×4, first 2 shown]
	s_and_saveexec_b32 s1, s0
	s_cbranch_execz .LBB33_33
; %bb.23:                               ;   in Loop: Header=BB33_13 Depth=1
	v_dual_mov_b32 v13, 0 :: v_dual_mov_b32 v14, 0
	v_dual_mov_b32 v15, 0 :: v_dual_mov_b32 v16, 0
	s_and_not1_b32 vcc_lo, exec_lo, s21
	s_cbranch_vccnz .LBB33_25
; %bb.24:                               ;   in Loop: Header=BB33_13 Depth=1
	v_mul_hi_u32 v13, v25, v42
	v_mul_hi_u32 v14, v30, v42
	;; [unrolled: 1-line block ×4, first 2 shown]
	s_delay_alu instid0(VALU_DEP_4) | instskip(NEXT) | instid1(VALU_DEP_4)
	v_mul_lo_u32 v13, v13, s18
	v_mul_lo_u32 v14, v14, s18
	s_delay_alu instid0(VALU_DEP_4) | instskip(NEXT) | instid1(VALU_DEP_4)
	v_mul_lo_u32 v15, v15, s18
	v_mul_lo_u32 v16, v16, s18
	s_delay_alu instid0(VALU_DEP_4) | instskip(NEXT) | instid1(VALU_DEP_4)
	v_sub_nc_u32_e32 v13, v25, v13
	v_sub_nc_u32_e32 v14, v30, v14
	s_delay_alu instid0(VALU_DEP_4) | instskip(NEXT) | instid1(VALU_DEP_4)
	v_sub_nc_u32_e32 v15, v29, v15
	v_sub_nc_u32_e32 v16, v28, v16
	s_delay_alu instid0(VALU_DEP_4) | instskip(SKIP_1) | instid1(VALU_DEP_4)
	v_subrev_nc_u32_e32 v17, s18, v13
	v_cmp_le_u32_e32 vcc_lo, s18, v13
	v_subrev_nc_u32_e32 v18, s18, v15
	s_delay_alu instid0(VALU_DEP_4) | instskip(NEXT) | instid1(VALU_DEP_4)
	v_subrev_nc_u32_e32 v20, s18, v16
	v_cndmask_b32_e32 v13, v13, v17, vcc_lo
	v_subrev_nc_u32_e32 v17, s18, v14
	v_cmp_le_u32_e32 vcc_lo, s18, v14
	s_delay_alu instid0(VALU_DEP_3) | instskip(NEXT) | instid1(VALU_DEP_3)
	v_subrev_nc_u32_e32 v19, s18, v13
	v_cndmask_b32_e32 v17, v14, v17, vcc_lo
	v_cmp_le_u32_e32 vcc_lo, s18, v13
	s_delay_alu instid0(VALU_DEP_3) | instskip(SKIP_1) | instid1(VALU_DEP_2)
	v_cndmask_b32_e32 v26, v13, v19, vcc_lo
	v_cmp_le_u32_e32 vcc_lo, s18, v15
	v_lshlrev_b64 v[13:14], 1, v[26:27]
	v_cndmask_b32_e32 v18, v15, v18, vcc_lo
	v_cmp_le_u32_e32 vcc_lo, s18, v16
	v_subrev_nc_u32_e32 v15, s18, v17
	v_cndmask_b32_e32 v19, v16, v20, vcc_lo
	v_cmp_le_u32_e32 vcc_lo, s18, v17
	s_delay_alu instid0(VALU_DEP_3) | instskip(SKIP_3) | instid1(VALU_DEP_4)
	v_cndmask_b32_e32 v26, v17, v15, vcc_lo
	v_subrev_nc_u32_e32 v17, s18, v18
	v_cmp_le_u32_e32 vcc_lo, s18, v18
	v_subrev_nc_u32_e32 v20, s18, v19
	v_lshlrev_b64 v[15:16], 1, v[26:27]
	s_delay_alu instid0(VALU_DEP_4) | instskip(SKIP_3) | instid1(VALU_DEP_4)
	v_cndmask_b32_e32 v26, v18, v17, vcc_lo
	v_add_co_u32 v13, vcc_lo, s8, v13
	v_add_co_ci_u32_e32 v14, vcc_lo, s9, v14, vcc_lo
	v_cmp_le_u32_e32 vcc_lo, s18, v19
	v_lshlrev_b64 v[17:18], 1, v[26:27]
	v_cndmask_b32_e32 v26, v19, v20, vcc_lo
	v_add_co_u32 v19, vcc_lo, s8, v15
	v_add_co_ci_u32_e32 v20, vcc_lo, s9, v16, vcc_lo
	s_delay_alu instid0(VALU_DEP_3) | instskip(SKIP_2) | instid1(VALU_DEP_3)
	v_lshlrev_b64 v[15:16], 1, v[26:27]
	v_add_co_u32 v17, vcc_lo, s8, v17
	v_add_co_ci_u32_e32 v18, vcc_lo, s9, v18, vcc_lo
	v_add_co_u32 v21, vcc_lo, s8, v15
	s_delay_alu instid0(VALU_DEP_4)
	v_add_co_ci_u32_e32 v22, vcc_lo, s9, v16, vcc_lo
	s_clause 0x3
	global_load_u16 v16, v[13:14], off
	global_load_u16 v15, v[19:20], off
	;; [unrolled: 1-line block ×4, first 2 shown]
.LBB33_25:                              ;   in Loop: Header=BB33_13 Depth=1
	s_mov_b32 s2, exec_lo
	v_cmpx_ne_u32_e32 0, v1
	s_cbranch_execz .LBB33_27
; %bb.26:                               ;   in Loop: Header=BB33_13 Depth=1
	s_waitcnt lgkmcnt(0)
	v_add_f32_e32 v11, v11, v12
	s_waitcnt vmcnt(3)
	v_cvt_f32_f16_e32 v12, v16
	v_mov_b32_e32 v26, v27
	s_delay_alu instid0(VALU_DEP_2) | instskip(NEXT) | instid1(VALU_DEP_2)
	v_add_f32_e32 v16, v11, v12
	v_lshlrev_b64 v[11:12], 1, v[25:26]
	s_delay_alu instid0(VALU_DEP_2) | instskip(NEXT) | instid1(VALU_DEP_2)
	v_cvt_f16_f32_e32 v16, v16
	v_add_co_u32 v11, vcc_lo, s14, v11
	s_delay_alu instid0(VALU_DEP_3)
	v_add_co_ci_u32_e32 v12, vcc_lo, s15, v12, vcc_lo
	global_store_b16 v[11:12], v16, off
.LBB33_27:                              ;   in Loop: Header=BB33_13 Depth=1
	s_or_b32 exec_lo, exec_lo, s2
	s_delay_alu instid0(SALU_CYCLE_1)
	s_mov_b32 s2, exec_lo
	v_cmpx_ne_u32_e32 0, v2
	s_cbranch_execz .LBB33_29
; %bb.28:                               ;   in Loop: Header=BB33_13 Depth=1
	s_waitcnt lgkmcnt(0)
	v_add_f32_e32 v9, v9, v10
	s_waitcnt vmcnt(2)
	v_cvt_f32_f16_e32 v10, v15
	v_mov_b32_e32 v31, v27
	s_delay_alu instid0(VALU_DEP_2) | instskip(NEXT) | instid1(VALU_DEP_2)
	v_add_f32_e32 v11, v9, v10
	v_lshlrev_b64 v[9:10], 1, v[30:31]
	s_delay_alu instid0(VALU_DEP_2) | instskip(NEXT) | instid1(VALU_DEP_2)
	v_cvt_f16_f32_e32 v11, v11
	v_add_co_u32 v9, vcc_lo, s14, v9
	s_delay_alu instid0(VALU_DEP_3)
	v_add_co_ci_u32_e32 v10, vcc_lo, s15, v10, vcc_lo
	global_store_b16 v[9:10], v11, off
.LBB33_29:                              ;   in Loop: Header=BB33_13 Depth=1
	s_or_b32 exec_lo, exec_lo, s2
	s_delay_alu instid0(SALU_CYCLE_1)
	s_mov_b32 s2, exec_lo
	v_cmpx_ne_u32_e32 0, v3
	s_cbranch_execz .LBB33_31
; %bb.30:                               ;   in Loop: Header=BB33_13 Depth=1
	s_waitcnt lgkmcnt(0)
	v_add_f32_e32 v7, v7, v8
	s_waitcnt vmcnt(1)
	v_cvt_f32_f16_e32 v8, v14
	v_mov_b32_e32 v30, v27
	s_delay_alu instid0(VALU_DEP_2) | instskip(NEXT) | instid1(VALU_DEP_2)
	v_add_f32_e32 v9, v7, v8
	v_lshlrev_b64 v[7:8], 1, v[29:30]
	s_delay_alu instid0(VALU_DEP_2) | instskip(NEXT) | instid1(VALU_DEP_2)
	v_cvt_f16_f32_e32 v9, v9
	v_add_co_u32 v7, vcc_lo, s14, v7
	s_delay_alu instid0(VALU_DEP_3)
	v_add_co_ci_u32_e32 v8, vcc_lo, s15, v8, vcc_lo
	global_store_b16 v[7:8], v9, off
.LBB33_31:                              ;   in Loop: Header=BB33_13 Depth=1
	s_or_b32 exec_lo, exec_lo, s2
	v_cmp_ne_u32_e32 vcc_lo, 0, v4
	s_and_b32 exec_lo, exec_lo, vcc_lo
	s_cbranch_execz .LBB33_33
; %bb.32:                               ;   in Loop: Header=BB33_13 Depth=1
	s_waitcnt lgkmcnt(0)
	v_add_f32_e32 v5, v5, v6
	s_waitcnt vmcnt(0)
	v_cvt_f32_f16_e32 v6, v13
	v_mov_b32_e32 v29, v27
	s_delay_alu instid0(VALU_DEP_2) | instskip(NEXT) | instid1(VALU_DEP_2)
	v_add_f32_e32 v7, v5, v6
	v_lshlrev_b64 v[5:6], 1, v[28:29]
	s_delay_alu instid0(VALU_DEP_2) | instskip(NEXT) | instid1(VALU_DEP_2)
	v_cvt_f16_f32_e32 v7, v7
	v_add_co_u32 v5, vcc_lo, s14, v5
	s_delay_alu instid0(VALU_DEP_3)
	v_add_co_ci_u32_e32 v6, vcc_lo, s15, v6, vcc_lo
	global_store_b16 v[5:6], v7, off
.LBB33_33:                              ;   in Loop: Header=BB33_13 Depth=1
	s_or_b32 exec_lo, exec_lo, s1
	v_add_nc_u32_e32 v25, s23, v25
	s_delay_alu instid0(VALU_DEP_1) | instskip(SKIP_1) | instid1(VALU_DEP_2)
	v_add_nc_u32_e32 v5, 4, v25
	v_cmp_gt_u32_e32 vcc_lo, s7, v25
	v_cmp_le_u32_e64 s1, s7, v5
	s_delay_alu instid0(VALU_DEP_1) | instskip(NEXT) | instid1(SALU_CYCLE_1)
	s_and_b32 s1, vcc_lo, s1
	s_and_saveexec_b32 s25, s1
	s_cbranch_execz .LBB33_12
; %bb.34:                               ;   in Loop: Header=BB33_13 Depth=1
	s_mov_b32 s26, exec_lo
	v_cmpx_ne_u32_e64 s24, v25
	s_cbranch_execz .LBB33_11
; %bb.35:                               ;   in Loop: Header=BB33_13 Depth=1
	v_subrev_nc_u32_e32 v5, s24, v25
	s_mov_b32 s27, 0
	s_mov_b64 s[16:17], 0
	s_delay_alu instid0(VALU_DEP_1)
	v_cmp_lt_u32_e32 vcc_lo, 1, v5
	v_cndmask_b32_e32 v5, 1, v5, vcc_lo
	.p2align	6
.LBB33_36:                              ;   Parent Loop BB33_13 Depth=1
                                        ; =>  This Inner Loop Header: Depth=2
	s_cmp_lg_u32 s16, 3
	s_cselect_b32 vcc_lo, -1, 0
	s_cmp_lg_u32 s16, 2
	v_cndmask_b32_e32 v4, 0, v4, vcc_lo
	s_cselect_b32 s1, -1, 0
	s_cmp_lg_u32 s16, 1
	v_cndmask_b32_e64 v3, 0, v3, s1
	s_cselect_b32 s2, -1, 0
	s_cmp_lg_u32 s16, 0
	v_cndmask_b32_e64 v2, 0, v2, s2
	s_cselect_b32 s3, -1, 0
	s_add_u32 s16, s16, 1
	v_cndmask_b32_e64 v1, 0, v1, s3
	v_cmp_eq_u32_e32 vcc_lo, s16, v5
	s_addc_u32 s17, s17, 0
	s_or_b32 s27, vcc_lo, s27
	s_delay_alu instid0(SALU_CYCLE_1)
	s_and_not1_b32 exec_lo, exec_lo, s27
	s_cbranch_execnz .LBB33_36
; %bb.37:                               ;   in Loop: Header=BB33_13 Depth=1
	s_or_b32 exec_lo, exec_lo, s27
	s_branch .LBB33_11
.LBB33_38:
	s_nop 0
	s_sendmsg sendmsg(MSG_DEALLOC_VGPRS)
	s_endpgm
	.section	.rodata,"a",@progbits
	.p2align	6, 0x0
	.amdhsa_kernel _Z12wvSplitK_hf_I6__halfLi64ELi4ELi16ELi8ELi1ELi1EEviiiiiiPKT_S3_S3_PS1_ii
		.amdhsa_group_segment_fixed_size 65536
		.amdhsa_private_segment_fixed_size 0
		.amdhsa_kernarg_size 64
		.amdhsa_user_sgpr_count 15
		.amdhsa_user_sgpr_dispatch_ptr 0
		.amdhsa_user_sgpr_queue_ptr 0
		.amdhsa_user_sgpr_kernarg_segment_ptr 1
		.amdhsa_user_sgpr_dispatch_id 0
		.amdhsa_user_sgpr_private_segment_size 0
		.amdhsa_wavefront_size32 1
		.amdhsa_uses_dynamic_stack 0
		.amdhsa_enable_private_segment 0
		.amdhsa_system_sgpr_workgroup_id_x 1
		.amdhsa_system_sgpr_workgroup_id_y 0
		.amdhsa_system_sgpr_workgroup_id_z 0
		.amdhsa_system_sgpr_workgroup_info 0
		.amdhsa_system_vgpr_workitem_id 1
		.amdhsa_next_free_vgpr 49
		.amdhsa_next_free_sgpr 28
		.amdhsa_reserve_vcc 1
		.amdhsa_float_round_mode_32 0
		.amdhsa_float_round_mode_16_64 0
		.amdhsa_float_denorm_mode_32 3
		.amdhsa_float_denorm_mode_16_64 3
		.amdhsa_dx10_clamp 1
		.amdhsa_ieee_mode 1
		.amdhsa_fp16_overflow 0
		.amdhsa_workgroup_processor_mode 1
		.amdhsa_memory_ordered 1
		.amdhsa_forward_progress 0
		.amdhsa_shared_vgpr_count 0
		.amdhsa_exception_fp_ieee_invalid_op 0
		.amdhsa_exception_fp_denorm_src 0
		.amdhsa_exception_fp_ieee_div_zero 0
		.amdhsa_exception_fp_ieee_overflow 0
		.amdhsa_exception_fp_ieee_underflow 0
		.amdhsa_exception_fp_ieee_inexact 0
		.amdhsa_exception_int_div_zero 0
	.end_amdhsa_kernel
	.section	.text._Z12wvSplitK_hf_I6__halfLi64ELi4ELi16ELi8ELi1ELi1EEviiiiiiPKT_S3_S3_PS1_ii,"axG",@progbits,_Z12wvSplitK_hf_I6__halfLi64ELi4ELi16ELi8ELi1ELi1EEviiiiiiPKT_S3_S3_PS1_ii,comdat
.Lfunc_end33:
	.size	_Z12wvSplitK_hf_I6__halfLi64ELi4ELi16ELi8ELi1ELi1EEviiiiiiPKT_S3_S3_PS1_ii, .Lfunc_end33-_Z12wvSplitK_hf_I6__halfLi64ELi4ELi16ELi8ELi1ELi1EEviiiiiiPKT_S3_S3_PS1_ii
                                        ; -- End function
	.section	.AMDGPU.csdata,"",@progbits
; Kernel info:
; codeLenInByte = 2756
; NumSgprs: 30
; NumVgprs: 49
; ScratchSize: 0
; MemoryBound: 0
; FloatMode: 240
; IeeeMode: 1
; LDSByteSize: 65536 bytes/workgroup (compile time only)
; SGPRBlocks: 3
; VGPRBlocks: 6
; NumSGPRsForWavesPerEU: 30
; NumVGPRsForWavesPerEU: 49
; Occupancy: 16
; WaveLimiterHint : 0
; COMPUTE_PGM_RSRC2:SCRATCH_EN: 0
; COMPUTE_PGM_RSRC2:USER_SGPR: 15
; COMPUTE_PGM_RSRC2:TRAP_HANDLER: 0
; COMPUTE_PGM_RSRC2:TGID_X_EN: 1
; COMPUTE_PGM_RSRC2:TGID_Y_EN: 0
; COMPUTE_PGM_RSRC2:TGID_Z_EN: 0
; COMPUTE_PGM_RSRC2:TIDIG_COMP_CNT: 1
	.section	.text._Z16wvSplitK_hf_big_I6__halfLi64ELi4ELi16ELi8ELi1ELi1EEviiiiiiPKT_S3_S3_PS1_ii,"axG",@progbits,_Z16wvSplitK_hf_big_I6__halfLi64ELi4ELi16ELi8ELi1ELi1EEviiiiiiPKT_S3_S3_PS1_ii,comdat
	.protected	_Z16wvSplitK_hf_big_I6__halfLi64ELi4ELi16ELi8ELi1ELi1EEviiiiiiPKT_S3_S3_PS1_ii ; -- Begin function _Z16wvSplitK_hf_big_I6__halfLi64ELi4ELi16ELi8ELi1ELi1EEviiiiiiPKT_S3_S3_PS1_ii
	.globl	_Z16wvSplitK_hf_big_I6__halfLi64ELi4ELi16ELi8ELi1ELi1EEviiiiiiPKT_S3_S3_PS1_ii
	.p2align	8
	.type	_Z16wvSplitK_hf_big_I6__halfLi64ELi4ELi16ELi8ELi1ELi1EEviiiiiiPKT_S3_S3_PS1_ii,@function
_Z16wvSplitK_hf_big_I6__halfLi64ELi4ELi16ELi8ELi1ELi1EEviiiiiiPKT_S3_S3_PS1_ii: ; @_Z16wvSplitK_hf_big_I6__halfLi64ELi4ELi16ELi8ELi1ELi1EEviiiiiiPKT_S3_S3_PS1_ii
; %bb.0:
	s_load_b64 s[12:13], s[0:1], 0x38
	v_bfe_u32 v5, v0, 10, 10
	s_mov_b32 s2, exec_lo
	s_waitcnt lgkmcnt(0)
	s_delay_alu instid0(VALU_DEP_1)
	v_cmpx_gt_u32_e64 s12, v5
	s_cbranch_execz .LBB34_46
; %bb.1:
	s_load_b128 s[16:19], s[0:1], 0x0
	s_mul_i32 s15, s15, s12
	s_mov_b32 s4, 1
	v_add_lshl_u32 v25, s15, v5, 2
	s_mov_b32 s5, s4
	s_mov_b32 s6, s4
	;; [unrolled: 1-line block ×3, first 2 shown]
	s_delay_alu instid0(VALU_DEP_1) | instskip(SKIP_2) | instid1(VALU_DEP_2)
	v_add_nc_u32_e32 v1, 4, v25
	s_waitcnt lgkmcnt(0)
	v_cmp_gt_u32_e32 vcc_lo, s19, v25
	v_cmp_le_u32_e64 s2, s19, v1
	v_dual_mov_b32 v1, s4 :: v_dual_mov_b32 v4, s7
	v_dual_mov_b32 v2, s5 :: v_dual_mov_b32 v3, s6
	s_delay_alu instid0(VALU_DEP_3) | instskip(NEXT) | instid1(SALU_CYCLE_1)
	s_and_b32 s2, vcc_lo, s2
	s_and_saveexec_b32 s8, s2
	s_cbranch_execz .LBB34_7
; %bb.2:
	v_dual_mov_b32 v1, s4 :: v_dual_mov_b32 v2, s5
	v_dual_mov_b32 v3, s6 :: v_dual_mov_b32 v4, s7
	s_add_i32 s9, s19, -4
	s_mov_b32 s10, exec_lo
	v_cmpx_ne_u32_e64 s9, v25
	s_cbranch_execz .LBB34_6
; %bb.3:
	v_subrev_nc_u32_e32 v1, s9, v25
	s_mov_b32 s11, 0
	s_mov_b64 s[2:3], 0
	s_mov_b32 s5, s4
	s_mov_b32 s6, s4
	v_cmp_lt_u32_e32 vcc_lo, 1, v1
	s_mov_b32 s7, s4
	v_cndmask_b32_e32 v6, 1, v1, vcc_lo
	.p2align	6
.LBB34_4:                               ; =>This Inner Loop Header: Depth=1
	s_cmp_lg_u32 s2, 3
	s_cselect_b32 s7, s7, 0
	s_cmp_lg_u32 s2, 2
	s_cselect_b32 s6, s6, 0
	;; [unrolled: 2-line block ×4, first 2 shown]
	s_add_u32 s2, s2, 1
	v_dual_mov_b32 v1, s4 :: v_dual_mov_b32 v2, s5
	v_cmp_eq_u32_e32 vcc_lo, s2, v6
	v_dual_mov_b32 v3, s6 :: v_dual_mov_b32 v4, s7
	s_addc_u32 s3, s3, 0
	s_or_b32 s11, vcc_lo, s11
	s_delay_alu instid0(SALU_CYCLE_1)
	s_and_not1_b32 exec_lo, exec_lo, s11
	s_cbranch_execnz .LBB34_4
; %bb.5:
	s_or_b32 exec_lo, exec_lo, s11
	v_mov_b32_e32 v25, s9
.LBB34_6:
	s_or_b32 exec_lo, exec_lo, s10
.LBB34_7:
	s_delay_alu instid0(SALU_CYCLE_1)
	s_or_b32 exec_lo, exec_lo, s8
	s_lshl_b32 s2, s12, 2
	s_abs_i32 s6, s19
	s_abs_i32 s3, s2
	s_mov_b32 s15, 0
	v_cvt_f32_u32_e32 v6, s3
	s_sub_i32 s5, 0, s3
	s_delay_alu instid0(VALU_DEP_1) | instskip(SKIP_2) | instid1(VALU_DEP_1)
	v_rcp_iflag_f32_e32 v6, v6
	s_waitcnt_depctr 0xfff
	v_mul_f32_e32 v6, 0x4f7ffffe, v6
	v_cvt_u32_f32_e32 v6, v6
	s_delay_alu instid0(VALU_DEP_1) | instskip(NEXT) | instid1(VALU_DEP_1)
	v_readfirstlane_b32 s4, v6
	s_mul_i32 s5, s5, s4
	s_delay_alu instid0(SALU_CYCLE_1) | instskip(NEXT) | instid1(SALU_CYCLE_1)
	s_mul_hi_u32 s5, s4, s5
	s_add_i32 s4, s4, s5
	s_ashr_i32 s5, s19, 31
	s_mul_hi_u32 s4, s6, s4
	s_delay_alu instid0(SALU_CYCLE_1) | instskip(NEXT) | instid1(SALU_CYCLE_1)
	s_mul_i32 s4, s4, s3
	s_sub_i32 s4, s6, s4
	s_delay_alu instid0(SALU_CYCLE_1) | instskip(SKIP_2) | instid1(SALU_CYCLE_1)
	s_sub_i32 s6, s4, s3
	s_cmp_ge_u32 s4, s3
	s_cselect_b32 s4, s6, s4
	s_sub_i32 s6, s4, s3
	s_cmp_ge_u32 s4, s3
	s_cselect_b32 s3, s6, s4
	s_add_i32 s2, s2, s19
	s_xor_b32 s3, s3, s5
	s_delay_alu instid0(SALU_CYCLE_1) | instskip(NEXT) | instid1(SALU_CYCLE_1)
	s_sub_i32 s3, s3, s5
	s_sub_i32 s2, s2, s3
	s_cmp_eq_u32 s3, 0
	s_cselect_b32 s14, s19, s2
	s_delay_alu instid0(SALU_CYCLE_1)
	v_cmp_gt_u32_e32 vcc_lo, s14, v25
	s_and_b32 exec_lo, exec_lo, vcc_lo
	s_cbranch_execz .LBB34_46
; %bb.8:
	s_clause 0x1
	s_load_b32 s20, s[0:1], 0x10
	s_load_b256 s[4:11], s[0:1], 0x18
	s_min_u32 s21, s18, 0x8000
	s_cmp_lg_u32 s16, 0
	s_mul_i32 s0, s13, s12
	s_cselect_b32 s22, -1, 0
	s_cmp_lg_u32 s18, 0
	v_and_b32_e32 v8, 0x3ff, v0
	s_cselect_b32 s23, -1, 0
	s_lshl_b32 s24, s12, 9
	s_add_i32 s25, s16, -8
	s_add_i32 s26, s19, -1
	s_lshl_b32 s27, s0, 2
	v_lshlrev_b32_e32 v9, 4, v8
	v_lshlrev_b32_e32 v0, 3, v8
	v_mbcnt_lo_u32_b32 v39, -1, 0
	v_mov_b32_e32 v27, 0
	s_delay_alu instid0(VALU_DEP_4) | instskip(NEXT) | instid1(VALU_DEP_4)
	v_lshl_add_u32 v36, v5, 10, v9
	v_lshl_add_u32 v37, v5, 9, v0
	s_waitcnt lgkmcnt(0)
	v_cvt_f32_u32_e32 v6, s20
	s_cmp_lg_u64 s[8:9], 0
	s_cselect_b32 s28, -1, 0
	s_sub_i32 s0, 0, s20
	s_delay_alu instid0(VALU_DEP_1)
	v_rcp_iflag_f32_e32 v6, v6
	s_add_i32 s29, s19, -4
	s_add_u32 s30, s10, 2
	s_addc_u32 s31, s11, 0
	s_lshl_b32 s33, s12, 10
	s_waitcnt_depctr 0xfff
	v_mul_f32_e32 v6, 0x4f7ffffe, v6
	s_delay_alu instid0(VALU_DEP_1) | instskip(NEXT) | instid1(VALU_DEP_1)
	v_cvt_u32_f32_e32 v6, v6
	v_mul_lo_u32 v7, s0, v6
	v_cmp_eq_u32_e64 s0, 63, v8
	s_delay_alu instid0(VALU_DEP_2) | instskip(NEXT) | instid1(VALU_DEP_1)
	v_mul_hi_u32 v7, v6, v7
	v_add_nc_u32_e32 v38, v6, v7
	s_branch .LBB34_12
.LBB34_9:                               ;   in Loop: Header=BB34_12 Depth=1
	s_or_b32 exec_lo, exec_lo, s36
	v_mov_b32_e32 v25, s29
.LBB34_10:                              ;   in Loop: Header=BB34_12 Depth=1
	s_or_b32 exec_lo, exec_lo, s35
.LBB34_11:                              ;   in Loop: Header=BB34_12 Depth=1
	s_delay_alu instid0(SALU_CYCLE_1) | instskip(NEXT) | instid1(VALU_DEP_1)
	s_or_b32 exec_lo, exec_lo, s34
	v_cmp_le_u32_e32 vcc_lo, s14, v25
	s_or_b32 s15, vcc_lo, s15
	s_delay_alu instid0(SALU_CYCLE_1)
	s_and_not1_b32 exec_lo, exec_lo, s15
	s_cbranch_execz .LBB34_46
.LBB34_12:                              ; =>This Loop Header: Depth=1
                                        ;     Child Loop BB34_16 Depth 2
                                        ;       Child Loop BB34_21 Depth 3
                                        ;     Child Loop BB34_44 Depth 2
	v_mov_b32_e32 v43, v27
	v_mov_b32_e32 v42, v27
	v_mov_b32_e32 v41, v27
	v_mov_b32_e32 v40, v27
	s_and_not1_b32 vcc_lo, exec_lo, s22
	s_mov_b32 s3, 0
	s_cbranch_vccnz .LBB34_27
; %bb.13:                               ;   in Loop: Header=BB34_12 Depth=1
	v_dual_mov_b32 v41, 0 :: v_dual_add_nc_u32 v6, 2, v25
	v_add_nc_u32_e32 v5, 1, v25
	v_add_nc_u32_e32 v7, 3, v25
	v_min_u32_e32 v8, s26, v25
	s_delay_alu instid0(VALU_DEP_4)
	v_min_u32_e32 v6, s26, v6
	s_waitcnt lgkmcnt(1)
	v_dual_mov_b32 v10, v27 :: v_dual_mov_b32 v43, 0
	v_cmp_gt_u32_e64 s1, s19, v25
	v_mul_lo_u32 v26, v8, s17
	v_mov_b32_e32 v8, v27
	s_waitcnt lgkmcnt(0)
	v_min_u32_e32 v9, s26, v7
	v_mul_lo_u32 v7, v6, s17
	v_mov_b32_e32 v6, v27
	v_min_u32_e32 v5, s26, v5
	v_mov_b32_e32 v40, 0
	v_mul_lo_u32 v9, v9, s17
	v_lshlrev_b64 v[28:29], 1, v[26:27]
	v_mov_b32_e32 v42, 0
	v_mul_lo_u32 v5, v5, s17
	v_lshlrev_b64 v[32:33], 1, v[7:8]
	s_mov_b32 s12, 0
	v_lshlrev_b64 v[34:35], 1, v[9:10]
	s_delay_alu instid0(VALU_DEP_3)
	v_lshlrev_b64 v[30:31], 1, v[5:6]
	s_branch .LBB34_16
.LBB34_14:                              ;   in Loop: Header=BB34_16 Depth=2
	s_or_b32 exec_lo, exec_lo, s13
	s_waitcnt vmcnt(3) lgkmcnt(0)
	;;#ASMSTART
	v_dot2_f32_f16 v43, v9, v21, v43
	;;#ASMEND
	s_waitcnt vmcnt(2)
	;;#ASMSTART
	v_dot2_f32_f16 v42, v9, v17, v42
	;;#ASMEND
	s_waitcnt vmcnt(1)
	;; [unrolled: 4-line block ×3, first 2 shown]
	;;#ASMSTART
	v_dot2_f32_f16 v40, v9, v5, v40
	;;#ASMEND
	;;#ASMSTART
	v_dot2_f32_f16 v43, v10, v22, v43
	;;#ASMEND
	;; [unrolled: 3-line block ×13, first 2 shown]
.LBB34_15:                              ;   in Loop: Header=BB34_16 Depth=2
	s_or_b32 exec_lo, exec_lo, s2
	s_addk_i32 s12, 0x200
	s_delay_alu instid0(SALU_CYCLE_1)
	s_cmp_ge_u32 s12, s16
	s_cbranch_scc1 .LBB34_27
.LBB34_16:                              ;   Parent Loop BB34_12 Depth=1
                                        ; =>  This Loop Header: Depth=2
                                        ;       Child Loop BB34_21 Depth 3
	s_cmp_eq_u32 s12, 0
	s_cselect_b32 s13, -1, 0
	s_add_i32 s2, s3, s21
	s_delay_alu instid0(SALU_CYCLE_1) | instskip(SKIP_1) | instid1(SALU_CYCLE_1)
	s_cmp_eq_u32 s12, s2
	s_cselect_b32 s34, -1, 0
	s_or_b32 s34, s13, s34
	s_delay_alu instid0(SALU_CYCLE_1)
	s_and_not1_b32 vcc_lo, exec_lo, s34
	s_cbranch_vccz .LBB34_18
; %bb.17:                               ;   in Loop: Header=BB34_16 Depth=2
	s_and_saveexec_b32 s2, s1
	s_cbranch_execz .LBB34_15
	s_branch .LBB34_25
.LBB34_18:                              ;   in Loop: Header=BB34_16 Depth=2
	s_and_b32 s13, s13, exec_lo
	s_cselect_b32 s3, s3, s2
	s_and_not1_b32 vcc_lo, exec_lo, s23
	s_waitcnt vmcnt(0)
	s_waitcnt_vscnt null, 0x0
	s_barrier
	buffer_gl0_inv
	s_cbranch_vccnz .LBB34_24
; %bb.19:                               ;   in Loop: Header=BB34_16 Depth=2
	v_dual_mov_b32 v6, v36 :: v_dual_add_nc_u32 v5, s3, v37
	s_mov_b32 s13, 0
	s_mov_b32 s34, 0
                                        ; implicit-def: $sgpr35
	s_set_inst_prefetch_distance 0x1
	s_branch .LBB34_21
	.p2align	6
.LBB34_20:                              ;   in Loop: Header=BB34_21 Depth=3
	s_or_b32 exec_lo, exec_lo, s2
	s_delay_alu instid0(SALU_CYCLE_1) | instskip(NEXT) | instid1(SALU_CYCLE_1)
	s_and_b32 s2, exec_lo, s35
	s_or_b32 s13, s2, s13
	s_delay_alu instid0(SALU_CYCLE_1)
	s_and_not1_b32 exec_lo, exec_lo, s13
	s_cbranch_execz .LBB34_23
.LBB34_21:                              ;   Parent Loop BB34_12 Depth=1
                                        ;     Parent Loop BB34_16 Depth=2
                                        ; =>    This Inner Loop Header: Depth=3
	v_add_nc_u32_e32 v26, s34, v5
	v_add_nc_u32_e32 v7, s34, v37
	s_or_b32 s35, s35, exec_lo
	s_delay_alu instid0(VALU_DEP_2) | instskip(NEXT) | instid1(VALU_DEP_2)
	v_cmp_gt_u32_e32 vcc_lo, s18, v26
	v_cmp_gt_u32_e64 s2, s21, v7
	s_delay_alu instid0(VALU_DEP_1) | instskip(NEXT) | instid1(SALU_CYCLE_1)
	s_and_b32 s36, s2, vcc_lo
	s_and_saveexec_b32 s2, s36
	s_cbranch_execz .LBB34_20
; %bb.22:                               ;   in Loop: Header=BB34_21 Depth=3
	v_lshlrev_b64 v[7:8], 1, v[26:27]
	s_add_i32 s34, s34, s24
	s_delay_alu instid0(SALU_CYCLE_1) | instskip(SKIP_1) | instid1(VALU_DEP_1)
	s_cmp_ge_u32 s34, s21
	s_cselect_b32 s36, -1, 0
	v_add_co_u32 v7, vcc_lo, s6, v7
	s_delay_alu instid0(VALU_DEP_2) | instskip(SKIP_2) | instid1(SALU_CYCLE_1)
	v_add_co_ci_u32_e32 v8, vcc_lo, s7, v8, vcc_lo
	s_and_not1_b32 s35, s35, exec_lo
	s_and_b32 s36, s36, exec_lo
	s_or_b32 s35, s35, s36
	global_load_b128 v[7:10], v[7:8], off
	s_waitcnt vmcnt(0)
	ds_store_b128 v6, v[7:10]
	v_add_nc_u32_e32 v6, s33, v6
	s_branch .LBB34_20
.LBB34_23:                              ;   in Loop: Header=BB34_16 Depth=2
	s_set_inst_prefetch_distance 0x2
	s_or_b32 exec_lo, exec_lo, s13
.LBB34_24:                              ;   in Loop: Header=BB34_16 Depth=2
	s_waitcnt lgkmcnt(0)
	s_barrier
	buffer_gl0_inv
	s_and_saveexec_b32 s2, s1
	s_cbranch_execz .LBB34_15
.LBB34_25:                              ;   in Loop: Header=BB34_16 Depth=2
	v_add_nc_u32_e32 v44, s12, v0
	s_mov_b32 s13, exec_lo
	s_delay_alu instid0(VALU_DEP_1) | instskip(NEXT) | instid1(VALU_DEP_1)
	v_min_u32_e32 v26, s25, v44
	v_lshlrev_b64 v[5:6], 1, v[26:27]
	s_delay_alu instid0(VALU_DEP_1) | instskip(NEXT) | instid1(VALU_DEP_2)
	v_add_co_u32 v11, vcc_lo, s4, v5
	v_add_co_ci_u32_e32 v12, vcc_lo, s5, v6, vcc_lo
	s_delay_alu instid0(VALU_DEP_2) | instskip(NEXT) | instid1(VALU_DEP_2)
	v_add_co_u32 v5, vcc_lo, v11, v28
	v_add_co_ci_u32_e32 v6, vcc_lo, v12, v29, vcc_lo
	v_add_co_u32 v7, vcc_lo, v11, v30
	v_add_co_ci_u32_e32 v8, vcc_lo, v12, v31, vcc_lo
	;; [unrolled: 2-line block ×4, first 2 shown]
	s_clause 0x3
	global_load_b128 v[21:24], v[5:6], off slc dlc
	global_load_b128 v[17:20], v[7:8], off slc dlc
	;; [unrolled: 1-line block ×4, first 2 shown]
	v_dual_mov_b32 v9, 0 :: v_dual_mov_b32 v10, 0
	v_dual_mov_b32 v11, 0 :: v_dual_mov_b32 v12, 0
	v_cmpx_gt_u32_e64 s16, v44
	s_cbranch_execz .LBB34_14
; %bb.26:                               ;   in Loop: Header=BB34_16 Depth=2
	v_subrev_nc_u32_e32 v9, s3, v44
	s_delay_alu instid0(VALU_DEP_1)
	v_lshlrev_b32_e32 v9, 1, v9
	ds_load_b128 v[9:12], v9
	s_branch .LBB34_14
.LBB34_27:                              ;   in Loop: Header=BB34_12 Depth=1
	s_mov_b32 s1, exec_lo
	v_cmpx_le_u32_e64 s19, v25
	s_xor_b32 s1, exec_lo, s1
; %bb.28:                               ;   in Loop: Header=BB34_12 Depth=1
	v_add_nc_u32_e32 v25, s27, v25
                                        ; implicit-def: $vgpr43
                                        ; implicit-def: $vgpr42
                                        ; implicit-def: $vgpr41
                                        ; implicit-def: $vgpr40
; %bb.29:                               ;   in Loop: Header=BB34_12 Depth=1
	s_and_not1_saveexec_b32 s34, s1
	s_cbranch_execz .LBB34_11
; %bb.30:                               ;   in Loop: Header=BB34_12 Depth=1
	v_cvt_i32_f32_e32 v5, v43
	v_cvt_i32_f32_e32 v6, v42
	v_cvt_i32_f32_e32 v7, v41
	v_cvt_i32_f32_e32 v8, v40
	s_delay_alu instid0(VALU_DEP_4) | instskip(NEXT) | instid1(VALU_DEP_4)
	v_cvt_f32_i32_dpp v5, v5 row_shr:8 row_mask:0xf bank_mask:0xf bound_ctrl:1
	v_cvt_f32_i32_dpp v6, v6 row_shr:8 row_mask:0xf bank_mask:0xf bound_ctrl:1
	s_delay_alu instid0(VALU_DEP_4) | instskip(NEXT) | instid1(VALU_DEP_4)
	v_cvt_f32_i32_dpp v7, v7 row_shr:8 row_mask:0xf bank_mask:0xf bound_ctrl:1
	v_cvt_f32_i32_dpp v8, v8 row_shr:8 row_mask:0xf bank_mask:0xf bound_ctrl:1
	s_delay_alu instid0(VALU_DEP_3) | instskip(NEXT) | instid1(VALU_DEP_2)
	v_dual_add_f32 v5, v43, v5 :: v_dual_add_f32 v6, v42, v6
	v_dual_add_f32 v7, v41, v7 :: v_dual_add_f32 v8, v40, v8
	s_waitcnt lgkmcnt(0)
	s_delay_alu instid0(VALU_DEP_2) | instskip(NEXT) | instid1(VALU_DEP_3)
	v_cvt_i32_f32_e32 v9, v5
	v_cvt_i32_f32_e32 v10, v6
	s_delay_alu instid0(VALU_DEP_3) | instskip(SKIP_1) | instid1(VALU_DEP_4)
	v_cvt_i32_f32_e32 v11, v7
	v_cvt_i32_f32_e32 v12, v8
	v_cvt_f32_i32_dpp v9, v9 row_shr:4 row_mask:0xf bank_mask:0xf bound_ctrl:1
	s_delay_alu instid0(VALU_DEP_4) | instskip(NEXT) | instid1(VALU_DEP_4)
	v_cvt_f32_i32_dpp v10, v10 row_shr:4 row_mask:0xf bank_mask:0xf bound_ctrl:1
	v_cvt_f32_i32_dpp v11, v11 row_shr:4 row_mask:0xf bank_mask:0xf bound_ctrl:1
	s_delay_alu instid0(VALU_DEP_4) | instskip(NEXT) | instid1(VALU_DEP_3)
	v_cvt_f32_i32_dpp v12, v12 row_shr:4 row_mask:0xf bank_mask:0xf bound_ctrl:1
	v_dual_add_f32 v5, v5, v9 :: v_dual_add_f32 v6, v6, v10
	s_delay_alu instid0(VALU_DEP_2) | instskip(NEXT) | instid1(VALU_DEP_2)
	v_dual_add_f32 v7, v7, v11 :: v_dual_add_f32 v8, v8, v12
	v_cvt_i32_f32_e32 v9, v5
	s_delay_alu instid0(VALU_DEP_3) | instskip(NEXT) | instid1(VALU_DEP_3)
	v_cvt_i32_f32_e32 v10, v6
	v_cvt_i32_f32_e32 v11, v7
	s_delay_alu instid0(VALU_DEP_4) | instskip(NEXT) | instid1(VALU_DEP_4)
	v_cvt_i32_f32_e32 v12, v8
	v_cvt_f32_i32_dpp v9, v9 row_shr:2 row_mask:0xf bank_mask:0xf bound_ctrl:1
	s_delay_alu instid0(VALU_DEP_4) | instskip(NEXT) | instid1(VALU_DEP_4)
	v_cvt_f32_i32_dpp v10, v10 row_shr:2 row_mask:0xf bank_mask:0xf bound_ctrl:1
	v_cvt_f32_i32_dpp v11, v11 row_shr:2 row_mask:0xf bank_mask:0xf bound_ctrl:1
	s_delay_alu instid0(VALU_DEP_4) | instskip(NEXT) | instid1(VALU_DEP_3)
	v_cvt_f32_i32_dpp v12, v12 row_shr:2 row_mask:0xf bank_mask:0xf bound_ctrl:1
	v_dual_add_f32 v5, v5, v9 :: v_dual_add_f32 v6, v6, v10
	s_delay_alu instid0(VALU_DEP_2) | instskip(SKIP_1) | instid1(VALU_DEP_3)
	v_dual_add_f32 v7, v7, v11 :: v_dual_add_f32 v8, v8, v12
	v_xor_b32_e32 v9, 16, v39
	v_cvt_i32_f32_e32 v10, v5
	s_delay_alu instid0(VALU_DEP_4) | instskip(NEXT) | instid1(VALU_DEP_4)
	v_cvt_i32_f32_e32 v11, v6
	v_cvt_i32_f32_e32 v12, v7
	;; [unrolled: 1-line block ×3, first 2 shown]
	v_cmp_gt_i32_e32 vcc_lo, 32, v9
	v_cvt_f32_i32_dpp v10, v10 row_shr:1 row_mask:0xf bank_mask:0xf bound_ctrl:1
	v_cvt_f32_i32_dpp v11, v11 row_shr:1 row_mask:0xf bank_mask:0xf bound_ctrl:1
	;; [unrolled: 1-line block ×4, first 2 shown]
	v_cndmask_b32_e32 v9, v39, v9, vcc_lo
	v_add_f32_e32 v13, v5, v10
	v_add_f32_e32 v11, v6, v11
	s_delay_alu instid0(VALU_DEP_4) | instskip(NEXT) | instid1(VALU_DEP_4)
	v_dual_add_f32 v7, v7, v12 :: v_dual_add_f32 v8, v8, v14
	v_lshlrev_b32_e32 v9, 2, v9
	ds_bpermute_b32 v14, v9, v13
	ds_bpermute_b32 v12, v9, v11
	;; [unrolled: 1-line block ×4, first 2 shown]
	s_and_saveexec_b32 s1, s0
	s_cbranch_execz .LBB34_41
; %bb.31:                               ;   in Loop: Header=BB34_12 Depth=1
	s_waitcnt vmcnt(0)
	v_dual_mov_b32 v15, 0 :: v_dual_add_nc_u32 v6, 2, v25
	v_dual_mov_b32 v16, 0 :: v_dual_add_nc_u32 v5, 3, v25
	v_dual_mov_b32 v17, 0 :: v_dual_mov_b32 v18, 0
	s_and_not1_b32 vcc_lo, exec_lo, s28
	s_cbranch_vccnz .LBB34_33
; %bb.32:                               ;   in Loop: Header=BB34_12 Depth=1
	v_mul_hi_u32 v15, v25, v38
	v_mul_hi_u32 v19, v5, v38
	;; [unrolled: 1-line block ×3, first 2 shown]
	s_delay_alu instid0(VALU_DEP_3) | instskip(NEXT) | instid1(VALU_DEP_3)
	v_mul_lo_u32 v15, v15, s20
	v_mul_lo_u32 v19, v19, s20
	s_delay_alu instid0(VALU_DEP_3) | instskip(NEXT) | instid1(VALU_DEP_3)
	v_mul_lo_u32 v17, v17, s20
	v_sub_nc_u32_e32 v15, v25, v15
	s_delay_alu instid0(VALU_DEP_2) | instskip(NEXT) | instid1(VALU_DEP_2)
	v_sub_nc_u32_e32 v17, v6, v17
	v_subrev_nc_u32_e32 v20, s20, v15
	v_cmp_le_u32_e32 vcc_lo, s20, v15
	s_delay_alu instid0(VALU_DEP_2) | instskip(NEXT) | instid1(VALU_DEP_1)
	v_dual_cndmask_b32 v15, v15, v20 :: v_dual_add_nc_u32 v16, 1, v25
	v_mul_hi_u32 v18, v16, v38
	v_subrev_nc_u32_e32 v20, s20, v17
	s_delay_alu instid0(VALU_DEP_3) | instskip(NEXT) | instid1(VALU_DEP_3)
	v_subrev_nc_u32_e32 v21, s20, v15
	v_mul_lo_u32 v18, v18, s20
	s_delay_alu instid0(VALU_DEP_1) | instskip(SKIP_1) | instid1(VALU_DEP_2)
	v_sub_nc_u32_e32 v16, v16, v18
	v_sub_nc_u32_e32 v18, v5, v19
	v_subrev_nc_u32_e32 v19, s20, v16
	v_cmp_le_u32_e32 vcc_lo, s20, v16
	s_delay_alu instid0(VALU_DEP_3) | instskip(NEXT) | instid1(VALU_DEP_3)
	v_subrev_nc_u32_e32 v22, s20, v18
	v_cndmask_b32_e32 v19, v16, v19, vcc_lo
	v_cmp_le_u32_e32 vcc_lo, s20, v15
	v_cndmask_b32_e32 v26, v15, v21, vcc_lo
	v_cmp_le_u32_e32 vcc_lo, s20, v17
	s_delay_alu instid0(VALU_DEP_2)
	v_lshlrev_b64 v[15:16], 1, v[26:27]
	v_cndmask_b32_e32 v20, v17, v20, vcc_lo
	v_cmp_le_u32_e32 vcc_lo, s20, v18
	v_subrev_nc_u32_e32 v17, s20, v19
	v_cndmask_b32_e32 v21, v18, v22, vcc_lo
	v_cmp_le_u32_e32 vcc_lo, s20, v19
	s_delay_alu instid0(VALU_DEP_2) | instskip(NEXT) | instid1(VALU_DEP_4)
	v_subrev_nc_u32_e32 v22, s20, v21
	v_cndmask_b32_e32 v26, v19, v17, vcc_lo
	v_subrev_nc_u32_e32 v19, s20, v20
	v_cmp_le_u32_e32 vcc_lo, s20, v20
	s_delay_alu instid0(VALU_DEP_3) | instskip(NEXT) | instid1(VALU_DEP_3)
	v_lshlrev_b64 v[17:18], 1, v[26:27]
	v_cndmask_b32_e32 v26, v20, v19, vcc_lo
	v_add_co_u32 v15, vcc_lo, s8, v15
	v_add_co_ci_u32_e32 v16, vcc_lo, s9, v16, vcc_lo
	v_cmp_le_u32_e32 vcc_lo, s20, v21
	s_delay_alu instid0(VALU_DEP_4) | instskip(SKIP_3) | instid1(VALU_DEP_3)
	v_lshlrev_b64 v[19:20], 1, v[26:27]
	v_cndmask_b32_e32 v26, v21, v22, vcc_lo
	v_add_co_u32 v21, vcc_lo, s8, v17
	v_add_co_ci_u32_e32 v22, vcc_lo, s9, v18, vcc_lo
	v_lshlrev_b64 v[17:18], 1, v[26:27]
	v_add_co_u32 v19, vcc_lo, s8, v19
	v_add_co_ci_u32_e32 v20, vcc_lo, s9, v20, vcc_lo
	s_delay_alu instid0(VALU_DEP_3) | instskip(NEXT) | instid1(VALU_DEP_4)
	v_add_co_u32 v23, vcc_lo, s8, v17
	v_add_co_ci_u32_e32 v24, vcc_lo, s9, v18, vcc_lo
	s_clause 0x3
	global_load_u16 v18, v[15:16], off
	global_load_u16 v17, v[21:22], off
	global_load_u16 v16, v[19:20], off
	global_load_u16 v15, v[23:24], off
.LBB34_33:                              ;   in Loop: Header=BB34_12 Depth=1
	s_mov_b32 s2, exec_lo
	v_cmpx_ne_u32_e32 0, v1
	s_cbranch_execz .LBB34_35
; %bb.34:                               ;   in Loop: Header=BB34_12 Depth=1
	s_waitcnt lgkmcnt(3)
	v_dual_add_f32 v13, v13, v14 :: v_dual_mov_b32 v26, v27
	s_waitcnt vmcnt(3)
	v_cvt_f32_f16_e32 v14, v18
	s_delay_alu instid0(VALU_DEP_1) | instskip(NEXT) | instid1(VALU_DEP_3)
	v_add_f32_e32 v18, v13, v14
	v_lshlrev_b64 v[13:14], 1, v[25:26]
	s_delay_alu instid0(VALU_DEP_2) | instskip(NEXT) | instid1(VALU_DEP_2)
	v_cvt_f16_f32_e32 v18, v18
	v_add_co_u32 v13, vcc_lo, s10, v13
	s_delay_alu instid0(VALU_DEP_3)
	v_add_co_ci_u32_e32 v14, vcc_lo, s11, v14, vcc_lo
	global_store_b16 v[13:14], v18, off
.LBB34_35:                              ;   in Loop: Header=BB34_12 Depth=1
	s_or_b32 exec_lo, exec_lo, s2
	s_delay_alu instid0(SALU_CYCLE_1)
	s_mov_b32 s2, exec_lo
	v_cmpx_ne_u32_e32 0, v2
	s_cbranch_execz .LBB34_37
; %bb.36:                               ;   in Loop: Header=BB34_12 Depth=1
	s_waitcnt lgkmcnt(2)
	v_add_f32_e32 v11, v11, v12
	s_waitcnt vmcnt(2)
	v_cvt_f32_f16_e32 v12, v17
	v_mov_b32_e32 v26, v27
	s_delay_alu instid0(VALU_DEP_2) | instskip(NEXT) | instid1(VALU_DEP_2)
	v_add_f32_e32 v13, v11, v12
	v_lshlrev_b64 v[11:12], 1, v[25:26]
	s_delay_alu instid0(VALU_DEP_2) | instskip(NEXT) | instid1(VALU_DEP_2)
	v_cvt_f16_f32_e32 v13, v13
	v_add_co_u32 v11, vcc_lo, s30, v11
	s_delay_alu instid0(VALU_DEP_3)
	v_add_co_ci_u32_e32 v12, vcc_lo, s31, v12, vcc_lo
	global_store_b16 v[11:12], v13, off
.LBB34_37:                              ;   in Loop: Header=BB34_12 Depth=1
	s_or_b32 exec_lo, exec_lo, s2
	s_delay_alu instid0(SALU_CYCLE_1)
	s_mov_b32 s2, exec_lo
	v_cmpx_ne_u32_e32 0, v3
	s_cbranch_execz .LBB34_39
; %bb.38:                               ;   in Loop: Header=BB34_12 Depth=1
	s_waitcnt lgkmcnt(1)
	v_add_f32_e32 v10, v7, v10
	s_waitcnt vmcnt(1)
	v_cvt_f32_f16_e32 v11, v16
	s_delay_alu instid0(VALU_DEP_1) | instskip(NEXT) | instid1(VALU_DEP_1)
	v_dual_mov_b32 v7, v27 :: v_dual_add_f32 v10, v10, v11
	v_lshlrev_b64 v[6:7], 1, v[6:7]
	s_delay_alu instid0(VALU_DEP_2) | instskip(NEXT) | instid1(VALU_DEP_2)
	v_cvt_f16_f32_e32 v10, v10
	v_add_co_u32 v6, vcc_lo, s10, v6
	s_delay_alu instid0(VALU_DEP_3)
	v_add_co_ci_u32_e32 v7, vcc_lo, s11, v7, vcc_lo
	global_store_b16 v[6:7], v10, off
.LBB34_39:                              ;   in Loop: Header=BB34_12 Depth=1
	s_or_b32 exec_lo, exec_lo, s2
	v_cmp_ne_u32_e32 vcc_lo, 0, v4
	s_and_b32 exec_lo, exec_lo, vcc_lo
	s_cbranch_execz .LBB34_41
; %bb.40:                               ;   in Loop: Header=BB34_12 Depth=1
	s_waitcnt lgkmcnt(0)
	v_dual_add_f32 v7, v8, v9 :: v_dual_mov_b32 v6, v27
	s_waitcnt vmcnt(0)
	v_cvt_f32_f16_e32 v8, v15
	s_delay_alu instid0(VALU_DEP_2) | instskip(NEXT) | instid1(VALU_DEP_2)
	v_lshlrev_b64 v[5:6], 1, v[5:6]
	v_add_f32_e32 v7, v7, v8
	s_delay_alu instid0(VALU_DEP_1) | instskip(NEXT) | instid1(VALU_DEP_3)
	v_cvt_f16_f32_e32 v7, v7
	v_add_co_u32 v5, vcc_lo, s10, v5
	s_delay_alu instid0(VALU_DEP_4)
	v_add_co_ci_u32_e32 v6, vcc_lo, s11, v6, vcc_lo
	global_store_b16 v[5:6], v7, off
.LBB34_41:                              ;   in Loop: Header=BB34_12 Depth=1
	s_or_b32 exec_lo, exec_lo, s1
	v_add_nc_u32_e32 v25, s27, v25
	s_delay_alu instid0(VALU_DEP_1) | instskip(SKIP_1) | instid1(VALU_DEP_2)
	v_add_nc_u32_e32 v5, 4, v25
	v_cmp_gt_u32_e32 vcc_lo, s19, v25
	v_cmp_le_u32_e64 s1, s19, v5
	s_delay_alu instid0(VALU_DEP_1) | instskip(NEXT) | instid1(SALU_CYCLE_1)
	s_and_b32 s1, vcc_lo, s1
	s_and_saveexec_b32 s35, s1
	s_cbranch_execz .LBB34_10
; %bb.42:                               ;   in Loop: Header=BB34_12 Depth=1
	s_mov_b32 s36, exec_lo
	v_cmpx_ne_u32_e64 s29, v25
	s_cbranch_execz .LBB34_9
; %bb.43:                               ;   in Loop: Header=BB34_12 Depth=1
	v_subrev_nc_u32_e32 v5, s29, v25
	s_mov_b32 s37, 0
	s_mov_b64 s[12:13], 0
	s_delay_alu instid0(VALU_DEP_1)
	v_cmp_lt_u32_e32 vcc_lo, 1, v5
	v_cndmask_b32_e32 v5, 1, v5, vcc_lo
	.p2align	6
.LBB34_44:                              ;   Parent Loop BB34_12 Depth=1
                                        ; =>  This Inner Loop Header: Depth=2
	s_cmp_lg_u32 s12, 3
	s_cselect_b32 vcc_lo, -1, 0
	s_cmp_lg_u32 s12, 2
	v_cndmask_b32_e32 v4, 0, v4, vcc_lo
	s_cselect_b32 s1, -1, 0
	s_cmp_lg_u32 s12, 1
	v_cndmask_b32_e64 v3, 0, v3, s1
	s_cselect_b32 s2, -1, 0
	s_cmp_lg_u32 s12, 0
	v_cndmask_b32_e64 v2, 0, v2, s2
	s_cselect_b32 s3, -1, 0
	s_add_u32 s12, s12, 1
	v_cndmask_b32_e64 v1, 0, v1, s3
	v_cmp_eq_u32_e32 vcc_lo, s12, v5
	s_addc_u32 s13, s13, 0
	s_or_b32 s37, vcc_lo, s37
	s_delay_alu instid0(SALU_CYCLE_1)
	s_and_not1_b32 exec_lo, exec_lo, s37
	s_cbranch_execnz .LBB34_44
; %bb.45:                               ;   in Loop: Header=BB34_12 Depth=1
	s_or_b32 exec_lo, exec_lo, s37
	s_branch .LBB34_9
.LBB34_46:
	s_nop 0
	s_sendmsg sendmsg(MSG_DEALLOC_VGPRS)
	s_endpgm
	.section	.rodata,"a",@progbits
	.p2align	6, 0x0
	.amdhsa_kernel _Z16wvSplitK_hf_big_I6__halfLi64ELi4ELi16ELi8ELi1ELi1EEviiiiiiPKT_S3_S3_PS1_ii
		.amdhsa_group_segment_fixed_size 65536
		.amdhsa_private_segment_fixed_size 0
		.amdhsa_kernarg_size 64
		.amdhsa_user_sgpr_count 15
		.amdhsa_user_sgpr_dispatch_ptr 0
		.amdhsa_user_sgpr_queue_ptr 0
		.amdhsa_user_sgpr_kernarg_segment_ptr 1
		.amdhsa_user_sgpr_dispatch_id 0
		.amdhsa_user_sgpr_private_segment_size 0
		.amdhsa_wavefront_size32 1
		.amdhsa_uses_dynamic_stack 0
		.amdhsa_enable_private_segment 0
		.amdhsa_system_sgpr_workgroup_id_x 1
		.amdhsa_system_sgpr_workgroup_id_y 0
		.amdhsa_system_sgpr_workgroup_id_z 0
		.amdhsa_system_sgpr_workgroup_info 0
		.amdhsa_system_vgpr_workitem_id 1
		.amdhsa_next_free_vgpr 45
		.amdhsa_next_free_sgpr 38
		.amdhsa_reserve_vcc 1
		.amdhsa_float_round_mode_32 0
		.amdhsa_float_round_mode_16_64 0
		.amdhsa_float_denorm_mode_32 3
		.amdhsa_float_denorm_mode_16_64 3
		.amdhsa_dx10_clamp 1
		.amdhsa_ieee_mode 1
		.amdhsa_fp16_overflow 0
		.amdhsa_workgroup_processor_mode 1
		.amdhsa_memory_ordered 1
		.amdhsa_forward_progress 0
		.amdhsa_shared_vgpr_count 0
		.amdhsa_exception_fp_ieee_invalid_op 0
		.amdhsa_exception_fp_denorm_src 0
		.amdhsa_exception_fp_ieee_div_zero 0
		.amdhsa_exception_fp_ieee_overflow 0
		.amdhsa_exception_fp_ieee_underflow 0
		.amdhsa_exception_fp_ieee_inexact 0
		.amdhsa_exception_int_div_zero 0
	.end_amdhsa_kernel
	.section	.text._Z16wvSplitK_hf_big_I6__halfLi64ELi4ELi16ELi8ELi1ELi1EEviiiiiiPKT_S3_S3_PS1_ii,"axG",@progbits,_Z16wvSplitK_hf_big_I6__halfLi64ELi4ELi16ELi8ELi1ELi1EEviiiiiiPKT_S3_S3_PS1_ii,comdat
.Lfunc_end34:
	.size	_Z16wvSplitK_hf_big_I6__halfLi64ELi4ELi16ELi8ELi1ELi1EEviiiiiiPKT_S3_S3_PS1_ii, .Lfunc_end34-_Z16wvSplitK_hf_big_I6__halfLi64ELi4ELi16ELi8ELi1ELi1EEviiiiiiPKT_S3_S3_PS1_ii
                                        ; -- End function
	.section	.AMDGPU.csdata,"",@progbits
; Kernel info:
; codeLenInByte = 3044
; NumSgprs: 40
; NumVgprs: 45
; ScratchSize: 0
; MemoryBound: 0
; FloatMode: 240
; IeeeMode: 1
; LDSByteSize: 65536 bytes/workgroup (compile time only)
; SGPRBlocks: 4
; VGPRBlocks: 5
; NumSGPRsForWavesPerEU: 40
; NumVGPRsForWavesPerEU: 45
; Occupancy: 16
; WaveLimiterHint : 0
; COMPUTE_PGM_RSRC2:SCRATCH_EN: 0
; COMPUTE_PGM_RSRC2:USER_SGPR: 15
; COMPUTE_PGM_RSRC2:TRAP_HANDLER: 0
; COMPUTE_PGM_RSRC2:TGID_X_EN: 1
; COMPUTE_PGM_RSRC2:TGID_Y_EN: 0
; COMPUTE_PGM_RSRC2:TGID_Z_EN: 0
; COMPUTE_PGM_RSRC2:TIDIG_COMP_CNT: 1
	.section	.text._Z16wvSplitK_hf_sml_I6__halfLi64ELi4ELi16ELi8ELi2ELi1EEviiiiiiPKT_S3_S3_PS1_ii,"axG",@progbits,_Z16wvSplitK_hf_sml_I6__halfLi64ELi4ELi16ELi8ELi2ELi1EEviiiiiiPKT_S3_S3_PS1_ii,comdat
	.protected	_Z16wvSplitK_hf_sml_I6__halfLi64ELi4ELi16ELi8ELi2ELi1EEviiiiiiPKT_S3_S3_PS1_ii ; -- Begin function _Z16wvSplitK_hf_sml_I6__halfLi64ELi4ELi16ELi8ELi2ELi1EEviiiiiiPKT_S3_S3_PS1_ii
	.globl	_Z16wvSplitK_hf_sml_I6__halfLi64ELi4ELi16ELi8ELi2ELi1EEviiiiiiPKT_S3_S3_PS1_ii
	.p2align	8
	.type	_Z16wvSplitK_hf_sml_I6__halfLi64ELi4ELi16ELi8ELi2ELi1EEviiiiiiPKT_S3_S3_PS1_ii,@function
_Z16wvSplitK_hf_sml_I6__halfLi64ELi4ELi16ELi8ELi2ELi1EEviiiiiiPKT_S3_S3_PS1_ii: ; @_Z16wvSplitK_hf_sml_I6__halfLi64ELi4ELi16ELi8ELi2ELi1EEviiiiiiPKT_S3_S3_PS1_ii
; %bb.0:
	s_clause 0x2
	s_load_b128 s[4:7], s[0:1], 0x0
	s_load_b32 s14, s[0:1], 0x10
	s_load_b64 s[8:9], s[0:1], 0x28
	v_and_b32_e32 v2, 0x3ff, v0
	v_bfe_u32 v3, v0, 10, 10
	s_delay_alu instid0(VALU_DEP_2) | instskip(NEXT) | instid1(VALU_DEP_1)
	v_lshlrev_b32_e32 v56, 3, v2
	v_lshl_add_u32 v4, v3, 9, v56
	s_waitcnt lgkmcnt(0)
	s_min_u32 s3, s6, 0x8000
	s_mov_b32 s6, exec_lo
	s_delay_alu instid0(VALU_DEP_1)
	v_cmpx_gt_u32_e64 s3, v4
	s_cbranch_execz .LBB35_3
; %bb.1:
	s_load_b64 s[10:11], s[0:1], 0x20
	v_lshlrev_b32_e32 v5, 10, v3
	v_lshlrev_b32_e32 v6, 4, v2
	s_delay_alu instid0(VALU_DEP_1) | instskip(NEXT) | instid1(VALU_DEP_1)
	v_add_co_u32 v0, s2, v5, v6
	v_add_co_ci_u32_e64 v1, null, 0, 0, s2
	v_add_nc_u32_e32 v5, v5, v6
	s_waitcnt lgkmcnt(0)
	s_delay_alu instid0(VALU_DEP_3) | instskip(NEXT) | instid1(VALU_DEP_3)
	v_add_co_u32 v0, vcc_lo, s10, v0
	v_add_co_ci_u32_e32 v1, vcc_lo, s11, v1, vcc_lo
	s_mov_b32 s10, 0
	.p2align	6
.LBB35_2:                               ; =>This Inner Loop Header: Depth=1
	global_load_b128 v[6:9], v[0:1], off
	v_add_nc_u32_e32 v4, 0x2000, v4
	v_add_co_u32 v0, vcc_lo, 0x4000, v0
	v_add_co_ci_u32_e32 v1, vcc_lo, 0, v1, vcc_lo
	s_delay_alu instid0(VALU_DEP_3) | instskip(NEXT) | instid1(VALU_DEP_1)
	v_cmp_le_u32_e64 s2, s3, v4
	s_or_b32 s10, s2, s10
	s_waitcnt vmcnt(0)
	ds_store_b128 v5, v[6:9]
	v_add_nc_u32_e32 v5, 0x4000, v5
	s_and_not1_b32 exec_lo, exec_lo, s10
	s_cbranch_execnz .LBB35_2
.LBB35_3:
	s_or_b32 exec_lo, exec_lo, s6
	s_load_b64 s[12:13], s[0:1], 0x38
	s_waitcnt lgkmcnt(0)
	s_barrier
	buffer_gl0_inv
	s_mov_b32 s2, exec_lo
	v_cmpx_gt_u32_e64 s12, v3
	s_cbranch_execz .LBB35_20
; %bb.4:
	s_mul_i32 s15, s15, s12
	s_delay_alu instid0(SALU_CYCLE_1) | instskip(NEXT) | instid1(VALU_DEP_1)
	v_add_lshl_u32 v40, s15, v3, 2
	v_cmp_gt_u32_e32 vcc_lo, s7, v40
	s_and_b32 exec_lo, exec_lo, vcc_lo
	s_cbranch_execz .LBB35_20
; %bb.5:
	v_cvt_f32_u32_e32 v0, s14
	s_cmp_lg_u32 s4, 0
	v_mov_b32_e32 v42, 0
	s_cselect_b32 s6, -1, 0
	s_add_i32 s15, s4, -8
	v_rcp_iflag_f32_e32 v0, v0
	s_add_i32 s16, s7, -1
	s_cmp_lg_u64 s[8:9], 0
	v_mbcnt_lo_u32_b32 v59, -1, 0
	s_cselect_b32 s17, -1, 0
	s_sub_i32 s2, 0, s14
	s_mul_i32 s12, s12, s13
	v_lshlrev_b32_e32 v57, 4, v2
	s_lshl_b32 s12, s12, 2
	s_waitcnt_depctr 0xfff
	v_mul_f32_e32 v0, 0x4f7ffffe, v0
	s_delay_alu instid0(VALU_DEP_1) | instskip(NEXT) | instid1(VALU_DEP_1)
	v_cvt_u32_f32_e32 v0, v0
	v_mul_lo_u32 v1, s2, v0
	s_clause 0x1
	s_load_b64 s[2:3], s[0:1], 0x18
	s_load_b64 s[10:11], s[0:1], 0x30
	v_cmp_eq_u32_e64 s0, 63, v2
	s_mov_b32 s1, 0
	s_delay_alu instid0(VALU_DEP_2) | instskip(NEXT) | instid1(VALU_DEP_1)
	v_mul_hi_u32 v1, v0, v1
	v_add_nc_u32_e32 v58, v0, v1
	s_branch .LBB35_8
.LBB35_6:                               ;   in Loop: Header=BB35_8 Depth=1
	s_waitcnt lgkmcnt(0)
	v_dual_add_f32 v6, v6, v7 :: v_dual_add_f32 v5, v3, v5
	s_waitcnt vmcnt(3)
	v_cvt_f32_f16_e32 v7, v11
	v_add_f32_e32 v4, v2, v4
	v_lshlrev_b64 v[2:3], 1, v[40:41]
	s_waitcnt vmcnt(2)
	v_cvt_f32_f16_e32 v10, v10
	s_waitcnt vmcnt(1)
	v_cvt_f32_f16_e32 v9, v9
	v_dual_add_f32 v6, v6, v7 :: v_dual_add_f32 v7, v0, v1
	s_waitcnt vmcnt(0)
	v_cvt_f32_f16_e32 v8, v8
	v_add_f32_e32 v4, v4, v10
	v_add_co_u32 v0, vcc_lo, s10, v2
	v_add_co_ci_u32_e32 v1, vcc_lo, s11, v3, vcc_lo
	v_lshlrev_b64 v[2:3], 1, v[47:48]
	v_cvt_f16_f32_e32 v10, v6
	v_add_f32_e32 v6, v5, v9
	v_cvt_f16_f32_e32 v11, v4
	v_lshlrev_b64 v[4:5], 1, v[45:46]
	v_add_f32_e32 v8, v7, v8
	v_add_co_u32 v2, vcc_lo, s10, v2
	v_cvt_f16_f32_e32 v9, v6
	v_lshlrev_b64 v[6:7], 1, v[43:44]
	v_add_co_ci_u32_e32 v3, vcc_lo, s11, v3, vcc_lo
	v_add_co_u32 v4, vcc_lo, s10, v4
	v_add_co_ci_u32_e32 v5, vcc_lo, s11, v5, vcc_lo
	s_delay_alu instid0(VALU_DEP_4)
	v_add_co_u32 v6, vcc_lo, s10, v6
	v_cvt_f16_f32_e32 v8, v8
	v_add_co_ci_u32_e32 v7, vcc_lo, s11, v7, vcc_lo
	s_clause 0x3
	global_store_b16 v[0:1], v10, off
	global_store_b16 v[2:3], v11, off
	;; [unrolled: 1-line block ×4, first 2 shown]
.LBB35_7:                               ;   in Loop: Header=BB35_8 Depth=1
	s_or_b32 exec_lo, exec_lo, s13
	v_add_nc_u32_e32 v40, s12, v40
	s_delay_alu instid0(VALU_DEP_1) | instskip(SKIP_1) | instid1(SALU_CYCLE_1)
	v_cmp_le_u32_e32 vcc_lo, s7, v40
	s_or_b32 s1, vcc_lo, s1
	s_and_not1_b32 exec_lo, exec_lo, s1
	s_cbranch_execz .LBB35_20
.LBB35_8:                               ; =>This Loop Header: Depth=1
                                        ;     Child Loop BB35_12 Depth 2
	v_or_b32_e32 v47, 1, v40
	v_or_b32_e32 v45, 2, v40
	v_or_b32_e32 v43, 3, v40
	v_mov_b32_e32 v61, v42
	v_mov_b32_e32 v60, v42
	;; [unrolled: 1-line block ×4, first 2 shown]
	s_and_not1_b32 vcc_lo, exec_lo, s6
	s_cbranch_vccnz .LBB35_15
; %bb.9:                                ;   in Loop: Header=BB35_8 Depth=1
	v_min_u32_e32 v0, s16, v40
	s_waitcnt lgkmcnt(0)
	v_min_u32_e32 v1, s16, v47
	v_min_u32_e32 v2, s16, v45
	;; [unrolled: 1-line block ×3, first 2 shown]
	v_dual_mov_b32 v5, v42 :: v_dual_mov_b32 v46, 0
	v_mul_lo_u32 v41, v0, s5
	v_mul_lo_u32 v0, v1, s5
	;; [unrolled: 1-line block ×4, first 2 shown]
	v_dual_mov_b32 v1, v42 :: v_dual_mov_b32 v44, 0
	v_dual_mov_b32 v3, v42 :: v_dual_mov_b32 v62, v57
	v_lshlrev_b64 v[48:49], 1, v[41:42]
	s_delay_alu instid0(VALU_DEP_3) | instskip(SKIP_1) | instid1(VALU_DEP_4)
	v_lshlrev_b64 v[50:51], 1, v[0:1]
	v_dual_mov_b32 v60, 0 :: v_dual_mov_b32 v61, 0
	v_lshlrev_b64 v[52:53], 1, v[2:3]
	v_lshlrev_b64 v[54:55], 1, v[4:5]
	s_mov_b32 s13, 0
	s_branch .LBB35_12
.LBB35_10:                              ;   in Loop: Header=BB35_12 Depth=2
	s_or_b32 exec_lo, exec_lo, s19
.LBB35_11:                              ;   in Loop: Header=BB35_12 Depth=2
	s_delay_alu instid0(SALU_CYCLE_1)
	s_or_b32 exec_lo, exec_lo, s18
	s_waitcnt vmcnt(7) lgkmcnt(0)
	;;#ASMSTART
	v_dot2_f32_f16 v61, v36, v32, v61
	;;#ASMEND
	s_waitcnt vmcnt(6)
	;;#ASMSTART
	v_dot2_f32_f16 v60, v36, v24, v60
	;;#ASMEND
	s_waitcnt vmcnt(5)
	;; [unrolled: 4-line block ×3, first 2 shown]
	;;#ASMSTART
	v_dot2_f32_f16 v44, v36, v20, v44
	;;#ASMEND
	;;#ASMSTART
	v_dot2_f32_f16 v61, v37, v33, v61
	;;#ASMEND
	;; [unrolled: 3-line block ×9, first 2 shown]
	v_add_nc_u32_e32 v62, 0x800, v62
	;;#ASMSTART
	v_dot2_f32_f16 v61, v39, v35, v61
	;;#ASMEND
	;;#ASMSTART
	v_dot2_f32_f16 v60, v39, v27, v60
	;;#ASMEND
	;; [unrolled: 3-line block ×4, first 2 shown]
	s_addk_i32 s13, 0x400
	s_waitcnt vmcnt(3)
	;;#ASMSTART
	v_dot2_f32_f16 v61, v4, v16, v61
	;;#ASMEND
	s_waitcnt vmcnt(2)
	;;#ASMSTART
	v_dot2_f32_f16 v60, v4, v12, v60
	;;#ASMEND
	;; [unrolled: 4-line block ×4, first 2 shown]
	;;#ASMSTART
	v_dot2_f32_f16 v61, v5, v17, v61
	;;#ASMEND
	;;#ASMSTART
	v_dot2_f32_f16 v60, v5, v13, v60
	;;#ASMEND
	;; [unrolled: 3-line block ×4, first 2 shown]
	s_cmp_ge_u32 s13, s4
	;;#ASMSTART
	v_dot2_f32_f16 v61, v6, v18, v61
	;;#ASMEND
	;;#ASMSTART
	v_dot2_f32_f16 v60, v6, v14, v60
	;;#ASMEND
	;; [unrolled: 3-line block ×8, first 2 shown]
	s_cbranch_scc1 .LBB35_15
.LBB35_12:                              ;   Parent Loop BB35_8 Depth=1
                                        ; =>  This Inner Loop Header: Depth=2
	v_dual_mov_b32 v39, 0 :: v_dual_add_nc_u32 v38, s13, v56
	s_delay_alu instid0(VALU_DEP_1) | instskip(SKIP_1) | instid1(VALU_DEP_2)
	v_min_u32_e32 v41, s15, v38
	v_add_nc_u32_e32 v63, 0x200, v38
	v_lshlrev_b64 v[0:1], 1, v[41:42]
	s_delay_alu instid0(VALU_DEP_2) | instskip(SKIP_1) | instid1(VALU_DEP_2)
	v_min_u32_e32 v41, s15, v63
	s_waitcnt lgkmcnt(0)
	v_add_co_u32 v8, vcc_lo, s2, v0
	s_delay_alu instid0(VALU_DEP_3) | instskip(NEXT) | instid1(VALU_DEP_3)
	v_add_co_ci_u32_e32 v9, vcc_lo, s3, v1, vcc_lo
	v_lshlrev_b64 v[0:1], 1, v[41:42]
	s_delay_alu instid0(VALU_DEP_3) | instskip(NEXT) | instid1(VALU_DEP_3)
	v_add_co_u32 v2, vcc_lo, v8, v48
	v_add_co_ci_u32_e32 v3, vcc_lo, v9, v49, vcc_lo
	v_add_co_u32 v4, vcc_lo, v8, v50
	v_add_co_ci_u32_e32 v5, vcc_lo, v9, v51, vcc_lo
	;; [unrolled: 2-line block ×5, first 2 shown]
	s_clause 0x1
	global_load_b128 v[32:35], v[2:3], off slc dlc
	global_load_b128 v[24:27], v[4:5], off slc dlc
	v_add_co_u32 v2, vcc_lo, v10, v48
	v_add_co_ci_u32_e32 v3, vcc_lo, v11, v49, vcc_lo
	v_add_co_u32 v4, vcc_lo, v10, v50
	v_add_co_ci_u32_e32 v5, vcc_lo, v11, v51, vcc_lo
	;; [unrolled: 2-line block ×4, first 2 shown]
	s_clause 0x5
	global_load_b128 v[28:31], v[6:7], off slc dlc
	global_load_b128 v[20:23], v[0:1], off slc dlc
	;; [unrolled: 1-line block ×6, first 2 shown]
	v_dual_mov_b32 v4, 0 :: v_dual_mov_b32 v5, 0
	v_cmp_gt_u32_e32 vcc_lo, s4, v38
	v_dual_mov_b32 v6, 0 :: v_dual_mov_b32 v7, 0
	v_dual_mov_b32 v38, 0 :: v_dual_mov_b32 v37, 0
	v_mov_b32_e32 v36, 0
	s_and_saveexec_b32 s18, vcc_lo
	s_cbranch_execz .LBB35_11
; %bb.13:                               ;   in Loop: Header=BB35_12 Depth=2
	ds_load_b128 v[36:39], v62
	v_dual_mov_b32 v7, 0 :: v_dual_mov_b32 v6, 0
	v_dual_mov_b32 v5, 0 :: v_dual_mov_b32 v4, 0
	s_mov_b32 s19, exec_lo
	v_cmpx_gt_u32_e64 s4, v63
	s_cbranch_execz .LBB35_10
; %bb.14:                               ;   in Loop: Header=BB35_12 Depth=2
	ds_load_b128 v[4:7], v62 offset:1024
	s_branch .LBB35_10
.LBB35_15:                              ;   in Loop: Header=BB35_8 Depth=1
	; sched_barrier mask(0x00000000)
	v_cvt_i32_f32_e32 v0, v61
	s_waitcnt lgkmcnt(0)
	v_cvt_i32_f32_e32 v1, v60
	v_cvt_i32_f32_e32 v2, v46
	v_cvt_i32_f32_e32 v3, v44
	v_cvt_f32_i32_dpp v0, v0 row_shr:8 row_mask:0xf bank_mask:0xf bound_ctrl:1
	s_delay_alu instid0(VALU_DEP_4) | instskip(NEXT) | instid1(VALU_DEP_4)
	v_cvt_f32_i32_dpp v1, v1 row_shr:8 row_mask:0xf bank_mask:0xf bound_ctrl:1
	v_cvt_f32_i32_dpp v2, v2 row_shr:8 row_mask:0xf bank_mask:0xf bound_ctrl:1
	s_delay_alu instid0(VALU_DEP_4) | instskip(NEXT) | instid1(VALU_DEP_3)
	v_cvt_f32_i32_dpp v3, v3 row_shr:8 row_mask:0xf bank_mask:0xf bound_ctrl:1
	v_dual_add_f32 v0, v61, v0 :: v_dual_add_f32 v1, v60, v1
	s_delay_alu instid0(VALU_DEP_2) | instskip(NEXT) | instid1(VALU_DEP_2)
	v_dual_add_f32 v2, v46, v2 :: v_dual_add_f32 v3, v44, v3
	v_cvt_i32_f32_e32 v4, v0
	s_delay_alu instid0(VALU_DEP_3) | instskip(NEXT) | instid1(VALU_DEP_3)
	v_cvt_i32_f32_e32 v5, v1
	v_cvt_i32_f32_e32 v6, v2
	s_delay_alu instid0(VALU_DEP_4) | instskip(NEXT) | instid1(VALU_DEP_4)
	v_cvt_i32_f32_e32 v7, v3
	v_cvt_f32_i32_dpp v4, v4 row_shr:4 row_mask:0xf bank_mask:0xf bound_ctrl:1
	s_delay_alu instid0(VALU_DEP_4) | instskip(NEXT) | instid1(VALU_DEP_4)
	v_cvt_f32_i32_dpp v5, v5 row_shr:4 row_mask:0xf bank_mask:0xf bound_ctrl:1
	v_cvt_f32_i32_dpp v6, v6 row_shr:4 row_mask:0xf bank_mask:0xf bound_ctrl:1
	s_delay_alu instid0(VALU_DEP_4) | instskip(NEXT) | instid1(VALU_DEP_3)
	v_cvt_f32_i32_dpp v7, v7 row_shr:4 row_mask:0xf bank_mask:0xf bound_ctrl:1
	v_dual_add_f32 v0, v0, v4 :: v_dual_add_f32 v1, v1, v5
	s_delay_alu instid0(VALU_DEP_2) | instskip(NEXT) | instid1(VALU_DEP_2)
	v_dual_add_f32 v2, v2, v6 :: v_dual_add_f32 v3, v3, v7
	v_cvt_i32_f32_e32 v4, v0
	s_delay_alu instid0(VALU_DEP_3) | instskip(NEXT) | instid1(VALU_DEP_3)
	v_cvt_i32_f32_e32 v5, v1
	v_cvt_i32_f32_e32 v6, v2
	s_delay_alu instid0(VALU_DEP_4) | instskip(NEXT) | instid1(VALU_DEP_4)
	v_cvt_i32_f32_e32 v7, v3
	v_cvt_f32_i32_dpp v4, v4 row_shr:2 row_mask:0xf bank_mask:0xf bound_ctrl:1
	s_delay_alu instid0(VALU_DEP_4) | instskip(NEXT) | instid1(VALU_DEP_4)
	v_cvt_f32_i32_dpp v5, v5 row_shr:2 row_mask:0xf bank_mask:0xf bound_ctrl:1
	v_cvt_f32_i32_dpp v6, v6 row_shr:2 row_mask:0xf bank_mask:0xf bound_ctrl:1
	s_delay_alu instid0(VALU_DEP_4) | instskip(NEXT) | instid1(VALU_DEP_3)
	v_cvt_f32_i32_dpp v7, v7 row_shr:2 row_mask:0xf bank_mask:0xf bound_ctrl:1
	v_dual_add_f32 v0, v0, v4 :: v_dual_add_f32 v1, v1, v5
	s_delay_alu instid0(VALU_DEP_2) | instskip(SKIP_1) | instid1(VALU_DEP_3)
	v_dual_add_f32 v4, v2, v6 :: v_dual_add_f32 v5, v3, v7
	v_xor_b32_e32 v2, 16, v59
	v_cvt_i32_f32_e32 v3, v0
	s_delay_alu instid0(VALU_DEP_4) | instskip(NEXT) | instid1(VALU_DEP_4)
	v_cvt_i32_f32_e32 v6, v1
	v_cvt_i32_f32_e32 v7, v4
	v_cvt_i32_f32_e32 v8, v5
	v_cmp_gt_i32_e32 vcc_lo, 32, v2
	v_cvt_f32_i32_dpp v3, v3 row_shr:1 row_mask:0xf bank_mask:0xf bound_ctrl:1
	v_cvt_f32_i32_dpp v9, v6 row_shr:1 row_mask:0xf bank_mask:0xf bound_ctrl:1
	;; [unrolled: 1-line block ×4, first 2 shown]
	v_cndmask_b32_e32 v2, v59, v2, vcc_lo
	v_add_f32_e32 v6, v0, v3
	s_delay_alu instid0(VALU_DEP_3) | instskip(NEXT) | instid1(VALU_DEP_3)
	v_dual_add_f32 v3, v4, v7 :: v_dual_add_f32 v0, v5, v8
	v_lshlrev_b32_e32 v10, 2, v2
	v_add_f32_e32 v2, v1, v9
	ds_bpermute_b32 v7, v10, v6
	ds_bpermute_b32 v4, v10, v2
	;; [unrolled: 1-line block ×4, first 2 shown]
	s_and_saveexec_b32 s13, s0
	s_cbranch_execz .LBB35_7
; %bb.16:                               ;   in Loop: Header=BB35_8 Depth=1
	s_and_b32 vcc_lo, exec_lo, s17
	s_cbranch_vccz .LBB35_18
; %bb.17:                               ;   in Loop: Header=BB35_8 Depth=1
	v_mul_hi_u32 v8, v40, v58
	v_mul_hi_u32 v9, v47, v58
	;; [unrolled: 1-line block ×4, first 2 shown]
	v_mov_b32_e32 v46, v42
	v_mov_b32_e32 v44, v42
	;; [unrolled: 1-line block ×3, first 2 shown]
	v_mul_lo_u32 v8, v8, s14
	v_mul_lo_u32 v9, v9, s14
	;; [unrolled: 1-line block ×4, first 2 shown]
	s_delay_alu instid0(VALU_DEP_4) | instskip(NEXT) | instid1(VALU_DEP_4)
	v_sub_nc_u32_e32 v8, v40, v8
	v_sub_nc_u32_e32 v9, v47, v9
	s_delay_alu instid0(VALU_DEP_4) | instskip(NEXT) | instid1(VALU_DEP_4)
	v_sub_nc_u32_e32 v10, v45, v10
	v_sub_nc_u32_e32 v11, v43, v11
	s_delay_alu instid0(VALU_DEP_4) | instskip(SKIP_1) | instid1(VALU_DEP_4)
	v_subrev_nc_u32_e32 v12, s14, v8
	v_cmp_le_u32_e32 vcc_lo, s14, v8
	v_subrev_nc_u32_e32 v13, s14, v10
	s_delay_alu instid0(VALU_DEP_4) | instskip(NEXT) | instid1(VALU_DEP_4)
	v_subrev_nc_u32_e32 v15, s14, v11
	v_cndmask_b32_e32 v8, v8, v12, vcc_lo
	v_subrev_nc_u32_e32 v12, s14, v9
	v_cmp_le_u32_e32 vcc_lo, s14, v9
	s_delay_alu instid0(VALU_DEP_3) | instskip(NEXT) | instid1(VALU_DEP_3)
	v_subrev_nc_u32_e32 v14, s14, v8
	v_cndmask_b32_e32 v12, v9, v12, vcc_lo
	v_cmp_le_u32_e32 vcc_lo, s14, v8
	s_delay_alu instid0(VALU_DEP_3) | instskip(SKIP_1) | instid1(VALU_DEP_2)
	v_cndmask_b32_e32 v41, v8, v14, vcc_lo
	v_cmp_le_u32_e32 vcc_lo, s14, v10
	v_lshlrev_b64 v[8:9], 1, v[41:42]
	v_cndmask_b32_e32 v13, v10, v13, vcc_lo
	v_cmp_le_u32_e32 vcc_lo, s14, v11
	v_subrev_nc_u32_e32 v10, s14, v12
	v_cndmask_b32_e32 v14, v11, v15, vcc_lo
	v_cmp_le_u32_e32 vcc_lo, s14, v12
	s_delay_alu instid0(VALU_DEP_3) | instskip(SKIP_3) | instid1(VALU_DEP_4)
	v_cndmask_b32_e32 v41, v12, v10, vcc_lo
	v_subrev_nc_u32_e32 v12, s14, v13
	v_cmp_le_u32_e32 vcc_lo, s14, v13
	v_subrev_nc_u32_e32 v15, s14, v14
	v_lshlrev_b64 v[10:11], 1, v[41:42]
	s_delay_alu instid0(VALU_DEP_4) | instskip(SKIP_3) | instid1(VALU_DEP_4)
	v_cndmask_b32_e32 v41, v13, v12, vcc_lo
	v_add_co_u32 v8, vcc_lo, s8, v8
	v_add_co_ci_u32_e32 v9, vcc_lo, s9, v9, vcc_lo
	v_cmp_le_u32_e32 vcc_lo, s14, v14
	v_lshlrev_b64 v[12:13], 1, v[41:42]
	v_cndmask_b32_e32 v41, v14, v15, vcc_lo
	v_add_co_u32 v14, vcc_lo, s8, v10
	v_add_co_ci_u32_e32 v15, vcc_lo, s9, v11, vcc_lo
	s_delay_alu instid0(VALU_DEP_3) | instskip(SKIP_3) | instid1(VALU_DEP_4)
	v_lshlrev_b64 v[10:11], 1, v[41:42]
	v_add_co_u32 v12, vcc_lo, s8, v12
	v_add_co_ci_u32_e32 v13, vcc_lo, s9, v13, vcc_lo
	v_mov_b32_e32 v41, v42
	v_add_co_u32 v16, vcc_lo, s8, v10
	v_add_co_ci_u32_e32 v17, vcc_lo, s9, v11, vcc_lo
	s_clause 0x3
	global_load_u16 v11, v[8:9], off
	global_load_u16 v10, v[14:15], off
	;; [unrolled: 1-line block ×4, first 2 shown]
	s_cbranch_execnz .LBB35_6
	s_branch .LBB35_19
.LBB35_18:                              ;   in Loop: Header=BB35_8 Depth=1
                                        ; implicit-def: $vgpr11
                                        ; implicit-def: $vgpr10
                                        ; implicit-def: $vgpr9
                                        ; implicit-def: $vgpr8
.LBB35_19:                              ;   in Loop: Header=BB35_8 Depth=1
	s_waitcnt vmcnt(0)
	v_dual_mov_b32 v41, v42 :: v_dual_mov_b32 v8, 0
	v_dual_mov_b32 v48, v42 :: v_dual_mov_b32 v9, 0
	;; [unrolled: 1-line block ×3, first 2 shown]
	v_mov_b32_e32 v44, v42
	v_mov_b32_e32 v10, 0
	s_branch .LBB35_6
.LBB35_20:
	s_nop 0
	s_sendmsg sendmsg(MSG_DEALLOC_VGPRS)
	s_endpgm
	.section	.rodata,"a",@progbits
	.p2align	6, 0x0
	.amdhsa_kernel _Z16wvSplitK_hf_sml_I6__halfLi64ELi4ELi16ELi8ELi2ELi1EEviiiiiiPKT_S3_S3_PS1_ii
		.amdhsa_group_segment_fixed_size 65536
		.amdhsa_private_segment_fixed_size 0
		.amdhsa_kernarg_size 64
		.amdhsa_user_sgpr_count 15
		.amdhsa_user_sgpr_dispatch_ptr 0
		.amdhsa_user_sgpr_queue_ptr 0
		.amdhsa_user_sgpr_kernarg_segment_ptr 1
		.amdhsa_user_sgpr_dispatch_id 0
		.amdhsa_user_sgpr_private_segment_size 0
		.amdhsa_wavefront_size32 1
		.amdhsa_uses_dynamic_stack 0
		.amdhsa_enable_private_segment 0
		.amdhsa_system_sgpr_workgroup_id_x 1
		.amdhsa_system_sgpr_workgroup_id_y 0
		.amdhsa_system_sgpr_workgroup_id_z 0
		.amdhsa_system_sgpr_workgroup_info 0
		.amdhsa_system_vgpr_workitem_id 1
		.amdhsa_next_free_vgpr 64
		.amdhsa_next_free_sgpr 20
		.amdhsa_reserve_vcc 1
		.amdhsa_float_round_mode_32 0
		.amdhsa_float_round_mode_16_64 0
		.amdhsa_float_denorm_mode_32 3
		.amdhsa_float_denorm_mode_16_64 3
		.amdhsa_dx10_clamp 1
		.amdhsa_ieee_mode 1
		.amdhsa_fp16_overflow 0
		.amdhsa_workgroup_processor_mode 1
		.amdhsa_memory_ordered 1
		.amdhsa_forward_progress 0
		.amdhsa_shared_vgpr_count 0
		.amdhsa_exception_fp_ieee_invalid_op 0
		.amdhsa_exception_fp_denorm_src 0
		.amdhsa_exception_fp_ieee_div_zero 0
		.amdhsa_exception_fp_ieee_overflow 0
		.amdhsa_exception_fp_ieee_underflow 0
		.amdhsa_exception_fp_ieee_inexact 0
		.amdhsa_exception_int_div_zero 0
	.end_amdhsa_kernel
	.section	.text._Z16wvSplitK_hf_sml_I6__halfLi64ELi4ELi16ELi8ELi2ELi1EEviiiiiiPKT_S3_S3_PS1_ii,"axG",@progbits,_Z16wvSplitK_hf_sml_I6__halfLi64ELi4ELi16ELi8ELi2ELi1EEviiiiiiPKT_S3_S3_PS1_ii,comdat
.Lfunc_end35:
	.size	_Z16wvSplitK_hf_sml_I6__halfLi64ELi4ELi16ELi8ELi2ELi1EEviiiiiiPKT_S3_S3_PS1_ii, .Lfunc_end35-_Z16wvSplitK_hf_sml_I6__halfLi64ELi4ELi16ELi8ELi2ELi1EEviiiiiiPKT_S3_S3_PS1_ii
                                        ; -- End function
	.section	.AMDGPU.csdata,"",@progbits
; Kernel info:
; codeLenInByte = 2676
; NumSgprs: 22
; NumVgprs: 64
; ScratchSize: 0
; MemoryBound: 0
; FloatMode: 240
; IeeeMode: 1
; LDSByteSize: 65536 bytes/workgroup (compile time only)
; SGPRBlocks: 2
; VGPRBlocks: 7
; NumSGPRsForWavesPerEU: 22
; NumVGPRsForWavesPerEU: 64
; Occupancy: 16
; WaveLimiterHint : 0
; COMPUTE_PGM_RSRC2:SCRATCH_EN: 0
; COMPUTE_PGM_RSRC2:USER_SGPR: 15
; COMPUTE_PGM_RSRC2:TRAP_HANDLER: 0
; COMPUTE_PGM_RSRC2:TGID_X_EN: 1
; COMPUTE_PGM_RSRC2:TGID_Y_EN: 0
; COMPUTE_PGM_RSRC2:TGID_Z_EN: 0
; COMPUTE_PGM_RSRC2:TIDIG_COMP_CNT: 1
	.section	.text._Z12wvSplitK_hf_I6__halfLi64ELi4ELi16ELi8ELi2ELi1EEviiiiiiPKT_S3_S3_PS1_ii,"axG",@progbits,_Z12wvSplitK_hf_I6__halfLi64ELi4ELi16ELi8ELi2ELi1EEviiiiiiPKT_S3_S3_PS1_ii,comdat
	.protected	_Z12wvSplitK_hf_I6__halfLi64ELi4ELi16ELi8ELi2ELi1EEviiiiiiPKT_S3_S3_PS1_ii ; -- Begin function _Z12wvSplitK_hf_I6__halfLi64ELi4ELi16ELi8ELi2ELi1EEviiiiiiPKT_S3_S3_PS1_ii
	.globl	_Z12wvSplitK_hf_I6__halfLi64ELi4ELi16ELi8ELi2ELi1EEviiiiiiPKT_S3_S3_PS1_ii
	.p2align	8
	.type	_Z12wvSplitK_hf_I6__halfLi64ELi4ELi16ELi8ELi2ELi1EEviiiiiiPKT_S3_S3_PS1_ii,@function
_Z12wvSplitK_hf_I6__halfLi64ELi4ELi16ELi8ELi2ELi1EEviiiiiiPKT_S3_S3_PS1_ii: ; @_Z12wvSplitK_hf_I6__halfLi64ELi4ELi16ELi8ELi2ELi1EEviiiiiiPKT_S3_S3_PS1_ii
; %bb.0:
	s_clause 0x1
	s_load_b64 s[16:17], s[0:1], 0x38
	s_load_b128 s[4:7], s[0:1], 0x0
	v_bfe_u32 v7, v0, 10, 10
	s_clause 0x1
	s_load_b64 s[12:13], s[0:1], 0x20
	s_load_b32 s18, s[0:1], 0x10
	s_mov_b32 s8, 1
	s_delay_alu instid0(SALU_CYCLE_1) | instskip(SKIP_4) | instid1(SALU_CYCLE_1)
	s_mov_b32 s9, s8
	s_mov_b32 s10, s8
	;; [unrolled: 1-line block ×3, first 2 shown]
	s_waitcnt lgkmcnt(0)
	s_mul_i32 s15, s15, s16
	v_add_lshl_u32 v45, s15, v7, 2
	s_delay_alu instid0(VALU_DEP_1) | instskip(SKIP_1) | instid1(VALU_DEP_2)
	v_add_nc_u32_e32 v1, 4, v45
	v_cmp_gt_u32_e32 vcc_lo, s7, v45
	v_cmp_le_u32_e64 s2, s7, v1
	v_dual_mov_b32 v1, s8 :: v_dual_mov_b32 v4, s11
	v_dual_mov_b32 v2, s9 :: v_dual_mov_b32 v3, s10
	s_delay_alu instid0(VALU_DEP_3) | instskip(NEXT) | instid1(SALU_CYCLE_1)
	s_and_b32 s2, vcc_lo, s2
	s_and_saveexec_b32 s14, s2
	s_cbranch_execz .LBB36_6
; %bb.1:
	v_dual_mov_b32 v1, s8 :: v_dual_mov_b32 v2, s9
	v_dual_mov_b32 v3, s10 :: v_dual_mov_b32 v4, s11
	s_add_i32 s15, s7, -4
	s_mov_b32 s19, exec_lo
	v_cmpx_ne_u32_e64 s15, v45
	s_cbranch_execz .LBB36_5
; %bb.2:
	v_subrev_nc_u32_e32 v1, s15, v45
	s_mov_b32 s20, 0
	s_mov_b64 s[2:3], 0
	s_mov_b32 s9, s8
	s_mov_b32 s10, s8
	v_cmp_lt_u32_e32 vcc_lo, 1, v1
	s_mov_b32 s11, s8
	v_cndmask_b32_e32 v5, 1, v1, vcc_lo
	.p2align	6
.LBB36_3:                               ; =>This Inner Loop Header: Depth=1
	s_cmp_lg_u32 s2, 3
	s_cselect_b32 s11, s11, 0
	s_cmp_lg_u32 s2, 2
	s_cselect_b32 s10, s10, 0
	;; [unrolled: 2-line block ×4, first 2 shown]
	s_add_u32 s2, s2, 1
	v_dual_mov_b32 v1, s8 :: v_dual_mov_b32 v2, s9
	v_cmp_eq_u32_e32 vcc_lo, s2, v5
	v_dual_mov_b32 v3, s10 :: v_dual_mov_b32 v4, s11
	s_addc_u32 s3, s3, 0
	s_or_b32 s20, vcc_lo, s20
	s_delay_alu instid0(SALU_CYCLE_1)
	s_and_not1_b32 exec_lo, exec_lo, s20
	s_cbranch_execnz .LBB36_3
; %bb.4:
	s_or_b32 exec_lo, exec_lo, s20
	v_mov_b32_e32 v45, s15
.LBB36_5:
	s_or_b32 exec_lo, exec_lo, s19
.LBB36_6:
	s_delay_alu instid0(SALU_CYCLE_1) | instskip(SKIP_4) | instid1(VALU_DEP_1)
	s_or_b32 exec_lo, exec_lo, s14
	s_load_b64 s[8:9], s[0:1], 0x28
	v_and_b32_e32 v8, 0x3ff, v0
	s_min_u32 s3, s6, 0x8000
	s_mov_b32 s6, exec_lo
	v_lshlrev_b32_e32 v0, 3, v8
	s_delay_alu instid0(VALU_DEP_1) | instskip(NEXT) | instid1(VALU_DEP_1)
	v_lshl_add_u32 v9, v7, 9, v0
	v_cmpx_gt_u32_e64 s3, v9
	s_cbranch_execz .LBB36_9
; %bb.7:
	v_lshlrev_b32_e32 v10, 10, v7
	v_lshlrev_b32_e32 v11, 4, v8
	s_mov_b32 s10, 0
	s_delay_alu instid0(VALU_DEP_1) | instskip(NEXT) | instid1(VALU_DEP_1)
	v_add_co_u32 v5, s2, v10, v11
	v_add_co_ci_u32_e64 v6, null, 0, 0, s2
	v_add_nc_u32_e32 v10, v10, v11
	s_delay_alu instid0(VALU_DEP_3) | instskip(NEXT) | instid1(VALU_DEP_3)
	v_add_co_u32 v5, vcc_lo, s12, v5
	v_add_co_ci_u32_e32 v6, vcc_lo, s13, v6, vcc_lo
	.p2align	6
.LBB36_8:                               ; =>This Inner Loop Header: Depth=1
	global_load_b128 v[11:14], v[5:6], off
	v_add_nc_u32_e32 v9, 0x2000, v9
	v_add_co_u32 v5, vcc_lo, 0x4000, v5
	v_add_co_ci_u32_e32 v6, vcc_lo, 0, v6, vcc_lo
	s_delay_alu instid0(VALU_DEP_3) | instskip(NEXT) | instid1(VALU_DEP_1)
	v_cmp_le_u32_e64 s2, s3, v9
	s_or_b32 s10, s2, s10
	s_waitcnt vmcnt(0)
	ds_store_b128 v10, v[11:14]
	v_add_nc_u32_e32 v10, 0x4000, v10
	s_and_not1_b32 exec_lo, exec_lo, s10
	s_cbranch_execnz .LBB36_8
.LBB36_9:
	s_or_b32 exec_lo, exec_lo, s6
	v_cmp_gt_u32_e32 vcc_lo, s16, v7
	v_cmp_gt_u32_e64 s2, s7, v45
	s_waitcnt lgkmcnt(0)
	s_barrier
	buffer_gl0_inv
	s_and_b32 s2, vcc_lo, s2
	s_delay_alu instid0(SALU_CYCLE_1)
	s_and_saveexec_b32 s3, s2
	s_cbranch_execz .LBB36_44
; %bb.10:
	v_cvt_f32_u32_e32 v5, s18
	s_cmp_lg_u32 s4, 0
	s_clause 0x1
	s_load_b64 s[10:11], s[0:1], 0x18
	s_load_b64 s[14:15], s[0:1], 0x30
	s_cselect_b32 s6, -1, 0
	s_add_i32 s19, s4, -8
	v_rcp_iflag_f32_e32 v5, v5
	s_add_i32 s20, s7, -1
	s_cmp_lg_u64 s[8:9], 0
	v_cmp_eq_u32_e64 s0, 63, v8
	s_cselect_b32 s21, -1, 0
	s_sub_i32 s2, 0, s18
	v_mov_b32_e32 v47, 0
	v_mbcnt_lo_u32_b32 v64, -1, 0
	s_mul_i32 s1, s16, s17
	s_mov_b32 s22, 0
	s_waitcnt_depctr 0xfff
	v_dual_mul_f32 v5, 0x4f7ffffe, v5 :: v_dual_lshlrev_b32 v62, 4, v8
	s_lshl_b32 s23, s1, 2
	s_add_i32 s24, s7, -4
	s_delay_alu instid0(VALU_DEP_1) | instskip(NEXT) | instid1(VALU_DEP_1)
	v_cvt_u32_f32_e32 v5, v5
	v_mul_lo_u32 v6, s2, v5
	s_delay_alu instid0(VALU_DEP_1) | instskip(NEXT) | instid1(VALU_DEP_1)
	v_mul_hi_u32 v6, v5, v6
	v_add_nc_u32_e32 v63, v5, v6
	s_branch .LBB36_13
.LBB36_11:                              ;   in Loop: Header=BB36_13 Depth=1
	s_or_b32 exec_lo, exec_lo, s26
	v_mov_b32_e32 v45, s24
.LBB36_12:                              ;   in Loop: Header=BB36_13 Depth=1
	s_or_b32 exec_lo, exec_lo, s25
	s_delay_alu instid0(VALU_DEP_1) | instskip(SKIP_1) | instid1(SALU_CYCLE_1)
	v_cmp_le_u32_e32 vcc_lo, s7, v45
	s_or_b32 s22, vcc_lo, s22
	s_and_not1_b32 exec_lo, exec_lo, s22
	s_cbranch_execz .LBB36_44
.LBB36_13:                              ; =>This Loop Header: Depth=1
                                        ;     Child Loop BB36_18 Depth 2
                                        ;     Child Loop BB36_42 Depth 2
	v_dual_mov_b32 v67, v47 :: v_dual_add_nc_u32 v50, 1, v45
	v_dual_mov_b32 v68, v47 :: v_dual_add_nc_u32 v49, 2, v45
	;; [unrolled: 1-line block ×3, first 2 shown]
	v_mov_b32_e32 v66, v47
	s_and_not1_b32 vcc_lo, exec_lo, s6
	s_cbranch_vccnz .LBB36_28
; %bb.14:                               ;   in Loop: Header=BB36_13 Depth=1
	v_min_u32_e32 v5, s20, v45
	s_waitcnt lgkmcnt(0)
	v_min_u32_e32 v6, s20, v50
	v_min_u32_e32 v7, s20, v49
	;; [unrolled: 1-line block ×3, first 2 shown]
	v_dual_mov_b32 v10, v47 :: v_dual_mov_b32 v67, 0
	v_mul_lo_u32 v46, v5, s5
	v_mul_lo_u32 v5, v6, s5
	;; [unrolled: 1-line block ×4, first 2 shown]
	v_dual_mov_b32 v6, v47 :: v_dual_mov_b32 v65, 0
	v_dual_mov_b32 v8, v47 :: v_dual_mov_b32 v69, v62
	v_lshlrev_b64 v[51:52], 1, v[46:47]
	s_delay_alu instid0(VALU_DEP_3) | instskip(SKIP_1) | instid1(VALU_DEP_4)
	v_lshlrev_b64 v[53:54], 1, v[5:6]
	v_mov_b32_e32 v66, 0
	v_lshlrev_b64 v[55:56], 1, v[7:8]
	v_lshlrev_b64 v[57:58], 1, v[9:10]
	v_mov_b32_e32 v68, 0
	s_mov_b32 s1, 0
	s_branch .LBB36_18
.LBB36_15:                              ;   in Loop: Header=BB36_18 Depth=2
	s_or_b32 exec_lo, exec_lo, s16
.LBB36_16:                              ;   in Loop: Header=BB36_18 Depth=2
	s_delay_alu instid0(SALU_CYCLE_1)
	s_or_b32 exec_lo, exec_lo, s3
.LBB36_17:                              ;   in Loop: Header=BB36_18 Depth=2
	s_delay_alu instid0(SALU_CYCLE_1)
	s_or_b32 exec_lo, exec_lo, s2
	s_waitcnt vmcnt(0) lgkmcnt(0)
	;;#ASMSTART
	v_dot2_f32_f16 v68, v37, v33, v68
	;;#ASMEND
	;;#ASMSTART
	v_dot2_f32_f16 v67, v37, v25, v67
	;;#ASMEND
	;; [unrolled: 3-line block ×12, first 2 shown]
	v_add_nc_u32_e32 v69, 0x800, v69
	;;#ASMSTART
	v_dot2_f32_f16 v68, v40, v36, v68
	;;#ASMEND
	;;#ASMSTART
	v_dot2_f32_f16 v67, v40, v28, v67
	;;#ASMEND
	;; [unrolled: 3-line block ×4, first 2 shown]
	s_addk_i32 s1, 0x400
	;;#ASMSTART
	v_dot2_f32_f16 v68, v41, v17, v68
	;;#ASMEND
	;;#ASMSTART
	v_dot2_f32_f16 v67, v41, v13, v67
	;;#ASMEND
	;; [unrolled: 3-line block ×8, first 2 shown]
	s_cmp_ge_u32 s1, s4
	;;#ASMSTART
	v_dot2_f32_f16 v68, v43, v19, v68
	;;#ASMEND
	;;#ASMSTART
	v_dot2_f32_f16 v67, v43, v15, v67
	;;#ASMEND
	;;#ASMSTART
	v_dot2_f32_f16 v66, v43, v11, v66
	;;#ASMEND
	;;#ASMSTART
	v_dot2_f32_f16 v65, v43, v7, v65
	;;#ASMEND
	;;#ASMSTART
	v_dot2_f32_f16 v68, v44, v20, v68
	;;#ASMEND
	;;#ASMSTART
	v_dot2_f32_f16 v67, v44, v16, v67
	;;#ASMEND
	;;#ASMSTART
	v_dot2_f32_f16 v66, v44, v12, v66
	;;#ASMEND
	;;#ASMSTART
	v_dot2_f32_f16 v65, v44, v8, v65
	;;#ASMEND
	s_cbranch_scc1 .LBB36_28
.LBB36_18:                              ;   Parent Loop BB36_13 Depth=1
                                        ; =>  This Inner Loop Header: Depth=2
	v_add_nc_u32_e32 v60, s1, v0
	v_dual_mov_b32 v44, 0 :: v_dual_mov_b32 v43, 0
	v_dual_mov_b32 v42, 0 :: v_dual_mov_b32 v41, 0
	s_delay_alu instid0(VALU_DEP_3) | instskip(SKIP_2) | instid1(VALU_DEP_2)
	v_min_u32_e32 v46, s19, v60
	v_add_nc_u32_e32 v59, 0x200, v60
	s_mov_b32 s2, exec_lo
	v_lshlrev_b64 v[5:6], 1, v[46:47]
	s_delay_alu instid0(VALU_DEP_2) | instskip(SKIP_1) | instid1(VALU_DEP_2)
	v_min_u32_e32 v46, s19, v59
	s_waitcnt vmcnt(0) lgkmcnt(0)
	v_add_co_u32 v13, vcc_lo, s10, v5
	s_delay_alu instid0(VALU_DEP_3) | instskip(NEXT) | instid1(VALU_DEP_3)
	v_add_co_ci_u32_e32 v14, vcc_lo, s11, v6, vcc_lo
	v_lshlrev_b64 v[5:6], 1, v[46:47]
	s_delay_alu instid0(VALU_DEP_3) | instskip(NEXT) | instid1(VALU_DEP_3)
	v_add_co_u32 v7, vcc_lo, v13, v51
	v_add_co_ci_u32_e32 v8, vcc_lo, v14, v52, vcc_lo
	v_add_co_u32 v9, vcc_lo, v13, v53
	v_add_co_ci_u32_e32 v10, vcc_lo, v14, v54, vcc_lo
	;; [unrolled: 2-line block ×5, first 2 shown]
	s_clause 0x1
	global_load_b128 v[33:36], v[7:8], off slc dlc
	global_load_b128 v[25:28], v[9:10], off slc dlc
	v_add_co_u32 v7, vcc_lo, v15, v51
	v_add_co_ci_u32_e32 v8, vcc_lo, v16, v52, vcc_lo
	v_add_co_u32 v9, vcc_lo, v15, v53
	v_add_co_ci_u32_e32 v10, vcc_lo, v16, v54, vcc_lo
	;; [unrolled: 2-line block ×4, first 2 shown]
	s_clause 0x5
	global_load_b128 v[29:32], v[11:12], off slc dlc
	global_load_b128 v[21:24], v[5:6], off slc dlc
	;; [unrolled: 1-line block ×6, first 2 shown]
	v_dual_mov_b32 v38, 0 :: v_dual_mov_b32 v37, 0
	v_dual_mov_b32 v39, 0 :: v_dual_mov_b32 v40, 0
	v_cmpx_gt_u32_e64 s4, v60
	s_cbranch_execz .LBB36_17
; %bb.19:                               ;   in Loop: Header=BB36_18 Depth=2
	s_mov_b32 s3, exec_lo
                                        ; implicit-def: $vgpr37
	v_cmpx_lt_u32_e32 0x7fff, v60
	s_xor_b32 s3, exec_lo, s3
	s_cbranch_execz .LBB36_21
; %bb.20:                               ;   in Loop: Header=BB36_18 Depth=2
	v_mov_b32_e32 v61, v47
	s_delay_alu instid0(VALU_DEP_1) | instskip(NEXT) | instid1(VALU_DEP_1)
	v_lshlrev_b64 v[37:38], 1, v[60:61]
	v_add_co_u32 v37, vcc_lo, s12, v37
	s_delay_alu instid0(VALU_DEP_2)
	v_add_co_ci_u32_e32 v38, vcc_lo, s13, v38, vcc_lo
	global_load_b128 v[37:40], v[37:38], off
.LBB36_21:                              ;   in Loop: Header=BB36_18 Depth=2
	s_and_not1_saveexec_b32 s3, s3
	s_cbranch_execz .LBB36_23
; %bb.22:                               ;   in Loop: Header=BB36_18 Depth=2
	s_waitcnt vmcnt(0)
	ds_load_b128 v[37:40], v69
.LBB36_23:                              ;   in Loop: Header=BB36_18 Depth=2
	s_or_b32 exec_lo, exec_lo, s3
	v_dual_mov_b32 v44, 0 :: v_dual_mov_b32 v43, 0
	v_dual_mov_b32 v42, 0 :: v_dual_mov_b32 v41, 0
	s_mov_b32 s3, exec_lo
	v_cmpx_gt_u32_e64 s4, v59
	s_cbranch_execz .LBB36_16
; %bb.24:                               ;   in Loop: Header=BB36_18 Depth=2
	s_mov_b32 s16, exec_lo
                                        ; implicit-def: $vgpr44
	v_cmpx_lt_u32_e32 0x7fff, v59
	s_xor_b32 s16, exec_lo, s16
	s_cbranch_execz .LBB36_26
; %bb.25:                               ;   in Loop: Header=BB36_18 Depth=2
	v_mov_b32_e32 v60, v47
	s_delay_alu instid0(VALU_DEP_1) | instskip(NEXT) | instid1(VALU_DEP_1)
	v_lshlrev_b64 v[41:42], 1, v[59:60]
	v_add_co_u32 v41, vcc_lo, s12, v41
	s_delay_alu instid0(VALU_DEP_2)
	v_add_co_ci_u32_e32 v42, vcc_lo, s13, v42, vcc_lo
	global_load_b128 v[41:44], v[41:42], off
.LBB36_26:                              ;   in Loop: Header=BB36_18 Depth=2
	s_and_not1_saveexec_b32 s16, s16
	s_cbranch_execz .LBB36_15
; %bb.27:                               ;   in Loop: Header=BB36_18 Depth=2
	s_waitcnt vmcnt(0)
	ds_load_b128 v[41:44], v69 offset:1024
	s_branch .LBB36_15
.LBB36_28:                              ;   in Loop: Header=BB36_13 Depth=1
	v_cvt_i32_f32_e32 v5, v68
	s_waitcnt lgkmcnt(0)
	v_cvt_i32_f32_e32 v6, v67
	v_cvt_i32_f32_e32 v7, v66
	v_cvt_i32_f32_e32 v8, v65
	v_cvt_f32_i32_dpp v5, v5 row_shr:8 row_mask:0xf bank_mask:0xf bound_ctrl:1
	s_delay_alu instid0(VALU_DEP_4) | instskip(NEXT) | instid1(VALU_DEP_4)
	v_cvt_f32_i32_dpp v6, v6 row_shr:8 row_mask:0xf bank_mask:0xf bound_ctrl:1
	v_cvt_f32_i32_dpp v7, v7 row_shr:8 row_mask:0xf bank_mask:0xf bound_ctrl:1
	s_delay_alu instid0(VALU_DEP_4) | instskip(NEXT) | instid1(VALU_DEP_3)
	v_cvt_f32_i32_dpp v8, v8 row_shr:8 row_mask:0xf bank_mask:0xf bound_ctrl:1
	v_dual_add_f32 v5, v68, v5 :: v_dual_add_f32 v6, v67, v6
	s_delay_alu instid0(VALU_DEP_2) | instskip(NEXT) | instid1(VALU_DEP_2)
	v_dual_add_f32 v7, v66, v7 :: v_dual_add_f32 v8, v65, v8
	v_cvt_i32_f32_e32 v9, v5
	s_delay_alu instid0(VALU_DEP_3) | instskip(NEXT) | instid1(VALU_DEP_3)
	v_cvt_i32_f32_e32 v10, v6
	v_cvt_i32_f32_e32 v11, v7
	s_delay_alu instid0(VALU_DEP_4) | instskip(NEXT) | instid1(VALU_DEP_4)
	v_cvt_i32_f32_e32 v12, v8
	v_cvt_f32_i32_dpp v9, v9 row_shr:4 row_mask:0xf bank_mask:0xf bound_ctrl:1
	s_delay_alu instid0(VALU_DEP_4) | instskip(NEXT) | instid1(VALU_DEP_4)
	v_cvt_f32_i32_dpp v10, v10 row_shr:4 row_mask:0xf bank_mask:0xf bound_ctrl:1
	v_cvt_f32_i32_dpp v11, v11 row_shr:4 row_mask:0xf bank_mask:0xf bound_ctrl:1
	s_delay_alu instid0(VALU_DEP_4) | instskip(NEXT) | instid1(VALU_DEP_3)
	v_cvt_f32_i32_dpp v12, v12 row_shr:4 row_mask:0xf bank_mask:0xf bound_ctrl:1
	v_dual_add_f32 v5, v5, v9 :: v_dual_add_f32 v6, v6, v10
	s_delay_alu instid0(VALU_DEP_2) | instskip(NEXT) | instid1(VALU_DEP_2)
	v_dual_add_f32 v7, v7, v11 :: v_dual_add_f32 v8, v8, v12
	v_cvt_i32_f32_e32 v9, v5
	s_delay_alu instid0(VALU_DEP_3) | instskip(NEXT) | instid1(VALU_DEP_3)
	v_cvt_i32_f32_e32 v10, v6
	v_cvt_i32_f32_e32 v11, v7
	s_delay_alu instid0(VALU_DEP_4) | instskip(NEXT) | instid1(VALU_DEP_4)
	v_cvt_i32_f32_e32 v12, v8
	v_cvt_f32_i32_dpp v9, v9 row_shr:2 row_mask:0xf bank_mask:0xf bound_ctrl:1
	s_delay_alu instid0(VALU_DEP_4) | instskip(NEXT) | instid1(VALU_DEP_4)
	v_cvt_f32_i32_dpp v10, v10 row_shr:2 row_mask:0xf bank_mask:0xf bound_ctrl:1
	v_cvt_f32_i32_dpp v11, v11 row_shr:2 row_mask:0xf bank_mask:0xf bound_ctrl:1
	s_delay_alu instid0(VALU_DEP_4) | instskip(NEXT) | instid1(VALU_DEP_3)
	v_cvt_f32_i32_dpp v12, v12 row_shr:2 row_mask:0xf bank_mask:0xf bound_ctrl:1
	v_dual_add_f32 v5, v5, v9 :: v_dual_add_f32 v6, v6, v10
	s_delay_alu instid0(VALU_DEP_2) | instskip(SKIP_1) | instid1(VALU_DEP_3)
	v_dual_add_f32 v7, v7, v11 :: v_dual_add_f32 v8, v8, v12
	v_xor_b32_e32 v9, 16, v64
	v_cvt_i32_f32_e32 v10, v5
	s_delay_alu instid0(VALU_DEP_4) | instskip(NEXT) | instid1(VALU_DEP_4)
	v_cvt_i32_f32_e32 v11, v6
	v_cvt_i32_f32_e32 v12, v7
	s_waitcnt vmcnt(0)
	v_cvt_i32_f32_e32 v13, v8
	v_cmp_gt_i32_e32 vcc_lo, 32, v9
	v_cvt_f32_i32_dpp v10, v10 row_shr:1 row_mask:0xf bank_mask:0xf bound_ctrl:1
	v_cvt_f32_i32_dpp v14, v11 row_shr:1 row_mask:0xf bank_mask:0xf bound_ctrl:1
	v_cvt_f32_i32_dpp v12, v12 row_shr:1 row_mask:0xf bank_mask:0xf bound_ctrl:1
	v_cvt_f32_i32_dpp v13, v13 row_shr:1 row_mask:0xf bank_mask:0xf bound_ctrl:1
	v_cndmask_b32_e32 v9, v64, v9, vcc_lo
	v_add_f32_e32 v11, v5, v10
	s_delay_alu instid0(VALU_DEP_4) | instskip(NEXT) | instid1(VALU_DEP_4)
	v_add_f32_e32 v7, v7, v12
	v_add_f32_e32 v5, v8, v13
	s_delay_alu instid0(VALU_DEP_4)
	v_lshlrev_b32_e32 v15, 2, v9
	v_add_f32_e32 v9, v6, v14
	ds_bpermute_b32 v12, v15, v11
	ds_bpermute_b32 v10, v15, v9
	;; [unrolled: 1-line block ×4, first 2 shown]
	s_and_saveexec_b32 s1, s0
	s_cbranch_execz .LBB36_39
; %bb.29:                               ;   in Loop: Header=BB36_13 Depth=1
	v_dual_mov_b32 v13, 0 :: v_dual_mov_b32 v14, 0
	v_dual_mov_b32 v15, 0 :: v_dual_mov_b32 v16, 0
	s_and_not1_b32 vcc_lo, exec_lo, s21
	s_cbranch_vccnz .LBB36_31
; %bb.30:                               ;   in Loop: Header=BB36_13 Depth=1
	v_mul_hi_u32 v13, v45, v63
	v_mul_hi_u32 v14, v50, v63
	;; [unrolled: 1-line block ×4, first 2 shown]
	s_delay_alu instid0(VALU_DEP_4) | instskip(NEXT) | instid1(VALU_DEP_4)
	v_mul_lo_u32 v13, v13, s18
	v_mul_lo_u32 v14, v14, s18
	s_delay_alu instid0(VALU_DEP_4) | instskip(NEXT) | instid1(VALU_DEP_4)
	v_mul_lo_u32 v15, v15, s18
	v_mul_lo_u32 v16, v16, s18
	s_delay_alu instid0(VALU_DEP_4) | instskip(NEXT) | instid1(VALU_DEP_4)
	v_sub_nc_u32_e32 v13, v45, v13
	v_sub_nc_u32_e32 v14, v50, v14
	s_delay_alu instid0(VALU_DEP_4) | instskip(NEXT) | instid1(VALU_DEP_4)
	v_sub_nc_u32_e32 v15, v49, v15
	v_sub_nc_u32_e32 v16, v48, v16
	s_delay_alu instid0(VALU_DEP_4) | instskip(SKIP_1) | instid1(VALU_DEP_4)
	v_subrev_nc_u32_e32 v17, s18, v13
	v_cmp_le_u32_e32 vcc_lo, s18, v13
	v_subrev_nc_u32_e32 v18, s18, v15
	s_delay_alu instid0(VALU_DEP_4) | instskip(NEXT) | instid1(VALU_DEP_4)
	v_subrev_nc_u32_e32 v20, s18, v16
	v_cndmask_b32_e32 v13, v13, v17, vcc_lo
	v_subrev_nc_u32_e32 v17, s18, v14
	v_cmp_le_u32_e32 vcc_lo, s18, v14
	s_delay_alu instid0(VALU_DEP_3) | instskip(NEXT) | instid1(VALU_DEP_3)
	v_subrev_nc_u32_e32 v19, s18, v13
	v_cndmask_b32_e32 v17, v14, v17, vcc_lo
	v_cmp_le_u32_e32 vcc_lo, s18, v13
	s_delay_alu instid0(VALU_DEP_3) | instskip(SKIP_1) | instid1(VALU_DEP_2)
	v_cndmask_b32_e32 v46, v13, v19, vcc_lo
	v_cmp_le_u32_e32 vcc_lo, s18, v15
	v_lshlrev_b64 v[13:14], 1, v[46:47]
	v_cndmask_b32_e32 v18, v15, v18, vcc_lo
	v_cmp_le_u32_e32 vcc_lo, s18, v16
	v_subrev_nc_u32_e32 v15, s18, v17
	v_cndmask_b32_e32 v19, v16, v20, vcc_lo
	v_cmp_le_u32_e32 vcc_lo, s18, v17
	s_delay_alu instid0(VALU_DEP_3) | instskip(SKIP_3) | instid1(VALU_DEP_4)
	v_cndmask_b32_e32 v46, v17, v15, vcc_lo
	v_subrev_nc_u32_e32 v17, s18, v18
	v_cmp_le_u32_e32 vcc_lo, s18, v18
	v_subrev_nc_u32_e32 v20, s18, v19
	v_lshlrev_b64 v[15:16], 1, v[46:47]
	s_delay_alu instid0(VALU_DEP_4) | instskip(SKIP_3) | instid1(VALU_DEP_4)
	v_cndmask_b32_e32 v46, v18, v17, vcc_lo
	v_add_co_u32 v13, vcc_lo, s8, v13
	v_add_co_ci_u32_e32 v14, vcc_lo, s9, v14, vcc_lo
	v_cmp_le_u32_e32 vcc_lo, s18, v19
	v_lshlrev_b64 v[17:18], 1, v[46:47]
	v_cndmask_b32_e32 v46, v19, v20, vcc_lo
	v_add_co_u32 v19, vcc_lo, s8, v15
	v_add_co_ci_u32_e32 v20, vcc_lo, s9, v16, vcc_lo
	s_delay_alu instid0(VALU_DEP_3) | instskip(SKIP_2) | instid1(VALU_DEP_3)
	v_lshlrev_b64 v[15:16], 1, v[46:47]
	v_add_co_u32 v17, vcc_lo, s8, v17
	v_add_co_ci_u32_e32 v18, vcc_lo, s9, v18, vcc_lo
	v_add_co_u32 v21, vcc_lo, s8, v15
	s_delay_alu instid0(VALU_DEP_4)
	v_add_co_ci_u32_e32 v22, vcc_lo, s9, v16, vcc_lo
	s_clause 0x3
	global_load_u16 v16, v[13:14], off
	global_load_u16 v15, v[19:20], off
	;; [unrolled: 1-line block ×4, first 2 shown]
.LBB36_31:                              ;   in Loop: Header=BB36_13 Depth=1
	s_mov_b32 s2, exec_lo
	v_cmpx_ne_u32_e32 0, v1
	s_cbranch_execz .LBB36_33
; %bb.32:                               ;   in Loop: Header=BB36_13 Depth=1
	s_waitcnt lgkmcnt(0)
	v_add_f32_e32 v11, v11, v12
	s_waitcnt vmcnt(3)
	v_cvt_f32_f16_e32 v12, v16
	v_mov_b32_e32 v46, v47
	s_delay_alu instid0(VALU_DEP_2) | instskip(NEXT) | instid1(VALU_DEP_2)
	v_add_f32_e32 v16, v11, v12
	v_lshlrev_b64 v[11:12], 1, v[45:46]
	s_delay_alu instid0(VALU_DEP_2) | instskip(NEXT) | instid1(VALU_DEP_2)
	v_cvt_f16_f32_e32 v16, v16
	v_add_co_u32 v11, vcc_lo, s14, v11
	s_delay_alu instid0(VALU_DEP_3)
	v_add_co_ci_u32_e32 v12, vcc_lo, s15, v12, vcc_lo
	global_store_b16 v[11:12], v16, off
.LBB36_33:                              ;   in Loop: Header=BB36_13 Depth=1
	s_or_b32 exec_lo, exec_lo, s2
	s_delay_alu instid0(SALU_CYCLE_1)
	s_mov_b32 s2, exec_lo
	v_cmpx_ne_u32_e32 0, v2
	s_cbranch_execz .LBB36_35
; %bb.34:                               ;   in Loop: Header=BB36_13 Depth=1
	s_waitcnt lgkmcnt(0)
	v_add_f32_e32 v9, v9, v10
	s_waitcnt vmcnt(2)
	v_cvt_f32_f16_e32 v10, v15
	v_mov_b32_e32 v51, v47
	s_delay_alu instid0(VALU_DEP_2) | instskip(NEXT) | instid1(VALU_DEP_2)
	v_add_f32_e32 v11, v9, v10
	v_lshlrev_b64 v[9:10], 1, v[50:51]
	s_delay_alu instid0(VALU_DEP_2) | instskip(NEXT) | instid1(VALU_DEP_2)
	v_cvt_f16_f32_e32 v11, v11
	v_add_co_u32 v9, vcc_lo, s14, v9
	s_delay_alu instid0(VALU_DEP_3)
	v_add_co_ci_u32_e32 v10, vcc_lo, s15, v10, vcc_lo
	global_store_b16 v[9:10], v11, off
.LBB36_35:                              ;   in Loop: Header=BB36_13 Depth=1
	s_or_b32 exec_lo, exec_lo, s2
	s_delay_alu instid0(SALU_CYCLE_1)
	s_mov_b32 s2, exec_lo
	v_cmpx_ne_u32_e32 0, v3
	s_cbranch_execz .LBB36_37
; %bb.36:                               ;   in Loop: Header=BB36_13 Depth=1
	s_waitcnt lgkmcnt(0)
	v_add_f32_e32 v7, v7, v8
	s_waitcnt vmcnt(1)
	v_cvt_f32_f16_e32 v8, v14
	v_mov_b32_e32 v50, v47
	s_delay_alu instid0(VALU_DEP_2) | instskip(NEXT) | instid1(VALU_DEP_2)
	v_add_f32_e32 v9, v7, v8
	v_lshlrev_b64 v[7:8], 1, v[49:50]
	s_delay_alu instid0(VALU_DEP_2) | instskip(NEXT) | instid1(VALU_DEP_2)
	v_cvt_f16_f32_e32 v9, v9
	v_add_co_u32 v7, vcc_lo, s14, v7
	s_delay_alu instid0(VALU_DEP_3)
	v_add_co_ci_u32_e32 v8, vcc_lo, s15, v8, vcc_lo
	global_store_b16 v[7:8], v9, off
.LBB36_37:                              ;   in Loop: Header=BB36_13 Depth=1
	s_or_b32 exec_lo, exec_lo, s2
	v_cmp_ne_u32_e32 vcc_lo, 0, v4
	s_and_b32 exec_lo, exec_lo, vcc_lo
	s_cbranch_execz .LBB36_39
; %bb.38:                               ;   in Loop: Header=BB36_13 Depth=1
	s_waitcnt lgkmcnt(0)
	v_add_f32_e32 v5, v5, v6
	s_waitcnt vmcnt(0)
	v_cvt_f32_f16_e32 v6, v13
	v_mov_b32_e32 v49, v47
	s_delay_alu instid0(VALU_DEP_2) | instskip(NEXT) | instid1(VALU_DEP_2)
	v_add_f32_e32 v7, v5, v6
	v_lshlrev_b64 v[5:6], 1, v[48:49]
	s_delay_alu instid0(VALU_DEP_2) | instskip(NEXT) | instid1(VALU_DEP_2)
	v_cvt_f16_f32_e32 v7, v7
	v_add_co_u32 v5, vcc_lo, s14, v5
	s_delay_alu instid0(VALU_DEP_3)
	v_add_co_ci_u32_e32 v6, vcc_lo, s15, v6, vcc_lo
	global_store_b16 v[5:6], v7, off
.LBB36_39:                              ;   in Loop: Header=BB36_13 Depth=1
	s_or_b32 exec_lo, exec_lo, s1
	v_add_nc_u32_e32 v45, s23, v45
	s_delay_alu instid0(VALU_DEP_1) | instskip(SKIP_1) | instid1(VALU_DEP_2)
	v_add_nc_u32_e32 v5, 4, v45
	v_cmp_gt_u32_e32 vcc_lo, s7, v45
	v_cmp_le_u32_e64 s1, s7, v5
	s_delay_alu instid0(VALU_DEP_1) | instskip(NEXT) | instid1(SALU_CYCLE_1)
	s_and_b32 s1, vcc_lo, s1
	s_and_saveexec_b32 s25, s1
	s_cbranch_execz .LBB36_12
; %bb.40:                               ;   in Loop: Header=BB36_13 Depth=1
	s_mov_b32 s26, exec_lo
	v_cmpx_ne_u32_e64 s24, v45
	s_cbranch_execz .LBB36_11
; %bb.41:                               ;   in Loop: Header=BB36_13 Depth=1
	v_subrev_nc_u32_e32 v5, s24, v45
	s_mov_b32 s27, 0
	s_mov_b64 s[16:17], 0
	s_delay_alu instid0(VALU_DEP_1)
	v_cmp_lt_u32_e32 vcc_lo, 1, v5
	v_cndmask_b32_e32 v5, 1, v5, vcc_lo
	.p2align	6
.LBB36_42:                              ;   Parent Loop BB36_13 Depth=1
                                        ; =>  This Inner Loop Header: Depth=2
	s_cmp_lg_u32 s16, 3
	s_cselect_b32 vcc_lo, -1, 0
	s_cmp_lg_u32 s16, 2
	v_cndmask_b32_e32 v4, 0, v4, vcc_lo
	s_cselect_b32 s1, -1, 0
	s_cmp_lg_u32 s16, 1
	v_cndmask_b32_e64 v3, 0, v3, s1
	s_cselect_b32 s2, -1, 0
	s_cmp_lg_u32 s16, 0
	v_cndmask_b32_e64 v2, 0, v2, s2
	s_cselect_b32 s3, -1, 0
	s_add_u32 s16, s16, 1
	v_cndmask_b32_e64 v1, 0, v1, s3
	v_cmp_eq_u32_e32 vcc_lo, s16, v5
	s_addc_u32 s17, s17, 0
	s_or_b32 s27, vcc_lo, s27
	s_delay_alu instid0(SALU_CYCLE_1)
	s_and_not1_b32 exec_lo, exec_lo, s27
	s_cbranch_execnz .LBB36_42
; %bb.43:                               ;   in Loop: Header=BB36_13 Depth=1
	s_or_b32 exec_lo, exec_lo, s27
	s_branch .LBB36_11
.LBB36_44:
	s_nop 0
	s_sendmsg sendmsg(MSG_DEALLOC_VGPRS)
	s_endpgm
	.section	.rodata,"a",@progbits
	.p2align	6, 0x0
	.amdhsa_kernel _Z12wvSplitK_hf_I6__halfLi64ELi4ELi16ELi8ELi2ELi1EEviiiiiiPKT_S3_S3_PS1_ii
		.amdhsa_group_segment_fixed_size 65536
		.amdhsa_private_segment_fixed_size 0
		.amdhsa_kernarg_size 64
		.amdhsa_user_sgpr_count 15
		.amdhsa_user_sgpr_dispatch_ptr 0
		.amdhsa_user_sgpr_queue_ptr 0
		.amdhsa_user_sgpr_kernarg_segment_ptr 1
		.amdhsa_user_sgpr_dispatch_id 0
		.amdhsa_user_sgpr_private_segment_size 0
		.amdhsa_wavefront_size32 1
		.amdhsa_uses_dynamic_stack 0
		.amdhsa_enable_private_segment 0
		.amdhsa_system_sgpr_workgroup_id_x 1
		.amdhsa_system_sgpr_workgroup_id_y 0
		.amdhsa_system_sgpr_workgroup_id_z 0
		.amdhsa_system_sgpr_workgroup_info 0
		.amdhsa_system_vgpr_workitem_id 1
		.amdhsa_next_free_vgpr 70
		.amdhsa_next_free_sgpr 28
		.amdhsa_reserve_vcc 1
		.amdhsa_float_round_mode_32 0
		.amdhsa_float_round_mode_16_64 0
		.amdhsa_float_denorm_mode_32 3
		.amdhsa_float_denorm_mode_16_64 3
		.amdhsa_dx10_clamp 1
		.amdhsa_ieee_mode 1
		.amdhsa_fp16_overflow 0
		.amdhsa_workgroup_processor_mode 1
		.amdhsa_memory_ordered 1
		.amdhsa_forward_progress 0
		.amdhsa_shared_vgpr_count 0
		.amdhsa_exception_fp_ieee_invalid_op 0
		.amdhsa_exception_fp_denorm_src 0
		.amdhsa_exception_fp_ieee_div_zero 0
		.amdhsa_exception_fp_ieee_overflow 0
		.amdhsa_exception_fp_ieee_underflow 0
		.amdhsa_exception_fp_ieee_inexact 0
		.amdhsa_exception_int_div_zero 0
	.end_amdhsa_kernel
	.section	.text._Z12wvSplitK_hf_I6__halfLi64ELi4ELi16ELi8ELi2ELi1EEviiiiiiPKT_S3_S3_PS1_ii,"axG",@progbits,_Z12wvSplitK_hf_I6__halfLi64ELi4ELi16ELi8ELi2ELi1EEviiiiiiPKT_S3_S3_PS1_ii,comdat
.Lfunc_end36:
	.size	_Z12wvSplitK_hf_I6__halfLi64ELi4ELi16ELi8ELi2ELi1EEviiiiiiPKT_S3_S3_PS1_ii, .Lfunc_end36-_Z12wvSplitK_hf_I6__halfLi64ELi4ELi16ELi8ELi2ELi1EEviiiiiiPKT_S3_S3_PS1_ii
                                        ; -- End function
	.section	.AMDGPU.csdata,"",@progbits
; Kernel info:
; codeLenInByte = 3332
; NumSgprs: 30
; NumVgprs: 70
; ScratchSize: 0
; MemoryBound: 0
; FloatMode: 240
; IeeeMode: 1
; LDSByteSize: 65536 bytes/workgroup (compile time only)
; SGPRBlocks: 3
; VGPRBlocks: 8
; NumSGPRsForWavesPerEU: 30
; NumVGPRsForWavesPerEU: 70
; Occupancy: 16
; WaveLimiterHint : 0
; COMPUTE_PGM_RSRC2:SCRATCH_EN: 0
; COMPUTE_PGM_RSRC2:USER_SGPR: 15
; COMPUTE_PGM_RSRC2:TRAP_HANDLER: 0
; COMPUTE_PGM_RSRC2:TGID_X_EN: 1
; COMPUTE_PGM_RSRC2:TGID_Y_EN: 0
; COMPUTE_PGM_RSRC2:TGID_Z_EN: 0
; COMPUTE_PGM_RSRC2:TIDIG_COMP_CNT: 1
	.section	.text._Z16wvSplitK_hf_big_I6__halfLi64ELi4ELi16ELi8ELi2ELi1EEviiiiiiPKT_S3_S3_PS1_ii,"axG",@progbits,_Z16wvSplitK_hf_big_I6__halfLi64ELi4ELi16ELi8ELi2ELi1EEviiiiiiPKT_S3_S3_PS1_ii,comdat
	.protected	_Z16wvSplitK_hf_big_I6__halfLi64ELi4ELi16ELi8ELi2ELi1EEviiiiiiPKT_S3_S3_PS1_ii ; -- Begin function _Z16wvSplitK_hf_big_I6__halfLi64ELi4ELi16ELi8ELi2ELi1EEviiiiiiPKT_S3_S3_PS1_ii
	.globl	_Z16wvSplitK_hf_big_I6__halfLi64ELi4ELi16ELi8ELi2ELi1EEviiiiiiPKT_S3_S3_PS1_ii
	.p2align	8
	.type	_Z16wvSplitK_hf_big_I6__halfLi64ELi4ELi16ELi8ELi2ELi1EEviiiiiiPKT_S3_S3_PS1_ii,@function
_Z16wvSplitK_hf_big_I6__halfLi64ELi4ELi16ELi8ELi2ELi1EEviiiiiiPKT_S3_S3_PS1_ii: ; @_Z16wvSplitK_hf_big_I6__halfLi64ELi4ELi16ELi8ELi2ELi1EEviiiiiiPKT_S3_S3_PS1_ii
; %bb.0:
	s_load_b64 s[12:13], s[0:1], 0x38
	v_bfe_u32 v5, v0, 10, 10
	s_mov_b32 s2, exec_lo
	s_waitcnt lgkmcnt(0)
	s_delay_alu instid0(VALU_DEP_1)
	v_cmpx_gt_u32_e64 s12, v5
	s_cbranch_execz .LBB37_48
; %bb.1:
	s_load_b128 s[16:19], s[0:1], 0x0
	s_mul_i32 s15, s15, s12
	s_mov_b32 s4, 1
	v_add_lshl_u32 v45, s15, v5, 2
	s_mov_b32 s5, s4
	s_mov_b32 s6, s4
	;; [unrolled: 1-line block ×3, first 2 shown]
	s_delay_alu instid0(VALU_DEP_1) | instskip(SKIP_2) | instid1(VALU_DEP_2)
	v_add_nc_u32_e32 v1, 4, v45
	s_waitcnt lgkmcnt(0)
	v_cmp_gt_u32_e32 vcc_lo, s19, v45
	v_cmp_le_u32_e64 s2, s19, v1
	v_dual_mov_b32 v1, s4 :: v_dual_mov_b32 v4, s7
	v_dual_mov_b32 v2, s5 :: v_dual_mov_b32 v3, s6
	s_delay_alu instid0(VALU_DEP_3) | instskip(NEXT) | instid1(SALU_CYCLE_1)
	s_and_b32 s2, vcc_lo, s2
	s_and_saveexec_b32 s8, s2
	s_cbranch_execz .LBB37_7
; %bb.2:
	v_dual_mov_b32 v1, s4 :: v_dual_mov_b32 v2, s5
	v_dual_mov_b32 v3, s6 :: v_dual_mov_b32 v4, s7
	s_add_i32 s9, s19, -4
	s_mov_b32 s10, exec_lo
	v_cmpx_ne_u32_e64 s9, v45
	s_cbranch_execz .LBB37_6
; %bb.3:
	v_subrev_nc_u32_e32 v1, s9, v45
	s_mov_b32 s11, 0
	s_mov_b64 s[2:3], 0
	s_mov_b32 s5, s4
	s_mov_b32 s6, s4
	v_cmp_lt_u32_e32 vcc_lo, 1, v1
	s_mov_b32 s7, s4
	v_cndmask_b32_e32 v6, 1, v1, vcc_lo
	.p2align	6
.LBB37_4:                               ; =>This Inner Loop Header: Depth=1
	s_cmp_lg_u32 s2, 3
	s_cselect_b32 s7, s7, 0
	s_cmp_lg_u32 s2, 2
	s_cselect_b32 s6, s6, 0
	;; [unrolled: 2-line block ×4, first 2 shown]
	s_add_u32 s2, s2, 1
	v_dual_mov_b32 v1, s4 :: v_dual_mov_b32 v2, s5
	v_cmp_eq_u32_e32 vcc_lo, s2, v6
	v_dual_mov_b32 v3, s6 :: v_dual_mov_b32 v4, s7
	s_addc_u32 s3, s3, 0
	s_or_b32 s11, vcc_lo, s11
	s_delay_alu instid0(SALU_CYCLE_1)
	s_and_not1_b32 exec_lo, exec_lo, s11
	s_cbranch_execnz .LBB37_4
; %bb.5:
	s_or_b32 exec_lo, exec_lo, s11
	v_mov_b32_e32 v45, s9
.LBB37_6:
	s_or_b32 exec_lo, exec_lo, s10
.LBB37_7:
	s_delay_alu instid0(SALU_CYCLE_1)
	s_or_b32 exec_lo, exec_lo, s8
	s_lshl_b32 s2, s12, 2
	s_abs_i32 s6, s19
	s_abs_i32 s3, s2
	s_mov_b32 s15, 0
	v_cvt_f32_u32_e32 v6, s3
	s_sub_i32 s5, 0, s3
	s_delay_alu instid0(VALU_DEP_1) | instskip(SKIP_2) | instid1(VALU_DEP_1)
	v_rcp_iflag_f32_e32 v6, v6
	s_waitcnt_depctr 0xfff
	v_mul_f32_e32 v6, 0x4f7ffffe, v6
	v_cvt_u32_f32_e32 v6, v6
	s_delay_alu instid0(VALU_DEP_1) | instskip(NEXT) | instid1(VALU_DEP_1)
	v_readfirstlane_b32 s4, v6
	s_mul_i32 s5, s5, s4
	s_delay_alu instid0(SALU_CYCLE_1) | instskip(NEXT) | instid1(SALU_CYCLE_1)
	s_mul_hi_u32 s5, s4, s5
	s_add_i32 s4, s4, s5
	s_ashr_i32 s5, s19, 31
	s_mul_hi_u32 s4, s6, s4
	s_delay_alu instid0(SALU_CYCLE_1) | instskip(NEXT) | instid1(SALU_CYCLE_1)
	s_mul_i32 s4, s4, s3
	s_sub_i32 s4, s6, s4
	s_delay_alu instid0(SALU_CYCLE_1) | instskip(SKIP_2) | instid1(SALU_CYCLE_1)
	s_sub_i32 s6, s4, s3
	s_cmp_ge_u32 s4, s3
	s_cselect_b32 s4, s6, s4
	s_sub_i32 s6, s4, s3
	s_cmp_ge_u32 s4, s3
	s_cselect_b32 s3, s6, s4
	s_add_i32 s2, s2, s19
	s_xor_b32 s3, s3, s5
	s_delay_alu instid0(SALU_CYCLE_1) | instskip(NEXT) | instid1(SALU_CYCLE_1)
	s_sub_i32 s3, s3, s5
	s_sub_i32 s2, s2, s3
	s_cmp_eq_u32 s3, 0
	s_cselect_b32 s14, s19, s2
	s_delay_alu instid0(SALU_CYCLE_1)
	v_cmp_gt_u32_e32 vcc_lo, s14, v45
	s_and_b32 exec_lo, exec_lo, vcc_lo
	s_cbranch_execz .LBB37_48
; %bb.8:
	s_clause 0x1
	s_load_b32 s20, s[0:1], 0x10
	s_load_b256 s[4:11], s[0:1], 0x18
	s_min_u32 s21, s18, 0x8000
	s_cmp_lg_u32 s16, 0
	s_mul_i32 s0, s13, s12
	s_cselect_b32 s22, -1, 0
	s_cmp_lg_u32 s18, 0
	v_and_b32_e32 v8, 0x3ff, v0
	s_cselect_b32 s23, -1, 0
	s_lshl_b32 s24, s12, 9
	s_add_i32 s25, s16, -8
	s_add_i32 s26, s19, -1
	s_lshl_b32 s27, s0, 2
	v_lshlrev_b32_e32 v9, 4, v8
	v_lshlrev_b32_e32 v0, 3, v8
	v_mbcnt_lo_u32_b32 v59, -1, 0
	v_mov_b32_e32 v47, 0
	s_delay_alu instid0(VALU_DEP_4) | instskip(NEXT) | instid1(VALU_DEP_4)
	v_lshl_add_u32 v56, v5, 10, v9
	v_lshl_add_u32 v57, v5, 9, v0
	s_waitcnt lgkmcnt(0)
	v_cvt_f32_u32_e32 v6, s20
	s_cmp_lg_u64 s[8:9], 0
	s_cselect_b32 s28, -1, 0
	s_sub_i32 s0, 0, s20
	s_delay_alu instid0(VALU_DEP_1)
	v_rcp_iflag_f32_e32 v6, v6
	s_add_i32 s29, s19, -4
	s_add_u32 s30, s10, 2
	s_addc_u32 s31, s11, 0
	s_lshl_b32 s33, s12, 10
	s_waitcnt_depctr 0xfff
	v_mul_f32_e32 v6, 0x4f7ffffe, v6
	s_delay_alu instid0(VALU_DEP_1) | instskip(NEXT) | instid1(VALU_DEP_1)
	v_cvt_u32_f32_e32 v6, v6
	v_mul_lo_u32 v7, s0, v6
	v_cmp_eq_u32_e64 s0, 63, v8
	s_delay_alu instid0(VALU_DEP_2) | instskip(NEXT) | instid1(VALU_DEP_1)
	v_mul_hi_u32 v7, v6, v7
	v_add_nc_u32_e32 v58, v6, v7
	s_branch .LBB37_12
.LBB37_9:                               ;   in Loop: Header=BB37_12 Depth=1
	s_or_b32 exec_lo, exec_lo, s36
	v_mov_b32_e32 v45, s29
.LBB37_10:                              ;   in Loop: Header=BB37_12 Depth=1
	s_or_b32 exec_lo, exec_lo, s35
.LBB37_11:                              ;   in Loop: Header=BB37_12 Depth=1
	s_delay_alu instid0(SALU_CYCLE_1) | instskip(NEXT) | instid1(VALU_DEP_1)
	s_or_b32 exec_lo, exec_lo, s34
	v_cmp_le_u32_e32 vcc_lo, s14, v45
	s_or_b32 s15, vcc_lo, s15
	s_delay_alu instid0(SALU_CYCLE_1)
	s_and_not1_b32 exec_lo, exec_lo, s15
	s_cbranch_execz .LBB37_48
.LBB37_12:                              ; =>This Loop Header: Depth=1
                                        ;     Child Loop BB37_17 Depth 2
                                        ;       Child Loop BB37_22 Depth 3
                                        ;     Child Loop BB37_46 Depth 2
	v_mov_b32_e32 v63, v47
	v_mov_b32_e32 v62, v47
	;; [unrolled: 1-line block ×4, first 2 shown]
	s_and_not1_b32 vcc_lo, exec_lo, s22
	s_mov_b32 s3, 0
	s_cbranch_vccnz .LBB37_29
; %bb.13:                               ;   in Loop: Header=BB37_12 Depth=1
	v_dual_mov_b32 v61, 0 :: v_dual_add_nc_u32 v6, 2, v45
	v_add_nc_u32_e32 v5, 1, v45
	v_add_nc_u32_e32 v7, 3, v45
	v_min_u32_e32 v8, s26, v45
	s_delay_alu instid0(VALU_DEP_4)
	v_min_u32_e32 v6, s26, v6
	s_waitcnt lgkmcnt(1)
	v_dual_mov_b32 v10, v47 :: v_dual_mov_b32 v63, 0
	v_cmp_gt_u32_e64 s1, s19, v45
	v_mul_lo_u32 v46, v8, s17
	v_mov_b32_e32 v8, v47
	s_waitcnt lgkmcnt(0)
	v_min_u32_e32 v9, s26, v7
	v_mul_lo_u32 v7, v6, s17
	v_mov_b32_e32 v6, v47
	v_min_u32_e32 v5, s26, v5
	v_mov_b32_e32 v60, 0
	v_mul_lo_u32 v9, v9, s17
	v_lshlrev_b64 v[48:49], 1, v[46:47]
	v_mov_b32_e32 v62, 0
	v_mul_lo_u32 v5, v5, s17
	v_lshlrev_b64 v[52:53], 1, v[7:8]
	s_mov_b32 s12, 0
	v_lshlrev_b64 v[54:55], 1, v[9:10]
	s_delay_alu instid0(VALU_DEP_3)
	v_lshlrev_b64 v[50:51], 1, v[5:6]
	s_branch .LBB37_17
.LBB37_14:                              ;   in Loop: Header=BB37_17 Depth=2
	s_or_b32 exec_lo, exec_lo, s34
.LBB37_15:                              ;   in Loop: Header=BB37_17 Depth=2
	s_delay_alu instid0(SALU_CYCLE_1)
	s_or_b32 exec_lo, exec_lo, s13
	s_waitcnt vmcnt(7) lgkmcnt(0)
	;;#ASMSTART
	v_dot2_f32_f16 v63, v37, v41, v63
	;;#ASMEND
	s_waitcnt vmcnt(6)
	;;#ASMSTART
	v_dot2_f32_f16 v62, v37, v29, v62
	;;#ASMEND
	s_waitcnt vmcnt(5)
	;; [unrolled: 4-line block ×3, first 2 shown]
	;;#ASMSTART
	v_dot2_f32_f16 v60, v37, v25, v60
	;;#ASMEND
	;;#ASMSTART
	v_dot2_f32_f16 v63, v38, v42, v63
	;;#ASMEND
	;; [unrolled: 3-line block ×13, first 2 shown]
	s_waitcnt vmcnt(3)
	;;#ASMSTART
	v_dot2_f32_f16 v63, v9, v21, v63
	;;#ASMEND
	s_waitcnt vmcnt(2)
	;;#ASMSTART
	v_dot2_f32_f16 v62, v9, v17, v62
	;;#ASMEND
	s_waitcnt vmcnt(1)
	;;#ASMSTART
	v_dot2_f32_f16 v61, v9, v13, v61
	;;#ASMEND
	s_waitcnt vmcnt(0)
	;;#ASMSTART
	v_dot2_f32_f16 v60, v9, v5, v60
	;;#ASMEND
	;;#ASMSTART
	v_dot2_f32_f16 v63, v10, v22, v63
	;;#ASMEND
	;;#ASMSTART
	v_dot2_f32_f16 v62, v10, v18, v62
	;;#ASMEND
	;; [unrolled: 3-line block ×12, first 2 shown]
.LBB37_16:                              ;   in Loop: Header=BB37_17 Depth=2
	s_or_b32 exec_lo, exec_lo, s2
	s_addk_i32 s12, 0x400
	s_delay_alu instid0(SALU_CYCLE_1)
	s_cmp_ge_u32 s12, s16
	s_cbranch_scc1 .LBB37_29
.LBB37_17:                              ;   Parent Loop BB37_12 Depth=1
                                        ; =>  This Loop Header: Depth=2
                                        ;       Child Loop BB37_22 Depth 3
	s_cmp_eq_u32 s12, 0
	s_cselect_b32 s13, -1, 0
	s_add_i32 s2, s3, s21
	s_delay_alu instid0(SALU_CYCLE_1) | instskip(SKIP_1) | instid1(SALU_CYCLE_1)
	s_cmp_eq_u32 s12, s2
	s_cselect_b32 s34, -1, 0
	s_or_b32 s34, s13, s34
	s_delay_alu instid0(SALU_CYCLE_1)
	s_and_not1_b32 vcc_lo, exec_lo, s34
	s_cbranch_vccz .LBB37_19
; %bb.18:                               ;   in Loop: Header=BB37_17 Depth=2
	s_and_saveexec_b32 s2, s1
	s_cbranch_execz .LBB37_16
	s_branch .LBB37_26
.LBB37_19:                              ;   in Loop: Header=BB37_17 Depth=2
	s_and_b32 s13, s13, exec_lo
	s_cselect_b32 s3, s3, s2
	s_and_not1_b32 vcc_lo, exec_lo, s23
	s_waitcnt vmcnt(0)
	s_waitcnt_vscnt null, 0x0
	s_barrier
	buffer_gl0_inv
	s_cbranch_vccnz .LBB37_25
; %bb.20:                               ;   in Loop: Header=BB37_17 Depth=2
	v_dual_mov_b32 v6, v56 :: v_dual_add_nc_u32 v5, s3, v57
	s_mov_b32 s13, 0
	s_mov_b32 s34, 0
                                        ; implicit-def: $sgpr35
	s_set_inst_prefetch_distance 0x1
	s_branch .LBB37_22
	.p2align	6
.LBB37_21:                              ;   in Loop: Header=BB37_22 Depth=3
	s_or_b32 exec_lo, exec_lo, s2
	s_delay_alu instid0(SALU_CYCLE_1) | instskip(NEXT) | instid1(SALU_CYCLE_1)
	s_and_b32 s2, exec_lo, s35
	s_or_b32 s13, s2, s13
	s_delay_alu instid0(SALU_CYCLE_1)
	s_and_not1_b32 exec_lo, exec_lo, s13
	s_cbranch_execz .LBB37_24
.LBB37_22:                              ;   Parent Loop BB37_12 Depth=1
                                        ;     Parent Loop BB37_17 Depth=2
                                        ; =>    This Inner Loop Header: Depth=3
	v_add_nc_u32_e32 v46, s34, v5
	v_add_nc_u32_e32 v7, s34, v57
	s_or_b32 s35, s35, exec_lo
	s_delay_alu instid0(VALU_DEP_2) | instskip(NEXT) | instid1(VALU_DEP_2)
	v_cmp_gt_u32_e32 vcc_lo, s18, v46
	v_cmp_gt_u32_e64 s2, s21, v7
	s_delay_alu instid0(VALU_DEP_1) | instskip(NEXT) | instid1(SALU_CYCLE_1)
	s_and_b32 s36, s2, vcc_lo
	s_and_saveexec_b32 s2, s36
	s_cbranch_execz .LBB37_21
; %bb.23:                               ;   in Loop: Header=BB37_22 Depth=3
	v_lshlrev_b64 v[7:8], 1, v[46:47]
	s_add_i32 s34, s34, s24
	s_delay_alu instid0(SALU_CYCLE_1) | instskip(SKIP_1) | instid1(VALU_DEP_1)
	s_cmp_ge_u32 s34, s21
	s_cselect_b32 s36, -1, 0
	v_add_co_u32 v7, vcc_lo, s6, v7
	s_delay_alu instid0(VALU_DEP_2) | instskip(SKIP_2) | instid1(SALU_CYCLE_1)
	v_add_co_ci_u32_e32 v8, vcc_lo, s7, v8, vcc_lo
	s_and_not1_b32 s35, s35, exec_lo
	s_and_b32 s36, s36, exec_lo
	s_or_b32 s35, s35, s36
	global_load_b128 v[7:10], v[7:8], off
	s_waitcnt vmcnt(0)
	ds_store_b128 v6, v[7:10]
	v_add_nc_u32_e32 v6, s33, v6
	s_branch .LBB37_21
.LBB37_24:                              ;   in Loop: Header=BB37_17 Depth=2
	s_set_inst_prefetch_distance 0x2
	s_or_b32 exec_lo, exec_lo, s13
.LBB37_25:                              ;   in Loop: Header=BB37_17 Depth=2
	s_waitcnt lgkmcnt(0)
	s_barrier
	buffer_gl0_inv
	s_and_saveexec_b32 s2, s1
	s_cbranch_execz .LBB37_16
.LBB37_26:                              ;   in Loop: Header=BB37_17 Depth=2
	v_add_nc_u32_e32 v64, s12, v0
	v_dual_mov_b32 v40, 0 :: v_dual_mov_b32 v39, 0
	s_mov_b32 s13, exec_lo
	s_delay_alu instid0(VALU_DEP_2) | instskip(SKIP_1) | instid1(VALU_DEP_2)
	v_min_u32_e32 v46, s25, v64
	v_add_nc_u32_e32 v65, 0x200, v64
	v_lshlrev_b64 v[5:6], 1, v[46:47]
	s_delay_alu instid0(VALU_DEP_2) | instskip(NEXT) | instid1(VALU_DEP_2)
	v_min_u32_e32 v46, s25, v65
	v_add_co_u32 v13, vcc_lo, s4, v5
	s_delay_alu instid0(VALU_DEP_3) | instskip(NEXT) | instid1(VALU_DEP_3)
	v_add_co_ci_u32_e32 v14, vcc_lo, s5, v6, vcc_lo
	v_lshlrev_b64 v[5:6], 1, v[46:47]
	s_delay_alu instid0(VALU_DEP_3) | instskip(NEXT) | instid1(VALU_DEP_3)
	v_add_co_u32 v7, vcc_lo, v13, v48
	v_add_co_ci_u32_e32 v8, vcc_lo, v14, v49, vcc_lo
	v_add_co_u32 v9, vcc_lo, v13, v50
	v_add_co_ci_u32_e32 v10, vcc_lo, v14, v51, vcc_lo
	;; [unrolled: 2-line block ×3, first 2 shown]
	s_waitcnt vmcnt(0)
	v_add_co_u32 v15, vcc_lo, s4, v5
	v_add_co_ci_u32_e32 v16, vcc_lo, s5, v6, vcc_lo
	v_add_co_u32 v5, vcc_lo, v13, v54
	v_add_co_ci_u32_e32 v6, vcc_lo, v14, v55, vcc_lo
	s_clause 0x1
	global_load_b128 v[41:44], v[7:8], off slc dlc
	global_load_b128 v[29:32], v[9:10], off slc dlc
	v_add_co_u32 v7, vcc_lo, v15, v48
	v_add_co_ci_u32_e32 v8, vcc_lo, v16, v49, vcc_lo
	v_add_co_u32 v9, vcc_lo, v15, v50
	v_add_co_ci_u32_e32 v10, vcc_lo, v16, v51, vcc_lo
	;; [unrolled: 2-line block ×4, first 2 shown]
	s_clause 0x5
	global_load_b128 v[33:36], v[11:12], off slc dlc
	global_load_b128 v[25:28], v[5:6], off slc dlc
	;; [unrolled: 1-line block ×6, first 2 shown]
	v_dual_mov_b32 v10, 0 :: v_dual_mov_b32 v9, 0
	v_dual_mov_b32 v11, 0 :: v_dual_mov_b32 v12, 0
	;; [unrolled: 1-line block ×3, first 2 shown]
	v_cmpx_gt_u32_e64 s16, v64
	s_cbranch_execz .LBB37_15
; %bb.27:                               ;   in Loop: Header=BB37_17 Depth=2
	v_subrev_nc_u32_e32 v9, s3, v64
	v_mov_b32_e32 v12, 0
	v_mov_b32_e32 v10, 0
	s_mov_b32 s34, exec_lo
	s_delay_alu instid0(VALU_DEP_3)
	v_dual_mov_b32 v11, 0 :: v_dual_lshlrev_b32 v46, 1, v9
	v_mov_b32_e32 v9, 0
	ds_load_b128 v[37:40], v46
	v_cmpx_gt_u32_e64 s16, v65
	s_cbranch_execz .LBB37_14
; %bb.28:                               ;   in Loop: Header=BB37_17 Depth=2
	ds_load_b128 v[9:12], v46 offset:1024
	s_branch .LBB37_14
.LBB37_29:                              ;   in Loop: Header=BB37_12 Depth=1
	s_mov_b32 s1, exec_lo
	v_cmpx_le_u32_e64 s19, v45
	s_xor_b32 s1, exec_lo, s1
; %bb.30:                               ;   in Loop: Header=BB37_12 Depth=1
	v_add_nc_u32_e32 v45, s27, v45
                                        ; implicit-def: $vgpr63
                                        ; implicit-def: $vgpr62
                                        ; implicit-def: $vgpr61
                                        ; implicit-def: $vgpr60
; %bb.31:                               ;   in Loop: Header=BB37_12 Depth=1
	s_and_not1_saveexec_b32 s34, s1
	s_cbranch_execz .LBB37_11
; %bb.32:                               ;   in Loop: Header=BB37_12 Depth=1
	v_cvt_i32_f32_e32 v5, v63
	v_cvt_i32_f32_e32 v6, v62
	;; [unrolled: 1-line block ×4, first 2 shown]
	s_delay_alu instid0(VALU_DEP_4) | instskip(NEXT) | instid1(VALU_DEP_4)
	v_cvt_f32_i32_dpp v5, v5 row_shr:8 row_mask:0xf bank_mask:0xf bound_ctrl:1
	v_cvt_f32_i32_dpp v6, v6 row_shr:8 row_mask:0xf bank_mask:0xf bound_ctrl:1
	s_delay_alu instid0(VALU_DEP_4) | instskip(NEXT) | instid1(VALU_DEP_4)
	v_cvt_f32_i32_dpp v7, v7 row_shr:8 row_mask:0xf bank_mask:0xf bound_ctrl:1
	v_cvt_f32_i32_dpp v8, v8 row_shr:8 row_mask:0xf bank_mask:0xf bound_ctrl:1
	s_delay_alu instid0(VALU_DEP_3) | instskip(NEXT) | instid1(VALU_DEP_2)
	v_dual_add_f32 v5, v63, v5 :: v_dual_add_f32 v6, v62, v6
	v_dual_add_f32 v7, v61, v7 :: v_dual_add_f32 v8, v60, v8
	s_waitcnt lgkmcnt(0)
	s_delay_alu instid0(VALU_DEP_2) | instskip(NEXT) | instid1(VALU_DEP_3)
	v_cvt_i32_f32_e32 v9, v5
	v_cvt_i32_f32_e32 v10, v6
	s_delay_alu instid0(VALU_DEP_3) | instskip(SKIP_1) | instid1(VALU_DEP_4)
	v_cvt_i32_f32_e32 v11, v7
	v_cvt_i32_f32_e32 v12, v8
	v_cvt_f32_i32_dpp v9, v9 row_shr:4 row_mask:0xf bank_mask:0xf bound_ctrl:1
	s_delay_alu instid0(VALU_DEP_4) | instskip(NEXT) | instid1(VALU_DEP_4)
	v_cvt_f32_i32_dpp v10, v10 row_shr:4 row_mask:0xf bank_mask:0xf bound_ctrl:1
	v_cvt_f32_i32_dpp v11, v11 row_shr:4 row_mask:0xf bank_mask:0xf bound_ctrl:1
	s_delay_alu instid0(VALU_DEP_4) | instskip(NEXT) | instid1(VALU_DEP_3)
	v_cvt_f32_i32_dpp v12, v12 row_shr:4 row_mask:0xf bank_mask:0xf bound_ctrl:1
	v_dual_add_f32 v5, v5, v9 :: v_dual_add_f32 v6, v6, v10
	s_delay_alu instid0(VALU_DEP_2) | instskip(NEXT) | instid1(VALU_DEP_2)
	v_dual_add_f32 v7, v7, v11 :: v_dual_add_f32 v8, v8, v12
	v_cvt_i32_f32_e32 v9, v5
	s_delay_alu instid0(VALU_DEP_3) | instskip(NEXT) | instid1(VALU_DEP_3)
	v_cvt_i32_f32_e32 v10, v6
	v_cvt_i32_f32_e32 v11, v7
	s_delay_alu instid0(VALU_DEP_4) | instskip(NEXT) | instid1(VALU_DEP_4)
	v_cvt_i32_f32_e32 v12, v8
	v_cvt_f32_i32_dpp v9, v9 row_shr:2 row_mask:0xf bank_mask:0xf bound_ctrl:1
	s_delay_alu instid0(VALU_DEP_4) | instskip(NEXT) | instid1(VALU_DEP_4)
	v_cvt_f32_i32_dpp v10, v10 row_shr:2 row_mask:0xf bank_mask:0xf bound_ctrl:1
	v_cvt_f32_i32_dpp v11, v11 row_shr:2 row_mask:0xf bank_mask:0xf bound_ctrl:1
	s_delay_alu instid0(VALU_DEP_4) | instskip(NEXT) | instid1(VALU_DEP_3)
	v_cvt_f32_i32_dpp v12, v12 row_shr:2 row_mask:0xf bank_mask:0xf bound_ctrl:1
	v_dual_add_f32 v5, v5, v9 :: v_dual_add_f32 v6, v6, v10
	s_delay_alu instid0(VALU_DEP_2) | instskip(SKIP_1) | instid1(VALU_DEP_3)
	v_dual_add_f32 v7, v7, v11 :: v_dual_add_f32 v8, v8, v12
	v_xor_b32_e32 v9, 16, v59
	v_cvt_i32_f32_e32 v10, v5
	s_delay_alu instid0(VALU_DEP_4) | instskip(NEXT) | instid1(VALU_DEP_4)
	v_cvt_i32_f32_e32 v11, v6
	v_cvt_i32_f32_e32 v12, v7
	;; [unrolled: 1-line block ×3, first 2 shown]
	v_cmp_gt_i32_e32 vcc_lo, 32, v9
	v_cvt_f32_i32_dpp v10, v10 row_shr:1 row_mask:0xf bank_mask:0xf bound_ctrl:1
	v_cvt_f32_i32_dpp v11, v11 row_shr:1 row_mask:0xf bank_mask:0xf bound_ctrl:1
	;; [unrolled: 1-line block ×4, first 2 shown]
	v_cndmask_b32_e32 v9, v59, v9, vcc_lo
	v_add_f32_e32 v13, v5, v10
	v_add_f32_e32 v11, v6, v11
	s_delay_alu instid0(VALU_DEP_4) | instskip(NEXT) | instid1(VALU_DEP_4)
	v_dual_add_f32 v7, v7, v12 :: v_dual_add_f32 v8, v8, v14
	v_lshlrev_b32_e32 v9, 2, v9
	ds_bpermute_b32 v14, v9, v13
	ds_bpermute_b32 v12, v9, v11
	;; [unrolled: 1-line block ×4, first 2 shown]
	s_and_saveexec_b32 s1, s0
	s_cbranch_execz .LBB37_43
; %bb.33:                               ;   in Loop: Header=BB37_12 Depth=1
	s_waitcnt vmcnt(0)
	v_dual_mov_b32 v15, 0 :: v_dual_add_nc_u32 v6, 2, v45
	v_dual_mov_b32 v16, 0 :: v_dual_add_nc_u32 v5, 3, v45
	v_dual_mov_b32 v17, 0 :: v_dual_mov_b32 v18, 0
	s_and_not1_b32 vcc_lo, exec_lo, s28
	s_cbranch_vccnz .LBB37_35
; %bb.34:                               ;   in Loop: Header=BB37_12 Depth=1
	v_mul_hi_u32 v15, v45, v58
	v_mul_hi_u32 v19, v5, v58
	;; [unrolled: 1-line block ×3, first 2 shown]
	s_delay_alu instid0(VALU_DEP_3) | instskip(NEXT) | instid1(VALU_DEP_3)
	v_mul_lo_u32 v15, v15, s20
	v_mul_lo_u32 v19, v19, s20
	s_delay_alu instid0(VALU_DEP_3) | instskip(NEXT) | instid1(VALU_DEP_3)
	v_mul_lo_u32 v17, v17, s20
	v_sub_nc_u32_e32 v15, v45, v15
	s_delay_alu instid0(VALU_DEP_2) | instskip(NEXT) | instid1(VALU_DEP_2)
	v_sub_nc_u32_e32 v17, v6, v17
	v_subrev_nc_u32_e32 v20, s20, v15
	v_cmp_le_u32_e32 vcc_lo, s20, v15
	s_delay_alu instid0(VALU_DEP_2) | instskip(NEXT) | instid1(VALU_DEP_1)
	v_dual_cndmask_b32 v15, v15, v20 :: v_dual_add_nc_u32 v16, 1, v45
	v_mul_hi_u32 v18, v16, v58
	v_subrev_nc_u32_e32 v20, s20, v17
	s_delay_alu instid0(VALU_DEP_3) | instskip(NEXT) | instid1(VALU_DEP_3)
	v_subrev_nc_u32_e32 v21, s20, v15
	v_mul_lo_u32 v18, v18, s20
	s_delay_alu instid0(VALU_DEP_1) | instskip(SKIP_1) | instid1(VALU_DEP_2)
	v_sub_nc_u32_e32 v16, v16, v18
	v_sub_nc_u32_e32 v18, v5, v19
	v_subrev_nc_u32_e32 v19, s20, v16
	v_cmp_le_u32_e32 vcc_lo, s20, v16
	s_delay_alu instid0(VALU_DEP_3) | instskip(NEXT) | instid1(VALU_DEP_3)
	v_subrev_nc_u32_e32 v22, s20, v18
	v_cndmask_b32_e32 v19, v16, v19, vcc_lo
	v_cmp_le_u32_e32 vcc_lo, s20, v15
	v_cndmask_b32_e32 v46, v15, v21, vcc_lo
	v_cmp_le_u32_e32 vcc_lo, s20, v17
	s_delay_alu instid0(VALU_DEP_2)
	v_lshlrev_b64 v[15:16], 1, v[46:47]
	v_cndmask_b32_e32 v20, v17, v20, vcc_lo
	v_cmp_le_u32_e32 vcc_lo, s20, v18
	v_subrev_nc_u32_e32 v17, s20, v19
	v_cndmask_b32_e32 v21, v18, v22, vcc_lo
	v_cmp_le_u32_e32 vcc_lo, s20, v19
	s_delay_alu instid0(VALU_DEP_2) | instskip(NEXT) | instid1(VALU_DEP_4)
	v_subrev_nc_u32_e32 v22, s20, v21
	v_cndmask_b32_e32 v46, v19, v17, vcc_lo
	v_subrev_nc_u32_e32 v19, s20, v20
	v_cmp_le_u32_e32 vcc_lo, s20, v20
	s_delay_alu instid0(VALU_DEP_3) | instskip(NEXT) | instid1(VALU_DEP_3)
	v_lshlrev_b64 v[17:18], 1, v[46:47]
	v_cndmask_b32_e32 v46, v20, v19, vcc_lo
	v_add_co_u32 v15, vcc_lo, s8, v15
	v_add_co_ci_u32_e32 v16, vcc_lo, s9, v16, vcc_lo
	v_cmp_le_u32_e32 vcc_lo, s20, v21
	s_delay_alu instid0(VALU_DEP_4) | instskip(SKIP_3) | instid1(VALU_DEP_3)
	v_lshlrev_b64 v[19:20], 1, v[46:47]
	v_cndmask_b32_e32 v46, v21, v22, vcc_lo
	v_add_co_u32 v21, vcc_lo, s8, v17
	v_add_co_ci_u32_e32 v22, vcc_lo, s9, v18, vcc_lo
	v_lshlrev_b64 v[17:18], 1, v[46:47]
	v_add_co_u32 v19, vcc_lo, s8, v19
	v_add_co_ci_u32_e32 v20, vcc_lo, s9, v20, vcc_lo
	s_delay_alu instid0(VALU_DEP_3) | instskip(NEXT) | instid1(VALU_DEP_4)
	v_add_co_u32 v23, vcc_lo, s8, v17
	v_add_co_ci_u32_e32 v24, vcc_lo, s9, v18, vcc_lo
	s_clause 0x3
	global_load_u16 v18, v[15:16], off
	global_load_u16 v17, v[21:22], off
	;; [unrolled: 1-line block ×4, first 2 shown]
.LBB37_35:                              ;   in Loop: Header=BB37_12 Depth=1
	s_mov_b32 s2, exec_lo
	v_cmpx_ne_u32_e32 0, v1
	s_cbranch_execz .LBB37_37
; %bb.36:                               ;   in Loop: Header=BB37_12 Depth=1
	s_waitcnt lgkmcnt(3)
	v_dual_add_f32 v13, v13, v14 :: v_dual_mov_b32 v46, v47
	s_waitcnt vmcnt(3)
	v_cvt_f32_f16_e32 v14, v18
	s_delay_alu instid0(VALU_DEP_1) | instskip(NEXT) | instid1(VALU_DEP_3)
	v_add_f32_e32 v18, v13, v14
	v_lshlrev_b64 v[13:14], 1, v[45:46]
	s_delay_alu instid0(VALU_DEP_2) | instskip(NEXT) | instid1(VALU_DEP_2)
	v_cvt_f16_f32_e32 v18, v18
	v_add_co_u32 v13, vcc_lo, s10, v13
	s_delay_alu instid0(VALU_DEP_3)
	v_add_co_ci_u32_e32 v14, vcc_lo, s11, v14, vcc_lo
	global_store_b16 v[13:14], v18, off
.LBB37_37:                              ;   in Loop: Header=BB37_12 Depth=1
	s_or_b32 exec_lo, exec_lo, s2
	s_delay_alu instid0(SALU_CYCLE_1)
	s_mov_b32 s2, exec_lo
	v_cmpx_ne_u32_e32 0, v2
	s_cbranch_execz .LBB37_39
; %bb.38:                               ;   in Loop: Header=BB37_12 Depth=1
	s_waitcnt lgkmcnt(2)
	v_add_f32_e32 v11, v11, v12
	s_waitcnt vmcnt(2)
	v_cvt_f32_f16_e32 v12, v17
	v_mov_b32_e32 v46, v47
	s_delay_alu instid0(VALU_DEP_2) | instskip(NEXT) | instid1(VALU_DEP_2)
	v_add_f32_e32 v13, v11, v12
	v_lshlrev_b64 v[11:12], 1, v[45:46]
	s_delay_alu instid0(VALU_DEP_2) | instskip(NEXT) | instid1(VALU_DEP_2)
	v_cvt_f16_f32_e32 v13, v13
	v_add_co_u32 v11, vcc_lo, s30, v11
	s_delay_alu instid0(VALU_DEP_3)
	v_add_co_ci_u32_e32 v12, vcc_lo, s31, v12, vcc_lo
	global_store_b16 v[11:12], v13, off
.LBB37_39:                              ;   in Loop: Header=BB37_12 Depth=1
	s_or_b32 exec_lo, exec_lo, s2
	s_delay_alu instid0(SALU_CYCLE_1)
	s_mov_b32 s2, exec_lo
	v_cmpx_ne_u32_e32 0, v3
	s_cbranch_execz .LBB37_41
; %bb.40:                               ;   in Loop: Header=BB37_12 Depth=1
	s_waitcnt lgkmcnt(1)
	v_add_f32_e32 v10, v7, v10
	s_waitcnt vmcnt(1)
	v_cvt_f32_f16_e32 v11, v16
	s_delay_alu instid0(VALU_DEP_1) | instskip(NEXT) | instid1(VALU_DEP_1)
	v_dual_mov_b32 v7, v47 :: v_dual_add_f32 v10, v10, v11
	v_lshlrev_b64 v[6:7], 1, v[6:7]
	s_delay_alu instid0(VALU_DEP_2) | instskip(NEXT) | instid1(VALU_DEP_2)
	v_cvt_f16_f32_e32 v10, v10
	v_add_co_u32 v6, vcc_lo, s10, v6
	s_delay_alu instid0(VALU_DEP_3)
	v_add_co_ci_u32_e32 v7, vcc_lo, s11, v7, vcc_lo
	global_store_b16 v[6:7], v10, off
.LBB37_41:                              ;   in Loop: Header=BB37_12 Depth=1
	s_or_b32 exec_lo, exec_lo, s2
	v_cmp_ne_u32_e32 vcc_lo, 0, v4
	s_and_b32 exec_lo, exec_lo, vcc_lo
	s_cbranch_execz .LBB37_43
; %bb.42:                               ;   in Loop: Header=BB37_12 Depth=1
	s_waitcnt lgkmcnt(0)
	v_dual_add_f32 v7, v8, v9 :: v_dual_mov_b32 v6, v47
	s_waitcnt vmcnt(0)
	v_cvt_f32_f16_e32 v8, v15
	s_delay_alu instid0(VALU_DEP_2) | instskip(NEXT) | instid1(VALU_DEP_2)
	v_lshlrev_b64 v[5:6], 1, v[5:6]
	v_add_f32_e32 v7, v7, v8
	s_delay_alu instid0(VALU_DEP_1) | instskip(NEXT) | instid1(VALU_DEP_3)
	v_cvt_f16_f32_e32 v7, v7
	v_add_co_u32 v5, vcc_lo, s10, v5
	s_delay_alu instid0(VALU_DEP_4)
	v_add_co_ci_u32_e32 v6, vcc_lo, s11, v6, vcc_lo
	global_store_b16 v[5:6], v7, off
.LBB37_43:                              ;   in Loop: Header=BB37_12 Depth=1
	s_or_b32 exec_lo, exec_lo, s1
	v_add_nc_u32_e32 v45, s27, v45
	s_delay_alu instid0(VALU_DEP_1) | instskip(SKIP_1) | instid1(VALU_DEP_2)
	v_add_nc_u32_e32 v5, 4, v45
	v_cmp_gt_u32_e32 vcc_lo, s19, v45
	v_cmp_le_u32_e64 s1, s19, v5
	s_delay_alu instid0(VALU_DEP_1) | instskip(NEXT) | instid1(SALU_CYCLE_1)
	s_and_b32 s1, vcc_lo, s1
	s_and_saveexec_b32 s35, s1
	s_cbranch_execz .LBB37_10
; %bb.44:                               ;   in Loop: Header=BB37_12 Depth=1
	s_mov_b32 s36, exec_lo
	v_cmpx_ne_u32_e64 s29, v45
	s_cbranch_execz .LBB37_9
; %bb.45:                               ;   in Loop: Header=BB37_12 Depth=1
	v_subrev_nc_u32_e32 v5, s29, v45
	s_mov_b32 s37, 0
	s_mov_b64 s[12:13], 0
	s_delay_alu instid0(VALU_DEP_1)
	v_cmp_lt_u32_e32 vcc_lo, 1, v5
	v_cndmask_b32_e32 v5, 1, v5, vcc_lo
	.p2align	6
.LBB37_46:                              ;   Parent Loop BB37_12 Depth=1
                                        ; =>  This Inner Loop Header: Depth=2
	s_cmp_lg_u32 s12, 3
	s_cselect_b32 vcc_lo, -1, 0
	s_cmp_lg_u32 s12, 2
	v_cndmask_b32_e32 v4, 0, v4, vcc_lo
	s_cselect_b32 s1, -1, 0
	s_cmp_lg_u32 s12, 1
	v_cndmask_b32_e64 v3, 0, v3, s1
	s_cselect_b32 s2, -1, 0
	s_cmp_lg_u32 s12, 0
	v_cndmask_b32_e64 v2, 0, v2, s2
	s_cselect_b32 s3, -1, 0
	s_add_u32 s12, s12, 1
	v_cndmask_b32_e64 v1, 0, v1, s3
	v_cmp_eq_u32_e32 vcc_lo, s12, v5
	s_addc_u32 s13, s13, 0
	s_or_b32 s37, vcc_lo, s37
	s_delay_alu instid0(SALU_CYCLE_1)
	s_and_not1_b32 exec_lo, exec_lo, s37
	s_cbranch_execnz .LBB37_46
; %bb.47:                               ;   in Loop: Header=BB37_12 Depth=1
	s_or_b32 exec_lo, exec_lo, s37
	s_branch .LBB37_9
.LBB37_48:
	s_nop 0
	s_sendmsg sendmsg(MSG_DEALLOC_VGPRS)
	s_endpgm
	.section	.rodata,"a",@progbits
	.p2align	6, 0x0
	.amdhsa_kernel _Z16wvSplitK_hf_big_I6__halfLi64ELi4ELi16ELi8ELi2ELi1EEviiiiiiPKT_S3_S3_PS1_ii
		.amdhsa_group_segment_fixed_size 65536
		.amdhsa_private_segment_fixed_size 0
		.amdhsa_kernarg_size 64
		.amdhsa_user_sgpr_count 15
		.amdhsa_user_sgpr_dispatch_ptr 0
		.amdhsa_user_sgpr_queue_ptr 0
		.amdhsa_user_sgpr_kernarg_segment_ptr 1
		.amdhsa_user_sgpr_dispatch_id 0
		.amdhsa_user_sgpr_private_segment_size 0
		.amdhsa_wavefront_size32 1
		.amdhsa_uses_dynamic_stack 0
		.amdhsa_enable_private_segment 0
		.amdhsa_system_sgpr_workgroup_id_x 1
		.amdhsa_system_sgpr_workgroup_id_y 0
		.amdhsa_system_sgpr_workgroup_id_z 0
		.amdhsa_system_sgpr_workgroup_info 0
		.amdhsa_system_vgpr_workitem_id 1
		.amdhsa_next_free_vgpr 66
		.amdhsa_next_free_sgpr 38
		.amdhsa_reserve_vcc 1
		.amdhsa_float_round_mode_32 0
		.amdhsa_float_round_mode_16_64 0
		.amdhsa_float_denorm_mode_32 3
		.amdhsa_float_denorm_mode_16_64 3
		.amdhsa_dx10_clamp 1
		.amdhsa_ieee_mode 1
		.amdhsa_fp16_overflow 0
		.amdhsa_workgroup_processor_mode 1
		.amdhsa_memory_ordered 1
		.amdhsa_forward_progress 0
		.amdhsa_shared_vgpr_count 0
		.amdhsa_exception_fp_ieee_invalid_op 0
		.amdhsa_exception_fp_denorm_src 0
		.amdhsa_exception_fp_ieee_div_zero 0
		.amdhsa_exception_fp_ieee_overflow 0
		.amdhsa_exception_fp_ieee_underflow 0
		.amdhsa_exception_fp_ieee_inexact 0
		.amdhsa_exception_int_div_zero 0
	.end_amdhsa_kernel
	.section	.text._Z16wvSplitK_hf_big_I6__halfLi64ELi4ELi16ELi8ELi2ELi1EEviiiiiiPKT_S3_S3_PS1_ii,"axG",@progbits,_Z16wvSplitK_hf_big_I6__halfLi64ELi4ELi16ELi8ELi2ELi1EEviiiiiiPKT_S3_S3_PS1_ii,comdat
.Lfunc_end37:
	.size	_Z16wvSplitK_hf_big_I6__halfLi64ELi4ELi16ELi8ELi2ELi1EEviiiiiiPKT_S3_S3_PS1_ii, .Lfunc_end37-_Z16wvSplitK_hf_big_I6__halfLi64ELi4ELi16ELi8ELi2ELi1EEviiiiiiPKT_S3_S3_PS1_ii
                                        ; -- End function
	.section	.AMDGPU.csdata,"",@progbits
; Kernel info:
; codeLenInByte = 3568
; NumSgprs: 40
; NumVgprs: 66
; ScratchSize: 0
; MemoryBound: 0
; FloatMode: 240
; IeeeMode: 1
; LDSByteSize: 65536 bytes/workgroup (compile time only)
; SGPRBlocks: 4
; VGPRBlocks: 8
; NumSGPRsForWavesPerEU: 40
; NumVGPRsForWavesPerEU: 66
; Occupancy: 16
; WaveLimiterHint : 0
; COMPUTE_PGM_RSRC2:SCRATCH_EN: 0
; COMPUTE_PGM_RSRC2:USER_SGPR: 15
; COMPUTE_PGM_RSRC2:TRAP_HANDLER: 0
; COMPUTE_PGM_RSRC2:TGID_X_EN: 1
; COMPUTE_PGM_RSRC2:TGID_Y_EN: 0
; COMPUTE_PGM_RSRC2:TGID_Z_EN: 0
; COMPUTE_PGM_RSRC2:TIDIG_COMP_CNT: 1
	.section	.text._Z16wvSplitK_hf_sml_I6__halfLi32ELi1ELi16ELi8ELi4ELi2EEviiiiiiPKT_S3_S3_PS1_ii,"axG",@progbits,_Z16wvSplitK_hf_sml_I6__halfLi32ELi1ELi16ELi8ELi4ELi2EEviiiiiiPKT_S3_S3_PS1_ii,comdat
	.protected	_Z16wvSplitK_hf_sml_I6__halfLi32ELi1ELi16ELi8ELi4ELi2EEviiiiiiPKT_S3_S3_PS1_ii ; -- Begin function _Z16wvSplitK_hf_sml_I6__halfLi32ELi1ELi16ELi8ELi4ELi2EEviiiiiiPKT_S3_S3_PS1_ii
	.globl	_Z16wvSplitK_hf_sml_I6__halfLi32ELi1ELi16ELi8ELi4ELi2EEviiiiiiPKT_S3_S3_PS1_ii
	.p2align	8
	.type	_Z16wvSplitK_hf_sml_I6__halfLi32ELi1ELi16ELi8ELi4ELi2EEviiiiiiPKT_S3_S3_PS1_ii,@function
_Z16wvSplitK_hf_sml_I6__halfLi32ELi1ELi16ELi8ELi4ELi2EEviiiiiiPKT_S3_S3_PS1_ii: ; @_Z16wvSplitK_hf_sml_I6__halfLi32ELi1ELi16ELi8ELi4ELi2EEviiiiiiPKT_S3_S3_PS1_ii
; %bb.0:
	s_load_b128 s[4:7], s[0:1], 0x0
	v_and_b32_e32 v1, 0x3ff, v0
	v_bfe_u32 v0, v0, 10, 10
	s_mov_b32 s8, exec_lo
	s_delay_alu instid0(VALU_DEP_2) | instskip(NEXT) | instid1(VALU_DEP_1)
	v_lshlrev_b32_e32 v52, 3, v1
	v_lshl_add_u32 v3, v0, 8, v52
	s_waitcnt lgkmcnt(0)
	s_lshl_b32 s6, s6, 1
	s_delay_alu instid0(SALU_CYCLE_1)
	s_min_u32 s9, s6, 0x8000
	s_delay_alu instid0(VALU_DEP_1) | instid1(SALU_CYCLE_1)
	v_cmpx_gt_u32_e64 s9, v3
	s_cbranch_execz .LBB38_9
; %bb.1:
	s_load_b64 s[2:3], s[0:1], 0x20
	v_lshlrev_b32_e32 v2, 1, v3
	v_add_nc_u32_e32 v8, 0x1000, v3
	s_mov_b32 s10, exec_lo
	s_waitcnt lgkmcnt(0)
	global_load_b128 v[4:7], v2, s[2:3]
	s_waitcnt vmcnt(0)
	ds_store_b128 v2, v[4:7]
	v_cmpx_gt_u32_e64 s9, v8
	s_xor_b32 s10, exec_lo, s10
	s_cbranch_execz .LBB38_9
; %bb.2:
	v_add_co_u32 v4, s2, s2, v2
	s_delay_alu instid0(VALU_DEP_1) | instskip(SKIP_1) | instid1(VALU_DEP_3)
	v_add_co_ci_u32_e64 v5, null, s3, 0, s2
	v_add_nc_u32_e32 v10, 0x2000, v3
	v_add_co_u32 v6, vcc_lo, 0x2000, v4
	s_delay_alu instid0(VALU_DEP_3)
	v_add_co_ci_u32_e32 v7, vcc_lo, 0, v5, vcc_lo
	s_mov_b32 s2, exec_lo
	global_load_b128 v[6:9], v[6:7], off
	s_waitcnt vmcnt(0)
	ds_store_b128 v2, v[6:9] offset:8192
	v_cmpx_gt_u32_e64 s9, v10
	s_xor_b32 s2, exec_lo, s2
	s_cbranch_execz .LBB38_9
; %bb.3:
	v_add_co_u32 v6, vcc_lo, 0x4000, v4
	v_add_co_ci_u32_e32 v7, vcc_lo, 0, v5, vcc_lo
	v_add_nc_u32_e32 v10, 0x3000, v3
	s_mov_b32 s2, exec_lo
	global_load_b128 v[6:9], v[6:7], off
	s_waitcnt vmcnt(0)
	ds_store_b128 v2, v[6:9] offset:16384
	v_cmpx_gt_u32_e64 s9, v10
	s_xor_b32 s2, exec_lo, s2
	s_cbranch_execz .LBB38_9
; %bb.4:
	v_add_co_u32 v6, vcc_lo, 0x6000, v4
	v_add_co_ci_u32_e32 v7, vcc_lo, 0, v5, vcc_lo
	v_add_nc_u32_e32 v10, 0x4000, v3
	;; [unrolled: 11-line block ×5, first 2 shown]
	s_mov_b32 s2, exec_lo
	global_load_b128 v[6:9], v[6:7], off
	s_waitcnt vmcnt(0)
	ds_store_b128 v2, v[6:9] offset:49152
	v_cmpx_gt_u32_e64 s9, v3
	s_xor_b32 s2, exec_lo, s2
	s_cbranch_execz .LBB38_9
; %bb.8:
	v_add_co_u32 v3, vcc_lo, 0xe000, v4
	v_add_co_ci_u32_e32 v4, vcc_lo, 0, v5, vcc_lo
	global_load_b128 v[3:6], v[3:4], off
	s_waitcnt vmcnt(0)
	ds_store_b128 v2, v[3:6] offset:57344
.LBB38_9:
	s_or_b32 exec_lo, exec_lo, s8
	s_load_b64 s[16:17], s[0:1], 0x38
	s_waitcnt lgkmcnt(0)
	s_barrier
	buffer_gl0_inv
	s_mov_b32 s2, exec_lo
	v_cmpx_gt_u32_e64 s16, v0
	s_cbranch_execz .LBB38_30
; %bb.10:
	s_load_b64 s[2:3], s[0:1], 0x10
	v_mad_u64_u32 v[48:49], null, s15, s16, v[0:1]
	s_delay_alu instid0(VALU_DEP_1)
	v_cmp_gt_u32_e32 vcc_lo, s7, v48
	s_and_b32 exec_lo, exec_lo, vcc_lo
	s_cbranch_execz .LBB38_30
; %bb.11:
	s_waitcnt lgkmcnt(0)
	v_cvt_f32_u32_e32 v0, s2
	s_clause 0x1
	s_load_b128 s[8:11], s[0:1], 0x28
	s_load_b64 s[12:13], s[0:1], 0x18
	s_cmp_lg_u32 s4, 0
	v_lshlrev_b32_e32 v53, 4, v1
	v_rcp_iflag_f32_e32 v0, v0
	s_cselect_b32 s1, -1, 0
	s_add_i32 s14, s4, -8
	s_add_i32 s15, s7, -1
	v_mbcnt_lo_u32_b32 v55, -1, 0
	s_mov_b32 s19, 0
	s_waitcnt_depctr 0xfff
	v_dual_mov_b32 v51, 0 :: v_dual_mul_f32 v0, 0x4f7ffffe, v0
	s_delay_alu instid0(VALU_DEP_1)
	v_cvt_u32_f32_e32 v0, v0
	s_waitcnt lgkmcnt(0)
	s_cmp_lg_u64 s[8:9], 0
	s_cselect_b32 s18, -1, 0
	s_sub_i32 s0, 0, s2
	s_abs_i32 s3, s3
	v_mul_lo_u32 v2, s0, v0
	s_sub_i32 s20, 1, s3
	s_cmp_lt_u32 s3, 2
	v_cmp_eq_u32_e64 s0, 31, v1
	s_cselect_b32 s20, s20, 1
	s_delay_alu instid0(SALU_CYCLE_1) | instskip(SKIP_1) | instid1(VALU_DEP_2)
	s_sub_i32 s21, s20, s3
	s_cmp_ge_u32 s20, s3
	v_mul_hi_u32 v2, v0, v2
	s_cselect_b32 s20, s21, s20
	s_mul_i32 s3, s17, s16
	s_mul_i32 s16, s20, s2
	s_delay_alu instid0(VALU_DEP_1)
	v_add_nc_u32_e32 v54, v0, v2
	s_branch .LBB38_14
.LBB38_12:                              ;   in Loop: Header=BB38_14 Depth=1
	s_waitcnt lgkmcnt(1)
	v_add_f32_e32 v2, v2, v3
	s_waitcnt vmcnt(1)
	v_cvt_f32_f16_e32 v3, v5
	s_waitcnt lgkmcnt(0)
	v_dual_add_f32 v5, v0, v1 :: v_dual_add_nc_u32 v50, s7, v48
	v_lshlrev_b64 v[0:1], 1, v[48:49]
	s_waitcnt vmcnt(0)
	v_cvt_f32_f16_e32 v4, v4
	v_add_f32_e32 v6, v2, v3
	v_lshlrev_b64 v[2:3], 1, v[50:51]
	s_delay_alu instid0(VALU_DEP_3) | instskip(SKIP_2) | instid1(VALU_DEP_4)
	v_add_f32_e32 v4, v5, v4
	v_add_co_u32 v0, vcc_lo, s10, v0
	v_add_co_ci_u32_e32 v1, vcc_lo, s11, v1, vcc_lo
	v_add_co_u32 v2, vcc_lo, s10, v2
	v_cvt_f16_f32_e32 v5, v6
	v_cvt_f16_f32_e32 v4, v4
	v_add_co_ci_u32_e32 v3, vcc_lo, s11, v3, vcc_lo
	s_clause 0x1
	global_store_b16 v[0:1], v5, off
	global_store_b16 v[2:3], v4, off
.LBB38_13:                              ;   in Loop: Header=BB38_14 Depth=1
	s_or_b32 exec_lo, exec_lo, s17
	v_add_nc_u32_e32 v48, s3, v48
	s_delay_alu instid0(VALU_DEP_1) | instskip(SKIP_1) | instid1(SALU_CYCLE_1)
	v_cmp_le_u32_e32 vcc_lo, s7, v48
	s_or_b32 s19, vcc_lo, s19
	s_and_not1_b32 exec_lo, exec_lo, s19
	s_cbranch_execz .LBB38_30
.LBB38_14:                              ; =>This Loop Header: Depth=1
                                        ;     Child Loop BB38_20 Depth 2
	v_mov_b32_e32 v56, v51
	v_mov_b32_e32 v49, v51
	s_and_not1_b32 vcc_lo, exec_lo, s1
	s_cbranch_vccnz .LBB38_25
; %bb.15:                               ;   in Loop: Header=BB38_14 Depth=1
	v_min_u32_e32 v0, s15, v48
	v_dual_mov_b32 v49, 0 :: v_dual_mov_b32 v56, 0
	v_mov_b32_e32 v57, v53
	s_mov_b32 s17, 0
	s_delay_alu instid0(VALU_DEP_3) | instskip(SKIP_1) | instid1(VALU_DEP_1)
	v_mul_lo_u32 v50, v0, s5
	s_waitcnt lgkmcnt(0)
	v_lshlrev_b64 v[0:1], 1, v[50:51]
	s_delay_alu instid0(VALU_DEP_1) | instskip(NEXT) | instid1(VALU_DEP_2)
	v_add_co_u32 v58, vcc_lo, s12, v0
	v_add_co_ci_u32_e32 v59, vcc_lo, s13, v1, vcc_lo
	s_branch .LBB38_20
.LBB38_16:                              ;   in Loop: Header=BB38_20 Depth=2
	s_or_b32 exec_lo, exec_lo, s23
.LBB38_17:                              ;   in Loop: Header=BB38_20 Depth=2
	s_delay_alu instid0(SALU_CYCLE_1)
	s_or_b32 exec_lo, exec_lo, s22
.LBB38_18:                              ;   in Loop: Header=BB38_20 Depth=2
	s_delay_alu instid0(SALU_CYCLE_1)
	s_or_b32 exec_lo, exec_lo, s21
.LBB38_19:                              ;   in Loop: Header=BB38_20 Depth=2
	s_delay_alu instid0(SALU_CYCLE_1)
	s_or_b32 exec_lo, exec_lo, s20
	s_waitcnt vmcnt(3) lgkmcnt(1)
	;;#ASMSTART
	v_dot2_f32_f16 v49, v40, v16, v49
	;;#ASMEND
	s_waitcnt lgkmcnt(0)
	;;#ASMSTART
	v_dot2_f32_f16 v56, v44, v16, v56
	;;#ASMEND
	;;#ASMSTART
	v_dot2_f32_f16 v49, v41, v17, v49
	;;#ASMEND
	;; [unrolled: 3-line block ×7, first 2 shown]
	s_waitcnt vmcnt(2)
	;;#ASMSTART
	v_dot2_f32_f16 v49, v36, v12, v49
	;;#ASMEND
	;;#ASMSTART
	v_dot2_f32_f16 v56, v28, v12, v56
	;;#ASMEND
	;;#ASMSTART
	v_dot2_f32_f16 v49, v37, v13, v49
	;;#ASMEND
	;;#ASMSTART
	v_dot2_f32_f16 v56, v29, v13, v56
	;;#ASMEND
	;;#ASMSTART
	v_dot2_f32_f16 v49, v38, v14, v49
	;;#ASMEND
	;;#ASMSTART
	v_dot2_f32_f16 v56, v30, v14, v56
	;;#ASMEND
	;;#ASMSTART
	v_dot2_f32_f16 v49, v39, v15, v49
	;;#ASMEND
	;;#ASMSTART
	v_dot2_f32_f16 v56, v31, v15, v56
	;;#ASMEND
	s_waitcnt vmcnt(1)
	;;#ASMSTART
	v_dot2_f32_f16 v49, v32, v4, v49
	;;#ASMEND
	;;#ASMSTART
	v_dot2_f32_f16 v56, v24, v4, v56
	;;#ASMEND
	;;#ASMSTART
	v_dot2_f32_f16 v49, v33, v5, v49
	;;#ASMEND
	;;#ASMSTART
	v_dot2_f32_f16 v56, v25, v5, v56
	;;#ASMEND
	;;#ASMSTART
	v_dot2_f32_f16 v49, v34, v6, v49
	;;#ASMEND
	;;#ASMSTART
	v_dot2_f32_f16 v56, v26, v6, v56
	;;#ASMEND
	v_add_nc_u32_e32 v57, 0x800, v57
	;;#ASMSTART
	v_dot2_f32_f16 v49, v35, v7, v49
	;;#ASMEND
	;;#ASMSTART
	v_dot2_f32_f16 v56, v27, v7, v56
	;;#ASMEND
	s_addk_i32 s17, 0x400
	s_waitcnt vmcnt(0)
	;;#ASMSTART
	v_dot2_f32_f16 v49, v20, v0, v49
	;;#ASMEND
	;;#ASMSTART
	v_dot2_f32_f16 v56, v8, v0, v56
	;;#ASMEND
	;; [unrolled: 3-line block ×4, first 2 shown]
	s_cmp_ge_u32 s17, s4
	;;#ASMSTART
	v_dot2_f32_f16 v49, v22, v2, v49
	;;#ASMEND
	;;#ASMSTART
	v_dot2_f32_f16 v56, v10, v2, v56
	;;#ASMEND
	;; [unrolled: 3-line block ×4, first 2 shown]
	s_cbranch_scc1 .LBB38_25
.LBB38_20:                              ;   Parent Loop BB38_14 Depth=1
                                        ; =>  This Inner Loop Header: Depth=2
	v_dual_mov_b32 v43, 0 :: v_dual_add_nc_u32 v10, s17, v52
	v_dual_mov_b32 v36, 0 :: v_dual_mov_b32 v33, 0
	v_dual_mov_b32 v38, 0 :: v_dual_mov_b32 v35, 0
	s_delay_alu instid0(VALU_DEP_3) | instskip(SKIP_2) | instid1(VALU_DEP_3)
	v_min_u32_e32 v50, s14, v10
	v_dual_mov_b32 v37, 0 :: v_dual_add_nc_u32 v62, 0x100, v10
	v_dual_mov_b32 v42, 0 :: v_dual_add_nc_u32 v61, 0x200, v10
	v_lshlrev_b64 v[0:1], 1, v[50:51]
	s_delay_alu instid0(VALU_DEP_3) | instskip(SKIP_2) | instid1(VALU_DEP_3)
	v_min_u32_e32 v50, s14, v62
	v_dual_mov_b32 v39, 0 :: v_dual_add_nc_u32 v60, 0x300, v10
	v_dual_mov_b32 v32, 0 :: v_dual_mov_b32 v21, 0
	v_lshlrev_b64 v[2:3], 1, v[50:51]
	v_min_u32_e32 v50, s14, v61
	v_add_co_u32 v0, vcc_lo, v58, v0
	v_add_co_ci_u32_e32 v1, vcc_lo, v59, v1, vcc_lo
	s_delay_alu instid0(VALU_DEP_3) | instskip(SKIP_3) | instid1(VALU_DEP_3)
	v_lshlrev_b64 v[4:5], 1, v[50:51]
	v_min_u32_e32 v50, s14, v60
	v_add_co_u32 v2, vcc_lo, v58, v2
	v_add_co_ci_u32_e32 v3, vcc_lo, v59, v3, vcc_lo
	v_lshlrev_b64 v[6:7], 1, v[50:51]
	v_add_co_u32 v4, vcc_lo, v58, v4
	v_add_co_ci_u32_e32 v5, vcc_lo, v59, v5, vcc_lo
	v_dual_mov_b32 v34, 0 :: v_dual_mov_b32 v23, 0
	s_delay_alu instid0(VALU_DEP_4)
	v_add_co_u32 v8, vcc_lo, v58, v6
	v_add_co_ci_u32_e32 v9, vcc_lo, v59, v7, vcc_lo
	s_clause 0x3
	global_load_b128 v[16:19], v[0:1], off slc dlc
	global_load_b128 v[12:15], v[2:3], off slc dlc
	global_load_b128 v[4:7], v[4:5], off slc dlc
	global_load_b128 v[0:3], v[8:9], off slc dlc
	v_cmp_gt_u32_e32 vcc_lo, s4, v10
	v_dual_mov_b32 v20, 0 :: v_dual_mov_b32 v45, 0
	v_dual_mov_b32 v22, 0 :: v_dual_mov_b32 v47, 0
	;; [unrolled: 1-line block ×9, first 2 shown]
	v_mov_b32_e32 v10, 0
	v_mov_b32_e32 v40, 0
	s_and_saveexec_b32 s20, vcc_lo
	s_cbranch_execz .LBB38_19
; %bb.21:                               ;   in Loop: Header=BB38_20 Depth=2
	v_dual_mov_b32 v11, 0 :: v_dual_add_nc_u32 v50, s6, v57
	v_cmp_gt_u32_e32 vcc_lo, s4, v62
	v_dual_mov_b32 v10, 0 :: v_dual_mov_b32 v9, 0
	ds_load_b128 v[40:43], v57
	ds_load_b128 v[44:47], v50
	v_dual_mov_b32 v8, 0 :: v_dual_mov_b32 v27, 0
	v_dual_mov_b32 v26, 0 :: v_dual_mov_b32 v25, 0
	;; [unrolled: 1-line block ×10, first 2 shown]
	v_mov_b32_e32 v36, 0
	s_and_saveexec_b32 s21, vcc_lo
	s_cbranch_execz .LBB38_18
; %bb.22:                               ;   in Loop: Header=BB38_20 Depth=2
	ds_load_b128 v[36:39], v57 offset:512
	ds_load_b128 v[28:31], v50 offset:512
	v_dual_mov_b32 v11, 0 :: v_dual_mov_b32 v10, 0
	v_dual_mov_b32 v9, 0 :: v_dual_mov_b32 v8, 0
	v_dual_mov_b32 v27, 0 :: v_dual_mov_b32 v26, 0
	v_dual_mov_b32 v25, 0 :: v_dual_mov_b32 v24, 0
	v_dual_mov_b32 v23, 0 :: v_dual_mov_b32 v22, 0
	v_dual_mov_b32 v21, 0 :: v_dual_mov_b32 v20, 0
	v_dual_mov_b32 v35, 0 :: v_dual_mov_b32 v34, 0
	v_dual_mov_b32 v33, 0 :: v_dual_mov_b32 v32, 0
	s_mov_b32 s22, exec_lo
	v_cmpx_gt_u32_e64 s4, v61
	s_cbranch_execz .LBB38_17
; %bb.23:                               ;   in Loop: Header=BB38_20 Depth=2
	ds_load_b128 v[32:35], v57 offset:1024
	ds_load_b128 v[24:27], v50 offset:1024
	v_dual_mov_b32 v11, 0 :: v_dual_mov_b32 v10, 0
	v_dual_mov_b32 v9, 0 :: v_dual_mov_b32 v8, 0
	;; [unrolled: 1-line block ×4, first 2 shown]
	s_mov_b32 s23, exec_lo
	v_cmpx_gt_u32_e64 s4, v60
	s_cbranch_execz .LBB38_16
; %bb.24:                               ;   in Loop: Header=BB38_20 Depth=2
	ds_load_b128 v[20:23], v57 offset:1536
	ds_load_b128 v[8:11], v50 offset:1536
	s_branch .LBB38_16
.LBB38_25:                              ;   in Loop: Header=BB38_14 Depth=1
	; sched_barrier mask(0x00000000)
	s_delay_alu instid0(VALU_DEP_1) | instskip(SKIP_2) | instid1(VALU_DEP_2)
	v_cvt_i32_f32_e32 v0, v49
	s_waitcnt lgkmcnt(0)
	v_cvt_i32_f32_e32 v1, v56
	v_cvt_f32_i32_dpp v0, v0 row_shr:8 row_mask:0xf bank_mask:0xf bound_ctrl:1
	s_delay_alu instid0(VALU_DEP_2) | instskip(NEXT) | instid1(VALU_DEP_1)
	v_cvt_f32_i32_dpp v1, v1 row_shr:8 row_mask:0xf bank_mask:0xf bound_ctrl:1
	v_dual_add_f32 v0, v49, v0 :: v_dual_add_f32 v1, v56, v1
	s_delay_alu instid0(VALU_DEP_1) | instskip(NEXT) | instid1(VALU_DEP_2)
	v_cvt_i32_f32_e32 v2, v0
	v_cvt_i32_f32_e32 v3, v1
	s_delay_alu instid0(VALU_DEP_2) | instskip(NEXT) | instid1(VALU_DEP_2)
	v_cvt_f32_i32_dpp v2, v2 row_shr:4 row_mask:0xf bank_mask:0xf bound_ctrl:1
	v_cvt_f32_i32_dpp v3, v3 row_shr:4 row_mask:0xf bank_mask:0xf bound_ctrl:1
	s_delay_alu instid0(VALU_DEP_1) | instskip(NEXT) | instid1(VALU_DEP_1)
	v_dual_add_f32 v0, v0, v2 :: v_dual_add_f32 v1, v1, v3
	v_cvt_i32_f32_e32 v2, v0
	s_delay_alu instid0(VALU_DEP_2) | instskip(NEXT) | instid1(VALU_DEP_2)
	v_cvt_i32_f32_e32 v3, v1
	v_cvt_f32_i32_dpp v2, v2 row_shr:2 row_mask:0xf bank_mask:0xf bound_ctrl:1
	s_delay_alu instid0(VALU_DEP_2) | instskip(NEXT) | instid1(VALU_DEP_1)
	v_cvt_f32_i32_dpp v3, v3 row_shr:2 row_mask:0xf bank_mask:0xf bound_ctrl:1
	v_dual_add_f32 v0, v0, v2 :: v_dual_add_f32 v1, v1, v3
	v_xor_b32_e32 v2, 16, v55
	s_delay_alu instid0(VALU_DEP_2) | instskip(NEXT) | instid1(VALU_DEP_3)
	v_cvt_i32_f32_e32 v3, v0
	v_cvt_i32_f32_e32 v4, v1
	s_delay_alu instid0(VALU_DEP_3) | instskip(NEXT) | instid1(VALU_DEP_3)
	v_cmp_gt_i32_e32 vcc_lo, 32, v2
	v_cvt_f32_i32_dpp v3, v3 row_shr:1 row_mask:0xf bank_mask:0xf bound_ctrl:1
	s_delay_alu instid0(VALU_DEP_3) | instskip(SKIP_1) | instid1(VALU_DEP_1)
	v_cvt_f32_i32_dpp v4, v4 row_shr:1 row_mask:0xf bank_mask:0xf bound_ctrl:1
	v_cndmask_b32_e32 v2, v55, v2, vcc_lo
	v_dual_add_f32 v2, v0, v3 :: v_dual_lshlrev_b32 v5, 2, v2
	s_delay_alu instid0(VALU_DEP_3)
	v_add_f32_e32 v0, v1, v4
	ds_bpermute_b32 v3, v5, v2
	ds_bpermute_b32 v1, v5, v0
	s_and_saveexec_b32 s17, s0
	s_cbranch_execz .LBB38_13
; %bb.26:                               ;   in Loop: Header=BB38_14 Depth=1
	s_and_b32 vcc_lo, exec_lo, s18
	s_cbranch_vccz .LBB38_28
; %bb.27:                               ;   in Loop: Header=BB38_14 Depth=1
	v_mul_hi_u32 v4, v48, v54
	v_mov_b32_e32 v49, v51
	s_delay_alu instid0(VALU_DEP_2) | instskip(NEXT) | instid1(VALU_DEP_1)
	v_mul_lo_u32 v4, v4, s2
	v_sub_nc_u32_e32 v4, v48, v4
	s_delay_alu instid0(VALU_DEP_1) | instskip(SKIP_1) | instid1(VALU_DEP_2)
	v_subrev_nc_u32_e32 v5, s2, v4
	v_cmp_le_u32_e32 vcc_lo, s2, v4
	v_cndmask_b32_e32 v4, v4, v5, vcc_lo
	s_delay_alu instid0(VALU_DEP_1) | instskip(SKIP_1) | instid1(VALU_DEP_2)
	v_subrev_nc_u32_e32 v5, s2, v4
	v_cmp_le_u32_e32 vcc_lo, s2, v4
	v_cndmask_b32_e32 v50, v4, v5, vcc_lo
	s_delay_alu instid0(VALU_DEP_1) | instskip(SKIP_1) | instid1(VALU_DEP_1)
	v_lshlrev_b64 v[4:5], 1, v[50:51]
	v_add_nc_u32_e32 v50, s16, v50
	v_lshlrev_b64 v[6:7], 1, v[50:51]
	s_delay_alu instid0(VALU_DEP_3) | instskip(NEXT) | instid1(VALU_DEP_4)
	v_add_co_u32 v4, vcc_lo, s8, v4
	v_add_co_ci_u32_e32 v5, vcc_lo, s9, v5, vcc_lo
	s_delay_alu instid0(VALU_DEP_3) | instskip(NEXT) | instid1(VALU_DEP_4)
	v_add_co_u32 v6, vcc_lo, s8, v6
	v_add_co_ci_u32_e32 v7, vcc_lo, s9, v7, vcc_lo
	s_clause 0x1
	global_load_u16 v5, v[4:5], off
	global_load_u16 v4, v[6:7], off
	s_cbranch_execnz .LBB38_12
	s_branch .LBB38_29
.LBB38_28:                              ;   in Loop: Header=BB38_14 Depth=1
                                        ; implicit-def: $vgpr5
                                        ; implicit-def: $vgpr4
.LBB38_29:                              ;   in Loop: Header=BB38_14 Depth=1
	s_waitcnt vmcnt(0)
	v_dual_mov_b32 v49, v51 :: v_dual_mov_b32 v4, 0
	v_mov_b32_e32 v5, 0
	s_branch .LBB38_12
.LBB38_30:
	s_nop 0
	s_sendmsg sendmsg(MSG_DEALLOC_VGPRS)
	s_endpgm
	.section	.rodata,"a",@progbits
	.p2align	6, 0x0
	.amdhsa_kernel _Z16wvSplitK_hf_sml_I6__halfLi32ELi1ELi16ELi8ELi4ELi2EEviiiiiiPKT_S3_S3_PS1_ii
		.amdhsa_group_segment_fixed_size 65536
		.amdhsa_private_segment_fixed_size 0
		.amdhsa_kernarg_size 64
		.amdhsa_user_sgpr_count 15
		.amdhsa_user_sgpr_dispatch_ptr 0
		.amdhsa_user_sgpr_queue_ptr 0
		.amdhsa_user_sgpr_kernarg_segment_ptr 1
		.amdhsa_user_sgpr_dispatch_id 0
		.amdhsa_user_sgpr_private_segment_size 0
		.amdhsa_wavefront_size32 1
		.amdhsa_uses_dynamic_stack 0
		.amdhsa_enable_private_segment 0
		.amdhsa_system_sgpr_workgroup_id_x 1
		.amdhsa_system_sgpr_workgroup_id_y 0
		.amdhsa_system_sgpr_workgroup_id_z 0
		.amdhsa_system_sgpr_workgroup_info 0
		.amdhsa_system_vgpr_workitem_id 1
		.amdhsa_next_free_vgpr 63
		.amdhsa_next_free_sgpr 24
		.amdhsa_reserve_vcc 1
		.amdhsa_float_round_mode_32 0
		.amdhsa_float_round_mode_16_64 0
		.amdhsa_float_denorm_mode_32 3
		.amdhsa_float_denorm_mode_16_64 3
		.amdhsa_dx10_clamp 1
		.amdhsa_ieee_mode 1
		.amdhsa_fp16_overflow 0
		.amdhsa_workgroup_processor_mode 1
		.amdhsa_memory_ordered 1
		.amdhsa_forward_progress 0
		.amdhsa_shared_vgpr_count 0
		.amdhsa_exception_fp_ieee_invalid_op 0
		.amdhsa_exception_fp_denorm_src 0
		.amdhsa_exception_fp_ieee_div_zero 0
		.amdhsa_exception_fp_ieee_overflow 0
		.amdhsa_exception_fp_ieee_underflow 0
		.amdhsa_exception_fp_ieee_inexact 0
		.amdhsa_exception_int_div_zero 0
	.end_amdhsa_kernel
	.section	.text._Z16wvSplitK_hf_sml_I6__halfLi32ELi1ELi16ELi8ELi4ELi2EEviiiiiiPKT_S3_S3_PS1_ii,"axG",@progbits,_Z16wvSplitK_hf_sml_I6__halfLi32ELi1ELi16ELi8ELi4ELi2EEviiiiiiPKT_S3_S3_PS1_ii,comdat
.Lfunc_end38:
	.size	_Z16wvSplitK_hf_sml_I6__halfLi32ELi1ELi16ELi8ELi4ELi2EEviiiiiiPKT_S3_S3_PS1_ii, .Lfunc_end38-_Z16wvSplitK_hf_sml_I6__halfLi32ELi1ELi16ELi8ELi4ELi2EEviiiiiiPKT_S3_S3_PS1_ii
                                        ; -- End function
	.section	.AMDGPU.csdata,"",@progbits
; Kernel info:
; codeLenInByte = 2800
; NumSgprs: 26
; NumVgprs: 63
; ScratchSize: 0
; MemoryBound: 0
; FloatMode: 240
; IeeeMode: 1
; LDSByteSize: 65536 bytes/workgroup (compile time only)
; SGPRBlocks: 3
; VGPRBlocks: 7
; NumSGPRsForWavesPerEU: 26
; NumVGPRsForWavesPerEU: 63
; Occupancy: 8
; WaveLimiterHint : 0
; COMPUTE_PGM_RSRC2:SCRATCH_EN: 0
; COMPUTE_PGM_RSRC2:USER_SGPR: 15
; COMPUTE_PGM_RSRC2:TRAP_HANDLER: 0
; COMPUTE_PGM_RSRC2:TGID_X_EN: 1
; COMPUTE_PGM_RSRC2:TGID_Y_EN: 0
; COMPUTE_PGM_RSRC2:TGID_Z_EN: 0
; COMPUTE_PGM_RSRC2:TIDIG_COMP_CNT: 1
	.section	.text._Z12wvSplitK_hf_I6__halfLi32ELi1ELi16ELi8ELi4ELi2EEviiiiiiPKT_S3_S3_PS1_ii,"axG",@progbits,_Z12wvSplitK_hf_I6__halfLi32ELi1ELi16ELi8ELi4ELi2EEviiiiiiPKT_S3_S3_PS1_ii,comdat
	.protected	_Z12wvSplitK_hf_I6__halfLi32ELi1ELi16ELi8ELi4ELi2EEviiiiiiPKT_S3_S3_PS1_ii ; -- Begin function _Z12wvSplitK_hf_I6__halfLi32ELi1ELi16ELi8ELi4ELi2EEviiiiiiPKT_S3_S3_PS1_ii
	.globl	_Z12wvSplitK_hf_I6__halfLi32ELi1ELi16ELi8ELi4ELi2EEviiiiiiPKT_S3_S3_PS1_ii
	.p2align	8
	.type	_Z12wvSplitK_hf_I6__halfLi32ELi1ELi16ELi8ELi4ELi2EEviiiiiiPKT_S3_S3_PS1_ii,@function
_Z12wvSplitK_hf_I6__halfLi32ELi1ELi16ELi8ELi4ELi2EEviiiiiiPKT_S3_S3_PS1_ii: ; @_Z12wvSplitK_hf_I6__halfLi32ELi1ELi16ELi8ELi4ELi2EEviiiiiiPKT_S3_S3_PS1_ii
; %bb.0:
	s_clause 0x1
	s_load_b64 s[18:19], s[0:1], 0x38
	s_load_b128 s[4:7], s[0:1], 0x0
	v_bfe_u32 v1, v0, 10, 10
	s_clause 0x1
	s_load_b64 s[12:13], s[0:1], 0x20
	s_load_b64 s[16:17], s[0:1], 0x10
	v_mov_b32_e32 v56, 1
	s_waitcnt lgkmcnt(0)
	v_mad_u64_u32 v[48:49], null, s15, s18, v[1:2]
	s_delay_alu instid0(VALU_DEP_1) | instskip(SKIP_1) | instid1(VALU_DEP_2)
	v_add_nc_u32_e32 v2, 1, v48
	v_cmp_gt_u32_e32 vcc_lo, s7, v48
	v_cmp_le_u32_e64 s2, s7, v2
	s_delay_alu instid0(VALU_DEP_1) | instskip(NEXT) | instid1(SALU_CYCLE_1)
	s_and_b32 s3, vcc_lo, s2
	s_and_saveexec_b32 s2, s3
; %bb.1:
	v_subrev_nc_u32_e32 v2, s7, v48
	s_add_i32 s3, s7, -1
	s_delay_alu instid0(SALU_CYCLE_1) | instskip(NEXT) | instid1(VALU_DEP_2)
	v_mov_b32_e32 v48, s3
	v_cmp_eq_u32_e32 vcc_lo, -1, v2
	v_cndmask_b32_e64 v56, 0, 1, vcc_lo
; %bb.2:
	s_or_b32 exec_lo, exec_lo, s2
	v_and_b32_e32 v0, 0x3ff, v0
	s_lshl_b32 s3, s6, 1
	s_mov_b32 s2, exec_lo
	s_min_u32 s8, s3, 0x8000
	s_delay_alu instid0(VALU_DEP_1) | instskip(NEXT) | instid1(VALU_DEP_1)
	v_lshlrev_b32_e32 v57, 3, v0
	v_lshl_add_u32 v3, v1, 8, v57
	s_delay_alu instid0(VALU_DEP_1)
	v_cmpx_gt_u32_e64 s8, v3
	s_cbranch_execz .LBB39_11
; %bb.3:
	v_lshlrev_b32_e32 v2, 1, v3
	v_add_nc_u32_e32 v8, 0x1000, v3
	s_mov_b32 s9, exec_lo
	global_load_b128 v[4:7], v2, s[12:13]
	s_waitcnt vmcnt(0)
	ds_store_b128 v2, v[4:7]
	v_cmpx_gt_u32_e64 s8, v8
	s_xor_b32 s9, exec_lo, s9
	s_cbranch_execz .LBB39_11
; %bb.4:
	v_add_co_u32 v4, s9, s12, v2
	s_delay_alu instid0(VALU_DEP_1) | instskip(SKIP_1) | instid1(VALU_DEP_3)
	v_add_co_ci_u32_e64 v5, null, s13, 0, s9
	v_add_nc_u32_e32 v10, 0x2000, v3
	v_add_co_u32 v6, vcc_lo, 0x2000, v4
	s_delay_alu instid0(VALU_DEP_3)
	v_add_co_ci_u32_e32 v7, vcc_lo, 0, v5, vcc_lo
	s_mov_b32 s9, exec_lo
	global_load_b128 v[6:9], v[6:7], off
	s_waitcnt vmcnt(0)
	ds_store_b128 v2, v[6:9] offset:8192
	v_cmpx_gt_u32_e64 s8, v10
	s_xor_b32 s9, exec_lo, s9
	s_cbranch_execz .LBB39_11
; %bb.5:
	v_add_co_u32 v6, vcc_lo, 0x4000, v4
	v_add_co_ci_u32_e32 v7, vcc_lo, 0, v5, vcc_lo
	v_add_nc_u32_e32 v10, 0x3000, v3
	s_mov_b32 s9, exec_lo
	global_load_b128 v[6:9], v[6:7], off
	s_waitcnt vmcnt(0)
	ds_store_b128 v2, v[6:9] offset:16384
	v_cmpx_gt_u32_e64 s8, v10
	s_xor_b32 s9, exec_lo, s9
	s_cbranch_execz .LBB39_11
; %bb.6:
	v_add_co_u32 v6, vcc_lo, 0x6000, v4
	v_add_co_ci_u32_e32 v7, vcc_lo, 0, v5, vcc_lo
	v_add_nc_u32_e32 v10, 0x4000, v3
	;; [unrolled: 11-line block ×5, first 2 shown]
	global_load_b128 v[6:9], v[6:7], off
	v_cmp_gt_u32_e32 vcc_lo, s8, v3
	s_waitcnt vmcnt(0)
	ds_store_b128 v2, v[6:9] offset:49152
	s_and_saveexec_b32 s8, vcc_lo
	s_delay_alu instid0(SALU_CYCLE_1)
	s_xor_b32 s8, exec_lo, s8
	s_cbranch_execz .LBB39_11
; %bb.10:
	v_add_co_u32 v3, vcc_lo, 0xe000, v4
	v_add_co_ci_u32_e32 v4, vcc_lo, 0, v5, vcc_lo
	global_load_b128 v[3:6], v[3:4], off
	s_waitcnt vmcnt(0)
	ds_store_b128 v2, v[3:6] offset:57344
.LBB39_11:
	s_or_b32 exec_lo, exec_lo, s2
	v_cmp_gt_u32_e32 vcc_lo, s18, v1
	v_cmp_gt_u32_e64 s2, s7, v48
	s_waitcnt lgkmcnt(0)
	s_barrier
	buffer_gl0_inv
	s_and_b32 s2, vcc_lo, s2
	s_delay_alu instid0(SALU_CYCLE_1)
	s_and_saveexec_b32 s8, s2
	s_cbranch_execz .LBB39_62
; %bb.12:
	v_cvt_f32_u32_e32 v1, s16
	s_clause 0x1
	s_load_b128 s[8:11], s[0:1], 0x28
	s_load_b64 s[14:15], s[0:1], 0x18
	s_cmp_lg_u32 s4, 0
	s_mul_i32 s18, s19, s18
	v_rcp_iflag_f32_e32 v1, v1
	s_cselect_b32 s20, -1, 0
	s_add_i32 s21, s4, -8
	s_add_i32 s22, s7, -1
	v_add_nc_u32_e32 v59, s6, v57
	v_mbcnt_lo_u32_b32 v61, -1, 0
	s_waitcnt_depctr 0xfff
	v_dual_mul_f32 v1, 0x4f7ffffe, v1 :: v_dual_lshlrev_b32 v58, 4, v0
	s_delay_alu instid0(VALU_DEP_1)
	v_cvt_u32_f32_e32 v1, v1
	s_waitcnt lgkmcnt(0)
	s_cmp_lg_u64 s[8:9], 0
	s_cselect_b32 s23, -1, 0
	s_sub_i32 s0, 0, s16
	s_sub_i32 s1, s18, s7
	v_mul_lo_u32 v2, s0, v1
	s_abs_i32 s2, s17
	v_cmp_eq_u32_e64 s0, 31, v0
	s_add_i32 s17, s1, 2
	s_sub_i32 s1, 1, s2
	s_cmp_lt_u32 s2, 2
	s_cselect_b32 s1, s1, 1
	s_delay_alu instid0(VALU_DEP_2)
	v_mul_hi_u32 v0, v1, v2
	s_sub_i32 s6, s1, s2
	s_cmp_ge_u32 s1, s2
	v_mov_b32_e32 v51, 0
	s_cselect_b32 s19, s6, s1
	s_mov_b32 s6, 0
	s_mul_i32 s19, s19, s16
	s_delay_alu instid0(VALU_DEP_2)
	v_add_nc_u32_e32 v60, v1, v0
	s_branch .LBB39_14
.LBB39_13:                              ;   in Loop: Header=BB39_14 Depth=1
	s_or_b32 exec_lo, exec_lo, s1
	v_add_nc_u32_e32 v0, s18, v48
	s_waitcnt lgkmcnt(0)
	s_delay_alu instid0(VALU_DEP_1) | instskip(SKIP_1) | instid1(VALU_DEP_2)
	v_add_nc_u32_e32 v1, 1, v0
	v_cmp_le_u32_e32 vcc_lo, s7, v0
	v_cmp_gt_u32_e64 s1, s7, v1
	v_add_nc_u32_e32 v1, s17, v48
	s_delay_alu instid0(VALU_DEP_2) | instskip(NEXT) | instid1(VALU_DEP_1)
	s_or_b32 vcc_lo, vcc_lo, s1
	v_cmp_eq_u32_e64 s1, 1, v1
	v_cndmask_b32_e32 v48, s22, v0, vcc_lo
	s_delay_alu instid0(VALU_DEP_2) | instskip(NEXT) | instid1(VALU_DEP_1)
	s_or_b32 vcc_lo, vcc_lo, s1
	v_cmp_le_u32_e64 s2, s7, v48
	v_cndmask_b32_e32 v56, 0, v56, vcc_lo
	s_delay_alu instid0(VALU_DEP_2) | instskip(NEXT) | instid1(SALU_CYCLE_1)
	s_or_b32 s6, s2, s6
	s_and_not1_b32 exec_lo, exec_lo, s6
	s_cbranch_execz .LBB39_62
.LBB39_14:                              ; =>This Loop Header: Depth=1
                                        ;     Child Loop BB39_21 Depth 2
	v_mov_b32_e32 v63, v51
	v_mov_b32_e32 v62, v51
	s_and_not1_b32 vcc_lo, exec_lo, s20
	s_cbranch_vccnz .LBB39_57
; %bb.15:                               ;   in Loop: Header=BB39_14 Depth=1
	v_min_u32_e32 v0, s22, v48
	v_dual_mov_b32 v62, 0 :: v_dual_mov_b32 v63, 0
	v_mov_b32_e32 v64, v58
	s_mov_b32 s1, 0
	s_delay_alu instid0(VALU_DEP_3) | instskip(NEXT) | instid1(VALU_DEP_1)
	v_mul_lo_u32 v50, v0, s5
	v_lshlrev_b64 v[0:1], 1, v[50:51]
	s_delay_alu instid0(VALU_DEP_1) | instskip(NEXT) | instid1(VALU_DEP_2)
	v_add_co_u32 v65, vcc_lo, s14, v0
	v_add_co_ci_u32_e32 v66, vcc_lo, s15, v1, vcc_lo
	s_branch .LBB39_21
.LBB39_16:                              ;   in Loop: Header=BB39_21 Depth=2
	s_or_b32 exec_lo, exec_lo, s27
.LBB39_17:                              ;   in Loop: Header=BB39_21 Depth=2
	s_delay_alu instid0(SALU_CYCLE_1)
	s_or_b32 exec_lo, exec_lo, s26
.LBB39_18:                              ;   in Loop: Header=BB39_21 Depth=2
	s_delay_alu instid0(SALU_CYCLE_1)
	s_or_b32 exec_lo, exec_lo, s25
.LBB39_19:                              ;   in Loop: Header=BB39_21 Depth=2
	s_delay_alu instid0(SALU_CYCLE_1)
	s_or_b32 exec_lo, exec_lo, s24
.LBB39_20:                              ;   in Loop: Header=BB39_21 Depth=2
	s_delay_alu instid0(SALU_CYCLE_1)
	s_or_b32 exec_lo, exec_lo, s2
	s_waitcnt vmcnt(0) lgkmcnt(0)
	;;#ASMSTART
	v_dot2_f32_f16 v62, v16, v12, v62
	;;#ASMEND
	;;#ASMSTART
	v_dot2_f32_f16 v63, v20, v12, v63
	;;#ASMEND
	;; [unrolled: 3-line block ×22, first 2 shown]
	v_add_nc_u32_e32 v64, 0x800, v64
	;;#ASMSTART
	v_dot2_f32_f16 v62, v39, v7, v62
	;;#ASMEND
	;;#ASMSTART
	v_dot2_f32_f16 v63, v35, v7, v63
	;;#ASMEND
	s_addk_i32 s1, 0x400
	;;#ASMSTART
	v_dot2_f32_f16 v62, v44, v0, v62
	;;#ASMEND
	;;#ASMSTART
	v_dot2_f32_f16 v63, v40, v0, v63
	;;#ASMEND
	;; [unrolled: 3-line block ×4, first 2 shown]
	s_cmp_ge_u32 s1, s4
	;;#ASMSTART
	v_dot2_f32_f16 v62, v46, v2, v62
	;;#ASMEND
	;;#ASMSTART
	v_dot2_f32_f16 v63, v42, v2, v63
	;;#ASMEND
	;; [unrolled: 3-line block ×4, first 2 shown]
	s_cbranch_scc1 .LBB39_57
.LBB39_21:                              ;   Parent Loop BB39_14 Depth=1
                                        ; =>  This Inner Loop Header: Depth=2
	v_add_nc_u32_e32 v49, s1, v57
	v_dual_mov_b32 v41, 0 :: v_dual_mov_b32 v40, 0
	v_dual_mov_b32 v35, 0 :: v_dual_mov_b32 v34, 0
	s_delay_alu instid0(VALU_DEP_3) | instskip(SKIP_3) | instid1(VALU_DEP_4)
	v_min_u32_e32 v50, s21, v49
	v_add_nc_u32_e32 v54, 0x100, v49
	v_dual_mov_b32 v42, 0 :: v_dual_add_nc_u32 v53, 0x200, v49
	v_dual_mov_b32 v43, 0 :: v_dual_add_nc_u32 v52, 0x300, v49
	v_lshlrev_b64 v[0:1], 1, v[50:51]
	s_delay_alu instid0(VALU_DEP_4) | instskip(SKIP_2) | instid1(VALU_DEP_3)
	v_min_u32_e32 v50, s21, v54
	v_dual_mov_b32 v33, 0 :: v_dual_mov_b32 v32, 0
	v_dual_mov_b32 v27, 0 :: v_dual_mov_b32 v26, 0
	v_lshlrev_b64 v[2:3], 1, v[50:51]
	v_min_u32_e32 v50, s21, v53
	v_add_co_u32 v0, vcc_lo, v65, v0
	v_add_co_ci_u32_e32 v1, vcc_lo, v66, v1, vcc_lo
	s_waitcnt vmcnt(0)
	s_delay_alu instid0(VALU_DEP_3) | instskip(SKIP_3) | instid1(VALU_DEP_3)
	v_lshlrev_b64 v[4:5], 1, v[50:51]
	v_min_u32_e32 v50, s21, v52
	v_add_co_u32 v2, vcc_lo, v65, v2
	v_add_co_ci_u32_e32 v3, vcc_lo, v66, v3, vcc_lo
	v_lshlrev_b64 v[6:7], 1, v[50:51]
	v_add_co_u32 v4, vcc_lo, v65, v4
	v_add_co_ci_u32_e32 v5, vcc_lo, v66, v5, vcc_lo
	v_dual_mov_b32 v25, 0 :: v_dual_mov_b32 v24, 0
	s_delay_alu instid0(VALU_DEP_4)
	v_add_co_u32 v16, vcc_lo, v65, v6
	v_add_co_ci_u32_e32 v17, vcc_lo, v66, v7, vcc_lo
	s_clause 0x3
	global_load_b128 v[12:15], v[0:1], off slc dlc
	global_load_b128 v[8:11], v[2:3], off slc dlc
	;; [unrolled: 1-line block ×4, first 2 shown]
	v_mov_b32_e32 v16, 0
	v_cmp_gt_u32_e32 vcc_lo, s4, v49
	v_mov_b32_e32 v17, 0
	v_dual_mov_b32 v23, 0 :: v_dual_mov_b32 v22, 0
	v_dual_mov_b32 v21, 0 :: v_dual_mov_b32 v20, 0
	;; [unrolled: 1-line block ×9, first 2 shown]
	s_and_saveexec_b32 s2, vcc_lo
	s_cbranch_execz .LBB39_20
; %bb.22:                               ;   in Loop: Header=BB39_21 Depth=2
	s_mov_b32 s24, exec_lo
                                        ; implicit-def: $vgpr16
	v_cmpx_lt_u32_e32 0x7fff, v49
	s_xor_b32 s24, exec_lo, s24
	s_cbranch_execz .LBB39_24
; %bb.23:                               ;   in Loop: Header=BB39_21 Depth=2
	v_mov_b32_e32 v50, v51
	s_delay_alu instid0(VALU_DEP_1) | instskip(NEXT) | instid1(VALU_DEP_1)
	v_lshlrev_b64 v[16:17], 1, v[49:50]
	v_add_co_u32 v16, vcc_lo, s12, v16
	s_delay_alu instid0(VALU_DEP_2)
	v_add_co_ci_u32_e32 v17, vcc_lo, s13, v17, vcc_lo
	global_load_b128 v[16:19], v[16:17], off
.LBB39_24:                              ;   in Loop: Header=BB39_21 Depth=2
	s_and_not1_saveexec_b32 s24, s24
	s_cbranch_execz .LBB39_26
; %bb.25:                               ;   in Loop: Header=BB39_21 Depth=2
	s_waitcnt vmcnt(0)
	ds_load_b128 v[16:19], v64
.LBB39_26:                              ;   in Loop: Header=BB39_21 Depth=2
	s_or_b32 exec_lo, exec_lo, s24
	v_add_nc_u32_e32 v50, s1, v59
	s_mov_b32 s24, exec_lo
                                        ; implicit-def: $vgpr23
	s_delay_alu instid0(VALU_DEP_1)
	v_cmpx_lt_u32_e32 0x7fff, v50
	s_xor_b32 s24, exec_lo, s24
	s_cbranch_execz .LBB39_28
; %bb.27:                               ;   in Loop: Header=BB39_21 Depth=2
	v_lshlrev_b64 v[20:21], 1, v[50:51]
	s_delay_alu instid0(VALU_DEP_1) | instskip(NEXT) | instid1(VALU_DEP_2)
	v_add_co_u32 v20, vcc_lo, s12, v20
	v_add_co_ci_u32_e32 v21, vcc_lo, s13, v21, vcc_lo
	global_load_b128 v[20:23], v[20:21], off
.LBB39_28:                              ;   in Loop: Header=BB39_21 Depth=2
	s_and_not1_saveexec_b32 s24, s24
	s_cbranch_execz .LBB39_30
; %bb.29:                               ;   in Loop: Header=BB39_21 Depth=2
	s_waitcnt vmcnt(0)
	v_add_nc_u32_e32 v20, s3, v64
	ds_load_b128 v[20:23], v20
.LBB39_30:                              ;   in Loop: Header=BB39_21 Depth=2
	s_or_b32 exec_lo, exec_lo, s24
	v_cmp_gt_u32_e32 vcc_lo, s4, v54
	v_dual_mov_b32 v43, 0 :: v_dual_mov_b32 v42, 0
	v_dual_mov_b32 v41, 0 :: v_dual_mov_b32 v40, 0
	;; [unrolled: 1-line block ×12, first 2 shown]
	s_and_saveexec_b32 s24, vcc_lo
	s_cbranch_execz .LBB39_19
; %bb.31:                               ;   in Loop: Header=BB39_21 Depth=2
	s_mov_b32 s25, exec_lo
                                        ; implicit-def: $vgpr31
	v_cmpx_lt_u32_e32 0x7fff, v54
	s_xor_b32 s25, exec_lo, s25
	s_cbranch_execz .LBB39_33
; %bb.32:                               ;   in Loop: Header=BB39_21 Depth=2
	v_mov_b32_e32 v55, v51
	s_delay_alu instid0(VALU_DEP_1) | instskip(NEXT) | instid1(VALU_DEP_1)
	v_lshlrev_b64 v[24:25], 1, v[54:55]
	v_add_co_u32 v24, vcc_lo, s12, v24
	s_delay_alu instid0(VALU_DEP_2)
	v_add_co_ci_u32_e32 v25, vcc_lo, s13, v25, vcc_lo
	global_load_b128 v[28:31], v[24:25], off
.LBB39_33:                              ;   in Loop: Header=BB39_21 Depth=2
	s_and_not1_saveexec_b32 s25, s25
	s_cbranch_execz .LBB39_35
; %bb.34:                               ;   in Loop: Header=BB39_21 Depth=2
	s_waitcnt vmcnt(0)
	ds_load_b128 v[28:31], v64 offset:512
.LBB39_35:                              ;   in Loop: Header=BB39_21 Depth=2
	s_or_b32 exec_lo, exec_lo, s25
	v_add_nc_u32_e32 v24, 0x100, v50
	s_mov_b32 s25, exec_lo
                                        ; implicit-def: $vgpr27
	s_delay_alu instid0(VALU_DEP_1)
	v_cmpx_lt_u32_e32 0x7fff, v24
	s_xor_b32 s25, exec_lo, s25
	s_cbranch_execz .LBB39_37
; %bb.36:                               ;   in Loop: Header=BB39_21 Depth=2
	v_mov_b32_e32 v25, v51
	s_delay_alu instid0(VALU_DEP_1) | instskip(NEXT) | instid1(VALU_DEP_1)
	v_lshlrev_b64 v[24:25], 1, v[24:25]
	v_add_co_u32 v24, vcc_lo, s12, v24
	s_delay_alu instid0(VALU_DEP_2)
	v_add_co_ci_u32_e32 v25, vcc_lo, s13, v25, vcc_lo
	global_load_b128 v[24:27], v[24:25], off
.LBB39_37:                              ;   in Loop: Header=BB39_21 Depth=2
	s_and_not1_saveexec_b32 s25, s25
	s_cbranch_execz .LBB39_39
; %bb.38:                               ;   in Loop: Header=BB39_21 Depth=2
	s_waitcnt vmcnt(0)
	v_add_nc_u32_e32 v24, s3, v64
	ds_load_b128 v[24:27], v24 offset:512
.LBB39_39:                              ;   in Loop: Header=BB39_21 Depth=2
	s_or_b32 exec_lo, exec_lo, s25
	v_dual_mov_b32 v43, 0 :: v_dual_mov_b32 v42, 0
	v_dual_mov_b32 v41, 0 :: v_dual_mov_b32 v40, 0
	;; [unrolled: 1-line block ×8, first 2 shown]
	s_mov_b32 s25, exec_lo
	v_cmpx_gt_u32_e64 s4, v53
	s_cbranch_execz .LBB39_18
; %bb.40:                               ;   in Loop: Header=BB39_21 Depth=2
	s_mov_b32 s26, exec_lo
                                        ; implicit-def: $vgpr39
	v_cmpx_lt_u32_e32 0x7fff, v53
	s_xor_b32 s26, exec_lo, s26
	s_cbranch_execz .LBB39_42
; %bb.41:                               ;   in Loop: Header=BB39_21 Depth=2
	v_mov_b32_e32 v54, v51
	s_delay_alu instid0(VALU_DEP_1) | instskip(NEXT) | instid1(VALU_DEP_1)
	v_lshlrev_b64 v[32:33], 1, v[53:54]
	v_add_co_u32 v32, vcc_lo, s12, v32
	s_delay_alu instid0(VALU_DEP_2)
	v_add_co_ci_u32_e32 v33, vcc_lo, s13, v33, vcc_lo
	global_load_b128 v[36:39], v[32:33], off
.LBB39_42:                              ;   in Loop: Header=BB39_21 Depth=2
	s_and_not1_saveexec_b32 s26, s26
	s_cbranch_execz .LBB39_44
; %bb.43:                               ;   in Loop: Header=BB39_21 Depth=2
	s_waitcnt vmcnt(0)
	ds_load_b128 v[36:39], v64 offset:1024
.LBB39_44:                              ;   in Loop: Header=BB39_21 Depth=2
	s_or_b32 exec_lo, exec_lo, s26
	v_add_nc_u32_e32 v32, 0x200, v50
	s_mov_b32 s26, exec_lo
                                        ; implicit-def: $vgpr35
	s_delay_alu instid0(VALU_DEP_1)
	v_cmpx_lt_u32_e32 0x7fff, v32
	s_xor_b32 s26, exec_lo, s26
	s_cbranch_execz .LBB39_46
; %bb.45:                               ;   in Loop: Header=BB39_21 Depth=2
	v_mov_b32_e32 v33, v51
	s_delay_alu instid0(VALU_DEP_1) | instskip(NEXT) | instid1(VALU_DEP_1)
	v_lshlrev_b64 v[32:33], 1, v[32:33]
	v_add_co_u32 v32, vcc_lo, s12, v32
	s_delay_alu instid0(VALU_DEP_2)
	v_add_co_ci_u32_e32 v33, vcc_lo, s13, v33, vcc_lo
	global_load_b128 v[32:35], v[32:33], off
.LBB39_46:                              ;   in Loop: Header=BB39_21 Depth=2
	s_and_not1_saveexec_b32 s26, s26
	s_cbranch_execz .LBB39_48
; %bb.47:                               ;   in Loop: Header=BB39_21 Depth=2
	s_waitcnt vmcnt(0)
	v_add_nc_u32_e32 v32, s3, v64
	ds_load_b128 v[32:35], v32 offset:1024
.LBB39_48:                              ;   in Loop: Header=BB39_21 Depth=2
	s_or_b32 exec_lo, exec_lo, s26
	v_dual_mov_b32 v43, 0 :: v_dual_mov_b32 v42, 0
	v_dual_mov_b32 v41, 0 :: v_dual_mov_b32 v40, 0
	;; [unrolled: 1-line block ×4, first 2 shown]
	s_mov_b32 s26, exec_lo
	v_cmpx_gt_u32_e64 s4, v52
	s_cbranch_execz .LBB39_17
; %bb.49:                               ;   in Loop: Header=BB39_21 Depth=2
	s_mov_b32 s27, exec_lo
                                        ; implicit-def: $vgpr47
	v_cmpx_lt_u32_e32 0x7fff, v52
	s_xor_b32 s27, exec_lo, s27
	s_cbranch_execz .LBB39_51
; %bb.50:                               ;   in Loop: Header=BB39_21 Depth=2
	v_mov_b32_e32 v53, v51
	s_delay_alu instid0(VALU_DEP_1) | instskip(NEXT) | instid1(VALU_DEP_1)
	v_lshlrev_b64 v[40:41], 1, v[52:53]
	v_add_co_u32 v40, vcc_lo, s12, v40
	s_delay_alu instid0(VALU_DEP_2)
	v_add_co_ci_u32_e32 v41, vcc_lo, s13, v41, vcc_lo
	global_load_b128 v[44:47], v[40:41], off
.LBB39_51:                              ;   in Loop: Header=BB39_21 Depth=2
	s_and_not1_saveexec_b32 s27, s27
	s_cbranch_execz .LBB39_53
; %bb.52:                               ;   in Loop: Header=BB39_21 Depth=2
	s_waitcnt vmcnt(0)
	ds_load_b128 v[44:47], v64 offset:1536
.LBB39_53:                              ;   in Loop: Header=BB39_21 Depth=2
	s_or_b32 exec_lo, exec_lo, s27
	v_add_nc_u32_e32 v50, 0x300, v50
	s_mov_b32 s27, exec_lo
                                        ; implicit-def: $vgpr43
	s_delay_alu instid0(VALU_DEP_1)
	v_cmpx_lt_u32_e32 0x7fff, v50
	s_xor_b32 s27, exec_lo, s27
	s_cbranch_execz .LBB39_55
; %bb.54:                               ;   in Loop: Header=BB39_21 Depth=2
	v_lshlrev_b64 v[40:41], 1, v[50:51]
	s_delay_alu instid0(VALU_DEP_1) | instskip(NEXT) | instid1(VALU_DEP_2)
	v_add_co_u32 v40, vcc_lo, s12, v40
	v_add_co_ci_u32_e32 v41, vcc_lo, s13, v41, vcc_lo
	global_load_b128 v[40:43], v[40:41], off
.LBB39_55:                              ;   in Loop: Header=BB39_21 Depth=2
	s_and_not1_saveexec_b32 s27, s27
	s_cbranch_execz .LBB39_16
; %bb.56:                               ;   in Loop: Header=BB39_21 Depth=2
	s_waitcnt vmcnt(0)
	v_add_nc_u32_e32 v40, s3, v64
	ds_load_b128 v[40:43], v40 offset:1536
	s_branch .LBB39_16
.LBB39_57:                              ;   in Loop: Header=BB39_14 Depth=1
	s_delay_alu instid0(VALU_DEP_1) | instskip(SKIP_1) | instid1(VALU_DEP_2)
	v_cvt_i32_f32_e32 v0, v62
	v_cvt_i32_f32_e32 v1, v63
	v_cvt_f32_i32_dpp v0, v0 row_shr:8 row_mask:0xf bank_mask:0xf bound_ctrl:1
	s_delay_alu instid0(VALU_DEP_2) | instskip(NEXT) | instid1(VALU_DEP_1)
	v_cvt_f32_i32_dpp v1, v1 row_shr:8 row_mask:0xf bank_mask:0xf bound_ctrl:1
	v_dual_add_f32 v0, v62, v0 :: v_dual_add_f32 v1, v63, v1
	s_delay_alu instid0(VALU_DEP_1) | instskip(NEXT) | instid1(VALU_DEP_2)
	v_cvt_i32_f32_e32 v2, v0
	v_cvt_i32_f32_e32 v3, v1
	s_delay_alu instid0(VALU_DEP_2) | instskip(NEXT) | instid1(VALU_DEP_2)
	v_cvt_f32_i32_dpp v2, v2 row_shr:4 row_mask:0xf bank_mask:0xf bound_ctrl:1
	v_cvt_f32_i32_dpp v3, v3 row_shr:4 row_mask:0xf bank_mask:0xf bound_ctrl:1
	s_delay_alu instid0(VALU_DEP_1) | instskip(NEXT) | instid1(VALU_DEP_1)
	v_dual_add_f32 v0, v0, v2 :: v_dual_add_f32 v1, v1, v3
	v_cvt_i32_f32_e32 v2, v0
	s_delay_alu instid0(VALU_DEP_2) | instskip(NEXT) | instid1(VALU_DEP_2)
	v_cvt_i32_f32_e32 v3, v1
	v_cvt_f32_i32_dpp v2, v2 row_shr:2 row_mask:0xf bank_mask:0xf bound_ctrl:1
	s_delay_alu instid0(VALU_DEP_2) | instskip(NEXT) | instid1(VALU_DEP_1)
	v_cvt_f32_i32_dpp v3, v3 row_shr:2 row_mask:0xf bank_mask:0xf bound_ctrl:1
	v_dual_add_f32 v0, v0, v2 :: v_dual_add_f32 v1, v1, v3
	v_xor_b32_e32 v2, 16, v61
	s_delay_alu instid0(VALU_DEP_2) | instskip(SKIP_1) | instid1(VALU_DEP_3)
	v_cvt_i32_f32_e32 v3, v0
	s_waitcnt vmcnt(0)
	v_cvt_i32_f32_e32 v4, v1
	s_delay_alu instid0(VALU_DEP_3) | instskip(NEXT) | instid1(VALU_DEP_3)
	v_cmp_gt_i32_e32 vcc_lo, 32, v2
	v_cvt_f32_i32_dpp v3, v3 row_shr:1 row_mask:0xf bank_mask:0xf bound_ctrl:1
	s_delay_alu instid0(VALU_DEP_3) | instskip(SKIP_1) | instid1(VALU_DEP_1)
	v_cvt_f32_i32_dpp v4, v4 row_shr:1 row_mask:0xf bank_mask:0xf bound_ctrl:1
	v_cndmask_b32_e32 v2, v61, v2, vcc_lo
	v_dual_add_f32 v2, v0, v3 :: v_dual_lshlrev_b32 v5, 2, v2
	s_delay_alu instid0(VALU_DEP_3)
	v_add_f32_e32 v0, v1, v4
	ds_bpermute_b32 v3, v5, v2
	ds_bpermute_b32 v1, v5, v0
	s_and_saveexec_b32 s1, s0
	s_cbranch_execz .LBB39_13
; %bb.58:                               ;   in Loop: Header=BB39_14 Depth=1
	v_dual_mov_b32 v4, 0 :: v_dual_mov_b32 v5, 0
	s_and_not1_b32 vcc_lo, exec_lo, s23
	s_cbranch_vccnz .LBB39_60
; %bb.59:                               ;   in Loop: Header=BB39_14 Depth=1
	v_mul_hi_u32 v4, v48, v60
	s_delay_alu instid0(VALU_DEP_1) | instskip(NEXT) | instid1(VALU_DEP_1)
	v_mul_lo_u32 v4, v4, s16
	v_sub_nc_u32_e32 v4, v48, v4
	s_delay_alu instid0(VALU_DEP_1) | instskip(SKIP_1) | instid1(VALU_DEP_2)
	v_subrev_nc_u32_e32 v5, s16, v4
	v_cmp_le_u32_e32 vcc_lo, s16, v4
	v_cndmask_b32_e32 v4, v4, v5, vcc_lo
	s_delay_alu instid0(VALU_DEP_1) | instskip(SKIP_1) | instid1(VALU_DEP_2)
	v_subrev_nc_u32_e32 v5, s16, v4
	v_cmp_le_u32_e32 vcc_lo, s16, v4
	v_cndmask_b32_e32 v50, v4, v5, vcc_lo
	s_delay_alu instid0(VALU_DEP_1) | instskip(SKIP_1) | instid1(VALU_DEP_1)
	v_lshlrev_b64 v[4:5], 1, v[50:51]
	v_add_nc_u32_e32 v50, s19, v50
	v_lshlrev_b64 v[6:7], 1, v[50:51]
	s_delay_alu instid0(VALU_DEP_3) | instskip(NEXT) | instid1(VALU_DEP_4)
	v_add_co_u32 v4, vcc_lo, s8, v4
	v_add_co_ci_u32_e32 v5, vcc_lo, s9, v5, vcc_lo
	s_delay_alu instid0(VALU_DEP_3) | instskip(NEXT) | instid1(VALU_DEP_4)
	v_add_co_u32 v6, vcc_lo, s8, v6
	v_add_co_ci_u32_e32 v7, vcc_lo, s9, v7, vcc_lo
	s_clause 0x1
	global_load_u16 v5, v[4:5], off
	global_load_u16 v4, v[6:7], off
.LBB39_60:                              ;   in Loop: Header=BB39_14 Depth=1
	v_cmp_ne_u32_e32 vcc_lo, 0, v56
	s_and_b32 exec_lo, exec_lo, vcc_lo
	s_cbranch_execz .LBB39_13
; %bb.61:                               ;   in Loop: Header=BB39_14 Depth=1
	s_waitcnt lgkmcnt(1)
	v_dual_add_f32 v2, v2, v3 :: v_dual_mov_b32 v49, v51
	s_waitcnt vmcnt(1)
	v_cvt_f32_f16_e32 v3, v5
	s_waitcnt lgkmcnt(0)
	v_dual_add_f32 v5, v0, v1 :: v_dual_add_nc_u32 v50, s7, v48
	s_waitcnt vmcnt(0)
	v_cvt_f32_f16_e32 v4, v4
	v_lshlrev_b64 v[0:1], 1, v[48:49]
	v_add_f32_e32 v6, v2, v3
	v_lshlrev_b64 v[2:3], 1, v[50:51]
	s_delay_alu instid0(VALU_DEP_4) | instskip(NEXT) | instid1(VALU_DEP_4)
	v_add_f32_e32 v4, v5, v4
	v_add_co_u32 v0, vcc_lo, s10, v0
	v_add_co_ci_u32_e32 v1, vcc_lo, s11, v1, vcc_lo
	s_delay_alu instid0(VALU_DEP_4)
	v_add_co_u32 v2, vcc_lo, s10, v2
	v_cvt_f16_f32_e32 v5, v6
	v_cvt_f16_f32_e32 v4, v4
	v_add_co_ci_u32_e32 v3, vcc_lo, s11, v3, vcc_lo
	s_clause 0x1
	global_store_b16 v[0:1], v5, off
	global_store_b16 v[2:3], v4, off
	s_branch .LBB39_13
.LBB39_62:
	s_nop 0
	s_sendmsg sendmsg(MSG_DEALLOC_VGPRS)
	s_endpgm
	.section	.rodata,"a",@progbits
	.p2align	6, 0x0
	.amdhsa_kernel _Z12wvSplitK_hf_I6__halfLi32ELi1ELi16ELi8ELi4ELi2EEviiiiiiPKT_S3_S3_PS1_ii
		.amdhsa_group_segment_fixed_size 65536
		.amdhsa_private_segment_fixed_size 0
		.amdhsa_kernarg_size 64
		.amdhsa_user_sgpr_count 15
		.amdhsa_user_sgpr_dispatch_ptr 0
		.amdhsa_user_sgpr_queue_ptr 0
		.amdhsa_user_sgpr_kernarg_segment_ptr 1
		.amdhsa_user_sgpr_dispatch_id 0
		.amdhsa_user_sgpr_private_segment_size 0
		.amdhsa_wavefront_size32 1
		.amdhsa_uses_dynamic_stack 0
		.amdhsa_enable_private_segment 0
		.amdhsa_system_sgpr_workgroup_id_x 1
		.amdhsa_system_sgpr_workgroup_id_y 0
		.amdhsa_system_sgpr_workgroup_id_z 0
		.amdhsa_system_sgpr_workgroup_info 0
		.amdhsa_system_vgpr_workitem_id 1
		.amdhsa_next_free_vgpr 67
		.amdhsa_next_free_sgpr 28
		.amdhsa_reserve_vcc 1
		.amdhsa_float_round_mode_32 0
		.amdhsa_float_round_mode_16_64 0
		.amdhsa_float_denorm_mode_32 3
		.amdhsa_float_denorm_mode_16_64 3
		.amdhsa_dx10_clamp 1
		.amdhsa_ieee_mode 1
		.amdhsa_fp16_overflow 0
		.amdhsa_workgroup_processor_mode 1
		.amdhsa_memory_ordered 1
		.amdhsa_forward_progress 0
		.amdhsa_shared_vgpr_count 0
		.amdhsa_exception_fp_ieee_invalid_op 0
		.amdhsa_exception_fp_denorm_src 0
		.amdhsa_exception_fp_ieee_div_zero 0
		.amdhsa_exception_fp_ieee_overflow 0
		.amdhsa_exception_fp_ieee_underflow 0
		.amdhsa_exception_fp_ieee_inexact 0
		.amdhsa_exception_int_div_zero 0
	.end_amdhsa_kernel
	.section	.text._Z12wvSplitK_hf_I6__halfLi32ELi1ELi16ELi8ELi4ELi2EEviiiiiiPKT_S3_S3_PS1_ii,"axG",@progbits,_Z12wvSplitK_hf_I6__halfLi32ELi1ELi16ELi8ELi4ELi2EEviiiiiiPKT_S3_S3_PS1_ii,comdat
.Lfunc_end39:
	.size	_Z12wvSplitK_hf_I6__halfLi32ELi1ELi16ELi8ELi4ELi2EEviiiiiiPKT_S3_S3_PS1_ii, .Lfunc_end39-_Z12wvSplitK_hf_I6__halfLi32ELi1ELi16ELi8ELi4ELi2EEviiiiiiPKT_S3_S3_PS1_ii
                                        ; -- End function
	.section	.AMDGPU.csdata,"",@progbits
; Kernel info:
; codeLenInByte = 3572
; NumSgprs: 30
; NumVgprs: 67
; ScratchSize: 0
; MemoryBound: 0
; FloatMode: 240
; IeeeMode: 1
; LDSByteSize: 65536 bytes/workgroup (compile time only)
; SGPRBlocks: 3
; VGPRBlocks: 8
; NumSGPRsForWavesPerEU: 30
; NumVGPRsForWavesPerEU: 67
; Occupancy: 8
; WaveLimiterHint : 0
; COMPUTE_PGM_RSRC2:SCRATCH_EN: 0
; COMPUTE_PGM_RSRC2:USER_SGPR: 15
; COMPUTE_PGM_RSRC2:TRAP_HANDLER: 0
; COMPUTE_PGM_RSRC2:TGID_X_EN: 1
; COMPUTE_PGM_RSRC2:TGID_Y_EN: 0
; COMPUTE_PGM_RSRC2:TGID_Z_EN: 0
; COMPUTE_PGM_RSRC2:TIDIG_COMP_CNT: 1
	.section	.text._Z16wvSplitK_hf_big_I6__halfLi32ELi1ELi16ELi8ELi4ELi2EEviiiiiiPKT_S3_S3_PS1_ii,"axG",@progbits,_Z16wvSplitK_hf_big_I6__halfLi32ELi1ELi16ELi8ELi4ELi2EEviiiiiiPKT_S3_S3_PS1_ii,comdat
	.protected	_Z16wvSplitK_hf_big_I6__halfLi32ELi1ELi16ELi8ELi4ELi2EEviiiiiiPKT_S3_S3_PS1_ii ; -- Begin function _Z16wvSplitK_hf_big_I6__halfLi32ELi1ELi16ELi8ELi4ELi2EEviiiiiiPKT_S3_S3_PS1_ii
	.globl	_Z16wvSplitK_hf_big_I6__halfLi32ELi1ELi16ELi8ELi4ELi2EEviiiiiiPKT_S3_S3_PS1_ii
	.p2align	8
	.type	_Z16wvSplitK_hf_big_I6__halfLi32ELi1ELi16ELi8ELi4ELi2EEviiiiiiPKT_S3_S3_PS1_ii,@function
_Z16wvSplitK_hf_big_I6__halfLi32ELi1ELi16ELi8ELi4ELi2EEviiiiiiPKT_S3_S3_PS1_ii: ; @_Z16wvSplitK_hf_big_I6__halfLi32ELi1ELi16ELi8ELi4ELi2EEviiiiiiPKT_S3_S3_PS1_ii
; %bb.0:
	s_load_b64 s[20:21], s[0:1], 0x38
	v_bfe_u32 v1, v0, 10, 10
	s_mov_b32 s2, exec_lo
	s_waitcnt lgkmcnt(0)
	s_delay_alu instid0(VALU_DEP_1)
	v_cmpx_gt_u32_e64 s20, v1
	s_cbranch_execz .LBB40_38
; %bb.1:
	s_load_b128 s[16:19], s[0:1], 0x0
	v_mad_u64_u32 v[48:49], null, s15, s20, v[1:2]
	v_mov_b32_e32 v52, 1
	s_delay_alu instid0(VALU_DEP_2) | instskip(SKIP_2) | instid1(VALU_DEP_2)
	v_add_nc_u32_e32 v2, 1, v48
	s_waitcnt lgkmcnt(0)
	v_cmp_gt_u32_e32 vcc_lo, s19, v48
	v_cmp_le_u32_e64 s2, s19, v2
	s_delay_alu instid0(VALU_DEP_1) | instskip(NEXT) | instid1(SALU_CYCLE_1)
	s_and_b32 s3, vcc_lo, s2
	s_and_saveexec_b32 s2, s3
; %bb.2:
	v_subrev_nc_u32_e32 v2, s19, v48
	s_add_i32 s3, s19, -1
	s_delay_alu instid0(SALU_CYCLE_1) | instskip(NEXT) | instid1(VALU_DEP_2)
	v_mov_b32_e32 v48, s3
	v_cmp_eq_u32_e32 vcc_lo, -1, v2
	v_cndmask_b32_e64 v52, 0, 1, vcc_lo
; %bb.3:
	s_or_b32 exec_lo, exec_lo, s2
	s_abs_i32 s2, s20
	s_abs_i32 s5, s19
	v_cvt_f32_u32_e32 v2, s2
	s_sub_i32 s4, 0, s2
	s_mov_b32 s14, 0
	s_delay_alu instid0(VALU_DEP_1) | instskip(SKIP_2) | instid1(VALU_DEP_1)
	v_rcp_iflag_f32_e32 v2, v2
	s_waitcnt_depctr 0xfff
	v_mul_f32_e32 v2, 0x4f7ffffe, v2
	v_cvt_u32_f32_e32 v2, v2
	s_delay_alu instid0(VALU_DEP_1) | instskip(NEXT) | instid1(VALU_DEP_1)
	v_readfirstlane_b32 s3, v2
	s_mul_i32 s4, s4, s3
	s_delay_alu instid0(SALU_CYCLE_1) | instskip(NEXT) | instid1(SALU_CYCLE_1)
	s_mul_hi_u32 s4, s3, s4
	s_add_i32 s3, s3, s4
	s_ashr_i32 s4, s19, 31
	s_mul_hi_u32 s3, s5, s3
	s_delay_alu instid0(SALU_CYCLE_1) | instskip(NEXT) | instid1(SALU_CYCLE_1)
	s_mul_i32 s3, s3, s2
	s_sub_i32 s3, s5, s3
	s_delay_alu instid0(SALU_CYCLE_1) | instskip(SKIP_2) | instid1(SALU_CYCLE_1)
	s_sub_i32 s5, s3, s2
	s_cmp_ge_u32 s3, s2
	s_cselect_b32 s3, s5, s3
	s_sub_i32 s5, s3, s2
	s_cmp_ge_u32 s3, s2
	s_cselect_b32 s2, s5, s3
	s_add_i32 s3, s20, s19
	s_xor_b32 s2, s2, s4
	s_delay_alu instid0(SALU_CYCLE_1) | instskip(NEXT) | instid1(SALU_CYCLE_1)
	s_sub_i32 s2, s2, s4
	s_sub_i32 s3, s3, s2
	s_cmp_eq_u32 s2, 0
	s_cselect_b32 s3, s19, s3
	s_delay_alu instid0(SALU_CYCLE_1)
	v_cmp_gt_u32_e32 vcc_lo, s3, v48
	s_and_b32 exec_lo, exec_lo, vcc_lo
	s_cbranch_execz .LBB40_38
; %bb.4:
	s_load_b256 s[4:11], s[0:1], 0x10
	s_min_u32 s15, s18, 0x4000
	v_dual_mov_b32 v51, 0 :: v_dual_and_b32 v0, 0x3ff, v0
	s_cmp_lg_u32 s16, 0
	s_load_b64 s[12:13], s[0:1], 0x30
	s_cselect_b32 s22, -1, 0
	s_cmp_lg_u32 s18, 0
	s_mul_i32 s21, s21, s20
	s_cselect_b32 s23, -1, 0
	s_lshl_b32 s24, s20, 8
	s_add_i32 s25, s16, -8
	s_add_i32 s26, s19, -1
	v_cmp_eq_u32_e64 s0, 31, v0
	v_mbcnt_lo_u32_b32 v58, -1, 0
	v_lshlrev_b32_e32 v53, 3, v0
	v_lshlrev_b32_e32 v0, 4, v0
	s_waitcnt lgkmcnt(0)
	v_cvt_f32_u32_e32 v2, s4
	s_cmp_lg_u64 s[10:11], 0
	v_lshl_add_u32 v54, v1, 8, v53
	s_cselect_b32 s27, -1, 0
	s_sub_i32 s1, 0, s4
	v_rcp_iflag_f32_e32 v2, v2
	s_abs_i32 s2, s5
	v_lshl_add_u32 v55, v1, 9, v0
	v_add_nc_u32_e32 v56, s18, v54
	s_waitcnt_depctr 0xfff
	v_mul_f32_e32 v2, 0x4f7ffffe, v2
	s_delay_alu instid0(VALU_DEP_1) | instskip(NEXT) | instid1(VALU_DEP_1)
	v_cvt_u32_f32_e32 v2, v2
	v_mul_lo_u32 v3, s1, v2
	s_sub_i32 s1, s21, s19
	s_delay_alu instid0(SALU_CYCLE_1) | instskip(SKIP_3) | instid1(VALU_DEP_1)
	s_add_i32 s5, s1, 2
	s_sub_i32 s1, 1, s2
	s_cmp_lt_u32 s2, 2
	s_cselect_b32 s1, s1, 1
	v_mul_hi_u32 v3, v2, v3
	s_sub_i32 s28, s1, s2
	s_cmp_ge_u32 s1, s2
	s_cselect_b32 s28, s28, s1
	s_lshl_b32 s29, s15, 1
	s_mul_i32 s28, s28, s4
	s_lshl_b32 s20, s20, 9
	s_delay_alu instid0(VALU_DEP_1)
	v_add_nc_u32_e32 v57, v2, v3
	s_branch .LBB40_7
.LBB40_5:                               ;   in Loop: Header=BB40_7 Depth=1
	s_or_b32 exec_lo, exec_lo, s1
.LBB40_6:                               ;   in Loop: Header=BB40_7 Depth=1
	s_delay_alu instid0(SALU_CYCLE_1) | instskip(NEXT) | instid1(VALU_DEP_1)
	s_or_b32 exec_lo, exec_lo, s2
	v_cmp_le_u32_e32 vcc_lo, s3, v0
	v_mov_b32_e32 v48, v0
	s_or_b32 s14, vcc_lo, s14
	s_delay_alu instid0(SALU_CYCLE_1)
	s_and_not1_b32 exec_lo, exec_lo, s14
	s_cbranch_execz .LBB40_38
.LBB40_7:                               ; =>This Loop Header: Depth=1
                                        ;     Child Loop BB40_14 Depth 2
                                        ;       Child Loop BB40_19 Depth 3
	v_mov_b32_e32 v59, v51
	v_mov_b32_e32 v49, v51
	s_and_not1_b32 vcc_lo, exec_lo, s22
	s_mov_b32 s30, 0
	s_cbranch_vccnz .LBB40_28
; %bb.8:                                ;   in Loop: Header=BB40_7 Depth=1
	v_min_u32_e32 v0, s26, v48
	v_cmp_gt_u32_e64 s1, s19, v48
	v_mov_b32_e32 v49, 0
	v_mov_b32_e32 v59, 0
	s_mov_b32 s31, 0
	v_mul_lo_u32 v50, v0, s17
	s_delay_alu instid0(VALU_DEP_1) | instskip(NEXT) | instid1(VALU_DEP_1)
	v_lshlrev_b64 v[0:1], 1, v[50:51]
	v_add_co_u32 v60, vcc_lo, s6, v0
	s_delay_alu instid0(VALU_DEP_2)
	v_add_co_ci_u32_e32 v61, vcc_lo, s7, v1, vcc_lo
	s_branch .LBB40_14
.LBB40_9:                               ;   in Loop: Header=BB40_14 Depth=2
	s_or_b32 exec_lo, exec_lo, s36
.LBB40_10:                              ;   in Loop: Header=BB40_14 Depth=2
	s_delay_alu instid0(SALU_CYCLE_1)
	s_or_b32 exec_lo, exec_lo, s35
.LBB40_11:                              ;   in Loop: Header=BB40_14 Depth=2
	s_delay_alu instid0(SALU_CYCLE_1)
	s_or_b32 exec_lo, exec_lo, s34
.LBB40_12:                              ;   in Loop: Header=BB40_14 Depth=2
	s_delay_alu instid0(SALU_CYCLE_1)
	s_or_b32 exec_lo, exec_lo, s33
	s_waitcnt vmcnt(3) lgkmcnt(1)
	;;#ASMSTART
	v_dot2_f32_f16 v49, v44, v24, v49
	;;#ASMEND
	s_waitcnt lgkmcnt(0)
	;;#ASMSTART
	v_dot2_f32_f16 v59, v40, v24, v59
	;;#ASMEND
	;;#ASMSTART
	v_dot2_f32_f16 v49, v45, v25, v49
	;;#ASMEND
	;;#ASMSTART
	v_dot2_f32_f16 v59, v41, v25, v59
	;;#ASMEND
	;;#ASMSTART
	v_dot2_f32_f16 v49, v46, v26, v49
	;;#ASMEND
	;;#ASMSTART
	v_dot2_f32_f16 v59, v42, v26, v59
	;;#ASMEND
	;;#ASMSTART
	v_dot2_f32_f16 v49, v47, v27, v49
	;;#ASMEND
	;;#ASMSTART
	v_dot2_f32_f16 v59, v43, v27, v59
	;;#ASMEND
	s_waitcnt vmcnt(2)
	;;#ASMSTART
	v_dot2_f32_f16 v49, v36, v12, v49
	;;#ASMEND
	;;#ASMSTART
	v_dot2_f32_f16 v59, v32, v12, v59
	;;#ASMEND
	;;#ASMSTART
	v_dot2_f32_f16 v49, v37, v13, v49
	;;#ASMEND
	;;#ASMSTART
	v_dot2_f32_f16 v59, v33, v13, v59
	;;#ASMEND
	;;#ASMSTART
	v_dot2_f32_f16 v49, v38, v14, v49
	;;#ASMEND
	;;#ASMSTART
	v_dot2_f32_f16 v59, v34, v14, v59
	;;#ASMEND
	;;#ASMSTART
	v_dot2_f32_f16 v49, v39, v15, v49
	;;#ASMEND
	;;#ASMSTART
	v_dot2_f32_f16 v59, v35, v15, v59
	;;#ASMEND
	s_waitcnt vmcnt(1)
	;;#ASMSTART
	v_dot2_f32_f16 v49, v28, v4, v49
	;;#ASMEND
	;; [unrolled: 25-line block ×3, first 2 shown]
	;;#ASMSTART
	v_dot2_f32_f16 v59, v8, v0, v59
	;;#ASMEND
	;;#ASMSTART
	v_dot2_f32_f16 v49, v17, v1, v49
	;;#ASMEND
	;; [unrolled: 3-line block ×7, first 2 shown]
.LBB40_13:                              ;   in Loop: Header=BB40_14 Depth=2
	s_or_b32 exec_lo, exec_lo, s2
	s_addk_i32 s31, 0x400
	s_delay_alu instid0(SALU_CYCLE_1)
	s_cmp_ge_u32 s31, s16
	s_cbranch_scc1 .LBB40_28
.LBB40_14:                              ;   Parent Loop BB40_7 Depth=1
                                        ; =>  This Loop Header: Depth=2
                                        ;       Child Loop BB40_19 Depth 3
	s_cmp_eq_u32 s31, 0
	s_cselect_b32 s33, -1, 0
	s_add_i32 s2, s30, s15
	s_delay_alu instid0(SALU_CYCLE_1) | instskip(SKIP_1) | instid1(SALU_CYCLE_1)
	s_cmp_eq_u32 s31, s2
	s_cselect_b32 s34, -1, 0
	s_or_b32 s34, s33, s34
	s_delay_alu instid0(SALU_CYCLE_1)
	s_and_not1_b32 vcc_lo, exec_lo, s34
	s_cbranch_vccz .LBB40_16
; %bb.15:                               ;   in Loop: Header=BB40_14 Depth=2
	s_and_saveexec_b32 s2, s1
	s_cbranch_execz .LBB40_13
	s_branch .LBB40_23
.LBB40_16:                              ;   in Loop: Header=BB40_14 Depth=2
	s_and_b32 s33, s33, exec_lo
	s_cselect_b32 s30, s30, s2
	s_and_not1_b32 vcc_lo, exec_lo, s23
	s_waitcnt vmcnt(0)
	s_waitcnt_vscnt null, 0x0
	s_barrier
	buffer_gl0_inv
	s_cbranch_vccnz .LBB40_22
; %bb.17:                               ;   in Loop: Header=BB40_14 Depth=2
	v_add_nc_u32_e32 v0, s30, v56
	v_dual_mov_b32 v2, v55 :: v_dual_add_nc_u32 v1, s30, v54
	s_mov_b32 s33, 0
	s_mov_b32 s34, 0
                                        ; implicit-def: $sgpr35
	s_set_inst_prefetch_distance 0x1
	s_branch .LBB40_19
	.p2align	6
.LBB40_18:                              ;   in Loop: Header=BB40_19 Depth=3
	s_or_b32 exec_lo, exec_lo, s2
	s_delay_alu instid0(SALU_CYCLE_1) | instskip(NEXT) | instid1(SALU_CYCLE_1)
	s_and_b32 s2, exec_lo, s35
	s_or_b32 s33, s2, s33
	s_delay_alu instid0(SALU_CYCLE_1)
	s_and_not1_b32 exec_lo, exec_lo, s33
	s_cbranch_execz .LBB40_21
.LBB40_19:                              ;   Parent Loop BB40_7 Depth=1
                                        ;     Parent Loop BB40_14 Depth=2
                                        ; =>    This Inner Loop Header: Depth=3
	v_add_nc_u32_e32 v50, s34, v1
	v_add_nc_u32_e32 v3, s34, v54
	s_or_b32 s35, s35, exec_lo
	s_delay_alu instid0(VALU_DEP_2) | instskip(NEXT) | instid1(VALU_DEP_2)
	v_cmp_gt_u32_e32 vcc_lo, s18, v50
	v_cmp_gt_u32_e64 s2, s15, v3
	s_delay_alu instid0(VALU_DEP_1) | instskip(NEXT) | instid1(SALU_CYCLE_1)
	s_and_b32 s36, s2, vcc_lo
	s_and_saveexec_b32 s2, s36
	s_cbranch_execz .LBB40_18
; %bb.20:                               ;   in Loop: Header=BB40_19 Depth=3
	v_lshlrev_b64 v[3:4], 1, v[50:51]
	v_add_nc_u32_e32 v50, s34, v0
	s_add_i32 s34, s34, s24
	v_add_nc_u32_e32 v11, s29, v2
	s_cmp_ge_u32 s34, s15
	s_delay_alu instid0(VALU_DEP_2) | instskip(SKIP_3) | instid1(VALU_DEP_3)
	v_lshlrev_b64 v[7:8], 1, v[50:51]
	v_add_co_u32 v3, vcc_lo, s8, v3
	v_add_co_ci_u32_e32 v4, vcc_lo, s9, v4, vcc_lo
	s_cselect_b32 s36, -1, 0
	v_add_co_u32 v7, vcc_lo, s8, v7
	global_load_b128 v[3:6], v[3:4], off
	v_add_co_ci_u32_e32 v8, vcc_lo, s9, v8, vcc_lo
	s_and_not1_b32 s35, s35, exec_lo
	s_and_b32 s36, s36, exec_lo
	global_load_b128 v[7:10], v[7:8], off
	s_or_b32 s35, s35, s36
	s_waitcnt vmcnt(1)
	ds_store_b128 v2, v[3:6]
	v_add_nc_u32_e32 v2, s20, v2
	s_waitcnt vmcnt(0)
	ds_store_2addr_b64 v11, v[7:8], v[9:10] offset1:1
	s_branch .LBB40_18
.LBB40_21:                              ;   in Loop: Header=BB40_14 Depth=2
	s_set_inst_prefetch_distance 0x2
	s_or_b32 exec_lo, exec_lo, s33
.LBB40_22:                              ;   in Loop: Header=BB40_14 Depth=2
	s_waitcnt lgkmcnt(0)
	s_barrier
	buffer_gl0_inv
	s_and_saveexec_b32 s2, s1
	s_cbranch_execz .LBB40_13
.LBB40_23:                              ;   in Loop: Header=BB40_14 Depth=2
	v_dual_mov_b32 v47, 0 :: v_dual_add_nc_u32 v64, s31, v53
	v_dual_mov_b32 v38, 0 :: v_dual_mov_b32 v39, 0
	v_dual_mov_b32 v28, 0 :: v_dual_mov_b32 v29, 0
	s_delay_alu instid0(VALU_DEP_3) | instskip(SKIP_2) | instid1(VALU_DEP_3)
	v_min_u32_e32 v50, s25, v64
	v_dual_mov_b32 v46, 0 :: v_dual_add_nc_u32 v65, 0x100, v64
	v_dual_mov_b32 v36, 0 :: v_dual_add_nc_u32 v63, 0x200, v64
	v_lshlrev_b64 v[0:1], 1, v[50:51]
	s_delay_alu instid0(VALU_DEP_3) | instskip(SKIP_2) | instid1(VALU_DEP_3)
	v_min_u32_e32 v50, s25, v65
	v_dual_mov_b32 v37, 0 :: v_dual_add_nc_u32 v62, 0x300, v64
	v_dual_mov_b32 v30, 0 :: v_dual_mov_b32 v31, 0
	v_lshlrev_b64 v[2:3], 1, v[50:51]
	v_min_u32_e32 v50, s25, v63
	v_add_co_u32 v0, vcc_lo, v60, v0
	v_add_co_ci_u32_e32 v1, vcc_lo, v61, v1, vcc_lo
	s_waitcnt vmcnt(0)
	s_delay_alu instid0(VALU_DEP_3) | instskip(SKIP_3) | instid1(VALU_DEP_3)
	v_lshlrev_b64 v[4:5], 1, v[50:51]
	v_min_u32_e32 v50, s25, v62
	v_add_co_u32 v2, vcc_lo, v60, v2
	v_add_co_ci_u32_e32 v3, vcc_lo, v61, v3, vcc_lo
	v_lshlrev_b64 v[6:7], 1, v[50:51]
	v_add_co_u32 v4, vcc_lo, v60, v4
	v_add_co_ci_u32_e32 v5, vcc_lo, v61, v5, vcc_lo
	v_dual_mov_b32 v16, 0 :: v_dual_mov_b32 v17, 0
	s_delay_alu instid0(VALU_DEP_4)
	v_add_co_u32 v8, vcc_lo, v60, v6
	v_add_co_ci_u32_e32 v9, vcc_lo, v61, v7, vcc_lo
	s_clause 0x3
	global_load_b128 v[24:27], v[0:1], off slc dlc
	global_load_b128 v[12:15], v[2:3], off slc dlc
	;; [unrolled: 1-line block ×4, first 2 shown]
	v_cmp_gt_u32_e32 vcc_lo, s16, v64
	v_dual_mov_b32 v18, 0 :: v_dual_mov_b32 v19, 0
	v_dual_mov_b32 v40, 0 :: v_dual_mov_b32 v41, 0
	;; [unrolled: 1-line block ×10, first 2 shown]
	s_and_saveexec_b32 s33, vcc_lo
	s_cbranch_execz .LBB40_12
; %bb.24:                               ;   in Loop: Header=BB40_14 Depth=2
	v_subrev_nc_u32_e32 v8, s30, v64
	v_mov_b32_e32 v11, 0
	v_cmp_gt_u32_e32 vcc_lo, s16, v65
	v_dual_mov_b32 v10, 0 :: v_dual_mov_b32 v9, 0
	s_delay_alu instid0(VALU_DEP_4) | instskip(SKIP_2) | instid1(VALU_DEP_3)
	v_lshlrev_b32_e32 v50, 1, v8
	v_dual_mov_b32 v8, 0 :: v_dual_mov_b32 v23, 0
	v_dual_mov_b32 v22, 0 :: v_dual_mov_b32 v21, 0
	v_lshl_add_u32 v64, s15, 1, v50
	v_dual_mov_b32 v20, 0 :: v_dual_mov_b32 v35, 0
	v_dual_mov_b32 v34, 0 :: v_dual_mov_b32 v33, 0
	ds_load_b128 v[44:47], v50
	ds_load_b128 v[40:43], v64
	v_dual_mov_b32 v32, 0 :: v_dual_mov_b32 v19, 0
	v_dual_mov_b32 v18, 0 :: v_dual_mov_b32 v17, 0
	;; [unrolled: 1-line block ×6, first 2 shown]
	v_mov_b32_e32 v36, 0
	s_and_saveexec_b32 s34, vcc_lo
	s_cbranch_execz .LBB40_11
; %bb.25:                               ;   in Loop: Header=BB40_14 Depth=2
	ds_load_b128 v[36:39], v50 offset:512
	ds_load_b128 v[32:35], v64 offset:512
	v_dual_mov_b32 v11, 0 :: v_dual_mov_b32 v10, 0
	v_dual_mov_b32 v9, 0 :: v_dual_mov_b32 v8, 0
	;; [unrolled: 1-line block ×8, first 2 shown]
	s_mov_b32 s35, exec_lo
	v_cmpx_gt_u32_e64 s16, v63
	s_cbranch_execz .LBB40_10
; %bb.26:                               ;   in Loop: Header=BB40_14 Depth=2
	ds_load_b128 v[28:31], v50 offset:1024
	ds_load_b128 v[20:23], v64 offset:1024
	v_dual_mov_b32 v11, 0 :: v_dual_mov_b32 v10, 0
	v_dual_mov_b32 v9, 0 :: v_dual_mov_b32 v8, 0
	;; [unrolled: 1-line block ×4, first 2 shown]
	s_mov_b32 s36, exec_lo
	v_cmpx_gt_u32_e64 s16, v62
	s_cbranch_execz .LBB40_9
; %bb.27:                               ;   in Loop: Header=BB40_14 Depth=2
	ds_load_b128 v[16:19], v50 offset:1536
	ds_load_b128 v[8:11], v64 offset:1536
	s_branch .LBB40_9
.LBB40_28:                              ;   in Loop: Header=BB40_7 Depth=1
	s_mov_b32 s1, exec_lo
                                        ; implicit-def: $vgpr0
	v_cmpx_le_u32_e64 s19, v48
	s_xor_b32 s1, exec_lo, s1
; %bb.29:                               ;   in Loop: Header=BB40_7 Depth=1
	v_add_nc_u32_e32 v0, s21, v48
                                        ; implicit-def: $vgpr48
                                        ; implicit-def: $vgpr49
                                        ; implicit-def: $vgpr59
; %bb.30:                               ;   in Loop: Header=BB40_7 Depth=1
	s_and_not1_saveexec_b32 s2, s1
	s_cbranch_execz .LBB40_6
; %bb.31:                               ;   in Loop: Header=BB40_7 Depth=1
	v_cvt_i32_f32_e32 v0, v49
	v_cvt_i32_f32_e32 v1, v59
	s_delay_alu instid0(VALU_DEP_2) | instskip(NEXT) | instid1(VALU_DEP_2)
	v_cvt_f32_i32_dpp v0, v0 row_shr:8 row_mask:0xf bank_mask:0xf bound_ctrl:1
	v_cvt_f32_i32_dpp v1, v1 row_shr:8 row_mask:0xf bank_mask:0xf bound_ctrl:1
	s_delay_alu instid0(VALU_DEP_1) | instskip(NEXT) | instid1(VALU_DEP_1)
	v_dual_add_f32 v0, v49, v0 :: v_dual_add_f32 v1, v59, v1
	v_cvt_i32_f32_e32 v2, v0
	s_delay_alu instid0(VALU_DEP_2) | instskip(NEXT) | instid1(VALU_DEP_2)
	v_cvt_i32_f32_e32 v3, v1
	v_cvt_f32_i32_dpp v2, v2 row_shr:4 row_mask:0xf bank_mask:0xf bound_ctrl:1
	s_delay_alu instid0(VALU_DEP_2) | instskip(NEXT) | instid1(VALU_DEP_1)
	v_cvt_f32_i32_dpp v3, v3 row_shr:4 row_mask:0xf bank_mask:0xf bound_ctrl:1
	v_dual_add_f32 v0, v0, v2 :: v_dual_add_f32 v1, v1, v3
	s_delay_alu instid0(VALU_DEP_1) | instskip(NEXT) | instid1(VALU_DEP_2)
	v_cvt_i32_f32_e32 v2, v0
	v_cvt_i32_f32_e32 v3, v1
	s_delay_alu instid0(VALU_DEP_2) | instskip(NEXT) | instid1(VALU_DEP_2)
	v_cvt_f32_i32_dpp v2, v2 row_shr:2 row_mask:0xf bank_mask:0xf bound_ctrl:1
	v_cvt_f32_i32_dpp v3, v3 row_shr:2 row_mask:0xf bank_mask:0xf bound_ctrl:1
	s_delay_alu instid0(VALU_DEP_1) | instskip(SKIP_1) | instid1(VALU_DEP_2)
	v_dual_add_f32 v0, v0, v2 :: v_dual_add_f32 v1, v1, v3
	v_xor_b32_e32 v2, 16, v58
	v_cvt_i32_f32_e32 v3, v0
	s_waitcnt vmcnt(0)
	s_delay_alu instid0(VALU_DEP_3) | instskip(NEXT) | instid1(VALU_DEP_3)
	v_cvt_i32_f32_e32 v4, v1
	v_cmp_gt_i32_e32 vcc_lo, 32, v2
	s_delay_alu instid0(VALU_DEP_3) | instskip(NEXT) | instid1(VALU_DEP_3)
	v_cvt_f32_i32_dpp v3, v3 row_shr:1 row_mask:0xf bank_mask:0xf bound_ctrl:1
	v_cvt_f32_i32_dpp v4, v4 row_shr:1 row_mask:0xf bank_mask:0xf bound_ctrl:1
	v_cndmask_b32_e32 v2, v58, v2, vcc_lo
	s_delay_alu instid0(VALU_DEP_1) | instskip(NEXT) | instid1(VALU_DEP_3)
	v_dual_add_f32 v2, v0, v3 :: v_dual_lshlrev_b32 v5, 2, v2
	v_add_f32_e32 v0, v1, v4
	ds_bpermute_b32 v3, v5, v2
	ds_bpermute_b32 v1, v5, v0
	s_and_saveexec_b32 s1, s0
	s_cbranch_execz .LBB40_36
; %bb.32:                               ;   in Loop: Header=BB40_7 Depth=1
	v_dual_mov_b32 v4, 0 :: v_dual_mov_b32 v5, 0
	s_and_not1_b32 vcc_lo, exec_lo, s27
	s_cbranch_vccnz .LBB40_34
; %bb.33:                               ;   in Loop: Header=BB40_7 Depth=1
	v_mul_hi_u32 v4, v48, v57
	s_delay_alu instid0(VALU_DEP_1) | instskip(NEXT) | instid1(VALU_DEP_1)
	v_mul_lo_u32 v4, v4, s4
	v_sub_nc_u32_e32 v4, v48, v4
	s_delay_alu instid0(VALU_DEP_1) | instskip(SKIP_1) | instid1(VALU_DEP_2)
	v_subrev_nc_u32_e32 v5, s4, v4
	v_cmp_le_u32_e32 vcc_lo, s4, v4
	v_cndmask_b32_e32 v4, v4, v5, vcc_lo
	s_delay_alu instid0(VALU_DEP_1) | instskip(SKIP_1) | instid1(VALU_DEP_2)
	v_subrev_nc_u32_e32 v5, s4, v4
	v_cmp_le_u32_e32 vcc_lo, s4, v4
	v_cndmask_b32_e32 v50, v4, v5, vcc_lo
	s_delay_alu instid0(VALU_DEP_1) | instskip(SKIP_1) | instid1(VALU_DEP_1)
	v_lshlrev_b64 v[4:5], 1, v[50:51]
	v_add_nc_u32_e32 v50, s28, v50
	v_lshlrev_b64 v[6:7], 1, v[50:51]
	s_delay_alu instid0(VALU_DEP_3) | instskip(NEXT) | instid1(VALU_DEP_4)
	v_add_co_u32 v4, vcc_lo, s10, v4
	v_add_co_ci_u32_e32 v5, vcc_lo, s11, v5, vcc_lo
	s_delay_alu instid0(VALU_DEP_3) | instskip(NEXT) | instid1(VALU_DEP_4)
	v_add_co_u32 v6, vcc_lo, s10, v6
	v_add_co_ci_u32_e32 v7, vcc_lo, s11, v7, vcc_lo
	s_clause 0x1
	global_load_u16 v5, v[4:5], off
	global_load_u16 v4, v[6:7], off
.LBB40_34:                              ;   in Loop: Header=BB40_7 Depth=1
	v_cmp_ne_u32_e32 vcc_lo, 0, v52
	s_and_b32 exec_lo, exec_lo, vcc_lo
	s_cbranch_execz .LBB40_36
; %bb.35:                               ;   in Loop: Header=BB40_7 Depth=1
	s_waitcnt lgkmcnt(1)
	v_dual_add_f32 v2, v2, v3 :: v_dual_mov_b32 v49, v51
	s_waitcnt vmcnt(1)
	v_cvt_f32_f16_e32 v3, v5
	s_waitcnt lgkmcnt(0)
	v_dual_add_f32 v5, v0, v1 :: v_dual_add_nc_u32 v50, s19, v48
	s_waitcnt vmcnt(0)
	v_cvt_f32_f16_e32 v4, v4
	v_lshlrev_b64 v[0:1], 1, v[48:49]
	v_add_f32_e32 v6, v2, v3
	v_lshlrev_b64 v[2:3], 1, v[50:51]
	s_delay_alu instid0(VALU_DEP_4) | instskip(NEXT) | instid1(VALU_DEP_4)
	v_add_f32_e32 v4, v5, v4
	v_add_co_u32 v0, vcc_lo, s12, v0
	v_add_co_ci_u32_e32 v1, vcc_lo, s13, v1, vcc_lo
	s_delay_alu instid0(VALU_DEP_4)
	v_add_co_u32 v2, vcc_lo, s12, v2
	v_cvt_f16_f32_e32 v5, v6
	v_cvt_f16_f32_e32 v4, v4
	v_add_co_ci_u32_e32 v3, vcc_lo, s13, v3, vcc_lo
	s_clause 0x1
	global_store_b16 v[0:1], v5, off
	global_store_b16 v[2:3], v4, off
.LBB40_36:                              ;   in Loop: Header=BB40_7 Depth=1
	s_or_b32 exec_lo, exec_lo, s1
	v_add_nc_u32_e32 v0, s21, v48
	s_waitcnt lgkmcnt(0)
	s_delay_alu instid0(VALU_DEP_1) | instskip(SKIP_1) | instid1(VALU_DEP_2)
	v_add_nc_u32_e32 v1, 1, v0
	v_cmp_gt_u32_e32 vcc_lo, s19, v0
	v_cmp_le_u32_e64 s1, s19, v1
	s_delay_alu instid0(VALU_DEP_1) | instskip(NEXT) | instid1(SALU_CYCLE_1)
	s_and_b32 s30, vcc_lo, s1
	s_and_saveexec_b32 s1, s30
	s_cbranch_execz .LBB40_5
; %bb.37:                               ;   in Loop: Header=BB40_7 Depth=1
	v_add_nc_u32_e32 v0, s5, v48
	s_delay_alu instid0(VALU_DEP_1)
	v_cmp_eq_u32_e32 vcc_lo, 1, v0
	v_mov_b32_e32 v0, s26
	v_cndmask_b32_e32 v52, 0, v52, vcc_lo
	s_branch .LBB40_5
.LBB40_38:
	s_nop 0
	s_sendmsg sendmsg(MSG_DEALLOC_VGPRS)
	s_endpgm
	.section	.rodata,"a",@progbits
	.p2align	6, 0x0
	.amdhsa_kernel _Z16wvSplitK_hf_big_I6__halfLi32ELi1ELi16ELi8ELi4ELi2EEviiiiiiPKT_S3_S3_PS1_ii
		.amdhsa_group_segment_fixed_size 65536
		.amdhsa_private_segment_fixed_size 0
		.amdhsa_kernarg_size 64
		.amdhsa_user_sgpr_count 15
		.amdhsa_user_sgpr_dispatch_ptr 0
		.amdhsa_user_sgpr_queue_ptr 0
		.amdhsa_user_sgpr_kernarg_segment_ptr 1
		.amdhsa_user_sgpr_dispatch_id 0
		.amdhsa_user_sgpr_private_segment_size 0
		.amdhsa_wavefront_size32 1
		.amdhsa_uses_dynamic_stack 0
		.amdhsa_enable_private_segment 0
		.amdhsa_system_sgpr_workgroup_id_x 1
		.amdhsa_system_sgpr_workgroup_id_y 0
		.amdhsa_system_sgpr_workgroup_id_z 0
		.amdhsa_system_sgpr_workgroup_info 0
		.amdhsa_system_vgpr_workitem_id 1
		.amdhsa_next_free_vgpr 66
		.amdhsa_next_free_sgpr 37
		.amdhsa_reserve_vcc 1
		.amdhsa_float_round_mode_32 0
		.amdhsa_float_round_mode_16_64 0
		.amdhsa_float_denorm_mode_32 3
		.amdhsa_float_denorm_mode_16_64 3
		.amdhsa_dx10_clamp 1
		.amdhsa_ieee_mode 1
		.amdhsa_fp16_overflow 0
		.amdhsa_workgroup_processor_mode 1
		.amdhsa_memory_ordered 1
		.amdhsa_forward_progress 0
		.amdhsa_shared_vgpr_count 0
		.amdhsa_exception_fp_ieee_invalid_op 0
		.amdhsa_exception_fp_denorm_src 0
		.amdhsa_exception_fp_ieee_div_zero 0
		.amdhsa_exception_fp_ieee_overflow 0
		.amdhsa_exception_fp_ieee_underflow 0
		.amdhsa_exception_fp_ieee_inexact 0
		.amdhsa_exception_int_div_zero 0
	.end_amdhsa_kernel
	.section	.text._Z16wvSplitK_hf_big_I6__halfLi32ELi1ELi16ELi8ELi4ELi2EEviiiiiiPKT_S3_S3_PS1_ii,"axG",@progbits,_Z16wvSplitK_hf_big_I6__halfLi32ELi1ELi16ELi8ELi4ELi2EEviiiiiiPKT_S3_S3_PS1_ii,comdat
.Lfunc_end40:
	.size	_Z16wvSplitK_hf_big_I6__halfLi32ELi1ELi16ELi8ELi4ELi2EEviiiiiiPKT_S3_S3_PS1_ii, .Lfunc_end40-_Z16wvSplitK_hf_big_I6__halfLi32ELi1ELi16ELi8ELi4ELi2EEviiiiiiPKT_S3_S3_PS1_ii
                                        ; -- End function
	.section	.AMDGPU.csdata,"",@progbits
; Kernel info:
; codeLenInByte = 2948
; NumSgprs: 39
; NumVgprs: 66
; ScratchSize: 0
; MemoryBound: 0
; FloatMode: 240
; IeeeMode: 1
; LDSByteSize: 65536 bytes/workgroup (compile time only)
; SGPRBlocks: 4
; VGPRBlocks: 8
; NumSGPRsForWavesPerEU: 39
; NumVGPRsForWavesPerEU: 66
; Occupancy: 8
; WaveLimiterHint : 0
; COMPUTE_PGM_RSRC2:SCRATCH_EN: 0
; COMPUTE_PGM_RSRC2:USER_SGPR: 15
; COMPUTE_PGM_RSRC2:TRAP_HANDLER: 0
; COMPUTE_PGM_RSRC2:TGID_X_EN: 1
; COMPUTE_PGM_RSRC2:TGID_Y_EN: 0
; COMPUTE_PGM_RSRC2:TGID_Z_EN: 0
; COMPUTE_PGM_RSRC2:TIDIG_COMP_CNT: 1
	.section	.text._Z16wvSplitK_hf_sml_I6__halfLi32ELi2ELi16ELi8ELi2ELi2EEviiiiiiPKT_S3_S3_PS1_ii,"axG",@progbits,_Z16wvSplitK_hf_sml_I6__halfLi32ELi2ELi16ELi8ELi2ELi2EEviiiiiiPKT_S3_S3_PS1_ii,comdat
	.protected	_Z16wvSplitK_hf_sml_I6__halfLi32ELi2ELi16ELi8ELi2ELi2EEviiiiiiPKT_S3_S3_PS1_ii ; -- Begin function _Z16wvSplitK_hf_sml_I6__halfLi32ELi2ELi16ELi8ELi2ELi2EEviiiiiiPKT_S3_S3_PS1_ii
	.globl	_Z16wvSplitK_hf_sml_I6__halfLi32ELi2ELi16ELi8ELi2ELi2EEviiiiiiPKT_S3_S3_PS1_ii
	.p2align	8
	.type	_Z16wvSplitK_hf_sml_I6__halfLi32ELi2ELi16ELi8ELi2ELi2EEviiiiiiPKT_S3_S3_PS1_ii,@function
_Z16wvSplitK_hf_sml_I6__halfLi32ELi2ELi16ELi8ELi2ELi2EEviiiiiiPKT_S3_S3_PS1_ii: ; @_Z16wvSplitK_hf_sml_I6__halfLi32ELi2ELi16ELi8ELi2ELi2EEviiiiiiPKT_S3_S3_PS1_ii
; %bb.0:
	s_load_b128 s[4:7], s[0:1], 0x0
	v_and_b32_e32 v1, 0x3ff, v0
	v_bfe_u32 v0, v0, 10, 10
	s_mov_b32 s8, exec_lo
	s_delay_alu instid0(VALU_DEP_2) | instskip(NEXT) | instid1(VALU_DEP_1)
	v_lshlrev_b32_e32 v40, 3, v1
	v_lshl_add_u32 v3, v0, 8, v40
	s_waitcnt lgkmcnt(0)
	s_lshl_b32 s6, s6, 1
	s_delay_alu instid0(SALU_CYCLE_1)
	s_min_u32 s9, s6, 0x8000
	s_delay_alu instid0(VALU_DEP_1) | instid1(SALU_CYCLE_1)
	v_cmpx_gt_u32_e64 s9, v3
	s_cbranch_execz .LBB41_9
; %bb.1:
	s_load_b64 s[2:3], s[0:1], 0x20
	v_lshlrev_b32_e32 v2, 1, v3
	v_add_nc_u32_e32 v8, 0x1000, v3
	s_mov_b32 s10, exec_lo
	s_waitcnt lgkmcnt(0)
	global_load_b128 v[4:7], v2, s[2:3]
	s_waitcnt vmcnt(0)
	ds_store_b128 v2, v[4:7]
	v_cmpx_gt_u32_e64 s9, v8
	s_xor_b32 s10, exec_lo, s10
	s_cbranch_execz .LBB41_9
; %bb.2:
	v_add_co_u32 v4, s2, s2, v2
	s_delay_alu instid0(VALU_DEP_1) | instskip(SKIP_1) | instid1(VALU_DEP_3)
	v_add_co_ci_u32_e64 v5, null, s3, 0, s2
	v_add_nc_u32_e32 v10, 0x2000, v3
	v_add_co_u32 v6, vcc_lo, 0x2000, v4
	s_delay_alu instid0(VALU_DEP_3)
	v_add_co_ci_u32_e32 v7, vcc_lo, 0, v5, vcc_lo
	s_mov_b32 s2, exec_lo
	global_load_b128 v[6:9], v[6:7], off
	s_waitcnt vmcnt(0)
	ds_store_b128 v2, v[6:9] offset:8192
	v_cmpx_gt_u32_e64 s9, v10
	s_xor_b32 s2, exec_lo, s2
	s_cbranch_execz .LBB41_9
; %bb.3:
	v_add_co_u32 v6, vcc_lo, 0x4000, v4
	v_add_co_ci_u32_e32 v7, vcc_lo, 0, v5, vcc_lo
	v_add_nc_u32_e32 v10, 0x3000, v3
	s_mov_b32 s2, exec_lo
	global_load_b128 v[6:9], v[6:7], off
	s_waitcnt vmcnt(0)
	ds_store_b128 v2, v[6:9] offset:16384
	v_cmpx_gt_u32_e64 s9, v10
	s_xor_b32 s2, exec_lo, s2
	s_cbranch_execz .LBB41_9
; %bb.4:
	v_add_co_u32 v6, vcc_lo, 0x6000, v4
	v_add_co_ci_u32_e32 v7, vcc_lo, 0, v5, vcc_lo
	v_add_nc_u32_e32 v10, 0x4000, v3
	;; [unrolled: 11-line block ×5, first 2 shown]
	s_mov_b32 s2, exec_lo
	global_load_b128 v[6:9], v[6:7], off
	s_waitcnt vmcnt(0)
	ds_store_b128 v2, v[6:9] offset:49152
	v_cmpx_gt_u32_e64 s9, v3
	s_xor_b32 s2, exec_lo, s2
	s_cbranch_execz .LBB41_9
; %bb.8:
	v_add_co_u32 v3, vcc_lo, 0xe000, v4
	v_add_co_ci_u32_e32 v4, vcc_lo, 0, v5, vcc_lo
	global_load_b128 v[3:6], v[3:4], off
	s_waitcnt vmcnt(0)
	ds_store_b128 v2, v[3:6] offset:57344
.LBB41_9:
	s_or_b32 exec_lo, exec_lo, s8
	s_load_b64 s[16:17], s[0:1], 0x38
	s_waitcnt lgkmcnt(0)
	s_barrier
	buffer_gl0_inv
	s_mov_b32 s2, exec_lo
	v_cmpx_gt_u32_e64 s16, v0
	s_cbranch_execz .LBB41_26
; %bb.10:
	s_load_b64 s[2:3], s[0:1], 0x10
	s_mul_i32 s15, s15, s16
	s_delay_alu instid0(SALU_CYCLE_1) | instskip(NEXT) | instid1(VALU_DEP_1)
	v_add_lshl_u32 v32, s15, v0, 1
	v_cmp_gt_u32_e32 vcc_lo, s7, v32
	s_and_b32 exec_lo, exec_lo, vcc_lo
	s_cbranch_execz .LBB41_26
; %bb.11:
	s_waitcnt lgkmcnt(0)
	v_cvt_f32_u32_e32 v0, s2
	s_clause 0x1
	s_load_b128 s[8:11], s[0:1], 0x28
	s_load_b64 s[12:13], s[0:1], 0x18
	s_cmp_lg_u32 s4, 0
	s_mul_i32 s16, s16, s17
	v_rcp_iflag_f32_e32 v0, v0
	s_cselect_b32 s1, -1, 0
	s_add_i32 s14, s4, -8
	s_add_i32 s15, s7, -1
	v_lshlrev_b32_e32 v41, 4, v1
	v_mbcnt_lo_u32_b32 v42, -1, 0
	s_waitcnt_depctr 0xfff
	v_dual_mov_b32 v35, 0 :: v_dual_mul_f32 v0, 0x4f7ffffe, v0
	v_xor_b32_e32 v44, 16, v42
	s_delay_alu instid0(VALU_DEP_2)
	v_cvt_u32_f32_e32 v0, v0
	s_waitcnt lgkmcnt(0)
	s_cmp_lg_u64 s[8:9], 0
	s_cselect_b32 s18, -1, 0
	s_sub_i32 s0, 0, s2
	s_abs_i32 s3, s3
	v_mul_lo_u32 v2, s0, v0
	v_cmp_eq_u32_e64 s0, 31, v1
	s_lshl_b32 s16, s16, 1
	s_sub_i32 s17, 1, s3
	s_cmp_lt_u32 s3, 2
	s_cselect_b32 s17, s17, 1
	s_delay_alu instid0(VALU_DEP_2) | instskip(SKIP_4) | instid1(SALU_CYCLE_1)
	v_mul_hi_u32 v1, v0, v2
	s_sub_i32 s19, s17, s3
	s_cmp_ge_u32 s17, s3
	s_mov_b32 s3, 0
	s_cselect_b32 s17, s19, s17
	s_mul_i32 s17, s17, s2
	s_delay_alu instid0(VALU_DEP_1)
	v_add_nc_u32_e32 v43, v0, v1
	s_branch .LBB41_14
.LBB41_12:                              ;   in Loop: Header=BB41_14 Depth=1
	s_waitcnt lgkmcnt(3)
	v_add_f32_e32 v6, v6, v7
	s_waitcnt vmcnt(3)
	v_cvt_f32_f16_e32 v7, v11
	s_waitcnt lgkmcnt(0)
	v_dual_add_f32 v4, v4, v5 :: v_dual_add_f32 v3, v1, v3
	s_waitcnt vmcnt(2)
	v_cvt_f32_f16_e32 v5, v10
	v_dual_add_f32 v1, v6, v7 :: v_dual_add_nc_u32 v34, s7, v32
	v_add_f32_e32 v6, v0, v2
	s_waitcnt vmcnt(0)
	v_cvt_f32_f16_e32 v8, v8
	v_add_f32_e32 v2, v4, v5
	v_cvt_f32_f16_e32 v4, v9
	v_cvt_f16_f32_e32 v5, v1
	v_lshlrev_b64 v[0:1], 1, v[32:33]
	v_add_f32_e32 v6, v6, v8
	v_cvt_f16_f32_e32 v7, v2
	v_add_f32_e32 v4, v3, v4
	v_lshlrev_b64 v[2:3], 1, v[34:35]
	v_add_nc_u32_e32 v34, 1, v34
	v_add_co_u32 v0, vcc_lo, s10, v0
	v_pack_b32_f16 v7, v5, v7
	v_cvt_f16_f32_e32 v9, v4
	s_delay_alu instid0(VALU_DEP_4) | instskip(SKIP_3) | instid1(VALU_DEP_4)
	v_lshlrev_b64 v[4:5], 1, v[34:35]
	v_add_co_ci_u32_e32 v1, vcc_lo, s11, v1, vcc_lo
	v_add_co_u32 v2, vcc_lo, s10, v2
	v_add_co_ci_u32_e32 v3, vcc_lo, s11, v3, vcc_lo
	v_add_co_u32 v4, vcc_lo, s10, v4
	v_cvt_f16_f32_e32 v6, v6
	v_add_co_ci_u32_e32 v5, vcc_lo, s11, v5, vcc_lo
	s_clause 0x2
	global_store_b32 v[0:1], v7, off
	global_store_b16 v[2:3], v9, off
	global_store_b16 v[4:5], v6, off
.LBB41_13:                              ;   in Loop: Header=BB41_14 Depth=1
	s_or_b32 exec_lo, exec_lo, s19
	v_add_nc_u32_e32 v32, s16, v32
	s_delay_alu instid0(VALU_DEP_1) | instskip(SKIP_1) | instid1(SALU_CYCLE_1)
	v_cmp_le_u32_e32 vcc_lo, s7, v32
	s_or_b32 s3, vcc_lo, s3
	s_and_not1_b32 exec_lo, exec_lo, s3
	s_cbranch_execz .LBB41_26
.LBB41_14:                              ; =>This Loop Header: Depth=1
                                        ;     Child Loop BB41_18 Depth 2
	v_mov_b32_e32 v47, v35
	v_mov_b32_e32 v46, v35
	;; [unrolled: 1-line block ×4, first 2 shown]
	s_and_not1_b32 vcc_lo, exec_lo, s1
	s_cbranch_vccnz .LBB41_21
; %bb.15:                               ;   in Loop: Header=BB41_14 Depth=1
	v_or_b32_e32 v0, 1, v32
	v_min_u32_e32 v1, s15, v32
	v_dual_mov_b32 v33, 0 :: v_dual_mov_b32 v46, 0
	v_mov_b32_e32 v45, 0
	s_delay_alu instid0(VALU_DEP_4) | instskip(NEXT) | instid1(VALU_DEP_4)
	v_min_u32_e32 v0, s15, v0
	v_mul_lo_u32 v34, v1, s5
	v_dual_mov_b32 v1, v35 :: v_dual_mov_b32 v48, v41
	v_mov_b32_e32 v47, 0
	s_delay_alu instid0(VALU_DEP_4) | instskip(SKIP_1) | instid1(VALU_DEP_4)
	v_mul_lo_u32 v0, v0, s5
	s_mov_b32 s19, 0
	v_lshlrev_b64 v[36:37], 1, v[34:35]
	s_delay_alu instid0(VALU_DEP_2)
	v_lshlrev_b64 v[38:39], 1, v[0:1]
	s_branch .LBB41_18
.LBB41_16:                              ;   in Loop: Header=BB41_18 Depth=2
	s_or_b32 exec_lo, exec_lo, s21
.LBB41_17:                              ;   in Loop: Header=BB41_18 Depth=2
	s_delay_alu instid0(SALU_CYCLE_1)
	s_or_b32 exec_lo, exec_lo, s20
	s_waitcnt vmcnt(3) lgkmcnt(1)
	;;#ASMSTART
	v_dot2_f32_f16 v47, v28, v20, v47
	;;#ASMEND
	s_waitcnt vmcnt(2)
	;;#ASMSTART
	v_dot2_f32_f16 v46, v28, v16, v46
	;;#ASMEND
	s_waitcnt lgkmcnt(0)
	;;#ASMSTART
	v_dot2_f32_f16 v45, v24, v20, v45
	;;#ASMEND
	;;#ASMSTART
	v_dot2_f32_f16 v33, v24, v16, v33
	;;#ASMEND
	;; [unrolled: 3-line block ×10, first 2 shown]
	v_add_nc_u32_e32 v48, 0x400, v48
	;;#ASMSTART
	v_dot2_f32_f16 v47, v31, v23, v47
	;;#ASMEND
	;;#ASMSTART
	v_dot2_f32_f16 v46, v31, v19, v46
	;;#ASMEND
	;; [unrolled: 3-line block ×4, first 2 shown]
	s_addk_i32 s19, 0x200
	s_waitcnt vmcnt(1)
	;;#ASMSTART
	v_dot2_f32_f16 v47, v12, v4, v47
	;;#ASMEND
	s_waitcnt vmcnt(0)
	;;#ASMSTART
	v_dot2_f32_f16 v46, v12, v0, v46
	;;#ASMEND
	;;#ASMSTART
	v_dot2_f32_f16 v45, v8, v4, v45
	;;#ASMEND
	;; [unrolled: 3-line block ×7, first 2 shown]
	s_cmp_ge_u32 s19, s4
	;;#ASMSTART
	v_dot2_f32_f16 v47, v14, v6, v47
	;;#ASMEND
	;;#ASMSTART
	v_dot2_f32_f16 v46, v14, v2, v46
	;;#ASMEND
	;; [unrolled: 3-line block ×8, first 2 shown]
	s_cbranch_scc1 .LBB41_21
.LBB41_18:                              ;   Parent Loop BB41_14 Depth=1
                                        ; =>  This Inner Loop Header: Depth=2
	v_dual_mov_b32 v29, 0 :: v_dual_add_nc_u32 v10, s19, v40
	v_dual_mov_b32 v30, 0 :: v_dual_mov_b32 v31, 0
	v_dual_mov_b32 v12, 0 :: v_dual_mov_b32 v13, 0
	s_delay_alu instid0(VALU_DEP_3) | instskip(SKIP_2) | instid1(VALU_DEP_3)
	v_min_u32_e32 v34, s14, v10
	v_dual_mov_b32 v28, 0 :: v_dual_add_nc_u32 v49, 0x100, v10
	v_dual_mov_b32 v14, 0 :: v_dual_mov_b32 v15, 0
	v_lshlrev_b64 v[0:1], 1, v[34:35]
	s_delay_alu instid0(VALU_DEP_3) | instskip(SKIP_2) | instid1(VALU_DEP_4)
	v_min_u32_e32 v34, s14, v49
	v_dual_mov_b32 v24, 0 :: v_dual_mov_b32 v25, 0
	v_dual_mov_b32 v26, 0 :: v_dual_mov_b32 v27, 0
	v_add_co_u32 v4, vcc_lo, s12, v0
	s_waitcnt lgkmcnt(2)
	v_add_co_ci_u32_e32 v5, vcc_lo, s13, v1, vcc_lo
	v_lshlrev_b64 v[0:1], 1, v[34:35]
	s_waitcnt lgkmcnt(1)
	v_add_co_u32 v2, vcc_lo, v4, v36
	s_waitcnt lgkmcnt(0)
	v_add_co_ci_u32_e32 v3, vcc_lo, v5, v37, vcc_lo
	v_mov_b32_e32 v11, 0
	v_add_co_u32 v6, vcc_lo, s12, v0
	v_add_co_ci_u32_e32 v7, vcc_lo, s13, v1, vcc_lo
	v_add_co_u32 v0, vcc_lo, v4, v38
	v_add_co_ci_u32_e32 v1, vcc_lo, v5, v39, vcc_lo
	s_delay_alu instid0(VALU_DEP_4) | instskip(NEXT) | instid1(VALU_DEP_4)
	v_add_co_u32 v4, vcc_lo, v6, v36
	v_add_co_ci_u32_e32 v5, vcc_lo, v7, v37, vcc_lo
	v_add_co_u32 v8, vcc_lo, v6, v38
	v_add_co_ci_u32_e32 v9, vcc_lo, v7, v39, vcc_lo
	s_clause 0x3
	global_load_b128 v[20:23], v[2:3], off slc dlc
	global_load_b128 v[16:19], v[0:1], off slc dlc
	;; [unrolled: 1-line block ×4, first 2 shown]
	v_cmp_gt_u32_e32 vcc_lo, s4, v10
	v_dual_mov_b32 v8, 0 :: v_dual_mov_b32 v9, 0
	v_mov_b32_e32 v10, 0
	s_and_saveexec_b32 s20, vcc_lo
	s_cbranch_execz .LBB41_17
; %bb.19:                               ;   in Loop: Header=BB41_18 Depth=2
	v_dual_mov_b32 v11, 0 :: v_dual_add_nc_u32 v34, s6, v48
	v_dual_mov_b32 v10, 0 :: v_dual_mov_b32 v9, 0
	ds_load_b128 v[28:31], v48
	ds_load_b128 v[24:27], v34
	v_dual_mov_b32 v8, 0 :: v_dual_mov_b32 v15, 0
	v_dual_mov_b32 v14, 0 :: v_dual_mov_b32 v13, 0
	v_mov_b32_e32 v12, 0
	s_mov_b32 s21, exec_lo
	v_cmpx_gt_u32_e64 s4, v49
	s_cbranch_execz .LBB41_16
; %bb.20:                               ;   in Loop: Header=BB41_18 Depth=2
	ds_load_b128 v[12:15], v48 offset:512
	ds_load_b128 v[8:11], v34 offset:512
	s_branch .LBB41_16
.LBB41_21:                              ;   in Loop: Header=BB41_14 Depth=1
	; sched_barrier mask(0x00000000)
	v_cvt_i32_f32_e32 v0, v47
	v_cvt_i32_f32_e32 v1, v46
	s_waitcnt lgkmcnt(0)
	v_cvt_i32_f32_e32 v3, v33
	v_cvt_i32_f32_e32 v2, v45
	v_cmp_gt_i32_e32 vcc_lo, 32, v44
	v_cvt_f32_i32_dpp v0, v0 row_shr:8 row_mask:0xf bank_mask:0xf bound_ctrl:1
	v_cvt_f32_i32_dpp v1, v1 row_shr:8 row_mask:0xf bank_mask:0xf bound_ctrl:1
	;; [unrolled: 1-line block ×4, first 2 shown]
	v_cndmask_b32_e32 v8, v42, v44, vcc_lo
	s_delay_alu instid0(VALU_DEP_4) | instskip(NEXT) | instid1(VALU_DEP_1)
	v_dual_add_f32 v0, v47, v0 :: v_dual_add_f32 v1, v46, v1
	v_cvt_i32_f32_e32 v4, v0
	s_delay_alu instid0(VALU_DEP_2) | instskip(NEXT) | instid1(VALU_DEP_2)
	v_cvt_i32_f32_e32 v5, v1
	v_cvt_f32_i32_dpp v4, v4 row_shr:4 row_mask:0xf bank_mask:0xf bound_ctrl:1
	v_add_f32_e32 v3, v33, v3
	s_delay_alu instid0(VALU_DEP_3) | instskip(NEXT) | instid1(VALU_DEP_3)
	v_cvt_f32_i32_dpp v5, v5 row_shr:4 row_mask:0xf bank_mask:0xf bound_ctrl:1
	v_add_f32_e32 v0, v0, v4
	s_delay_alu instid0(VALU_DEP_3) | instskip(NEXT) | instid1(VALU_DEP_2)
	v_cvt_i32_f32_e32 v7, v3
	v_cvt_i32_f32_e32 v4, v0
	s_delay_alu instid0(VALU_DEP_2) | instskip(SKIP_1) | instid1(VALU_DEP_3)
	v_cvt_f32_i32_dpp v7, v7 row_shr:4 row_mask:0xf bank_mask:0xf bound_ctrl:1
	v_add_f32_e32 v2, v45, v2
	v_cvt_f32_i32_dpp v4, v4 row_shr:2 row_mask:0xf bank_mask:0xf bound_ctrl:1
	s_delay_alu instid0(VALU_DEP_3) | instskip(NEXT) | instid1(VALU_DEP_3)
	v_add_f32_e32 v3, v3, v7
	v_cvt_i32_f32_e32 v6, v2
	s_delay_alu instid0(VALU_DEP_2) | instskip(NEXT) | instid1(VALU_DEP_2)
	v_cvt_i32_f32_e32 v7, v3
	v_cvt_f32_i32_dpp v6, v6 row_shr:4 row_mask:0xf bank_mask:0xf bound_ctrl:1
	v_add_f32_e32 v1, v1, v5
	s_delay_alu instid0(VALU_DEP_3) | instskip(NEXT) | instid1(VALU_DEP_3)
	v_cvt_f32_i32_dpp v7, v7 row_shr:2 row_mask:0xf bank_mask:0xf bound_ctrl:1
	v_add_f32_e32 v2, v2, v6
	s_delay_alu instid0(VALU_DEP_3) | instskip(NEXT) | instid1(VALU_DEP_3)
	v_cvt_i32_f32_e32 v5, v1
	v_add_f32_e32 v3, v3, v7
	s_delay_alu instid0(VALU_DEP_3) | instskip(NEXT) | instid1(VALU_DEP_3)
	v_cvt_i32_f32_e32 v6, v2
	v_cvt_f32_i32_dpp v5, v5 row_shr:2 row_mask:0xf bank_mask:0xf bound_ctrl:1
	v_add_f32_e32 v0, v0, v4
	s_delay_alu instid0(VALU_DEP_4) | instskip(NEXT) | instid1(VALU_DEP_4)
	v_cvt_i32_f32_e32 v7, v3
	v_cvt_f32_i32_dpp v6, v6 row_shr:2 row_mask:0xf bank_mask:0xf bound_ctrl:1
	s_delay_alu instid0(VALU_DEP_4) | instskip(NEXT) | instid1(VALU_DEP_4)
	v_add_f32_e32 v1, v1, v5
	v_cvt_i32_f32_e32 v4, v0
	s_delay_alu instid0(VALU_DEP_4) | instskip(NEXT) | instid1(VALU_DEP_4)
	v_cvt_f32_i32_dpp v7, v7 row_shr:1 row_mask:0xf bank_mask:0xf bound_ctrl:1
	v_add_f32_e32 v2, v2, v6
	s_delay_alu instid0(VALU_DEP_4) | instskip(NEXT) | instid1(VALU_DEP_4)
	v_cvt_i32_f32_e32 v5, v1
	v_cvt_f32_i32_dpp v4, v4 row_shr:1 row_mask:0xf bank_mask:0xf bound_ctrl:1
	s_delay_alu instid0(VALU_DEP_3) | instskip(NEXT) | instid1(VALU_DEP_3)
	v_cvt_i32_f32_e32 v6, v2
	v_cvt_f32_i32_dpp v5, v5 row_shr:1 row_mask:0xf bank_mask:0xf bound_ctrl:1
	s_delay_alu instid0(VALU_DEP_2) | instskip(SKIP_2) | instid1(VALU_DEP_4)
	v_cvt_f32_i32_dpp v9, v6 row_shr:1 row_mask:0xf bank_mask:0xf bound_ctrl:1
	v_lshlrev_b32_e32 v8, 2, v8
	v_add_f32_e32 v6, v0, v4
	v_add_f32_e32 v4, v1, v5
	s_delay_alu instid0(VALU_DEP_4)
	v_dual_add_f32 v0, v3, v7 :: v_dual_add_f32 v1, v2, v9
	ds_bpermute_b32 v7, v8, v6
	ds_bpermute_b32 v5, v8, v4
	;; [unrolled: 1-line block ×4, first 2 shown]
	s_and_saveexec_b32 s19, s0
	s_cbranch_execz .LBB41_13
; %bb.22:                               ;   in Loop: Header=BB41_14 Depth=1
	s_and_b32 vcc_lo, exec_lo, s18
	s_cbranch_vccz .LBB41_24
; %bb.23:                               ;   in Loop: Header=BB41_14 Depth=1
	v_mul_hi_u32 v8, v32, v43
	v_or_b32_e32 v9, 1, v32
	v_mov_b32_e32 v33, v35
	s_delay_alu instid0(VALU_DEP_2) | instskip(NEXT) | instid1(VALU_DEP_4)
	v_mul_hi_u32 v10, v9, v43
	v_mul_lo_u32 v8, v8, s2
	s_delay_alu instid0(VALU_DEP_2) | instskip(NEXT) | instid1(VALU_DEP_2)
	v_mul_lo_u32 v10, v10, s2
	v_sub_nc_u32_e32 v8, v32, v8
	s_delay_alu instid0(VALU_DEP_1) | instskip(NEXT) | instid1(VALU_DEP_3)
	v_subrev_nc_u32_e32 v11, s2, v8
	v_sub_nc_u32_e32 v9, v9, v10
	v_cmp_le_u32_e32 vcc_lo, s2, v8
	s_delay_alu instid0(VALU_DEP_2) | instskip(NEXT) | instid1(VALU_DEP_4)
	v_subrev_nc_u32_e32 v10, s2, v9
	v_cndmask_b32_e32 v8, v8, v11, vcc_lo
	v_cmp_le_u32_e32 vcc_lo, s2, v9
	s_delay_alu instid0(VALU_DEP_3) | instskip(NEXT) | instid1(VALU_DEP_3)
	v_dual_cndmask_b32 v12, v9, v10 :: v_dual_mov_b32 v9, v35
	v_subrev_nc_u32_e32 v11, s2, v8
	v_cmp_le_u32_e32 vcc_lo, s2, v8
	s_delay_alu instid0(VALU_DEP_2) | instskip(NEXT) | instid1(VALU_DEP_4)
	v_cndmask_b32_e32 v34, v8, v11, vcc_lo
	v_subrev_nc_u32_e32 v8, s2, v12
	v_cmp_le_u32_e32 vcc_lo, s2, v12
	s_delay_alu instid0(VALU_DEP_3) | instskip(SKIP_1) | instid1(VALU_DEP_4)
	v_lshlrev_b64 v[10:11], 1, v[34:35]
	v_add_nc_u32_e32 v34, s17, v34
	v_cndmask_b32_e32 v8, v12, v8, vcc_lo
	s_delay_alu instid0(VALU_DEP_2) | instskip(NEXT) | instid1(VALU_DEP_2)
	v_lshlrev_b64 v[14:15], 1, v[34:35]
	v_lshlrev_b64 v[12:13], 1, v[8:9]
	v_add_nc_u32_e32 v34, s17, v8
	v_add_co_u32 v8, vcc_lo, s8, v10
	v_add_co_ci_u32_e32 v9, vcc_lo, s9, v11, vcc_lo
	s_delay_alu instid0(VALU_DEP_3)
	v_lshlrev_b64 v[10:11], 1, v[34:35]
	v_add_co_u32 v12, vcc_lo, s8, v12
	v_add_co_ci_u32_e32 v13, vcc_lo, s9, v13, vcc_lo
	v_add_co_u32 v14, vcc_lo, s8, v14
	v_add_co_ci_u32_e32 v15, vcc_lo, s9, v15, vcc_lo
	;; [unrolled: 2-line block ×3, first 2 shown]
	s_clause 0x3
	global_load_u16 v11, v[8:9], off
	global_load_u16 v10, v[12:13], off
	;; [unrolled: 1-line block ×4, first 2 shown]
	s_cbranch_execnz .LBB41_12
	s_branch .LBB41_25
.LBB41_24:                              ;   in Loop: Header=BB41_14 Depth=1
                                        ; implicit-def: $vgpr11
                                        ; implicit-def: $vgpr10
                                        ; implicit-def: $vgpr9
                                        ; implicit-def: $vgpr8
.LBB41_25:                              ;   in Loop: Header=BB41_14 Depth=1
	s_waitcnt vmcnt(0)
	v_dual_mov_b32 v33, v35 :: v_dual_mov_b32 v8, 0
	v_dual_mov_b32 v9, 0 :: v_dual_mov_b32 v10, 0
	v_mov_b32_e32 v11, 0
	s_branch .LBB41_12
.LBB41_26:
	s_nop 0
	s_sendmsg sendmsg(MSG_DEALLOC_VGPRS)
	s_endpgm
	.section	.rodata,"a",@progbits
	.p2align	6, 0x0
	.amdhsa_kernel _Z16wvSplitK_hf_sml_I6__halfLi32ELi2ELi16ELi8ELi2ELi2EEviiiiiiPKT_S3_S3_PS1_ii
		.amdhsa_group_segment_fixed_size 65536
		.amdhsa_private_segment_fixed_size 0
		.amdhsa_kernarg_size 64
		.amdhsa_user_sgpr_count 15
		.amdhsa_user_sgpr_dispatch_ptr 0
		.amdhsa_user_sgpr_queue_ptr 0
		.amdhsa_user_sgpr_kernarg_segment_ptr 1
		.amdhsa_user_sgpr_dispatch_id 0
		.amdhsa_user_sgpr_private_segment_size 0
		.amdhsa_wavefront_size32 1
		.amdhsa_uses_dynamic_stack 0
		.amdhsa_enable_private_segment 0
		.amdhsa_system_sgpr_workgroup_id_x 1
		.amdhsa_system_sgpr_workgroup_id_y 0
		.amdhsa_system_sgpr_workgroup_id_z 0
		.amdhsa_system_sgpr_workgroup_info 0
		.amdhsa_system_vgpr_workitem_id 1
		.amdhsa_next_free_vgpr 50
		.amdhsa_next_free_sgpr 22
		.amdhsa_reserve_vcc 1
		.amdhsa_float_round_mode_32 0
		.amdhsa_float_round_mode_16_64 0
		.amdhsa_float_denorm_mode_32 3
		.amdhsa_float_denorm_mode_16_64 3
		.amdhsa_dx10_clamp 1
		.amdhsa_ieee_mode 1
		.amdhsa_fp16_overflow 0
		.amdhsa_workgroup_processor_mode 1
		.amdhsa_memory_ordered 1
		.amdhsa_forward_progress 0
		.amdhsa_shared_vgpr_count 0
		.amdhsa_exception_fp_ieee_invalid_op 0
		.amdhsa_exception_fp_denorm_src 0
		.amdhsa_exception_fp_ieee_div_zero 0
		.amdhsa_exception_fp_ieee_overflow 0
		.amdhsa_exception_fp_ieee_underflow 0
		.amdhsa_exception_fp_ieee_inexact 0
		.amdhsa_exception_int_div_zero 0
	.end_amdhsa_kernel
	.section	.text._Z16wvSplitK_hf_sml_I6__halfLi32ELi2ELi16ELi8ELi2ELi2EEviiiiiiPKT_S3_S3_PS1_ii,"axG",@progbits,_Z16wvSplitK_hf_sml_I6__halfLi32ELi2ELi16ELi8ELi2ELi2EEviiiiiiPKT_S3_S3_PS1_ii,comdat
.Lfunc_end41:
	.size	_Z16wvSplitK_hf_sml_I6__halfLi32ELi2ELi16ELi8ELi2ELi2EEviiiiiiPKT_S3_S3_PS1_ii, .Lfunc_end41-_Z16wvSplitK_hf_sml_I6__halfLi32ELi2ELi16ELi8ELi2ELi2EEviiiiiiPKT_S3_S3_PS1_ii
                                        ; -- End function
	.section	.AMDGPU.csdata,"",@progbits
; Kernel info:
; codeLenInByte = 2908
; NumSgprs: 24
; NumVgprs: 50
; ScratchSize: 0
; MemoryBound: 0
; FloatMode: 240
; IeeeMode: 1
; LDSByteSize: 65536 bytes/workgroup (compile time only)
; SGPRBlocks: 2
; VGPRBlocks: 6
; NumSGPRsForWavesPerEU: 24
; NumVGPRsForWavesPerEU: 50
; Occupancy: 8
; WaveLimiterHint : 0
; COMPUTE_PGM_RSRC2:SCRATCH_EN: 0
; COMPUTE_PGM_RSRC2:USER_SGPR: 15
; COMPUTE_PGM_RSRC2:TRAP_HANDLER: 0
; COMPUTE_PGM_RSRC2:TGID_X_EN: 1
; COMPUTE_PGM_RSRC2:TGID_Y_EN: 0
; COMPUTE_PGM_RSRC2:TGID_Z_EN: 0
; COMPUTE_PGM_RSRC2:TIDIG_COMP_CNT: 1
	.section	.text._Z12wvSplitK_hf_I6__halfLi32ELi2ELi16ELi8ELi2ELi2EEviiiiiiPKT_S3_S3_PS1_ii,"axG",@progbits,_Z12wvSplitK_hf_I6__halfLi32ELi2ELi16ELi8ELi2ELi2EEviiiiiiPKT_S3_S3_PS1_ii,comdat
	.protected	_Z12wvSplitK_hf_I6__halfLi32ELi2ELi16ELi8ELi2ELi2EEviiiiiiPKT_S3_S3_PS1_ii ; -- Begin function _Z12wvSplitK_hf_I6__halfLi32ELi2ELi16ELi8ELi2ELi2EEviiiiiiPKT_S3_S3_PS1_ii
	.globl	_Z12wvSplitK_hf_I6__halfLi32ELi2ELi16ELi8ELi2ELi2EEviiiiiiPKT_S3_S3_PS1_ii
	.p2align	8
	.type	_Z12wvSplitK_hf_I6__halfLi32ELi2ELi16ELi8ELi2ELi2EEviiiiiiPKT_S3_S3_PS1_ii,@function
_Z12wvSplitK_hf_I6__halfLi32ELi2ELi16ELi8ELi2ELi2EEviiiiiiPKT_S3_S3_PS1_ii: ; @_Z12wvSplitK_hf_I6__halfLi32ELi2ELi16ELi8ELi2ELi2EEviiiiiiPKT_S3_S3_PS1_ii
; %bb.0:
	s_clause 0x1
	s_load_b64 s[18:19], s[0:1], 0x38
	s_load_b128 s[4:7], s[0:1], 0x0
	v_bfe_u32 v1, v0, 10, 10
	s_clause 0x1
	s_load_b64 s[12:13], s[0:1], 0x20
	s_load_b64 s[16:17], s[0:1], 0x10
	s_mov_b32 s8, 1
	s_delay_alu instid0(SALU_CYCLE_1) | instskip(NEXT) | instid1(SALU_CYCLE_1)
	s_mov_b32 s9, s8
	v_dual_mov_b32 v33, s9 :: v_dual_mov_b32 v32, s8
	s_waitcnt lgkmcnt(0)
	s_mul_i32 s15, s15, s18
	s_delay_alu instid0(SALU_CYCLE_1) | instskip(NEXT) | instid1(VALU_DEP_1)
	v_add_lshl_u32 v34, s15, v1, 1
	v_add_nc_u32_e32 v2, 2, v34
	v_cmp_gt_u32_e32 vcc_lo, s7, v34
	s_delay_alu instid0(VALU_DEP_2) | instskip(NEXT) | instid1(VALU_DEP_1)
	v_cmp_le_u32_e64 s2, s7, v2
	s_and_b32 s2, vcc_lo, s2
	s_delay_alu instid0(SALU_CYCLE_1)
	s_and_saveexec_b32 s10, s2
	s_cbranch_execz .LBB42_6
; %bb.1:
	v_dual_mov_b32 v33, s9 :: v_dual_mov_b32 v32, s8
	s_add_i32 s11, s7, -2
	s_mov_b32 s14, exec_lo
	v_cmpx_ne_u32_e64 s11, v34
	s_cbranch_execz .LBB42_5
; %bb.2:
	v_subrev_nc_u32_e32 v2, s11, v34
	s_mov_b32 s2, 1
	s_mov_b32 s15, 0
	s_mov_b64 s[8:9], 0
	s_mov_b32 s3, s2
	v_cmp_lt_u32_e32 vcc_lo, 1, v2
	v_cndmask_b32_e32 v2, 1, v2, vcc_lo
.LBB42_3:                               ; =>This Inner Loop Header: Depth=1
	s_cmp_lg_u32 s8, 1
	s_cselect_b32 s3, s3, 0
	s_cmp_lg_u32 s8, 0
	s_cselect_b32 s2, s2, 0
	s_add_u32 s8, s8, 1
	v_dual_mov_b32 v33, s3 :: v_dual_mov_b32 v32, s2
	v_cmp_eq_u32_e32 vcc_lo, s8, v2
	s_addc_u32 s9, s9, 0
	s_or_b32 s15, vcc_lo, s15
	s_delay_alu instid0(SALU_CYCLE_1)
	s_and_not1_b32 exec_lo, exec_lo, s15
	s_cbranch_execnz .LBB42_3
; %bb.4:
	s_or_b32 exec_lo, exec_lo, s15
	v_mov_b32_e32 v34, s11
.LBB42_5:
	s_or_b32 exec_lo, exec_lo, s14
.LBB42_6:
	s_delay_alu instid0(SALU_CYCLE_1) | instskip(SKIP_2) | instid1(SALU_CYCLE_1)
	s_or_b32 exec_lo, exec_lo, s10
	v_and_b32_e32 v0, 0x3ff, v0
	s_lshl_b32 s2, s6, 1
	s_min_u32 s3, s2, 0x8000
	s_mov_b32 s2, exec_lo
	s_delay_alu instid0(VALU_DEP_1) | instskip(NEXT) | instid1(VALU_DEP_1)
	v_lshlrev_b32_e32 v45, 3, v0
	v_lshl_add_u32 v3, v1, 8, v45
	s_delay_alu instid0(VALU_DEP_1)
	v_cmpx_gt_u32_e64 s3, v3
	s_cbranch_execz .LBB42_15
; %bb.7:
	v_lshlrev_b32_e32 v2, 1, v3
	v_add_nc_u32_e32 v8, 0x1000, v3
	s_mov_b32 s8, exec_lo
	global_load_b128 v[4:7], v2, s[12:13]
	s_waitcnt vmcnt(0)
	ds_store_b128 v2, v[4:7]
	v_cmpx_gt_u32_e64 s3, v8
	s_xor_b32 s8, exec_lo, s8
	s_cbranch_execz .LBB42_15
; %bb.8:
	v_add_co_u32 v4, s8, s12, v2
	s_delay_alu instid0(VALU_DEP_1) | instskip(SKIP_1) | instid1(VALU_DEP_3)
	v_add_co_ci_u32_e64 v5, null, s13, 0, s8
	v_add_nc_u32_e32 v10, 0x2000, v3
	v_add_co_u32 v6, vcc_lo, 0x2000, v4
	s_delay_alu instid0(VALU_DEP_3)
	v_add_co_ci_u32_e32 v7, vcc_lo, 0, v5, vcc_lo
	s_mov_b32 s8, exec_lo
	global_load_b128 v[6:9], v[6:7], off
	s_waitcnt vmcnt(0)
	ds_store_b128 v2, v[6:9] offset:8192
	v_cmpx_gt_u32_e64 s3, v10
	s_xor_b32 s8, exec_lo, s8
	s_cbranch_execz .LBB42_15
; %bb.9:
	v_add_co_u32 v6, vcc_lo, 0x4000, v4
	v_add_co_ci_u32_e32 v7, vcc_lo, 0, v5, vcc_lo
	v_add_nc_u32_e32 v10, 0x3000, v3
	s_mov_b32 s8, exec_lo
	global_load_b128 v[6:9], v[6:7], off
	s_waitcnt vmcnt(0)
	ds_store_b128 v2, v[6:9] offset:16384
	v_cmpx_gt_u32_e64 s3, v10
	s_xor_b32 s8, exec_lo, s8
	s_cbranch_execz .LBB42_15
; %bb.10:
	v_add_co_u32 v6, vcc_lo, 0x6000, v4
	v_add_co_ci_u32_e32 v7, vcc_lo, 0, v5, vcc_lo
	v_add_nc_u32_e32 v10, 0x4000, v3
	;; [unrolled: 11-line block ×5, first 2 shown]
	global_load_b128 v[6:9], v[6:7], off
	v_cmp_gt_u32_e32 vcc_lo, s3, v3
	s_waitcnt vmcnt(0)
	ds_store_b128 v2, v[6:9] offset:49152
	s_and_saveexec_b32 s3, vcc_lo
	s_delay_alu instid0(SALU_CYCLE_1)
	s_xor_b32 s3, exec_lo, s3
	s_cbranch_execz .LBB42_15
; %bb.14:
	v_add_co_u32 v3, vcc_lo, 0xe000, v4
	v_add_co_ci_u32_e32 v4, vcc_lo, 0, v5, vcc_lo
	global_load_b128 v[3:6], v[3:4], off
	s_waitcnt vmcnt(0)
	ds_store_b128 v2, v[3:6] offset:57344
.LBB42_15:
	s_or_b32 exec_lo, exec_lo, s2
	v_cmp_gt_u32_e32 vcc_lo, s18, v1
	v_cmp_gt_u32_e64 s2, s7, v34
	s_waitcnt lgkmcnt(0)
	s_barrier
	buffer_gl0_inv
	s_and_b32 s2, vcc_lo, s2
	s_delay_alu instid0(SALU_CYCLE_1)
	s_and_saveexec_b32 s3, s2
	s_cbranch_execz .LBB42_58
; %bb.16:
	v_cvt_f32_u32_e32 v1, s16
	s_clause 0x1
	s_load_b128 s[8:11], s[0:1], 0x28
	s_load_b64 s[14:15], s[0:1], 0x18
	s_cmp_lg_u32 s4, 0
	s_mul_i32 s1, s18, s19
	v_rcp_iflag_f32_e32 v1, v1
	s_cselect_b32 s3, -1, 0
	s_add_i32 s20, s4, -8
	s_add_i32 s21, s7, -1
	v_mbcnt_lo_u32_b32 v47, -1, 0
	s_waitcnt_depctr 0xfff
	v_dual_mov_b32 v36, 0 :: v_dual_mul_f32 v1, 0x4f7ffffe, v1
	s_delay_alu instid0(VALU_DEP_1)
	v_cvt_u32_f32_e32 v1, v1
	s_waitcnt lgkmcnt(0)
	s_cmp_lg_u64 s[8:9], 0
	s_cselect_b32 s22, -1, 0
	s_sub_i32 s0, 0, s16
	s_lshl_b32 s23, s1, 1
	v_mul_lo_u32 v2, s0, v1
	s_abs_i32 s1, s17
	v_cmp_eq_u32_e64 s0, 31, v0
	s_add_i32 s24, s7, -2
	s_sub_i32 s2, 1, s1
	s_cmp_lt_u32 s1, 2
	s_cselect_b32 s2, s2, 1
	s_delay_alu instid0(VALU_DEP_2)
	v_mul_hi_u32 v0, v1, v2
	s_sub_i32 s17, s2, s1
	s_cmp_ge_u32 s2, s1
	s_cselect_b32 s25, s17, s2
	s_mov_b32 s17, 0
	s_mul_i32 s25, s25, s16
	s_delay_alu instid0(VALU_DEP_1)
	v_add_nc_u32_e32 v46, v1, v0
	s_branch .LBB42_19
.LBB42_17:                              ;   in Loop: Header=BB42_19 Depth=1
	s_or_b32 exec_lo, exec_lo, s27
	v_mov_b32_e32 v34, s24
.LBB42_18:                              ;   in Loop: Header=BB42_19 Depth=1
	s_or_b32 exec_lo, exec_lo, s26
	s_delay_alu instid0(VALU_DEP_1) | instskip(SKIP_1) | instid1(SALU_CYCLE_1)
	v_cmp_le_u32_e32 vcc_lo, s7, v34
	s_or_b32 s17, vcc_lo, s17
	s_and_not1_b32 exec_lo, exec_lo, s17
	s_cbranch_execz .LBB42_58
.LBB42_19:                              ; =>This Loop Header: Depth=1
                                        ;     Child Loop BB42_24 Depth 2
                                        ;     Child Loop BB42_53 Depth 2
	v_dual_mov_b32 v50, v36 :: v_dual_add_nc_u32 v37, 1, v34
	v_mov_b32_e32 v51, v36
	v_mov_b32_e32 v49, v36
	v_mov_b32_e32 v48, v36
	s_and_not1_b32 vcc_lo, exec_lo, s3
	s_cbranch_vccnz .LBB42_42
; %bb.20:                               ;   in Loop: Header=BB42_19 Depth=1
	v_min_u32_e32 v0, s21, v34
	s_waitcnt lgkmcnt(0)
	v_min_u32_e32 v1, s21, v37
	v_dual_mov_b32 v49, 0 :: v_dual_mov_b32 v50, 0
	v_mov_b32_e32 v51, 0
	v_mul_lo_u32 v35, v0, s5
	s_delay_alu instid0(VALU_DEP_4) | instskip(SKIP_2) | instid1(VALU_DEP_3)
	v_mul_lo_u32 v0, v1, s5
	v_dual_mov_b32 v1, v36 :: v_dual_mov_b32 v48, 0
	s_mov_b32 s1, 0
	v_lshlrev_b64 v[38:39], 1, v[35:36]
	s_delay_alu instid0(VALU_DEP_2)
	v_lshlrev_b64 v[40:41], 1, v[0:1]
	s_branch .LBB42_24
.LBB42_21:                              ;   in Loop: Header=BB42_24 Depth=2
	s_or_b32 exec_lo, exec_lo, s19
.LBB42_22:                              ;   in Loop: Header=BB42_24 Depth=2
	s_delay_alu instid0(SALU_CYCLE_1)
	s_or_b32 exec_lo, exec_lo, s18
.LBB42_23:                              ;   in Loop: Header=BB42_24 Depth=2
	s_delay_alu instid0(SALU_CYCLE_1)
	s_or_b32 exec_lo, exec_lo, s2
	s_waitcnt vmcnt(0) lgkmcnt(0)
	;;#ASMSTART
	v_dot2_f32_f16 v51, v20, v12, v51
	;;#ASMEND
	;;#ASMSTART
	v_dot2_f32_f16 v50, v20, v8, v50
	;;#ASMEND
	;; [unrolled: 3-line block ×16, first 2 shown]
	s_addk_i32 s1, 0x200
	;;#ASMSTART
	v_dot2_f32_f16 v51, v28, v4, v51
	;;#ASMEND
	;;#ASMSTART
	v_dot2_f32_f16 v50, v28, v0, v50
	;;#ASMEND
	;; [unrolled: 3-line block ×8, first 2 shown]
	s_cmp_ge_u32 s1, s4
	;;#ASMSTART
	v_dot2_f32_f16 v51, v30, v6, v51
	;;#ASMEND
	;;#ASMSTART
	v_dot2_f32_f16 v50, v30, v2, v50
	;;#ASMEND
	;; [unrolled: 3-line block ×8, first 2 shown]
	s_cbranch_scc1 .LBB42_42
.LBB42_24:                              ;   Parent Loop BB42_19 Depth=1
                                        ; =>  This Inner Loop Header: Depth=2
	v_dual_mov_b32 v26, 0 :: v_dual_add_nc_u32 v43, s1, v45
	v_dual_mov_b32 v25, 0 :: v_dual_mov_b32 v24, 0
	v_dual_mov_b32 v19, 0 :: v_dual_mov_b32 v18, 0
	s_delay_alu instid0(VALU_DEP_3) | instskip(SKIP_2) | instid1(VALU_DEP_3)
	v_min_u32_e32 v35, s20, v43
	v_dual_mov_b32 v27, 0 :: v_dual_add_nc_u32 v42, 0x100, v43
	v_dual_mov_b32 v31, 0 :: v_dual_mov_b32 v30, 0
	v_lshlrev_b64 v[0:1], 1, v[35:36]
	s_delay_alu instid0(VALU_DEP_3) | instskip(SKIP_2) | instid1(VALU_DEP_4)
	v_min_u32_e32 v35, s20, v42
	v_dual_mov_b32 v29, 0 :: v_dual_mov_b32 v28, 0
	v_dual_mov_b32 v23, 0 :: v_dual_mov_b32 v22, 0
	v_add_co_u32 v4, vcc_lo, s14, v0
	v_add_co_ci_u32_e32 v5, vcc_lo, s15, v1, vcc_lo
	v_lshlrev_b64 v[0:1], 1, v[35:36]
	s_delay_alu instid0(VALU_DEP_3) | instskip(NEXT) | instid1(VALU_DEP_3)
	v_add_co_u32 v2, vcc_lo, v4, v38
	v_add_co_ci_u32_e32 v3, vcc_lo, v5, v39, vcc_lo
	v_dual_mov_b32 v21, 0 :: v_dual_mov_b32 v20, 0
	s_delay_alu instid0(VALU_DEP_4) | instskip(SKIP_3) | instid1(VALU_DEP_4)
	v_add_co_u32 v6, vcc_lo, s14, v0
	v_add_co_ci_u32_e32 v7, vcc_lo, s15, v1, vcc_lo
	v_add_co_u32 v0, vcc_lo, v4, v40
	v_add_co_ci_u32_e32 v1, vcc_lo, v5, v41, vcc_lo
	v_add_co_u32 v4, vcc_lo, v6, v38
	s_delay_alu instid0(VALU_DEP_4)
	v_add_co_ci_u32_e32 v5, vcc_lo, v7, v39, vcc_lo
	v_add_co_u32 v16, vcc_lo, v6, v40
	v_add_co_ci_u32_e32 v17, vcc_lo, v7, v41, vcc_lo
	s_clause 0x3
	global_load_b128 v[12:15], v[2:3], off slc dlc
	global_load_b128 v[8:11], v[0:1], off slc dlc
	;; [unrolled: 1-line block ×4, first 2 shown]
	v_dual_mov_b32 v17, 0 :: v_dual_mov_b32 v16, 0
	s_mov_b32 s2, exec_lo
	v_cmpx_gt_u32_e64 s4, v43
	s_cbranch_execz .LBB42_23
; %bb.25:                               ;   in Loop: Header=BB42_24 Depth=2
	s_mov_b32 s18, exec_lo
                                        ; implicit-def: $vgpr23
	v_cmpx_lt_u32_e32 0x7fff, v43
	s_xor_b32 s18, exec_lo, s18
	s_cbranch_execz .LBB42_27
; %bb.26:                               ;   in Loop: Header=BB42_24 Depth=2
	v_mov_b32_e32 v44, v36
	s_delay_alu instid0(VALU_DEP_1) | instskip(NEXT) | instid1(VALU_DEP_1)
	v_lshlrev_b64 v[16:17], 1, v[43:44]
	v_add_co_u32 v16, vcc_lo, s12, v16
	s_delay_alu instid0(VALU_DEP_2)
	v_add_co_ci_u32_e32 v17, vcc_lo, s13, v17, vcc_lo
	global_load_b128 v[20:23], v[16:17], off
.LBB42_27:                              ;   in Loop: Header=BB42_24 Depth=2
	s_and_not1_saveexec_b32 s18, s18
	s_cbranch_execz .LBB42_29
; %bb.28:                               ;   in Loop: Header=BB42_24 Depth=2
	v_lshlrev_b32_e32 v16, 1, v43
	s_waitcnt vmcnt(0)
	ds_load_b128 v[20:23], v16
.LBB42_29:                              ;   in Loop: Header=BB42_24 Depth=2
	s_or_b32 exec_lo, exec_lo, s18
	v_add_nc_u32_e32 v35, s6, v43
	s_mov_b32 s18, exec_lo
                                        ; implicit-def: $vgpr19
	s_delay_alu instid0(VALU_DEP_1)
	v_cmpx_lt_u32_e32 0x7fff, v35
	s_xor_b32 s18, exec_lo, s18
	s_cbranch_execz .LBB42_31
; %bb.30:                               ;   in Loop: Header=BB42_24 Depth=2
	v_lshlrev_b64 v[16:17], 1, v[35:36]
	s_delay_alu instid0(VALU_DEP_1) | instskip(NEXT) | instid1(VALU_DEP_2)
	v_add_co_u32 v16, vcc_lo, s12, v16
	v_add_co_ci_u32_e32 v17, vcc_lo, s13, v17, vcc_lo
	global_load_b128 v[16:19], v[16:17], off
.LBB42_31:                              ;   in Loop: Header=BB42_24 Depth=2
	s_and_not1_saveexec_b32 s18, s18
	s_cbranch_execz .LBB42_33
; %bb.32:                               ;   in Loop: Header=BB42_24 Depth=2
	s_waitcnt vmcnt(0)
	v_lshlrev_b32_e32 v16, 1, v35
	ds_load_b128 v[16:19], v16
.LBB42_33:                              ;   in Loop: Header=BB42_24 Depth=2
	s_or_b32 exec_lo, exec_lo, s18
	v_dual_mov_b32 v27, 0 :: v_dual_mov_b32 v26, 0
	v_dual_mov_b32 v25, 0 :: v_dual_mov_b32 v24, 0
	;; [unrolled: 1-line block ×4, first 2 shown]
	s_mov_b32 s18, exec_lo
	v_cmpx_gt_u32_e64 s4, v42
	s_cbranch_execz .LBB42_22
; %bb.34:                               ;   in Loop: Header=BB42_24 Depth=2
	s_mov_b32 s19, exec_lo
                                        ; implicit-def: $vgpr31
	v_cmpx_lt_u32_e32 0x7fff, v42
	s_xor_b32 s19, exec_lo, s19
	s_cbranch_execz .LBB42_36
; %bb.35:                               ;   in Loop: Header=BB42_24 Depth=2
	v_mov_b32_e32 v43, v36
	s_delay_alu instid0(VALU_DEP_1) | instskip(NEXT) | instid1(VALU_DEP_1)
	v_lshlrev_b64 v[24:25], 1, v[42:43]
                                        ; implicit-def: $vgpr43
	v_add_co_u32 v24, vcc_lo, s12, v24
	s_delay_alu instid0(VALU_DEP_2)
	v_add_co_ci_u32_e32 v25, vcc_lo, s13, v25, vcc_lo
	global_load_b128 v[28:31], v[24:25], off
.LBB42_36:                              ;   in Loop: Header=BB42_24 Depth=2
	s_and_not1_saveexec_b32 s19, s19
	s_cbranch_execz .LBB42_38
; %bb.37:                               ;   in Loop: Header=BB42_24 Depth=2
	v_lshlrev_b32_e32 v24, 1, v43
	s_waitcnt vmcnt(0)
	ds_load_b128 v[28:31], v24 offset:512
.LBB42_38:                              ;   in Loop: Header=BB42_24 Depth=2
	s_or_b32 exec_lo, exec_lo, s19
	v_add_nc_u32_e32 v24, s6, v42
	s_mov_b32 s19, exec_lo
                                        ; implicit-def: $vgpr27
	s_delay_alu instid0(VALU_DEP_1)
	v_cmpx_lt_u32_e32 0x7fff, v24
	s_xor_b32 s19, exec_lo, s19
	s_cbranch_execz .LBB42_40
; %bb.39:                               ;   in Loop: Header=BB42_24 Depth=2
	v_mov_b32_e32 v25, v36
	s_delay_alu instid0(VALU_DEP_1) | instskip(NEXT) | instid1(VALU_DEP_1)
	v_lshlrev_b64 v[24:25], 1, v[24:25]
	v_add_co_u32 v24, vcc_lo, s12, v24
	s_delay_alu instid0(VALU_DEP_2)
	v_add_co_ci_u32_e32 v25, vcc_lo, s13, v25, vcc_lo
	global_load_b128 v[24:27], v[24:25], off
.LBB42_40:                              ;   in Loop: Header=BB42_24 Depth=2
	s_and_not1_saveexec_b32 s19, s19
	s_cbranch_execz .LBB42_21
; %bb.41:                               ;   in Loop: Header=BB42_24 Depth=2
	s_waitcnt vmcnt(0)
	v_lshlrev_b32_e32 v24, 1, v35
	ds_load_b128 v[24:27], v24 offset:512
	s_branch .LBB42_21
.LBB42_42:                              ;   in Loop: Header=BB42_19 Depth=1
	v_cvt_i32_f32_e32 v0, v51
	s_waitcnt lgkmcnt(0)
	v_cvt_i32_f32_e32 v1, v50
	v_cvt_i32_f32_e32 v2, v49
	;; [unrolled: 1-line block ×3, first 2 shown]
	v_cvt_f32_i32_dpp v0, v0 row_shr:8 row_mask:0xf bank_mask:0xf bound_ctrl:1
	s_delay_alu instid0(VALU_DEP_4) | instskip(NEXT) | instid1(VALU_DEP_4)
	v_cvt_f32_i32_dpp v1, v1 row_shr:8 row_mask:0xf bank_mask:0xf bound_ctrl:1
	v_cvt_f32_i32_dpp v2, v2 row_shr:8 row_mask:0xf bank_mask:0xf bound_ctrl:1
	s_delay_alu instid0(VALU_DEP_4) | instskip(NEXT) | instid1(VALU_DEP_3)
	v_cvt_f32_i32_dpp v3, v3 row_shr:8 row_mask:0xf bank_mask:0xf bound_ctrl:1
	v_dual_add_f32 v0, v51, v0 :: v_dual_add_f32 v1, v50, v1
	s_delay_alu instid0(VALU_DEP_2) | instskip(NEXT) | instid1(VALU_DEP_2)
	v_dual_add_f32 v2, v49, v2 :: v_dual_add_f32 v3, v48, v3
	v_cvt_i32_f32_e32 v4, v0
	s_delay_alu instid0(VALU_DEP_3) | instskip(NEXT) | instid1(VALU_DEP_3)
	v_cvt_i32_f32_e32 v5, v1
	v_cvt_i32_f32_e32 v6, v2
	s_delay_alu instid0(VALU_DEP_4) | instskip(NEXT) | instid1(VALU_DEP_4)
	v_cvt_i32_f32_e32 v7, v3
	v_cvt_f32_i32_dpp v4, v4 row_shr:4 row_mask:0xf bank_mask:0xf bound_ctrl:1
	s_delay_alu instid0(VALU_DEP_4) | instskip(NEXT) | instid1(VALU_DEP_4)
	v_cvt_f32_i32_dpp v5, v5 row_shr:4 row_mask:0xf bank_mask:0xf bound_ctrl:1
	v_cvt_f32_i32_dpp v6, v6 row_shr:4 row_mask:0xf bank_mask:0xf bound_ctrl:1
	s_delay_alu instid0(VALU_DEP_4) | instskip(NEXT) | instid1(VALU_DEP_3)
	v_cvt_f32_i32_dpp v7, v7 row_shr:4 row_mask:0xf bank_mask:0xf bound_ctrl:1
	v_dual_add_f32 v0, v0, v4 :: v_dual_add_f32 v1, v1, v5
	s_delay_alu instid0(VALU_DEP_2) | instskip(NEXT) | instid1(VALU_DEP_2)
	v_dual_add_f32 v2, v2, v6 :: v_dual_add_f32 v3, v3, v7
	v_cvt_i32_f32_e32 v4, v0
	s_delay_alu instid0(VALU_DEP_3) | instskip(NEXT) | instid1(VALU_DEP_3)
	v_cvt_i32_f32_e32 v5, v1
	v_cvt_i32_f32_e32 v6, v2
	s_delay_alu instid0(VALU_DEP_4) | instskip(NEXT) | instid1(VALU_DEP_4)
	v_cvt_i32_f32_e32 v7, v3
	v_cvt_f32_i32_dpp v4, v4 row_shr:2 row_mask:0xf bank_mask:0xf bound_ctrl:1
	s_delay_alu instid0(VALU_DEP_4) | instskip(NEXT) | instid1(VALU_DEP_4)
	v_cvt_f32_i32_dpp v5, v5 row_shr:2 row_mask:0xf bank_mask:0xf bound_ctrl:1
	v_cvt_f32_i32_dpp v6, v6 row_shr:2 row_mask:0xf bank_mask:0xf bound_ctrl:1
	s_delay_alu instid0(VALU_DEP_4) | instskip(NEXT) | instid1(VALU_DEP_3)
	v_cvt_f32_i32_dpp v7, v7 row_shr:2 row_mask:0xf bank_mask:0xf bound_ctrl:1
	v_dual_add_f32 v0, v0, v4 :: v_dual_add_f32 v1, v1, v5
	s_delay_alu instid0(VALU_DEP_2) | instskip(SKIP_1) | instid1(VALU_DEP_3)
	v_dual_add_f32 v2, v2, v6 :: v_dual_add_f32 v3, v3, v7
	v_xor_b32_e32 v4, 16, v47
	v_cvt_i32_f32_e32 v5, v0
	s_delay_alu instid0(VALU_DEP_4) | instskip(NEXT) | instid1(VALU_DEP_4)
	v_cvt_i32_f32_e32 v6, v1
	v_cvt_i32_f32_e32 v7, v2
	s_waitcnt vmcnt(0)
	v_cvt_i32_f32_e32 v8, v3
	v_cmp_gt_i32_e32 vcc_lo, 32, v4
	v_cvt_f32_i32_dpp v5, v5 row_shr:1 row_mask:0xf bank_mask:0xf bound_ctrl:1
	v_cvt_f32_i32_dpp v9, v6 row_shr:1 row_mask:0xf bank_mask:0xf bound_ctrl:1
	;; [unrolled: 1-line block ×4, first 2 shown]
	v_cndmask_b32_e32 v4, v47, v4, vcc_lo
	v_add_f32_e32 v6, v0, v5
	s_delay_alu instid0(VALU_DEP_4) | instskip(NEXT) | instid1(VALU_DEP_4)
	v_add_f32_e32 v2, v2, v7
	v_add_f32_e32 v0, v3, v8
	s_delay_alu instid0(VALU_DEP_4)
	v_lshlrev_b32_e32 v10, 2, v4
	v_add_f32_e32 v4, v1, v9
	ds_bpermute_b32 v7, v10, v6
	ds_bpermute_b32 v5, v10, v4
	;; [unrolled: 1-line block ×4, first 2 shown]
	s_and_saveexec_b32 s18, s0
	s_cbranch_execz .LBB42_50
; %bb.43:                               ;   in Loop: Header=BB42_19 Depth=1
	v_dual_mov_b32 v8, 0 :: v_dual_mov_b32 v9, 0
	v_dual_mov_b32 v10, 0 :: v_dual_mov_b32 v11, 0
	s_and_not1_b32 vcc_lo, exec_lo, s22
	s_cbranch_vccnz .LBB42_45
; %bb.44:                               ;   in Loop: Header=BB42_19 Depth=1
	v_mul_hi_u32 v8, v34, v46
	v_mul_hi_u32 v9, v37, v46
	s_delay_alu instid0(VALU_DEP_2) | instskip(NEXT) | instid1(VALU_DEP_2)
	v_mul_lo_u32 v8, v8, s16
	v_mul_lo_u32 v9, v9, s16
	s_delay_alu instid0(VALU_DEP_2) | instskip(NEXT) | instid1(VALU_DEP_2)
	v_sub_nc_u32_e32 v8, v34, v8
	v_sub_nc_u32_e32 v9, v37, v9
	s_delay_alu instid0(VALU_DEP_2) | instskip(SKIP_1) | instid1(VALU_DEP_3)
	v_subrev_nc_u32_e32 v10, s16, v8
	v_cmp_le_u32_e32 vcc_lo, s16, v8
	v_subrev_nc_u32_e32 v11, s16, v9
	s_delay_alu instid0(VALU_DEP_3) | instskip(SKIP_1) | instid1(VALU_DEP_3)
	v_cndmask_b32_e32 v8, v8, v10, vcc_lo
	v_cmp_le_u32_e32 vcc_lo, s16, v9
	v_cndmask_b32_e32 v10, v9, v11, vcc_lo
	s_delay_alu instid0(VALU_DEP_3) | instskip(SKIP_1) | instid1(VALU_DEP_2)
	v_subrev_nc_u32_e32 v9, s16, v8
	v_cmp_le_u32_e32 vcc_lo, s16, v8
	v_cndmask_b32_e32 v35, v8, v9, vcc_lo
	s_delay_alu instid0(VALU_DEP_4) | instskip(SKIP_1) | instid1(VALU_DEP_2)
	v_subrev_nc_u32_e32 v11, s16, v10
	v_cmp_le_u32_e32 vcc_lo, s16, v10
	v_dual_mov_b32 v9, v36 :: v_dual_cndmask_b32 v8, v10, v11
	s_delay_alu instid0(VALU_DEP_4) | instskip(SKIP_1) | instid1(VALU_DEP_3)
	v_lshlrev_b64 v[10:11], 1, v[35:36]
	v_add_nc_u32_e32 v35, s25, v35
	v_lshlrev_b64 v[12:13], 1, v[8:9]
	s_delay_alu instid0(VALU_DEP_2) | instskip(SKIP_4) | instid1(VALU_DEP_4)
	v_lshlrev_b64 v[14:15], 1, v[35:36]
	v_add_nc_u32_e32 v35, s25, v8
	v_add_co_u32 v8, vcc_lo, s8, v10
	v_add_co_ci_u32_e32 v9, vcc_lo, s9, v11, vcc_lo
	v_add_co_u32 v12, vcc_lo, s8, v12
	v_lshlrev_b64 v[10:11], 1, v[35:36]
	v_add_co_ci_u32_e32 v13, vcc_lo, s9, v13, vcc_lo
	v_add_co_u32 v14, vcc_lo, s8, v14
	v_add_co_ci_u32_e32 v15, vcc_lo, s9, v15, vcc_lo
	s_delay_alu instid0(VALU_DEP_4)
	v_add_co_u32 v16, vcc_lo, s8, v10
	v_add_co_ci_u32_e32 v17, vcc_lo, s9, v11, vcc_lo
	s_clause 0x3
	global_load_u16 v11, v[8:9], off
	global_load_u16 v10, v[12:13], off
	;; [unrolled: 1-line block ×4, first 2 shown]
.LBB42_45:                              ;   in Loop: Header=BB42_19 Depth=1
	v_cmp_ne_u32_e32 vcc_lo, 0, v32
	s_and_saveexec_b32 s2, vcc_lo
	s_cbranch_execnz .LBB42_55
; %bb.46:                               ;   in Loop: Header=BB42_19 Depth=1
	s_or_b32 exec_lo, exec_lo, s2
	v_cmp_ne_u32_e64 s1, 0, v33
	s_delay_alu instid0(VALU_DEP_1)
	s_and_saveexec_b32 s19, s1
	s_cbranch_execnz .LBB42_56
.LBB42_47:                              ;   in Loop: Header=BB42_19 Depth=1
	s_or_b32 exec_lo, exec_lo, s19
	v_add_nc_u32_e32 v35, s7, v34
	s_and_saveexec_b32 s2, vcc_lo
	s_cbranch_execnz .LBB42_57
.LBB42_48:                              ;   in Loop: Header=BB42_19 Depth=1
	s_or_b32 exec_lo, exec_lo, s2
	s_delay_alu instid0(SALU_CYCLE_1)
	s_and_b32 exec_lo, exec_lo, s1
	s_cbranch_execz .LBB42_50
.LBB42_49:                              ;   in Loop: Header=BB42_19 Depth=1
	s_waitcnt lgkmcnt(0)
	v_dual_add_f32 v0, v0, v1 :: v_dual_add_nc_u32 v35, 1, v35
	s_waitcnt vmcnt(0)
	v_cvt_f32_f16_e32 v1, v8
	s_delay_alu instid0(VALU_DEP_1) | instskip(NEXT) | instid1(VALU_DEP_3)
	v_add_f32_e32 v2, v0, v1
	v_lshlrev_b64 v[0:1], 1, v[35:36]
	s_delay_alu instid0(VALU_DEP_2) | instskip(NEXT) | instid1(VALU_DEP_2)
	v_cvt_f16_f32_e32 v2, v2
	v_add_co_u32 v0, vcc_lo, s10, v0
	s_delay_alu instid0(VALU_DEP_3)
	v_add_co_ci_u32_e32 v1, vcc_lo, s11, v1, vcc_lo
	global_store_b16 v[0:1], v2, off
.LBB42_50:                              ;   in Loop: Header=BB42_19 Depth=1
	s_or_b32 exec_lo, exec_lo, s18
	v_add_nc_u32_e32 v34, s23, v34
	s_delay_alu instid0(VALU_DEP_1) | instskip(SKIP_1) | instid1(VALU_DEP_2)
	v_add_nc_u32_e32 v0, 2, v34
	v_cmp_gt_u32_e32 vcc_lo, s7, v34
	v_cmp_le_u32_e64 s1, s7, v0
	s_delay_alu instid0(VALU_DEP_1) | instskip(NEXT) | instid1(SALU_CYCLE_1)
	s_and_b32 s1, vcc_lo, s1
	s_and_saveexec_b32 s26, s1
	s_cbranch_execz .LBB42_18
; %bb.51:                               ;   in Loop: Header=BB42_19 Depth=1
	s_mov_b32 s27, exec_lo
	v_cmpx_ne_u32_e64 s24, v34
	s_cbranch_execz .LBB42_17
; %bb.52:                               ;   in Loop: Header=BB42_19 Depth=1
	v_subrev_nc_u32_e32 v0, s24, v34
	s_mov_b32 s28, 0
	s_mov_b64 s[18:19], 0
	s_delay_alu instid0(VALU_DEP_1)
	v_cmp_lt_u32_e32 vcc_lo, 1, v0
	v_cndmask_b32_e32 v0, 1, v0, vcc_lo
.LBB42_53:                              ;   Parent Loop BB42_19 Depth=1
                                        ; =>  This Inner Loop Header: Depth=2
	s_cmp_lg_u32 s18, 1
	s_cselect_b32 vcc_lo, -1, 0
	s_cmp_lg_u32 s18, 0
	v_cndmask_b32_e32 v33, 0, v33, vcc_lo
	s_cselect_b32 s1, -1, 0
	s_add_u32 s18, s18, 1
	v_cndmask_b32_e64 v32, 0, v32, s1
	v_cmp_eq_u32_e64 s2, s18, v0
	s_addc_u32 s19, s19, 0
	s_delay_alu instid0(VALU_DEP_1) | instskip(NEXT) | instid1(SALU_CYCLE_1)
	s_or_b32 s28, s2, s28
	s_and_not1_b32 exec_lo, exec_lo, s28
	s_cbranch_execnz .LBB42_53
; %bb.54:                               ;   in Loop: Header=BB42_19 Depth=1
	s_or_b32 exec_lo, exec_lo, s28
	s_branch .LBB42_17
.LBB42_55:                              ;   in Loop: Header=BB42_19 Depth=1
	s_waitcnt lgkmcnt(3)
	v_dual_add_f32 v6, v6, v7 :: v_dual_mov_b32 v35, v36
	s_waitcnt vmcnt(3)
	v_cvt_f32_f16_e32 v7, v11
	s_delay_alu instid0(VALU_DEP_1) | instskip(NEXT) | instid1(VALU_DEP_3)
	v_add_f32_e32 v11, v6, v7
	v_lshlrev_b64 v[6:7], 1, v[34:35]
	s_delay_alu instid0(VALU_DEP_2) | instskip(NEXT) | instid1(VALU_DEP_2)
	v_cvt_f16_f32_e32 v11, v11
	v_add_co_u32 v6, s1, s10, v6
	s_delay_alu instid0(VALU_DEP_1) | instskip(SKIP_3) | instid1(VALU_DEP_1)
	v_add_co_ci_u32_e64 v7, s1, s11, v7, s1
	global_store_b16 v[6:7], v11, off
	s_or_b32 exec_lo, exec_lo, s2
	v_cmp_ne_u32_e64 s1, 0, v33
	s_and_saveexec_b32 s19, s1
	s_cbranch_execz .LBB42_47
.LBB42_56:                              ;   in Loop: Header=BB42_19 Depth=1
	s_waitcnt lgkmcnt(2)
	v_add_f32_e32 v4, v4, v5
	s_waitcnt vmcnt(2)
	v_cvt_f32_f16_e32 v5, v10
	v_mov_b32_e32 v38, v36
	s_delay_alu instid0(VALU_DEP_2) | instskip(NEXT) | instid1(VALU_DEP_2)
	v_add_f32_e32 v6, v4, v5
	v_lshlrev_b64 v[4:5], 1, v[37:38]
	s_delay_alu instid0(VALU_DEP_2) | instskip(NEXT) | instid1(VALU_DEP_2)
	v_cvt_f16_f32_e32 v6, v6
	v_add_co_u32 v4, s2, s10, v4
	s_delay_alu instid0(VALU_DEP_1)
	v_add_co_ci_u32_e64 v5, s2, s11, v5, s2
	global_store_b16 v[4:5], v6, off
	s_or_b32 exec_lo, exec_lo, s19
	v_add_nc_u32_e32 v35, s7, v34
	s_and_saveexec_b32 s2, vcc_lo
	s_cbranch_execz .LBB42_48
.LBB42_57:                              ;   in Loop: Header=BB42_19 Depth=1
	s_waitcnt lgkmcnt(1)
	v_add_f32_e32 v2, v2, v3
	s_waitcnt vmcnt(1)
	v_cvt_f32_f16_e32 v3, v9
	s_delay_alu instid0(VALU_DEP_1) | instskip(SKIP_1) | instid1(VALU_DEP_2)
	v_add_f32_e32 v4, v2, v3
	v_lshlrev_b64 v[2:3], 1, v[35:36]
	v_cvt_f16_f32_e32 v4, v4
	s_delay_alu instid0(VALU_DEP_2) | instskip(NEXT) | instid1(VALU_DEP_3)
	v_add_co_u32 v2, vcc_lo, s10, v2
	v_add_co_ci_u32_e32 v3, vcc_lo, s11, v3, vcc_lo
	global_store_b16 v[2:3], v4, off
	s_or_b32 exec_lo, exec_lo, s2
	s_delay_alu instid0(SALU_CYCLE_1)
	s_and_b32 exec_lo, exec_lo, s1
	s_cbranch_execnz .LBB42_49
	s_branch .LBB42_50
.LBB42_58:
	s_nop 0
	s_sendmsg sendmsg(MSG_DEALLOC_VGPRS)
	s_endpgm
	.section	.rodata,"a",@progbits
	.p2align	6, 0x0
	.amdhsa_kernel _Z12wvSplitK_hf_I6__halfLi32ELi2ELi16ELi8ELi2ELi2EEviiiiiiPKT_S3_S3_PS1_ii
		.amdhsa_group_segment_fixed_size 65536
		.amdhsa_private_segment_fixed_size 0
		.amdhsa_kernarg_size 64
		.amdhsa_user_sgpr_count 15
		.amdhsa_user_sgpr_dispatch_ptr 0
		.amdhsa_user_sgpr_queue_ptr 0
		.amdhsa_user_sgpr_kernarg_segment_ptr 1
		.amdhsa_user_sgpr_dispatch_id 0
		.amdhsa_user_sgpr_private_segment_size 0
		.amdhsa_wavefront_size32 1
		.amdhsa_uses_dynamic_stack 0
		.amdhsa_enable_private_segment 0
		.amdhsa_system_sgpr_workgroup_id_x 1
		.amdhsa_system_sgpr_workgroup_id_y 0
		.amdhsa_system_sgpr_workgroup_id_z 0
		.amdhsa_system_sgpr_workgroup_info 0
		.amdhsa_system_vgpr_workitem_id 1
		.amdhsa_next_free_vgpr 52
		.amdhsa_next_free_sgpr 29
		.amdhsa_reserve_vcc 1
		.amdhsa_float_round_mode_32 0
		.amdhsa_float_round_mode_16_64 0
		.amdhsa_float_denorm_mode_32 3
		.amdhsa_float_denorm_mode_16_64 3
		.amdhsa_dx10_clamp 1
		.amdhsa_ieee_mode 1
		.amdhsa_fp16_overflow 0
		.amdhsa_workgroup_processor_mode 1
		.amdhsa_memory_ordered 1
		.amdhsa_forward_progress 0
		.amdhsa_shared_vgpr_count 0
		.amdhsa_exception_fp_ieee_invalid_op 0
		.amdhsa_exception_fp_denorm_src 0
		.amdhsa_exception_fp_ieee_div_zero 0
		.amdhsa_exception_fp_ieee_overflow 0
		.amdhsa_exception_fp_ieee_underflow 0
		.amdhsa_exception_fp_ieee_inexact 0
		.amdhsa_exception_int_div_zero 0
	.end_amdhsa_kernel
	.section	.text._Z12wvSplitK_hf_I6__halfLi32ELi2ELi16ELi8ELi2ELi2EEviiiiiiPKT_S3_S3_PS1_ii,"axG",@progbits,_Z12wvSplitK_hf_I6__halfLi32ELi2ELi16ELi8ELi2ELi2EEviiiiiiPKT_S3_S3_PS1_ii,comdat
.Lfunc_end42:
	.size	_Z12wvSplitK_hf_I6__halfLi32ELi2ELi16ELi8ELi2ELi2EEviiiiiiPKT_S3_S3_PS1_ii, .Lfunc_end42-_Z12wvSplitK_hf_I6__halfLi32ELi2ELi16ELi8ELi2ELi2EEviiiiiiPKT_S3_S3_PS1_ii
                                        ; -- End function
	.section	.AMDGPU.csdata,"",@progbits
; Kernel info:
; codeLenInByte = 3720
; NumSgprs: 31
; NumVgprs: 52
; ScratchSize: 0
; MemoryBound: 0
; FloatMode: 240
; IeeeMode: 1
; LDSByteSize: 65536 bytes/workgroup (compile time only)
; SGPRBlocks: 3
; VGPRBlocks: 6
; NumSGPRsForWavesPerEU: 31
; NumVGPRsForWavesPerEU: 52
; Occupancy: 8
; WaveLimiterHint : 0
; COMPUTE_PGM_RSRC2:SCRATCH_EN: 0
; COMPUTE_PGM_RSRC2:USER_SGPR: 15
; COMPUTE_PGM_RSRC2:TRAP_HANDLER: 0
; COMPUTE_PGM_RSRC2:TGID_X_EN: 1
; COMPUTE_PGM_RSRC2:TGID_Y_EN: 0
; COMPUTE_PGM_RSRC2:TGID_Z_EN: 0
; COMPUTE_PGM_RSRC2:TIDIG_COMP_CNT: 1
	.section	.text._Z16wvSplitK_hf_big_I6__halfLi32ELi2ELi16ELi8ELi2ELi2EEviiiiiiPKT_S3_S3_PS1_ii,"axG",@progbits,_Z16wvSplitK_hf_big_I6__halfLi32ELi2ELi16ELi8ELi2ELi2EEviiiiiiPKT_S3_S3_PS1_ii,comdat
	.protected	_Z16wvSplitK_hf_big_I6__halfLi32ELi2ELi16ELi8ELi2ELi2EEviiiiiiPKT_S3_S3_PS1_ii ; -- Begin function _Z16wvSplitK_hf_big_I6__halfLi32ELi2ELi16ELi8ELi2ELi2EEviiiiiiPKT_S3_S3_PS1_ii
	.globl	_Z16wvSplitK_hf_big_I6__halfLi32ELi2ELi16ELi8ELi2ELi2EEviiiiiiPKT_S3_S3_PS1_ii
	.p2align	8
	.type	_Z16wvSplitK_hf_big_I6__halfLi32ELi2ELi16ELi8ELi2ELi2EEviiiiiiPKT_S3_S3_PS1_ii,@function
_Z16wvSplitK_hf_big_I6__halfLi32ELi2ELi16ELi8ELi2ELi2EEviiiiiiPKT_S3_S3_PS1_ii: ; @_Z16wvSplitK_hf_big_I6__halfLi32ELi2ELi16ELi8ELi2ELi2EEviiiiiiPKT_S3_S3_PS1_ii
; %bb.0:
	s_load_b64 s[20:21], s[0:1], 0x38
	v_bfe_u32 v1, v0, 10, 10
	s_mov_b32 s2, exec_lo
	s_waitcnt lgkmcnt(0)
	s_delay_alu instid0(VALU_DEP_1)
	v_cmpx_gt_u32_e64 s20, v1
	s_cbranch_execz .LBB43_48
; %bb.1:
	s_load_b128 s[16:19], s[0:1], 0x0
	s_mul_i32 s15, s15, s20
	s_mov_b32 s4, 1
	v_add_lshl_u32 v34, s15, v1, 1
	s_mov_b32 s5, s4
	s_delay_alu instid0(SALU_CYCLE_1) | instskip(NEXT) | instid1(VALU_DEP_2)
	v_dual_mov_b32 v33, s5 :: v_dual_mov_b32 v32, s4
	v_add_nc_u32_e32 v2, 2, v34
	s_waitcnt lgkmcnt(0)
	v_cmp_gt_u32_e32 vcc_lo, s19, v34
	s_delay_alu instid0(VALU_DEP_2) | instskip(NEXT) | instid1(VALU_DEP_1)
	v_cmp_le_u32_e64 s2, s19, v2
	s_and_b32 s2, vcc_lo, s2
	s_delay_alu instid0(SALU_CYCLE_1)
	s_and_saveexec_b32 s6, s2
	s_cbranch_execz .LBB43_7
; %bb.2:
	v_dual_mov_b32 v33, s5 :: v_dual_mov_b32 v32, s4
	s_add_i32 s7, s19, -2
	s_mov_b32 s8, exec_lo
	v_cmpx_ne_u32_e64 s7, v34
	s_cbranch_execz .LBB43_6
; %bb.3:
	v_subrev_nc_u32_e32 v2, s7, v34
	s_mov_b32 s2, 1
	s_mov_b32 s9, 0
	s_mov_b64 s[4:5], 0
	s_mov_b32 s3, s2
	v_cmp_lt_u32_e32 vcc_lo, 1, v2
	v_cndmask_b32_e32 v2, 1, v2, vcc_lo
.LBB43_4:                               ; =>This Inner Loop Header: Depth=1
	s_cmp_lg_u32 s4, 1
	s_cselect_b32 s3, s3, 0
	s_cmp_lg_u32 s4, 0
	s_cselect_b32 s2, s2, 0
	s_add_u32 s4, s4, 1
	v_dual_mov_b32 v33, s3 :: v_dual_mov_b32 v32, s2
	v_cmp_eq_u32_e32 vcc_lo, s4, v2
	s_addc_u32 s5, s5, 0
	s_or_b32 s9, vcc_lo, s9
	s_delay_alu instid0(SALU_CYCLE_1)
	s_and_not1_b32 exec_lo, exec_lo, s9
	s_cbranch_execnz .LBB43_4
; %bb.5:
	s_or_b32 exec_lo, exec_lo, s9
	v_mov_b32_e32 v34, s7
.LBB43_6:
	s_or_b32 exec_lo, exec_lo, s8
.LBB43_7:
	s_delay_alu instid0(SALU_CYCLE_1)
	s_or_b32 exec_lo, exec_lo, s6
	s_lshl_b32 s2, s20, 1
	s_abs_i32 s6, s19
	s_abs_i32 s3, s2
	s_mov_b32 s22, 0
	v_cvt_f32_u32_e32 v2, s3
	s_sub_i32 s5, 0, s3
	s_delay_alu instid0(VALU_DEP_1) | instskip(SKIP_2) | instid1(VALU_DEP_1)
	v_rcp_iflag_f32_e32 v2, v2
	s_waitcnt_depctr 0xfff
	v_mul_f32_e32 v2, 0x4f7ffffe, v2
	v_cvt_u32_f32_e32 v2, v2
	s_delay_alu instid0(VALU_DEP_1) | instskip(NEXT) | instid1(VALU_DEP_1)
	v_readfirstlane_b32 s4, v2
	s_mul_i32 s5, s5, s4
	s_delay_alu instid0(SALU_CYCLE_1) | instskip(NEXT) | instid1(SALU_CYCLE_1)
	s_mul_hi_u32 s5, s4, s5
	s_add_i32 s4, s4, s5
	s_ashr_i32 s5, s19, 31
	s_mul_hi_u32 s4, s6, s4
	s_delay_alu instid0(SALU_CYCLE_1) | instskip(NEXT) | instid1(SALU_CYCLE_1)
	s_mul_i32 s4, s4, s3
	s_sub_i32 s4, s6, s4
	s_delay_alu instid0(SALU_CYCLE_1) | instskip(SKIP_2) | instid1(SALU_CYCLE_1)
	s_sub_i32 s6, s4, s3
	s_cmp_ge_u32 s4, s3
	s_cselect_b32 s4, s6, s4
	s_sub_i32 s6, s4, s3
	s_cmp_ge_u32 s4, s3
	s_cselect_b32 s3, s6, s4
	s_add_i32 s2, s2, s19
	s_xor_b32 s3, s3, s5
	s_delay_alu instid0(SALU_CYCLE_1) | instskip(NEXT) | instid1(SALU_CYCLE_1)
	s_sub_i32 s3, s3, s5
	s_sub_i32 s2, s2, s3
	s_cmp_eq_u32 s3, 0
	s_cselect_b32 s3, s19, s2
	s_delay_alu instid0(SALU_CYCLE_1)
	v_cmp_gt_u32_e32 vcc_lo, s3, v34
	s_and_b32 exec_lo, exec_lo, vcc_lo
	s_cbranch_execz .LBB43_48
; %bb.8:
	s_load_b256 s[4:11], s[0:1], 0x10
	s_min_u32 s23, s18, 0x4000
	s_cmp_lg_u32 s16, 0
	s_load_b64 s[12:13], s[0:1], 0x30
	s_mul_i32 s0, s21, s20
	s_cselect_b32 s21, -1, 0
	s_cmp_lg_u32 s18, 0
	v_and_b32_e32 v0, 0x3ff, v0
	s_cselect_b32 s24, -1, 0
	s_lshl_b32 s25, s20, 8
	s_add_i32 s26, s16, -8
	s_add_i32 s27, s19, -1
	s_lshl_b32 s28, s0, 1
	v_dual_mov_b32 v36, 0 :: v_dual_lshlrev_b32 v41, 3, v0
	v_cmp_eq_u32_e64 s0, 31, v0
	v_lshlrev_b32_e32 v0, 4, v0
	v_mbcnt_lo_u32_b32 v46, -1, 0
	s_delay_alu instid0(VALU_DEP_4)
	v_lshl_add_u32 v42, v1, 8, v41
	s_waitcnt lgkmcnt(0)
	v_cvt_f32_u32_e32 v2, s4
	s_cmp_lg_u64 s[10:11], 0
	v_lshl_add_u32 v43, v1, 9, v0
	s_cselect_b32 s29, -1, 0
	s_sub_i32 s1, 0, s4
	v_rcp_iflag_f32_e32 v2, v2
	v_add_nc_u32_e32 v44, s18, v42
	s_waitcnt_depctr 0xfff
	v_mul_f32_e32 v2, 0x4f7ffffe, v2
	s_delay_alu instid0(VALU_DEP_1) | instskip(NEXT) | instid1(VALU_DEP_1)
	v_cvt_u32_f32_e32 v2, v2
	v_mul_lo_u32 v3, s1, v2
	s_abs_i32 s1, s5
	s_add_i32 s5, s19, -2
	s_sub_i32 s2, 1, s1
	s_cmp_lt_u32 s1, 2
	s_cselect_b32 s2, s2, 1
	s_delay_alu instid0(SALU_CYCLE_1) | instskip(NEXT) | instid1(VALU_DEP_1)
	s_sub_i32 s14, s2, s1
	v_mul_hi_u32 v3, v2, v3
	s_cmp_ge_u32 s2, s1
	s_cselect_b32 s31, s14, s2
	s_add_u32 s30, s12, 2
	s_mul_i32 s31, s31, s4
	s_addc_u32 s33, s13, 0
	s_lshl_b32 s34, s23, 1
	s_delay_alu instid0(VALU_DEP_1)
	v_add_nc_u32_e32 v45, v2, v3
	s_lshl_b32 s20, s20, 9
	s_branch .LBB43_12
.LBB43_9:                               ;   in Loop: Header=BB43_12 Depth=1
	s_or_b32 exec_lo, exec_lo, s37
	v_mov_b32_e32 v34, s5
.LBB43_10:                              ;   in Loop: Header=BB43_12 Depth=1
	s_or_b32 exec_lo, exec_lo, s36
.LBB43_11:                              ;   in Loop: Header=BB43_12 Depth=1
	s_delay_alu instid0(SALU_CYCLE_1) | instskip(NEXT) | instid1(VALU_DEP_1)
	s_or_b32 exec_lo, exec_lo, s35
	v_cmp_le_u32_e32 vcc_lo, s3, v34
	s_or_b32 s22, vcc_lo, s22
	s_delay_alu instid0(SALU_CYCLE_1)
	s_and_not1_b32 exec_lo, exec_lo, s22
	s_cbranch_execz .LBB43_48
.LBB43_12:                              ; =>This Loop Header: Depth=1
                                        ;     Child Loop BB43_17 Depth 2
                                        ;       Child Loop BB43_22 Depth 3
                                        ;     Child Loop BB43_43 Depth 2
	v_mov_b32_e32 v50, v36
	v_mov_b32_e32 v49, v36
	;; [unrolled: 1-line block ×4, first 2 shown]
	s_and_not1_b32 vcc_lo, exec_lo, s21
	s_mov_b32 s14, 0
	s_cbranch_vccnz .LBB43_29
; %bb.13:                               ;   in Loop: Header=BB43_12 Depth=1
	v_add_nc_u32_e32 v0, 1, v34
	s_waitcnt lgkmcnt(0)
	v_min_u32_e32 v1, s27, v34
	v_cmp_gt_u32_e64 s1, s19, v34
	v_dual_mov_b32 v47, 0 :: v_dual_mov_b32 v48, 0
	v_dual_mov_b32 v49, 0 :: v_dual_mov_b32 v50, 0
	s_delay_alu instid0(VALU_DEP_4) | instskip(SKIP_3) | instid1(VALU_DEP_1)
	v_mul_lo_u32 v35, v1, s17
	v_mov_b32_e32 v1, v36
	v_min_u32_e32 v0, s27, v0
	s_mov_b32 s15, 0
	v_mul_lo_u32 v0, v0, s17
	s_delay_alu instid0(VALU_DEP_4) | instskip(NEXT) | instid1(VALU_DEP_2)
	v_lshlrev_b64 v[37:38], 1, v[35:36]
	v_lshlrev_b64 v[39:40], 1, v[0:1]
	s_branch .LBB43_17
.LBB43_14:                              ;   in Loop: Header=BB43_17 Depth=2
	s_or_b32 exec_lo, exec_lo, s36
.LBB43_15:                              ;   in Loop: Header=BB43_17 Depth=2
	s_delay_alu instid0(SALU_CYCLE_1)
	s_or_b32 exec_lo, exec_lo, s35
	s_waitcnt vmcnt(3) lgkmcnt(1)
	;;#ASMSTART
	v_dot2_f32_f16 v50, v28, v20, v50
	;;#ASMEND
	s_waitcnt vmcnt(2)
	;;#ASMSTART
	v_dot2_f32_f16 v49, v28, v16, v49
	;;#ASMEND
	s_waitcnt lgkmcnt(0)
	;;#ASMSTART
	v_dot2_f32_f16 v48, v24, v20, v48
	;;#ASMEND
	;;#ASMSTART
	v_dot2_f32_f16 v47, v24, v16, v47
	;;#ASMEND
	;; [unrolled: 3-line block ×14, first 2 shown]
	s_waitcnt vmcnt(1)
	;;#ASMSTART
	v_dot2_f32_f16 v50, v12, v4, v50
	;;#ASMEND
	s_waitcnt vmcnt(0)
	;;#ASMSTART
	v_dot2_f32_f16 v49, v12, v0, v49
	;;#ASMEND
	;;#ASMSTART
	v_dot2_f32_f16 v48, v8, v4, v48
	;;#ASMEND
	;; [unrolled: 3-line block ×15, first 2 shown]
.LBB43_16:                              ;   in Loop: Header=BB43_17 Depth=2
	s_or_b32 exec_lo, exec_lo, s2
	s_addk_i32 s15, 0x200
	s_delay_alu instid0(SALU_CYCLE_1)
	s_cmp_ge_u32 s15, s16
	s_cbranch_scc1 .LBB43_29
.LBB43_17:                              ;   Parent Loop BB43_12 Depth=1
                                        ; =>  This Loop Header: Depth=2
                                        ;       Child Loop BB43_22 Depth 3
	s_cmp_eq_u32 s15, 0
	s_cselect_b32 s35, -1, 0
	s_add_i32 s2, s14, s23
	s_delay_alu instid0(SALU_CYCLE_1) | instskip(SKIP_1) | instid1(SALU_CYCLE_1)
	s_cmp_eq_u32 s15, s2
	s_cselect_b32 s36, -1, 0
	s_or_b32 s36, s35, s36
	s_delay_alu instid0(SALU_CYCLE_1)
	s_and_not1_b32 vcc_lo, exec_lo, s36
	s_cbranch_vccz .LBB43_19
; %bb.18:                               ;   in Loop: Header=BB43_17 Depth=2
	s_and_saveexec_b32 s2, s1
	s_cbranch_execz .LBB43_16
	s_branch .LBB43_26
.LBB43_19:                              ;   in Loop: Header=BB43_17 Depth=2
	s_and_b32 s35, s35, exec_lo
	s_cselect_b32 s14, s14, s2
	s_and_not1_b32 vcc_lo, exec_lo, s24
	s_waitcnt vmcnt(0)
	s_waitcnt_vscnt null, 0x0
	s_barrier
	buffer_gl0_inv
	s_cbranch_vccnz .LBB43_25
; %bb.20:                               ;   in Loop: Header=BB43_17 Depth=2
	v_add_nc_u32_e32 v0, s14, v44
	v_dual_mov_b32 v2, v43 :: v_dual_add_nc_u32 v1, s14, v42
	s_mov_b32 s35, 0
	s_mov_b32 s36, 0
                                        ; implicit-def: $sgpr37
	s_set_inst_prefetch_distance 0x1
	s_branch .LBB43_22
	.p2align	6
.LBB43_21:                              ;   in Loop: Header=BB43_22 Depth=3
	s_or_b32 exec_lo, exec_lo, s2
	s_delay_alu instid0(SALU_CYCLE_1) | instskip(NEXT) | instid1(SALU_CYCLE_1)
	s_and_b32 s2, exec_lo, s37
	s_or_b32 s35, s2, s35
	s_delay_alu instid0(SALU_CYCLE_1)
	s_and_not1_b32 exec_lo, exec_lo, s35
	s_cbranch_execz .LBB43_24
.LBB43_22:                              ;   Parent Loop BB43_12 Depth=1
                                        ;     Parent Loop BB43_17 Depth=2
                                        ; =>    This Inner Loop Header: Depth=3
	v_add_nc_u32_e32 v35, s36, v1
	v_add_nc_u32_e32 v3, s36, v42
	s_or_b32 s37, s37, exec_lo
	s_delay_alu instid0(VALU_DEP_2) | instskip(NEXT) | instid1(VALU_DEP_2)
	v_cmp_gt_u32_e32 vcc_lo, s18, v35
	v_cmp_gt_u32_e64 s2, s23, v3
	s_delay_alu instid0(VALU_DEP_1) | instskip(NEXT) | instid1(SALU_CYCLE_1)
	s_and_b32 s38, s2, vcc_lo
	s_and_saveexec_b32 s2, s38
	s_cbranch_execz .LBB43_21
; %bb.23:                               ;   in Loop: Header=BB43_22 Depth=3
	v_lshlrev_b64 v[3:4], 1, v[35:36]
	v_add_nc_u32_e32 v35, s36, v0
	s_add_i32 s36, s36, s25
	v_add_nc_u32_e32 v11, s34, v2
	s_cmp_ge_u32 s36, s23
	s_delay_alu instid0(VALU_DEP_2) | instskip(SKIP_3) | instid1(VALU_DEP_3)
	v_lshlrev_b64 v[7:8], 1, v[35:36]
	v_add_co_u32 v3, vcc_lo, s8, v3
	v_add_co_ci_u32_e32 v4, vcc_lo, s9, v4, vcc_lo
	s_cselect_b32 s38, -1, 0
	v_add_co_u32 v7, vcc_lo, s8, v7
	global_load_b128 v[3:6], v[3:4], off
	v_add_co_ci_u32_e32 v8, vcc_lo, s9, v8, vcc_lo
	s_and_not1_b32 s37, s37, exec_lo
	s_and_b32 s38, s38, exec_lo
	global_load_b128 v[7:10], v[7:8], off
	s_or_b32 s37, s37, s38
	s_waitcnt vmcnt(1)
	ds_store_b128 v2, v[3:6]
	v_add_nc_u32_e32 v2, s20, v2
	s_waitcnt vmcnt(0)
	ds_store_2addr_b64 v11, v[7:8], v[9:10] offset1:1
	s_branch .LBB43_21
.LBB43_24:                              ;   in Loop: Header=BB43_17 Depth=2
	s_set_inst_prefetch_distance 0x2
	s_or_b32 exec_lo, exec_lo, s35
.LBB43_25:                              ;   in Loop: Header=BB43_17 Depth=2
	s_waitcnt lgkmcnt(0)
	s_barrier
	buffer_gl0_inv
	s_and_saveexec_b32 s2, s1
	s_cbranch_execz .LBB43_16
.LBB43_26:                              ;   in Loop: Header=BB43_17 Depth=2
	v_dual_mov_b32 v28, 0 :: v_dual_add_nc_u32 v51, s15, v41
	v_dual_mov_b32 v30, 0 :: v_dual_mov_b32 v31, 0
	v_dual_mov_b32 v12, 0 :: v_dual_mov_b32 v13, 0
	s_delay_alu instid0(VALU_DEP_3) | instskip(SKIP_2) | instid1(VALU_DEP_3)
	v_min_u32_e32 v35, s26, v51
	v_dual_mov_b32 v29, 0 :: v_dual_add_nc_u32 v52, 0x100, v51
	v_dual_mov_b32 v14, 0 :: v_dual_mov_b32 v15, 0
	v_lshlrev_b64 v[0:1], 1, v[35:36]
	s_delay_alu instid0(VALU_DEP_3) | instskip(SKIP_2) | instid1(VALU_DEP_4)
	v_min_u32_e32 v35, s26, v52
	v_dual_mov_b32 v24, 0 :: v_dual_mov_b32 v25, 0
	v_dual_mov_b32 v26, 0 :: v_dual_mov_b32 v27, 0
	v_add_co_u32 v4, vcc_lo, s6, v0
	v_add_co_ci_u32_e32 v5, vcc_lo, s7, v1, vcc_lo
	v_lshlrev_b64 v[0:1], 1, v[35:36]
	s_delay_alu instid0(VALU_DEP_3) | instskip(NEXT) | instid1(VALU_DEP_3)
	v_add_co_u32 v2, vcc_lo, v4, v37
	v_add_co_ci_u32_e32 v3, vcc_lo, v5, v38, vcc_lo
	s_waitcnt vmcnt(2)
	v_dual_mov_b32 v10, 0 :: v_dual_mov_b32 v11, 0
	s_delay_alu instid0(VALU_DEP_4) | instskip(SKIP_3) | instid1(VALU_DEP_4)
	v_add_co_u32 v6, vcc_lo, s6, v0
	v_add_co_ci_u32_e32 v7, vcc_lo, s7, v1, vcc_lo
	v_add_co_u32 v0, vcc_lo, v4, v39
	v_add_co_ci_u32_e32 v1, vcc_lo, v5, v40, vcc_lo
	v_add_co_u32 v4, vcc_lo, v6, v37
	s_delay_alu instid0(VALU_DEP_4)
	v_add_co_ci_u32_e32 v5, vcc_lo, v7, v38, vcc_lo
	s_waitcnt vmcnt(0)
	v_add_co_u32 v8, vcc_lo, v6, v39
	v_add_co_ci_u32_e32 v9, vcc_lo, v7, v40, vcc_lo
	s_clause 0x3
	global_load_b128 v[20:23], v[2:3], off slc dlc
	global_load_b128 v[16:19], v[0:1], off slc dlc
	;; [unrolled: 1-line block ×4, first 2 shown]
	v_dual_mov_b32 v8, 0 :: v_dual_mov_b32 v9, 0
	s_mov_b32 s35, exec_lo
	v_cmpx_gt_u32_e64 s16, v51
	s_cbranch_execz .LBB43_15
; %bb.27:                               ;   in Loop: Header=BB43_17 Depth=2
	v_subrev_nc_u32_e32 v8, s14, v51
	v_mov_b32_e32 v11, 0
	v_dual_mov_b32 v9, 0 :: v_dual_mov_b32 v14, 0
	v_dual_mov_b32 v15, 0 :: v_dual_mov_b32 v12, 0
	s_delay_alu instid0(VALU_DEP_4) | instskip(SKIP_2) | instid1(VALU_DEP_2)
	v_dual_mov_b32 v10, 0 :: v_dual_lshlrev_b32 v51, 1, v8
	v_dual_mov_b32 v8, 0 :: v_dual_mov_b32 v13, 0
	s_mov_b32 s36, exec_lo
	v_lshl_add_u32 v35, s23, 1, v51
	ds_load_b128 v[28:31], v51
	ds_load_b128 v[24:27], v35
	v_cmpx_gt_u32_e64 s16, v52
	s_cbranch_execz .LBB43_14
; %bb.28:                               ;   in Loop: Header=BB43_17 Depth=2
	ds_load_b128 v[12:15], v51 offset:512
	ds_load_b128 v[8:11], v35 offset:512
	s_branch .LBB43_14
.LBB43_29:                              ;   in Loop: Header=BB43_12 Depth=1
	s_mov_b32 s1, exec_lo
	v_cmpx_le_u32_e64 s19, v34
	s_xor_b32 s1, exec_lo, s1
; %bb.30:                               ;   in Loop: Header=BB43_12 Depth=1
	v_add_nc_u32_e32 v34, s28, v34
                                        ; implicit-def: $vgpr50
                                        ; implicit-def: $vgpr49
                                        ; implicit-def: $vgpr48
                                        ; implicit-def: $vgpr47
; %bb.31:                               ;   in Loop: Header=BB43_12 Depth=1
	s_and_not1_saveexec_b32 s35, s1
	s_cbranch_execz .LBB43_11
; %bb.32:                               ;   in Loop: Header=BB43_12 Depth=1
	v_cvt_i32_f32_e32 v0, v50
	s_waitcnt lgkmcnt(0)
	v_cvt_i32_f32_e32 v1, v49
	v_cvt_i32_f32_e32 v2, v48
	;; [unrolled: 1-line block ×3, first 2 shown]
	v_cvt_f32_i32_dpp v0, v0 row_shr:8 row_mask:0xf bank_mask:0xf bound_ctrl:1
	s_delay_alu instid0(VALU_DEP_4) | instskip(NEXT) | instid1(VALU_DEP_4)
	v_cvt_f32_i32_dpp v1, v1 row_shr:8 row_mask:0xf bank_mask:0xf bound_ctrl:1
	v_cvt_f32_i32_dpp v2, v2 row_shr:8 row_mask:0xf bank_mask:0xf bound_ctrl:1
	s_delay_alu instid0(VALU_DEP_4) | instskip(NEXT) | instid1(VALU_DEP_3)
	v_cvt_f32_i32_dpp v3, v3 row_shr:8 row_mask:0xf bank_mask:0xf bound_ctrl:1
	v_dual_add_f32 v0, v50, v0 :: v_dual_add_f32 v1, v49, v1
	s_delay_alu instid0(VALU_DEP_2) | instskip(NEXT) | instid1(VALU_DEP_2)
	v_dual_add_f32 v2, v48, v2 :: v_dual_add_f32 v3, v47, v3
	v_cvt_i32_f32_e32 v4, v0
	s_delay_alu instid0(VALU_DEP_3) | instskip(NEXT) | instid1(VALU_DEP_3)
	v_cvt_i32_f32_e32 v5, v1
	v_cvt_i32_f32_e32 v6, v2
	s_delay_alu instid0(VALU_DEP_4) | instskip(NEXT) | instid1(VALU_DEP_4)
	v_cvt_i32_f32_e32 v7, v3
	v_cvt_f32_i32_dpp v4, v4 row_shr:4 row_mask:0xf bank_mask:0xf bound_ctrl:1
	s_delay_alu instid0(VALU_DEP_4) | instskip(NEXT) | instid1(VALU_DEP_4)
	v_cvt_f32_i32_dpp v5, v5 row_shr:4 row_mask:0xf bank_mask:0xf bound_ctrl:1
	v_cvt_f32_i32_dpp v6, v6 row_shr:4 row_mask:0xf bank_mask:0xf bound_ctrl:1
	s_delay_alu instid0(VALU_DEP_4) | instskip(NEXT) | instid1(VALU_DEP_3)
	v_cvt_f32_i32_dpp v7, v7 row_shr:4 row_mask:0xf bank_mask:0xf bound_ctrl:1
	v_dual_add_f32 v0, v0, v4 :: v_dual_add_f32 v1, v1, v5
	s_delay_alu instid0(VALU_DEP_2) | instskip(NEXT) | instid1(VALU_DEP_2)
	v_dual_add_f32 v2, v2, v6 :: v_dual_add_f32 v3, v3, v7
	v_cvt_i32_f32_e32 v4, v0
	s_delay_alu instid0(VALU_DEP_3) | instskip(NEXT) | instid1(VALU_DEP_3)
	v_cvt_i32_f32_e32 v5, v1
	v_cvt_i32_f32_e32 v6, v2
	s_delay_alu instid0(VALU_DEP_4) | instskip(NEXT) | instid1(VALU_DEP_4)
	v_cvt_i32_f32_e32 v7, v3
	v_cvt_f32_i32_dpp v4, v4 row_shr:2 row_mask:0xf bank_mask:0xf bound_ctrl:1
	s_delay_alu instid0(VALU_DEP_4) | instskip(NEXT) | instid1(VALU_DEP_4)
	v_cvt_f32_i32_dpp v5, v5 row_shr:2 row_mask:0xf bank_mask:0xf bound_ctrl:1
	v_cvt_f32_i32_dpp v6, v6 row_shr:2 row_mask:0xf bank_mask:0xf bound_ctrl:1
	s_delay_alu instid0(VALU_DEP_4) | instskip(NEXT) | instid1(VALU_DEP_3)
	v_cvt_f32_i32_dpp v7, v7 row_shr:2 row_mask:0xf bank_mask:0xf bound_ctrl:1
	v_dual_add_f32 v0, v0, v4 :: v_dual_add_f32 v1, v1, v5
	s_delay_alu instid0(VALU_DEP_2) | instskip(SKIP_1) | instid1(VALU_DEP_3)
	v_dual_add_f32 v2, v2, v6 :: v_dual_add_f32 v3, v3, v7
	v_xor_b32_e32 v4, 16, v46
	v_cvt_i32_f32_e32 v5, v0
	s_delay_alu instid0(VALU_DEP_4) | instskip(NEXT) | instid1(VALU_DEP_4)
	v_cvt_i32_f32_e32 v6, v1
	v_cvt_i32_f32_e32 v7, v2
	s_waitcnt vmcnt(0)
	v_cvt_i32_f32_e32 v8, v3
	v_cmp_gt_i32_e32 vcc_lo, 32, v4
	v_cvt_f32_i32_dpp v5, v5 row_shr:1 row_mask:0xf bank_mask:0xf bound_ctrl:1
	v_cvt_f32_i32_dpp v9, v6 row_shr:1 row_mask:0xf bank_mask:0xf bound_ctrl:1
	;; [unrolled: 1-line block ×4, first 2 shown]
	v_cndmask_b32_e32 v4, v46, v4, vcc_lo
	v_add_f32_e32 v6, v0, v5
	s_delay_alu instid0(VALU_DEP_4) | instskip(NEXT) | instid1(VALU_DEP_4)
	v_add_f32_e32 v2, v2, v7
	v_add_f32_e32 v0, v3, v8
	s_delay_alu instid0(VALU_DEP_4)
	v_lshlrev_b32_e32 v10, 2, v4
	v_add_f32_e32 v4, v1, v9
	ds_bpermute_b32 v7, v10, v6
	ds_bpermute_b32 v5, v10, v4
	ds_bpermute_b32 v3, v10, v2
	ds_bpermute_b32 v1, v10, v0
	s_and_saveexec_b32 s14, s0
	s_cbranch_execz .LBB43_40
; %bb.33:                               ;   in Loop: Header=BB43_12 Depth=1
	v_dual_mov_b32 v8, 0 :: v_dual_mov_b32 v9, 0
	v_dual_mov_b32 v10, 0 :: v_dual_mov_b32 v11, 0
	s_and_not1_b32 vcc_lo, exec_lo, s29
	s_cbranch_vccnz .LBB43_35
; %bb.34:                               ;   in Loop: Header=BB43_12 Depth=1
	v_mul_hi_u32 v8, v34, v45
	s_delay_alu instid0(VALU_DEP_1) | instskip(NEXT) | instid1(VALU_DEP_1)
	v_mul_lo_u32 v8, v8, s4
	v_sub_nc_u32_e32 v8, v34, v8
	s_delay_alu instid0(VALU_DEP_1) | instskip(SKIP_1) | instid1(VALU_DEP_2)
	v_subrev_nc_u32_e32 v11, s4, v8
	v_cmp_le_u32_e32 vcc_lo, s4, v8
	v_dual_cndmask_b32 v8, v8, v11 :: v_dual_add_nc_u32 v9, 1, v34
	s_delay_alu instid0(VALU_DEP_1) | instskip(NEXT) | instid1(VALU_DEP_2)
	v_mul_hi_u32 v10, v9, v45
	v_subrev_nc_u32_e32 v11, s4, v8
	s_delay_alu instid0(VALU_DEP_2) | instskip(NEXT) | instid1(VALU_DEP_1)
	v_mul_lo_u32 v10, v10, s4
	v_sub_nc_u32_e32 v9, v9, v10
	s_delay_alu instid0(VALU_DEP_1) | instskip(SKIP_1) | instid1(VALU_DEP_2)
	v_subrev_nc_u32_e32 v10, s4, v9
	v_cmp_le_u32_e32 vcc_lo, s4, v9
	v_cndmask_b32_e32 v12, v9, v10, vcc_lo
	v_cmp_le_u32_e32 vcc_lo, s4, v8
	v_mov_b32_e32 v9, v36
	v_cndmask_b32_e32 v35, v8, v11, vcc_lo
	s_delay_alu instid0(VALU_DEP_4) | instskip(SKIP_1) | instid1(VALU_DEP_3)
	v_subrev_nc_u32_e32 v8, s4, v12
	v_cmp_le_u32_e32 vcc_lo, s4, v12
	v_lshlrev_b64 v[10:11], 1, v[35:36]
	s_delay_alu instid0(VALU_DEP_3) | instskip(NEXT) | instid1(VALU_DEP_1)
	v_dual_cndmask_b32 v8, v12, v8 :: v_dual_add_nc_u32 v35, s31, v35
	v_lshlrev_b64 v[14:15], 1, v[35:36]
	s_delay_alu instid0(VALU_DEP_2) | instskip(SKIP_3) | instid1(VALU_DEP_3)
	v_lshlrev_b64 v[12:13], 1, v[8:9]
	v_add_nc_u32_e32 v35, s31, v8
	v_add_co_u32 v8, vcc_lo, s10, v10
	v_add_co_ci_u32_e32 v9, vcc_lo, s11, v11, vcc_lo
	v_lshlrev_b64 v[10:11], 1, v[35:36]
	v_add_co_u32 v12, vcc_lo, s10, v12
	v_add_co_ci_u32_e32 v13, vcc_lo, s11, v13, vcc_lo
	v_add_co_u32 v14, vcc_lo, s10, v14
	v_add_co_ci_u32_e32 v15, vcc_lo, s11, v15, vcc_lo
	;; [unrolled: 2-line block ×3, first 2 shown]
	s_clause 0x3
	global_load_u16 v11, v[8:9], off
	global_load_u16 v10, v[12:13], off
	;; [unrolled: 1-line block ×4, first 2 shown]
.LBB43_35:                              ;   in Loop: Header=BB43_12 Depth=1
	v_cmp_ne_u32_e32 vcc_lo, 0, v32
	s_and_saveexec_b32 s2, vcc_lo
	s_cbranch_execnz .LBB43_45
; %bb.36:                               ;   in Loop: Header=BB43_12 Depth=1
	s_or_b32 exec_lo, exec_lo, s2
	v_cmp_ne_u32_e64 s1, 0, v33
	s_delay_alu instid0(VALU_DEP_1)
	s_and_saveexec_b32 s15, s1
	s_cbranch_execnz .LBB43_46
.LBB43_37:                              ;   in Loop: Header=BB43_12 Depth=1
	s_or_b32 exec_lo, exec_lo, s15
	v_add_nc_u32_e32 v35, s19, v34
	s_and_saveexec_b32 s2, vcc_lo
	s_cbranch_execnz .LBB43_47
.LBB43_38:                              ;   in Loop: Header=BB43_12 Depth=1
	s_or_b32 exec_lo, exec_lo, s2
	s_delay_alu instid0(SALU_CYCLE_1)
	s_and_b32 exec_lo, exec_lo, s1
	s_cbranch_execz .LBB43_40
.LBB43_39:                              ;   in Loop: Header=BB43_12 Depth=1
	s_waitcnt lgkmcnt(0)
	v_dual_add_f32 v0, v0, v1 :: v_dual_add_nc_u32 v35, 1, v35
	s_waitcnt vmcnt(0)
	v_cvt_f32_f16_e32 v1, v8
	s_delay_alu instid0(VALU_DEP_1) | instskip(NEXT) | instid1(VALU_DEP_3)
	v_add_f32_e32 v2, v0, v1
	v_lshlrev_b64 v[0:1], 1, v[35:36]
	s_delay_alu instid0(VALU_DEP_2) | instskip(NEXT) | instid1(VALU_DEP_2)
	v_cvt_f16_f32_e32 v2, v2
	v_add_co_u32 v0, vcc_lo, s12, v0
	s_delay_alu instid0(VALU_DEP_3)
	v_add_co_ci_u32_e32 v1, vcc_lo, s13, v1, vcc_lo
	global_store_b16 v[0:1], v2, off
.LBB43_40:                              ;   in Loop: Header=BB43_12 Depth=1
	s_or_b32 exec_lo, exec_lo, s14
	v_add_nc_u32_e32 v34, s28, v34
	s_delay_alu instid0(VALU_DEP_1) | instskip(SKIP_1) | instid1(VALU_DEP_2)
	v_add_nc_u32_e32 v0, 2, v34
	v_cmp_gt_u32_e32 vcc_lo, s19, v34
	v_cmp_le_u32_e64 s1, s19, v0
	s_delay_alu instid0(VALU_DEP_1) | instskip(NEXT) | instid1(SALU_CYCLE_1)
	s_and_b32 s1, vcc_lo, s1
	s_and_saveexec_b32 s36, s1
	s_cbranch_execz .LBB43_10
; %bb.41:                               ;   in Loop: Header=BB43_12 Depth=1
	s_mov_b32 s37, exec_lo
	v_cmpx_ne_u32_e64 s5, v34
	s_cbranch_execz .LBB43_9
; %bb.42:                               ;   in Loop: Header=BB43_12 Depth=1
	v_subrev_nc_u32_e32 v0, s5, v34
	s_mov_b32 s38, 0
	s_mov_b64 s[14:15], 0
	s_delay_alu instid0(VALU_DEP_1)
	v_cmp_lt_u32_e32 vcc_lo, 1, v0
	v_cndmask_b32_e32 v0, 1, v0, vcc_lo
.LBB43_43:                              ;   Parent Loop BB43_12 Depth=1
                                        ; =>  This Inner Loop Header: Depth=2
	s_cmp_lg_u32 s14, 1
	s_cselect_b32 vcc_lo, -1, 0
	s_cmp_lg_u32 s14, 0
	v_cndmask_b32_e32 v33, 0, v33, vcc_lo
	s_cselect_b32 s1, -1, 0
	s_add_u32 s14, s14, 1
	v_cndmask_b32_e64 v32, 0, v32, s1
	v_cmp_eq_u32_e64 s2, s14, v0
	s_addc_u32 s15, s15, 0
	s_delay_alu instid0(VALU_DEP_1) | instskip(NEXT) | instid1(SALU_CYCLE_1)
	s_or_b32 s38, s2, s38
	s_and_not1_b32 exec_lo, exec_lo, s38
	s_cbranch_execnz .LBB43_43
; %bb.44:                               ;   in Loop: Header=BB43_12 Depth=1
	s_or_b32 exec_lo, exec_lo, s38
	s_branch .LBB43_9
.LBB43_45:                              ;   in Loop: Header=BB43_12 Depth=1
	s_waitcnt lgkmcnt(3)
	v_dual_add_f32 v6, v6, v7 :: v_dual_mov_b32 v35, v36
	s_waitcnt vmcnt(3)
	v_cvt_f32_f16_e32 v7, v11
	s_delay_alu instid0(VALU_DEP_1) | instskip(NEXT) | instid1(VALU_DEP_3)
	v_add_f32_e32 v11, v6, v7
	v_lshlrev_b64 v[6:7], 1, v[34:35]
	s_delay_alu instid0(VALU_DEP_2) | instskip(NEXT) | instid1(VALU_DEP_2)
	v_cvt_f16_f32_e32 v11, v11
	v_add_co_u32 v6, s1, s12, v6
	s_delay_alu instid0(VALU_DEP_1) | instskip(SKIP_3) | instid1(VALU_DEP_1)
	v_add_co_ci_u32_e64 v7, s1, s13, v7, s1
	global_store_b16 v[6:7], v11, off
	s_or_b32 exec_lo, exec_lo, s2
	v_cmp_ne_u32_e64 s1, 0, v33
	s_and_saveexec_b32 s15, s1
	s_cbranch_execz .LBB43_37
.LBB43_46:                              ;   in Loop: Header=BB43_12 Depth=1
	s_waitcnt lgkmcnt(2)
	v_add_f32_e32 v4, v4, v5
	s_waitcnt vmcnt(2)
	v_cvt_f32_f16_e32 v5, v10
	v_mov_b32_e32 v35, v36
	s_delay_alu instid0(VALU_DEP_2) | instskip(NEXT) | instid1(VALU_DEP_2)
	v_add_f32_e32 v6, v4, v5
	v_lshlrev_b64 v[4:5], 1, v[34:35]
	s_delay_alu instid0(VALU_DEP_2) | instskip(NEXT) | instid1(VALU_DEP_2)
	v_cvt_f16_f32_e32 v6, v6
	v_add_co_u32 v4, s2, s30, v4
	s_delay_alu instid0(VALU_DEP_1)
	v_add_co_ci_u32_e64 v5, s2, s33, v5, s2
	global_store_b16 v[4:5], v6, off
	s_or_b32 exec_lo, exec_lo, s15
	v_add_nc_u32_e32 v35, s19, v34
	s_and_saveexec_b32 s2, vcc_lo
	s_cbranch_execz .LBB43_38
.LBB43_47:                              ;   in Loop: Header=BB43_12 Depth=1
	s_waitcnt lgkmcnt(1)
	v_add_f32_e32 v2, v2, v3
	s_waitcnt vmcnt(1)
	v_cvt_f32_f16_e32 v3, v9
	s_delay_alu instid0(VALU_DEP_1) | instskip(SKIP_1) | instid1(VALU_DEP_2)
	v_add_f32_e32 v4, v2, v3
	v_lshlrev_b64 v[2:3], 1, v[35:36]
	v_cvt_f16_f32_e32 v4, v4
	s_delay_alu instid0(VALU_DEP_2) | instskip(NEXT) | instid1(VALU_DEP_3)
	v_add_co_u32 v2, vcc_lo, s12, v2
	v_add_co_ci_u32_e32 v3, vcc_lo, s13, v3, vcc_lo
	global_store_b16 v[2:3], v4, off
	s_or_b32 exec_lo, exec_lo, s2
	s_delay_alu instid0(SALU_CYCLE_1)
	s_and_b32 exec_lo, exec_lo, s1
	s_cbranch_execnz .LBB43_39
	s_branch .LBB43_40
.LBB43_48:
	s_nop 0
	s_sendmsg sendmsg(MSG_DEALLOC_VGPRS)
	s_endpgm
	.section	.rodata,"a",@progbits
	.p2align	6, 0x0
	.amdhsa_kernel _Z16wvSplitK_hf_big_I6__halfLi32ELi2ELi16ELi8ELi2ELi2EEviiiiiiPKT_S3_S3_PS1_ii
		.amdhsa_group_segment_fixed_size 65536
		.amdhsa_private_segment_fixed_size 0
		.amdhsa_kernarg_size 64
		.amdhsa_user_sgpr_count 15
		.amdhsa_user_sgpr_dispatch_ptr 0
		.amdhsa_user_sgpr_queue_ptr 0
		.amdhsa_user_sgpr_kernarg_segment_ptr 1
		.amdhsa_user_sgpr_dispatch_id 0
		.amdhsa_user_sgpr_private_segment_size 0
		.amdhsa_wavefront_size32 1
		.amdhsa_uses_dynamic_stack 0
		.amdhsa_enable_private_segment 0
		.amdhsa_system_sgpr_workgroup_id_x 1
		.amdhsa_system_sgpr_workgroup_id_y 0
		.amdhsa_system_sgpr_workgroup_id_z 0
		.amdhsa_system_sgpr_workgroup_info 0
		.amdhsa_system_vgpr_workitem_id 1
		.amdhsa_next_free_vgpr 53
		.amdhsa_next_free_sgpr 39
		.amdhsa_reserve_vcc 1
		.amdhsa_float_round_mode_32 0
		.amdhsa_float_round_mode_16_64 0
		.amdhsa_float_denorm_mode_32 3
		.amdhsa_float_denorm_mode_16_64 3
		.amdhsa_dx10_clamp 1
		.amdhsa_ieee_mode 1
		.amdhsa_fp16_overflow 0
		.amdhsa_workgroup_processor_mode 1
		.amdhsa_memory_ordered 1
		.amdhsa_forward_progress 0
		.amdhsa_shared_vgpr_count 0
		.amdhsa_exception_fp_ieee_invalid_op 0
		.amdhsa_exception_fp_denorm_src 0
		.amdhsa_exception_fp_ieee_div_zero 0
		.amdhsa_exception_fp_ieee_overflow 0
		.amdhsa_exception_fp_ieee_underflow 0
		.amdhsa_exception_fp_ieee_inexact 0
		.amdhsa_exception_int_div_zero 0
	.end_amdhsa_kernel
	.section	.text._Z16wvSplitK_hf_big_I6__halfLi32ELi2ELi16ELi8ELi2ELi2EEviiiiiiPKT_S3_S3_PS1_ii,"axG",@progbits,_Z16wvSplitK_hf_big_I6__halfLi32ELi2ELi16ELi8ELi2ELi2EEviiiiiiPKT_S3_S3_PS1_ii,comdat
.Lfunc_end43:
	.size	_Z16wvSplitK_hf_big_I6__halfLi32ELi2ELi16ELi8ELi2ELi2EEviiiiiiPKT_S3_S3_PS1_ii, .Lfunc_end43-_Z16wvSplitK_hf_big_I6__halfLi32ELi2ELi16ELi8ELi2ELi2EEviiiiiiPKT_S3_S3_PS1_ii
                                        ; -- End function
	.section	.AMDGPU.csdata,"",@progbits
; Kernel info:
; codeLenInByte = 3460
; NumSgprs: 41
; NumVgprs: 53
; ScratchSize: 0
; MemoryBound: 0
; FloatMode: 240
; IeeeMode: 1
; LDSByteSize: 65536 bytes/workgroup (compile time only)
; SGPRBlocks: 5
; VGPRBlocks: 6
; NumSGPRsForWavesPerEU: 41
; NumVGPRsForWavesPerEU: 53
; Occupancy: 8
; WaveLimiterHint : 0
; COMPUTE_PGM_RSRC2:SCRATCH_EN: 0
; COMPUTE_PGM_RSRC2:USER_SGPR: 15
; COMPUTE_PGM_RSRC2:TRAP_HANDLER: 0
; COMPUTE_PGM_RSRC2:TGID_X_EN: 1
; COMPUTE_PGM_RSRC2:TGID_Y_EN: 0
; COMPUTE_PGM_RSRC2:TGID_Z_EN: 0
; COMPUTE_PGM_RSRC2:TIDIG_COMP_CNT: 1
	.section	.text._Z16wvSplitK_hf_sml_I6__halfLi32ELi3ELi16ELi8ELi2ELi2EEviiiiiiPKT_S3_S3_PS1_ii,"axG",@progbits,_Z16wvSplitK_hf_sml_I6__halfLi32ELi3ELi16ELi8ELi2ELi2EEviiiiiiPKT_S3_S3_PS1_ii,comdat
	.protected	_Z16wvSplitK_hf_sml_I6__halfLi32ELi3ELi16ELi8ELi2ELi2EEviiiiiiPKT_S3_S3_PS1_ii ; -- Begin function _Z16wvSplitK_hf_sml_I6__halfLi32ELi3ELi16ELi8ELi2ELi2EEviiiiiiPKT_S3_S3_PS1_ii
	.globl	_Z16wvSplitK_hf_sml_I6__halfLi32ELi3ELi16ELi8ELi2ELi2EEviiiiiiPKT_S3_S3_PS1_ii
	.p2align	8
	.type	_Z16wvSplitK_hf_sml_I6__halfLi32ELi3ELi16ELi8ELi2ELi2EEviiiiiiPKT_S3_S3_PS1_ii,@function
_Z16wvSplitK_hf_sml_I6__halfLi32ELi3ELi16ELi8ELi2ELi2EEviiiiiiPKT_S3_S3_PS1_ii: ; @_Z16wvSplitK_hf_sml_I6__halfLi32ELi3ELi16ELi8ELi2ELi2EEviiiiiiPKT_S3_S3_PS1_ii
; %bb.0:
	s_load_b128 s[4:7], s[0:1], 0x0
	v_and_b32_e32 v1, 0x3ff, v0
	v_bfe_u32 v0, v0, 10, 10
	s_mov_b32 s8, exec_lo
	s_delay_alu instid0(VALU_DEP_2) | instskip(NEXT) | instid1(VALU_DEP_1)
	v_lshlrev_b32_e32 v52, 3, v1
	v_lshl_add_u32 v3, v0, 8, v52
	s_waitcnt lgkmcnt(0)
	s_lshl_b32 s6, s6, 1
	s_delay_alu instid0(SALU_CYCLE_1)
	s_min_u32 s9, s6, 0x8000
	s_delay_alu instid0(VALU_DEP_1) | instid1(SALU_CYCLE_1)
	v_cmpx_gt_u32_e64 s9, v3
	s_cbranch_execz .LBB44_9
; %bb.1:
	s_load_b64 s[2:3], s[0:1], 0x20
	v_lshlrev_b32_e32 v2, 1, v3
	v_add_nc_u32_e32 v8, 0x1000, v3
	s_mov_b32 s10, exec_lo
	s_waitcnt lgkmcnt(0)
	global_load_b128 v[4:7], v2, s[2:3]
	s_waitcnt vmcnt(0)
	ds_store_b128 v2, v[4:7]
	v_cmpx_gt_u32_e64 s9, v8
	s_xor_b32 s10, exec_lo, s10
	s_cbranch_execz .LBB44_9
; %bb.2:
	v_add_co_u32 v4, s2, s2, v2
	s_delay_alu instid0(VALU_DEP_1) | instskip(SKIP_1) | instid1(VALU_DEP_3)
	v_add_co_ci_u32_e64 v5, null, s3, 0, s2
	v_add_nc_u32_e32 v10, 0x2000, v3
	v_add_co_u32 v6, vcc_lo, 0x2000, v4
	s_delay_alu instid0(VALU_DEP_3)
	v_add_co_ci_u32_e32 v7, vcc_lo, 0, v5, vcc_lo
	s_mov_b32 s2, exec_lo
	global_load_b128 v[6:9], v[6:7], off
	s_waitcnt vmcnt(0)
	ds_store_b128 v2, v[6:9] offset:8192
	v_cmpx_gt_u32_e64 s9, v10
	s_xor_b32 s2, exec_lo, s2
	s_cbranch_execz .LBB44_9
; %bb.3:
	v_add_co_u32 v6, vcc_lo, 0x4000, v4
	v_add_co_ci_u32_e32 v7, vcc_lo, 0, v5, vcc_lo
	v_add_nc_u32_e32 v10, 0x3000, v3
	s_mov_b32 s2, exec_lo
	global_load_b128 v[6:9], v[6:7], off
	s_waitcnt vmcnt(0)
	ds_store_b128 v2, v[6:9] offset:16384
	v_cmpx_gt_u32_e64 s9, v10
	s_xor_b32 s2, exec_lo, s2
	s_cbranch_execz .LBB44_9
; %bb.4:
	v_add_co_u32 v6, vcc_lo, 0x6000, v4
	v_add_co_ci_u32_e32 v7, vcc_lo, 0, v5, vcc_lo
	v_add_nc_u32_e32 v10, 0x4000, v3
	;; [unrolled: 11-line block ×5, first 2 shown]
	s_mov_b32 s2, exec_lo
	global_load_b128 v[6:9], v[6:7], off
	s_waitcnt vmcnt(0)
	ds_store_b128 v2, v[6:9] offset:49152
	v_cmpx_gt_u32_e64 s9, v3
	s_xor_b32 s2, exec_lo, s2
	s_cbranch_execz .LBB44_9
; %bb.8:
	v_add_co_u32 v3, vcc_lo, 0xe000, v4
	v_add_co_ci_u32_e32 v4, vcc_lo, 0, v5, vcc_lo
	global_load_b128 v[3:6], v[3:4], off
	s_waitcnt vmcnt(0)
	ds_store_b128 v2, v[3:6] offset:57344
.LBB44_9:
	s_or_b32 exec_lo, exec_lo, s8
	s_load_b64 s[16:17], s[0:1], 0x38
	s_waitcnt lgkmcnt(0)
	s_barrier
	buffer_gl0_inv
	s_mov_b32 s2, exec_lo
	v_cmpx_gt_u32_e64 s16, v0
	s_cbranch_execz .LBB44_26
; %bb.10:
	s_load_b64 s[2:3], s[0:1], 0x10
	v_mad_u64_u32 v[2:3], null, s15, s16, v[0:1]
	s_delay_alu instid0(VALU_DEP_1) | instskip(NEXT) | instid1(VALU_DEP_1)
	v_lshl_add_u32 v40, v2, 1, v2
	v_cmp_gt_u32_e32 vcc_lo, s7, v40
	s_and_b32 exec_lo, exec_lo, vcc_lo
	s_cbranch_execz .LBB44_26
; %bb.11:
	s_waitcnt lgkmcnt(0)
	v_cvt_f32_u32_e32 v0, s2
	s_clause 0x1
	s_load_b128 s[8:11], s[0:1], 0x28
	s_load_b64 s[12:13], s[0:1], 0x18
	s_cmp_lg_u32 s4, 0
	v_mbcnt_lo_u32_b32 v54, -1, 0
	v_rcp_iflag_f32_e32 v0, v0
	s_cselect_b32 s1, -1, 0
	s_add_i32 s14, s4, -8
	s_add_i32 s15, s7, -1
	v_xor_b32_e32 v56, 16, v54
	s_mul_i32 s17, s16, s17
	s_mov_b32 s16, 0
	s_waitcnt_depctr 0xfff
	v_dual_mul_f32 v0, 0x4f7ffffe, v0 :: v_dual_lshlrev_b32 v53, 4, v1
	s_delay_alu instid0(VALU_DEP_1)
	v_cvt_u32_f32_e32 v0, v0
	s_waitcnt lgkmcnt(0)
	s_cmp_lg_u64 s[8:9], 0
	s_cselect_b32 s18, -1, 0
	s_sub_i32 s0, 0, s2
	s_abs_i32 s3, s3
	v_mul_lo_u32 v2, s0, v0
	v_cmp_eq_u32_e64 s0, 31, v1
	s_sub_i32 s19, 1, s3
	s_cmp_lt_u32 s3, 2
	s_cselect_b32 s19, s19, 1
	s_delay_alu instid0(SALU_CYCLE_1) | instskip(NEXT) | instid1(VALU_DEP_2)
	s_sub_i32 s20, s19, s3
	v_mul_hi_u32 v1, v0, v2
	s_cmp_ge_u32 s19, s3
	v_mov_b32_e32 v42, 0
	s_cselect_b32 s19, s20, s19
	s_mul_i32 s3, s17, 3
	s_mul_i32 s17, s19, s2
	s_delay_alu instid0(VALU_DEP_2)
	v_add_nc_u32_e32 v55, v0, v1
	s_branch .LBB44_14
.LBB44_12:                              ;   in Loop: Header=BB44_14 Depth=1
	s_waitcnt lgkmcnt(5)
	v_add_f32_e32 v2, v2, v3
	s_waitcnt vmcnt(5)
	v_cvt_f32_f16_e32 v3, v17
	s_waitcnt lgkmcnt(2)
	v_dual_add_f32 v6, v6, v10 :: v_dual_add_f32 v7, v7, v11
	v_add_f32_e32 v4, v4, v8
	s_waitcnt lgkmcnt(1)
	v_add_f32_e32 v8, v5, v9
	v_add_f32_e32 v10, v2, v3
	v_lshlrev_b64 v[2:3], 1, v[40:41]
	s_waitcnt vmcnt(4)
	v_cvt_f32_f16_e32 v5, v16
	v_add_nc_u32_e32 v41, s7, v40
	v_cvt_f16_f32_e32 v9, v10
	s_waitcnt lgkmcnt(0)
	v_add_f32_e32 v10, v0, v1
	v_add_co_u32 v2, vcc_lo, s10, v2
	v_add_f32_e32 v5, v6, v5
	v_add_co_ci_u32_e32 v3, vcc_lo, s11, v3, vcc_lo
	s_waitcnt vmcnt(3)
	v_cvt_f32_f16_e32 v6, v15
	v_lshlrev_b64 v[0:1], 1, v[45:46]
	v_cvt_f16_f32_e32 v11, v5
	s_waitcnt vmcnt(2)
	v_cvt_f32_f16_e32 v5, v14
	global_store_b16 v[2:3], v9, off
	v_add_f32_e32 v2, v7, v6
	s_waitcnt vmcnt(1)
	v_cvt_f32_f16_e32 v9, v13
	v_add_co_u32 v0, vcc_lo, s10, v0
	v_add_f32_e32 v6, v4, v5
	v_cvt_f16_f32_e32 v14, v2
	v_lshlrev_b64 v[2:3], 1, v[43:44]
	v_dual_mov_b32 v5, v42 :: v_dual_add_nc_u32 v4, 1, v41
	s_delay_alu instid0(VALU_DEP_4)
	v_cvt_f16_f32_e32 v13, v6
	v_lshlrev_b64 v[6:7], 1, v[41:42]
	v_add_nc_u32_e32 v41, 2, v41
	v_add_f32_e32 v8, v8, v9
	s_waitcnt vmcnt(0)
	v_cvt_f32_f16_e32 v9, v12
	v_add_co_ci_u32_e32 v1, vcc_lo, s11, v1, vcc_lo
	v_add_co_u32 v2, vcc_lo, s10, v2
	v_lshlrev_b64 v[4:5], 1, v[4:5]
	v_add_co_ci_u32_e32 v3, vcc_lo, s11, v3, vcc_lo
	v_add_co_u32 v6, vcc_lo, s10, v6
	v_cvt_f16_f32_e32 v12, v8
	v_add_f32_e32 v10, v10, v9
	v_lshlrev_b64 v[8:9], 1, v[41:42]
	v_add_co_ci_u32_e32 v7, vcc_lo, s11, v7, vcc_lo
	v_add_co_u32 v4, vcc_lo, s10, v4
	v_add_co_ci_u32_e32 v5, vcc_lo, s11, v5, vcc_lo
	s_delay_alu instid0(VALU_DEP_4)
	v_add_co_u32 v8, vcc_lo, s10, v8
	v_cvt_f16_f32_e32 v10, v10
	v_add_co_ci_u32_e32 v9, vcc_lo, s11, v9, vcc_lo
	s_clause 0x4
	global_store_b16 v[0:1], v11, off
	global_store_b16 v[2:3], v14, off
	;; [unrolled: 1-line block ×5, first 2 shown]
.LBB44_13:                              ;   in Loop: Header=BB44_14 Depth=1
	s_or_b32 exec_lo, exec_lo, s19
	v_add_nc_u32_e32 v40, s3, v40
	s_delay_alu instid0(VALU_DEP_1) | instskip(SKIP_1) | instid1(SALU_CYCLE_1)
	v_cmp_le_u32_e32 vcc_lo, s7, v40
	s_or_b32 s16, vcc_lo, s16
	s_and_not1_b32 exec_lo, exec_lo, s16
	s_cbranch_execz .LBB44_26
.LBB44_14:                              ; =>This Loop Header: Depth=1
                                        ;     Child Loop BB44_18 Depth 2
	v_dual_mov_b32 v60, v42 :: v_dual_add_nc_u32 v45, 1, v40
	v_dual_mov_b32 v58, v42 :: v_dual_add_nc_u32 v43, 2, v40
	v_mov_b32_e32 v61, v42
	v_mov_b32_e32 v59, v42
	;; [unrolled: 1-line block ×4, first 2 shown]
	s_and_not1_b32 vcc_lo, exec_lo, s1
	s_cbranch_vccnz .LBB44_21
; %bb.15:                               ;   in Loop: Header=BB44_14 Depth=1
	v_min_u32_e32 v0, s15, v40
	s_waitcnt lgkmcnt(0)
	v_min_u32_e32 v1, s15, v45
	v_min_u32_e32 v2, s15, v43
	v_dual_mov_b32 v3, v42 :: v_dual_mov_b32 v62, v53
	v_mul_lo_u32 v41, v0, s5
	s_delay_alu instid0(VALU_DEP_4) | instskip(NEXT) | instid1(VALU_DEP_4)
	v_mul_lo_u32 v0, v1, s5
	v_mul_lo_u32 v2, v2, s5
	v_dual_mov_b32 v1, v42 :: v_dual_mov_b32 v44, 0
	v_dual_mov_b32 v57, 0 :: v_dual_mov_b32 v58, 0
	;; [unrolled: 1-line block ×3, first 2 shown]
	v_lshlrev_b64 v[46:47], 1, v[41:42]
	s_delay_alu instid0(VALU_DEP_4)
	v_lshlrev_b64 v[48:49], 1, v[0:1]
	v_lshlrev_b64 v[50:51], 1, v[2:3]
	v_mov_b32_e32 v61, 0
	s_mov_b32 s19, 0
	s_branch .LBB44_18
.LBB44_16:                              ;   in Loop: Header=BB44_18 Depth=2
	s_or_b32 exec_lo, exec_lo, s21
.LBB44_17:                              ;   in Loop: Header=BB44_18 Depth=2
	s_delay_alu instid0(SALU_CYCLE_1)
	s_or_b32 exec_lo, exec_lo, s20
	s_waitcnt vmcnt(5) lgkmcnt(1)
	;;#ASMSTART
	v_dot2_f32_f16 v61, v36, v32, v61
	;;#ASMEND
	s_waitcnt vmcnt(4)
	;;#ASMSTART
	v_dot2_f32_f16 v60, v36, v24, v60
	;;#ASMEND
	s_waitcnt vmcnt(3)
	;;#ASMSTART
	v_dot2_f32_f16 v59, v36, v20, v59
	;;#ASMEND
	s_waitcnt lgkmcnt(0)
	;;#ASMSTART
	v_dot2_f32_f16 v58, v28, v32, v58
	;;#ASMEND
	;;#ASMSTART
	v_dot2_f32_f16 v57, v28, v24, v57
	;;#ASMEND
	;; [unrolled: 3-line block ×15, first 2 shown]
	v_add_nc_u32_e32 v62, 0x400, v62
	;;#ASMSTART
	v_dot2_f32_f16 v61, v39, v35, v61
	;;#ASMEND
	;;#ASMSTART
	v_dot2_f32_f16 v60, v39, v27, v60
	;;#ASMEND
	;; [unrolled: 3-line block ×6, first 2 shown]
	s_addk_i32 s19, 0x200
	s_waitcnt vmcnt(2)
	;;#ASMSTART
	v_dot2_f32_f16 v61, v16, v12, v61
	;;#ASMEND
	s_waitcnt vmcnt(1)
	;;#ASMSTART
	v_dot2_f32_f16 v60, v16, v4, v60
	;;#ASMEND
	;; [unrolled: 4-line block ×3, first 2 shown]
	;;#ASMSTART
	v_dot2_f32_f16 v58, v8, v12, v58
	;;#ASMEND
	;;#ASMSTART
	v_dot2_f32_f16 v57, v8, v4, v57
	;;#ASMEND
	;; [unrolled: 3-line block ×9, first 2 shown]
	s_cmp_ge_u32 s19, s4
	;;#ASMSTART
	v_dot2_f32_f16 v61, v18, v14, v61
	;;#ASMEND
	;;#ASMSTART
	v_dot2_f32_f16 v60, v18, v6, v60
	;;#ASMEND
	;; [unrolled: 3-line block ×12, first 2 shown]
	s_cbranch_scc1 .LBB44_21
.LBB44_18:                              ;   Parent Loop BB44_14 Depth=1
                                        ; =>  This Inner Loop Header: Depth=2
	v_dual_mov_b32 v37, 0 :: v_dual_add_nc_u32 v16, s19, v52
	v_dual_mov_b32 v38, 0 :: v_dual_mov_b32 v39, 0
	v_dual_mov_b32 v18, 0 :: v_dual_mov_b32 v19, 0
	s_delay_alu instid0(VALU_DEP_3) | instskip(SKIP_2) | instid1(VALU_DEP_3)
	v_min_u32_e32 v41, s14, v16
	v_dual_mov_b32 v36, 0 :: v_dual_add_nc_u32 v63, 0x100, v16
	v_dual_mov_b32 v28, 0 :: v_dual_mov_b32 v29, 0
	v_lshlrev_b64 v[0:1], 1, v[41:42]
	s_delay_alu instid0(VALU_DEP_3) | instskip(SKIP_2) | instid1(VALU_DEP_4)
	v_min_u32_e32 v41, s14, v63
	v_dual_mov_b32 v30, 0 :: v_dual_mov_b32 v31, 0
	v_mov_b32_e32 v17, 0
	v_add_co_u32 v6, vcc_lo, s12, v0
	v_add_co_ci_u32_e32 v7, vcc_lo, s13, v1, vcc_lo
	v_lshlrev_b64 v[0:1], 1, v[41:42]
	s_delay_alu instid0(VALU_DEP_3) | instskip(NEXT) | instid1(VALU_DEP_3)
	v_add_co_u32 v2, vcc_lo, v6, v46
	v_add_co_ci_u32_e32 v3, vcc_lo, v7, v47, vcc_lo
	v_add_co_u32 v4, vcc_lo, v6, v48
	v_add_co_ci_u32_e32 v5, vcc_lo, v7, v49, vcc_lo
	;; [unrolled: 2-line block ×4, first 2 shown]
	s_delay_alu instid0(VALU_DEP_4) | instskip(NEXT) | instid1(VALU_DEP_4)
	v_add_co_u32 v6, vcc_lo, v10, v46
	v_add_co_ci_u32_e32 v7, vcc_lo, v11, v47, vcc_lo
	v_add_co_u32 v8, vcc_lo, v10, v48
	v_add_co_ci_u32_e32 v9, vcc_lo, v11, v49, vcc_lo
	;; [unrolled: 2-line block ×3, first 2 shown]
	s_clause 0x5
	global_load_b128 v[32:35], v[2:3], off slc dlc
	global_load_b128 v[24:27], v[4:5], off slc dlc
	;; [unrolled: 1-line block ×6, first 2 shown]
	v_cmp_gt_u32_e32 vcc_lo, s4, v16
	v_mov_b32_e32 v16, 0
	v_dual_mov_b32 v8, 0 :: v_dual_mov_b32 v9, 0
	v_dual_mov_b32 v10, 0 :: v_dual_mov_b32 v11, 0
	s_and_saveexec_b32 s20, vcc_lo
	s_cbranch_execz .LBB44_17
; %bb.19:                               ;   in Loop: Header=BB44_18 Depth=2
	v_dual_mov_b32 v10, 0 :: v_dual_add_nc_u32 v41, s6, v62
	v_dual_mov_b32 v11, 0 :: v_dual_mov_b32 v8, 0
	ds_load_b128 v[36:39], v62
	ds_load_b128 v[28:31], v41
	v_dual_mov_b32 v9, 0 :: v_dual_mov_b32 v18, 0
	v_dual_mov_b32 v19, 0 :: v_dual_mov_b32 v16, 0
	v_mov_b32_e32 v17, 0
	s_mov_b32 s21, exec_lo
	v_cmpx_gt_u32_e64 s4, v63
	s_cbranch_execz .LBB44_16
; %bb.20:                               ;   in Loop: Header=BB44_18 Depth=2
	ds_load_b128 v[16:19], v62 offset:512
	ds_load_b128 v[8:11], v41 offset:512
	s_branch .LBB44_16
.LBB44_21:                              ;   in Loop: Header=BB44_14 Depth=1
	; sched_barrier mask(0x00000000)
	v_cvt_i32_f32_e32 v0, v61
	v_cmp_gt_i32_e32 vcc_lo, 32, v56
	v_cvt_i32_f32_e32 v2, v60
	s_waitcnt lgkmcnt(5)
	v_cvt_i32_f32_e32 v3, v59
	v_cvt_i32_f32_e32 v4, v58
	v_cvt_f32_i32_dpp v0, v0 row_shr:8 row_mask:0xf bank_mask:0xf bound_ctrl:1
	v_cvt_i32_f32_e32 v5, v57
	v_cvt_f32_i32_dpp v2, v2 row_shr:8 row_mask:0xf bank_mask:0xf bound_ctrl:1
	s_waitcnt lgkmcnt(0)
	v_cndmask_b32_e32 v1, v54, v56, vcc_lo
	v_cvt_f32_i32_dpp v3, v3 row_shr:8 row_mask:0xf bank_mask:0xf bound_ctrl:1
	v_add_f32_e32 v0, v61, v0
	v_cvt_i32_f32_e32 v6, v44
	s_delay_alu instid0(VALU_DEP_4)
	v_dual_add_f32 v2, v60, v2 :: v_dual_lshlrev_b32 v1, 2, v1
	v_cvt_f32_i32_dpp v4, v4 row_shr:8 row_mask:0xf bank_mask:0xf bound_ctrl:1
	v_cvt_f32_i32_dpp v5, v5 row_shr:8 row_mask:0xf bank_mask:0xf bound_ctrl:1
	v_cvt_i32_f32_e32 v7, v0
	v_add_f32_e32 v3, v59, v3
	v_cvt_f32_i32_dpp v6, v6 row_shr:8 row_mask:0xf bank_mask:0xf bound_ctrl:1
	s_delay_alu instid0(VALU_DEP_4) | instskip(NEXT) | instid1(VALU_DEP_4)
	v_dual_add_f32 v4, v58, v4 :: v_dual_add_f32 v5, v57, v5
	v_cvt_f32_i32_dpp v7, v7 row_shr:4 row_mask:0xf bank_mask:0xf bound_ctrl:1
	v_cvt_i32_f32_e32 v8, v2
	s_delay_alu instid0(VALU_DEP_4) | instskip(SKIP_2) | instid1(VALU_DEP_4)
	v_add_f32_e32 v6, v44, v6
	v_cvt_i32_f32_e32 v9, v3
	v_cvt_i32_f32_e32 v10, v5
	v_cvt_f32_i32_dpp v8, v8 row_shr:4 row_mask:0xf bank_mask:0xf bound_ctrl:1
	s_delay_alu instid0(VALU_DEP_4) | instskip(NEXT) | instid1(VALU_DEP_4)
	v_cvt_i32_f32_e32 v11, v6
	v_cvt_f32_i32_dpp v9, v9 row_shr:4 row_mask:0xf bank_mask:0xf bound_ctrl:1
	v_add_f32_e32 v0, v0, v7
	v_cvt_i32_f32_e32 v7, v4
	v_cvt_f32_i32_dpp v10, v10 row_shr:4 row_mask:0xf bank_mask:0xf bound_ctrl:1
	s_delay_alu instid0(VALU_DEP_4) | instskip(NEXT) | instid1(VALU_DEP_4)
	v_dual_add_f32 v2, v2, v8 :: v_dual_add_f32 v3, v3, v9
	v_cvt_i32_f32_e32 v12, v0
	s_delay_alu instid0(VALU_DEP_4) | instskip(NEXT) | instid1(VALU_DEP_4)
	v_cvt_f32_i32_dpp v7, v7 row_shr:4 row_mask:0xf bank_mask:0xf bound_ctrl:1
	v_add_f32_e32 v5, v5, v10
	v_cvt_f32_i32_dpp v11, v11 row_shr:4 row_mask:0xf bank_mask:0xf bound_ctrl:1
	v_cvt_i32_f32_e32 v8, v3
	v_cvt_f32_i32_dpp v12, v12 row_shr:2 row_mask:0xf bank_mask:0xf bound_ctrl:1
	v_add_f32_e32 v4, v4, v7
	v_cvt_i32_f32_e32 v7, v2
	s_delay_alu instid0(VALU_DEP_4) | instskip(NEXT) | instid1(VALU_DEP_3)
	v_cvt_f32_i32_dpp v8, v8 row_shr:2 row_mask:0xf bank_mask:0xf bound_ctrl:1
	v_cvt_i32_f32_e32 v9, v4
	s_delay_alu instid0(VALU_DEP_3) | instskip(SKIP_1) | instid1(VALU_DEP_3)
	v_cvt_f32_i32_dpp v7, v7 row_shr:2 row_mask:0xf bank_mask:0xf bound_ctrl:1
	v_add_f32_e32 v0, v0, v12
	v_cvt_f32_i32_dpp v9, v9 row_shr:2 row_mask:0xf bank_mask:0xf bound_ctrl:1
	s_delay_alu instid0(VALU_DEP_3) | instskip(NEXT) | instid1(VALU_DEP_3)
	v_add_f32_e32 v7, v2, v7
	v_cvt_i32_f32_e32 v10, v0
	s_delay_alu instid0(VALU_DEP_3) | instskip(NEXT) | instid1(VALU_DEP_2)
	v_add_f32_e32 v4, v4, v9
	v_cvt_f32_i32_dpp v10, v10 row_shr:1 row_mask:0xf bank_mask:0xf bound_ctrl:1
	s_delay_alu instid0(VALU_DEP_1) | instskip(SKIP_1) | instid1(VALU_DEP_4)
	v_add_f32_e32 v2, v0, v10
	v_add_f32_e32 v0, v3, v8
	v_cvt_i32_f32_e32 v10, v4
	s_delay_alu instid0(VALU_DEP_2) | instskip(NEXT) | instid1(VALU_DEP_2)
	v_cvt_i32_f32_e32 v9, v0
	v_cvt_f32_i32_dpp v10, v10 row_shr:1 row_mask:0xf bank_mask:0xf bound_ctrl:1
	s_delay_alu instid0(VALU_DEP_2) | instskip(SKIP_2) | instid1(VALU_DEP_4)
	v_cvt_f32_i32_dpp v9, v9 row_shr:1 row_mask:0xf bank_mask:0xf bound_ctrl:1
	v_add_f32_e32 v6, v6, v11
	v_cvt_i32_f32_e32 v11, v5
	v_add_f32_e32 v4, v4, v10
	s_delay_alu instid0(VALU_DEP_3) | instskip(NEXT) | instid1(VALU_DEP_3)
	v_cvt_i32_f32_e32 v12, v6
	v_cvt_f32_i32_dpp v11, v11 row_shr:2 row_mask:0xf bank_mask:0xf bound_ctrl:1
	s_delay_alu instid0(VALU_DEP_2) | instskip(NEXT) | instid1(VALU_DEP_2)
	v_cvt_f32_i32_dpp v12, v12 row_shr:2 row_mask:0xf bank_mask:0xf bound_ctrl:1
	v_add_f32_e32 v5, v5, v11
	ds_bpermute_b32 v3, v1, v2
	v_add_f32_e32 v8, v6, v12
	v_cvt_i32_f32_e32 v6, v7
	v_cvt_i32_f32_e32 v11, v5
	s_delay_alu instid0(VALU_DEP_3) | instskip(NEXT) | instid1(VALU_DEP_3)
	v_cvt_i32_f32_e32 v12, v8
	v_cvt_f32_i32_dpp v6, v6 row_shr:1 row_mask:0xf bank_mask:0xf bound_ctrl:1
	s_delay_alu instid0(VALU_DEP_3) | instskip(NEXT) | instid1(VALU_DEP_3)
	v_cvt_f32_i32_dpp v11, v11 row_shr:1 row_mask:0xf bank_mask:0xf bound_ctrl:1
	v_cvt_f32_i32_dpp v12, v12 row_shr:1 row_mask:0xf bank_mask:0xf bound_ctrl:1
	s_delay_alu instid0(VALU_DEP_2) | instskip(SKIP_1) | instid1(VALU_DEP_3)
	v_dual_add_f32 v6, v7, v6 :: v_dual_add_f32 v5, v5, v11
	v_add_f32_e32 v7, v0, v9
	v_add_f32_e32 v0, v8, v12
	ds_bpermute_b32 v10, v1, v6
	ds_bpermute_b32 v8, v1, v4
	ds_bpermute_b32 v11, v1, v7
	ds_bpermute_b32 v9, v1, v5
	ds_bpermute_b32 v1, v1, v0
	s_and_saveexec_b32 s19, s0
	s_cbranch_execz .LBB44_13
; %bb.22:                               ;   in Loop: Header=BB44_14 Depth=1
	s_and_b32 vcc_lo, exec_lo, s18
	s_cbranch_vccz .LBB44_24
; %bb.23:                               ;   in Loop: Header=BB44_14 Depth=1
	v_mul_hi_u32 v12, v40, v55
	v_mul_hi_u32 v13, v45, v55
	;; [unrolled: 1-line block ×3, first 2 shown]
	v_mov_b32_e32 v44, v42
	v_mov_b32_e32 v46, v42
	v_mul_lo_u32 v12, v12, s2
	v_mul_lo_u32 v13, v13, s2
	;; [unrolled: 1-line block ×3, first 2 shown]
	s_delay_alu instid0(VALU_DEP_3) | instskip(NEXT) | instid1(VALU_DEP_3)
	v_sub_nc_u32_e32 v12, v40, v12
	v_sub_nc_u32_e32 v13, v45, v13
	s_delay_alu instid0(VALU_DEP_3) | instskip(NEXT) | instid1(VALU_DEP_3)
	v_sub_nc_u32_e32 v14, v43, v14
	v_subrev_nc_u32_e32 v15, s2, v12
	v_cmp_le_u32_e32 vcc_lo, s2, v12
	s_delay_alu instid0(VALU_DEP_4) | instskip(NEXT) | instid1(VALU_DEP_4)
	v_subrev_nc_u32_e32 v16, s2, v13
	v_subrev_nc_u32_e32 v17, s2, v14
	s_delay_alu instid0(VALU_DEP_4) | instskip(SKIP_1) | instid1(VALU_DEP_4)
	v_cndmask_b32_e32 v12, v12, v15, vcc_lo
	v_cmp_le_u32_e32 vcc_lo, s2, v13
	v_dual_mov_b32 v15, v42 :: v_dual_cndmask_b32 v16, v13, v16
	v_cmp_le_u32_e32 vcc_lo, s2, v14
	v_mov_b32_e32 v13, v42
	s_delay_alu instid0(VALU_DEP_3) | instskip(SKIP_3) | instid1(VALU_DEP_2)
	v_subrev_nc_u32_e32 v18, s2, v16
	v_cndmask_b32_e32 v14, v14, v17, vcc_lo
	v_subrev_nc_u32_e32 v17, s2, v12
	v_cmp_le_u32_e32 vcc_lo, s2, v12
	v_cndmask_b32_e32 v41, v12, v17, vcc_lo
	v_cmp_le_u32_e32 vcc_lo, s2, v16
	v_cndmask_b32_e32 v12, v16, v18, vcc_lo
	s_delay_alu instid0(VALU_DEP_3) | instskip(SKIP_1) | instid1(VALU_DEP_1)
	v_lshlrev_b64 v[16:17], 1, v[41:42]
	v_add_nc_u32_e32 v41, s17, v41
	v_lshlrev_b64 v[22:23], 1, v[41:42]
	s_delay_alu instid0(VALU_DEP_4) | instskip(SKIP_2) | instid1(VALU_DEP_2)
	v_add_nc_u32_e32 v41, s17, v12
	v_subrev_nc_u32_e32 v19, s2, v14
	v_cmp_le_u32_e32 vcc_lo, s2, v14
	v_cndmask_b32_e32 v14, v14, v19, vcc_lo
	v_lshlrev_b64 v[18:19], 1, v[12:13]
	v_add_co_u32 v12, vcc_lo, s8, v16
	v_add_co_ci_u32_e32 v13, vcc_lo, s9, v17, vcc_lo
	s_delay_alu instid0(VALU_DEP_4) | instskip(NEXT) | instid1(VALU_DEP_4)
	v_lshlrev_b64 v[20:21], 1, v[14:15]
	v_add_co_u32 v15, vcc_lo, s8, v18
	v_add_co_ci_u32_e32 v16, vcc_lo, s9, v19, vcc_lo
	s_delay_alu instid0(VALU_DEP_3) | instskip(NEXT) | instid1(VALU_DEP_4)
	v_add_co_u32 v18, vcc_lo, s8, v20
	v_add_co_ci_u32_e32 v19, vcc_lo, s9, v21, vcc_lo
	v_lshlrev_b64 v[20:21], 1, v[41:42]
	v_add_nc_u32_e32 v41, s17, v14
	v_add_co_u32 v22, vcc_lo, s8, v22
	v_add_co_ci_u32_e32 v23, vcc_lo, s9, v23, vcc_lo
	s_delay_alu instid0(VALU_DEP_3) | instskip(SKIP_3) | instid1(VALU_DEP_4)
	v_lshlrev_b64 v[24:25], 1, v[41:42]
	v_add_co_u32 v20, vcc_lo, s8, v20
	v_add_co_ci_u32_e32 v21, vcc_lo, s9, v21, vcc_lo
	v_mov_b32_e32 v41, v42
	v_add_co_u32 v24, vcc_lo, s8, v24
	v_add_co_ci_u32_e32 v25, vcc_lo, s9, v25, vcc_lo
	s_clause 0x5
	global_load_u16 v17, v[12:13], off
	global_load_u16 v16, v[15:16], off
	;; [unrolled: 1-line block ×6, first 2 shown]
	s_cbranch_execnz .LBB44_12
	s_branch .LBB44_25
.LBB44_24:                              ;   in Loop: Header=BB44_14 Depth=1
                                        ; implicit-def: $vgpr12
                                        ; implicit-def: $vgpr13
                                        ; implicit-def: $vgpr14
                                        ; implicit-def: $vgpr15
                                        ; implicit-def: $vgpr16
                                        ; implicit-def: $vgpr17
.LBB44_25:                              ;   in Loop: Header=BB44_14 Depth=1
	s_waitcnt vmcnt(4)
	v_dual_mov_b32 v41, v42 :: v_dual_mov_b32 v16, 0
	v_dual_mov_b32 v46, v42 :: v_dual_mov_b32 v17, 0
	s_waitcnt vmcnt(3)
	v_dual_mov_b32 v44, v42 :: v_dual_mov_b32 v15, 0
	s_waitcnt vmcnt(1)
	;; [unrolled: 2-line block ×3, first 2 shown]
	v_mov_b32_e32 v12, 0
	s_branch .LBB44_12
.LBB44_26:
	s_nop 0
	s_sendmsg sendmsg(MSG_DEALLOC_VGPRS)
	s_endpgm
	.section	.rodata,"a",@progbits
	.p2align	6, 0x0
	.amdhsa_kernel _Z16wvSplitK_hf_sml_I6__halfLi32ELi3ELi16ELi8ELi2ELi2EEviiiiiiPKT_S3_S3_PS1_ii
		.amdhsa_group_segment_fixed_size 65536
		.amdhsa_private_segment_fixed_size 0
		.amdhsa_kernarg_size 64
		.amdhsa_user_sgpr_count 15
		.amdhsa_user_sgpr_dispatch_ptr 0
		.amdhsa_user_sgpr_queue_ptr 0
		.amdhsa_user_sgpr_kernarg_segment_ptr 1
		.amdhsa_user_sgpr_dispatch_id 0
		.amdhsa_user_sgpr_private_segment_size 0
		.amdhsa_wavefront_size32 1
		.amdhsa_uses_dynamic_stack 0
		.amdhsa_enable_private_segment 0
		.amdhsa_system_sgpr_workgroup_id_x 1
		.amdhsa_system_sgpr_workgroup_id_y 0
		.amdhsa_system_sgpr_workgroup_id_z 0
		.amdhsa_system_sgpr_workgroup_info 0
		.amdhsa_system_vgpr_workitem_id 1
		.amdhsa_next_free_vgpr 64
		.amdhsa_next_free_sgpr 22
		.amdhsa_reserve_vcc 1
		.amdhsa_float_round_mode_32 0
		.amdhsa_float_round_mode_16_64 0
		.amdhsa_float_denorm_mode_32 3
		.amdhsa_float_denorm_mode_16_64 3
		.amdhsa_dx10_clamp 1
		.amdhsa_ieee_mode 1
		.amdhsa_fp16_overflow 0
		.amdhsa_workgroup_processor_mode 1
		.amdhsa_memory_ordered 1
		.amdhsa_forward_progress 0
		.amdhsa_shared_vgpr_count 0
		.amdhsa_exception_fp_ieee_invalid_op 0
		.amdhsa_exception_fp_denorm_src 0
		.amdhsa_exception_fp_ieee_div_zero 0
		.amdhsa_exception_fp_ieee_overflow 0
		.amdhsa_exception_fp_ieee_underflow 0
		.amdhsa_exception_fp_ieee_inexact 0
		.amdhsa_exception_int_div_zero 0
	.end_amdhsa_kernel
	.section	.text._Z16wvSplitK_hf_sml_I6__halfLi32ELi3ELi16ELi8ELi2ELi2EEviiiiiiPKT_S3_S3_PS1_ii,"axG",@progbits,_Z16wvSplitK_hf_sml_I6__halfLi32ELi3ELi16ELi8ELi2ELi2EEviiiiiiPKT_S3_S3_PS1_ii,comdat
.Lfunc_end44:
	.size	_Z16wvSplitK_hf_sml_I6__halfLi32ELi3ELi16ELi8ELi2ELi2EEviiiiiiPKT_S3_S3_PS1_ii, .Lfunc_end44-_Z16wvSplitK_hf_sml_I6__halfLi32ELi3ELi16ELi8ELi2ELi2EEviiiiiiPKT_S3_S3_PS1_ii
                                        ; -- End function
	.section	.AMDGPU.csdata,"",@progbits
; Kernel info:
; codeLenInByte = 3752
; NumSgprs: 24
; NumVgprs: 64
; ScratchSize: 0
; MemoryBound: 0
; FloatMode: 240
; IeeeMode: 1
; LDSByteSize: 65536 bytes/workgroup (compile time only)
; SGPRBlocks: 2
; VGPRBlocks: 7
; NumSGPRsForWavesPerEU: 24
; NumVGPRsForWavesPerEU: 64
; Occupancy: 8
; WaveLimiterHint : 0
; COMPUTE_PGM_RSRC2:SCRATCH_EN: 0
; COMPUTE_PGM_RSRC2:USER_SGPR: 15
; COMPUTE_PGM_RSRC2:TRAP_HANDLER: 0
; COMPUTE_PGM_RSRC2:TGID_X_EN: 1
; COMPUTE_PGM_RSRC2:TGID_Y_EN: 0
; COMPUTE_PGM_RSRC2:TGID_Z_EN: 0
; COMPUTE_PGM_RSRC2:TIDIG_COMP_CNT: 1
	.section	.text._Z12wvSplitK_hf_I6__halfLi32ELi3ELi16ELi8ELi2ELi2EEviiiiiiPKT_S3_S3_PS1_ii,"axG",@progbits,_Z12wvSplitK_hf_I6__halfLi32ELi3ELi16ELi8ELi2ELi2EEviiiiiiPKT_S3_S3_PS1_ii,comdat
	.protected	_Z12wvSplitK_hf_I6__halfLi32ELi3ELi16ELi8ELi2ELi2EEviiiiiiPKT_S3_S3_PS1_ii ; -- Begin function _Z12wvSplitK_hf_I6__halfLi32ELi3ELi16ELi8ELi2ELi2EEviiiiiiPKT_S3_S3_PS1_ii
	.globl	_Z12wvSplitK_hf_I6__halfLi32ELi3ELi16ELi8ELi2ELi2EEviiiiiiPKT_S3_S3_PS1_ii
	.p2align	8
	.type	_Z12wvSplitK_hf_I6__halfLi32ELi3ELi16ELi8ELi2ELi2EEviiiiiiPKT_S3_S3_PS1_ii,@function
_Z12wvSplitK_hf_I6__halfLi32ELi3ELi16ELi8ELi2ELi2EEviiiiiiPKT_S3_S3_PS1_ii: ; @_Z12wvSplitK_hf_I6__halfLi32ELi3ELi16ELi8ELi2ELi2EEviiiiiiPKT_S3_S3_PS1_ii
; %bb.0:
	s_clause 0x1
	s_load_b64 s[18:19], s[0:1], 0x38
	s_load_b128 s[4:7], s[0:1], 0x0
	v_bfe_u32 v1, v0, 10, 10
	s_mov_b32 s8, 1
	s_delay_alu instid0(SALU_CYCLE_1) | instskip(SKIP_1) | instid1(SALU_CYCLE_1)
	s_mov_b32 s9, s8
	s_mov_b32 s10, s8
	v_mov_b32_e32 v42, s10
	v_dual_mov_b32 v40, s8 :: v_dual_mov_b32 v41, s9
	s_waitcnt lgkmcnt(0)
	v_mad_u64_u32 v[2:3], null, s15, s18, v[1:2]
	s_clause 0x1
	s_load_b64 s[12:13], s[0:1], 0x20
	s_load_b64 s[14:15], s[0:1], 0x10
	s_delay_alu instid0(VALU_DEP_1) | instskip(NEXT) | instid1(VALU_DEP_1)
	v_lshl_add_u32 v43, v2, 1, v2
	v_add_nc_u32_e32 v2, 3, v43
	v_cmp_gt_u32_e32 vcc_lo, s7, v43
	s_delay_alu instid0(VALU_DEP_2) | instskip(NEXT) | instid1(VALU_DEP_1)
	v_cmp_le_u32_e64 s2, s7, v2
	s_and_b32 s2, vcc_lo, s2
	s_delay_alu instid0(SALU_CYCLE_1)
	s_and_saveexec_b32 s11, s2
	s_cbranch_execz .LBB45_6
; %bb.1:
	v_dual_mov_b32 v42, s10 :: v_dual_mov_b32 v41, s9
	v_mov_b32_e32 v40, s8
	s_add_i32 s16, s7, -3
	s_mov_b32 s17, exec_lo
	v_cmpx_ne_u32_e64 s16, v43
	s_cbranch_execz .LBB45_5
; %bb.2:
	v_subrev_nc_u32_e32 v2, s16, v43
	s_mov_b32 s20, 0
	s_mov_b64 s[2:3], 0
	s_mov_b32 s9, s8
	s_mov_b32 s10, s8
	v_cmp_lt_u32_e32 vcc_lo, 1, v2
	v_cndmask_b32_e32 v2, 1, v2, vcc_lo
.LBB45_3:                               ; =>This Inner Loop Header: Depth=1
	s_cmp_lg_u32 s2, 2
	s_cselect_b32 s10, s10, 0
	s_cmp_lg_u32 s2, 1
	s_cselect_b32 s9, s9, 0
	;; [unrolled: 2-line block ×3, first 2 shown]
	s_add_u32 s2, s2, 1
	v_dual_mov_b32 v42, s10 :: v_dual_mov_b32 v41, s9
	v_cmp_eq_u32_e32 vcc_lo, s2, v2
	v_mov_b32_e32 v40, s8
	s_addc_u32 s3, s3, 0
	s_or_b32 s20, vcc_lo, s20
	s_delay_alu instid0(SALU_CYCLE_1)
	s_and_not1_b32 exec_lo, exec_lo, s20
	s_cbranch_execnz .LBB45_3
; %bb.4:
	s_or_b32 exec_lo, exec_lo, s20
	v_mov_b32_e32 v43, s16
.LBB45_5:
	s_or_b32 exec_lo, exec_lo, s17
.LBB45_6:
	s_delay_alu instid0(SALU_CYCLE_1) | instskip(SKIP_2) | instid1(SALU_CYCLE_1)
	s_or_b32 exec_lo, exec_lo, s11
	v_and_b32_e32 v0, 0x3ff, v0
	s_lshl_b32 s2, s6, 1
	s_min_u32 s3, s2, 0x8000
	s_mov_b32 s2, exec_lo
	s_delay_alu instid0(VALU_DEP_1) | instskip(NEXT) | instid1(VALU_DEP_1)
	v_lshlrev_b32_e32 v57, 3, v0
	v_lshl_add_u32 v3, v1, 8, v57
	s_delay_alu instid0(VALU_DEP_1)
	v_cmpx_gt_u32_e64 s3, v3
	s_cbranch_execz .LBB45_15
; %bb.7:
	v_lshlrev_b32_e32 v2, 1, v3
	v_add_nc_u32_e32 v8, 0x1000, v3
	s_mov_b32 s8, exec_lo
	s_waitcnt lgkmcnt(0)
	global_load_b128 v[4:7], v2, s[12:13]
	s_waitcnt vmcnt(0)
	ds_store_b128 v2, v[4:7]
	v_cmpx_gt_u32_e64 s3, v8
	s_xor_b32 s8, exec_lo, s8
	s_cbranch_execz .LBB45_15
; %bb.8:
	v_add_co_u32 v4, s8, s12, v2
	s_delay_alu instid0(VALU_DEP_1) | instskip(SKIP_1) | instid1(VALU_DEP_3)
	v_add_co_ci_u32_e64 v5, null, s13, 0, s8
	v_add_nc_u32_e32 v10, 0x2000, v3
	v_add_co_u32 v6, vcc_lo, 0x2000, v4
	s_delay_alu instid0(VALU_DEP_3)
	v_add_co_ci_u32_e32 v7, vcc_lo, 0, v5, vcc_lo
	s_mov_b32 s8, exec_lo
	global_load_b128 v[6:9], v[6:7], off
	s_waitcnt vmcnt(0)
	ds_store_b128 v2, v[6:9] offset:8192
	v_cmpx_gt_u32_e64 s3, v10
	s_xor_b32 s8, exec_lo, s8
	s_cbranch_execz .LBB45_15
; %bb.9:
	v_add_co_u32 v6, vcc_lo, 0x4000, v4
	v_add_co_ci_u32_e32 v7, vcc_lo, 0, v5, vcc_lo
	v_add_nc_u32_e32 v10, 0x3000, v3
	s_mov_b32 s8, exec_lo
	global_load_b128 v[6:9], v[6:7], off
	s_waitcnt vmcnt(0)
	ds_store_b128 v2, v[6:9] offset:16384
	v_cmpx_gt_u32_e64 s3, v10
	s_xor_b32 s8, exec_lo, s8
	s_cbranch_execz .LBB45_15
; %bb.10:
	v_add_co_u32 v6, vcc_lo, 0x6000, v4
	v_add_co_ci_u32_e32 v7, vcc_lo, 0, v5, vcc_lo
	v_add_nc_u32_e32 v10, 0x4000, v3
	;; [unrolled: 11-line block ×5, first 2 shown]
	global_load_b128 v[6:9], v[6:7], off
	v_cmp_gt_u32_e32 vcc_lo, s3, v3
	s_waitcnt vmcnt(0)
	ds_store_b128 v2, v[6:9] offset:49152
	s_and_saveexec_b32 s3, vcc_lo
	s_delay_alu instid0(SALU_CYCLE_1)
	s_xor_b32 s3, exec_lo, s3
	s_cbranch_execz .LBB45_15
; %bb.14:
	v_add_co_u32 v3, vcc_lo, 0xe000, v4
	v_add_co_ci_u32_e32 v4, vcc_lo, 0, v5, vcc_lo
	global_load_b128 v[3:6], v[3:4], off
	s_waitcnt vmcnt(0)
	ds_store_b128 v2, v[3:6] offset:57344
.LBB45_15:
	s_or_b32 exec_lo, exec_lo, s2
	v_cmp_gt_u32_e32 vcc_lo, s18, v1
	v_cmp_gt_u32_e64 s2, s7, v43
	s_waitcnt lgkmcnt(0)
	s_barrier
	buffer_gl0_inv
	s_and_b32 s2, vcc_lo, s2
	s_delay_alu instid0(SALU_CYCLE_1)
	s_and_saveexec_b32 s3, s2
	s_cbranch_execz .LBB45_62
; %bb.16:
	v_cvt_f32_u32_e32 v1, s14
	s_clause 0x1
	s_load_b128 s[8:11], s[0:1], 0x28
	s_load_b64 s[16:17], s[0:1], 0x18
	s_cmp_lg_u32 s4, 0
	v_mbcnt_lo_u32_b32 v59, -1, 0
	v_rcp_iflag_f32_e32 v1, v1
	s_cselect_b32 s20, -1, 0
	s_add_i32 s21, s4, -8
	s_add_i32 s22, s7, -1
	s_mul_i32 s1, s18, s19
	s_mov_b32 s24, 0
	s_waitcnt_depctr 0xfff
	v_mul_f32_e32 v1, 0x4f7ffffe, v1
	s_delay_alu instid0(VALU_DEP_1)
	v_cvt_u32_f32_e32 v1, v1
	s_waitcnt lgkmcnt(0)
	s_cmp_lg_u64 s[8:9], 0
	s_cselect_b32 s23, -1, 0
	s_sub_i32 s0, 0, s14
	s_abs_i32 s2, s15
	v_mul_lo_u32 v2, s0, v1
	v_cmp_eq_u32_e64 s0, 31, v0
	s_add_i32 s25, s7, -3
	s_sub_i32 s3, 1, s2
	s_cmp_lt_u32 s2, 2
	s_cselect_b32 s3, s3, 1
	s_delay_alu instid0(VALU_DEP_2)
	v_mul_hi_u32 v0, v1, v2
	s_sub_i32 s15, s3, s2
	s_cmp_ge_u32 s3, s2
	v_mov_b32_e32 v45, 0
	s_cselect_b32 s26, s15, s3
	s_mul_i32 s15, s1, 3
	s_mul_i32 s26, s26, s14
	s_delay_alu instid0(VALU_DEP_2)
	v_add_nc_u32_e32 v58, v1, v0
	s_branch .LBB45_19
.LBB45_17:                              ;   in Loop: Header=BB45_19 Depth=1
	s_or_b32 exec_lo, exec_lo, s28
	v_mov_b32_e32 v43, s25
.LBB45_18:                              ;   in Loop: Header=BB45_19 Depth=1
	s_or_b32 exec_lo, exec_lo, s27
	s_delay_alu instid0(VALU_DEP_1) | instskip(SKIP_1) | instid1(SALU_CYCLE_1)
	v_cmp_le_u32_e32 vcc_lo, s7, v43
	s_or_b32 s24, vcc_lo, s24
	s_and_not1_b32 exec_lo, exec_lo, s24
	s_cbranch_execz .LBB45_62
.LBB45_19:                              ; =>This Loop Header: Depth=1
                                        ;     Child Loop BB45_24 Depth 2
                                        ;     Child Loop BB45_55 Depth 2
	v_dual_mov_b32 v64, v45 :: v_dual_add_nc_u32 v47, 1, v43
	v_dual_mov_b32 v65, v45 :: v_dual_add_nc_u32 v46, 2, v43
	v_mov_b32_e32 v63, v45
	v_mov_b32_e32 v62, v45
	;; [unrolled: 1-line block ×4, first 2 shown]
	s_and_not1_b32 vcc_lo, exec_lo, s20
	s_cbranch_vccnz .LBB45_42
; %bb.20:                               ;   in Loop: Header=BB45_19 Depth=1
	v_min_u32_e32 v0, s22, v43
	s_waitcnt lgkmcnt(0)
	v_min_u32_e32 v1, s22, v47
	v_min_u32_e32 v2, s22, v46
	v_dual_mov_b32 v3, v45 :: v_dual_mov_b32 v62, 0
	v_mul_lo_u32 v44, v0, s5
	s_delay_alu instid0(VALU_DEP_4) | instskip(NEXT) | instid1(VALU_DEP_4)
	v_mul_lo_u32 v0, v1, s5
	v_mul_lo_u32 v2, v2, s5
	v_dual_mov_b32 v1, v45 :: v_dual_mov_b32 v60, 0
	v_dual_mov_b32 v61, 0 :: v_dual_mov_b32 v64, 0
	v_mov_b32_e32 v63, 0
	v_lshlrev_b64 v[48:49], 1, v[44:45]
	s_delay_alu instid0(VALU_DEP_4)
	v_lshlrev_b64 v[50:51], 1, v[0:1]
	v_lshlrev_b64 v[52:53], 1, v[2:3]
	v_mov_b32_e32 v65, 0
	s_mov_b32 s1, 0
	s_branch .LBB45_24
.LBB45_21:                              ;   in Loop: Header=BB45_24 Depth=2
	s_or_b32 exec_lo, exec_lo, s18
.LBB45_22:                              ;   in Loop: Header=BB45_24 Depth=2
	s_delay_alu instid0(SALU_CYCLE_1)
	s_or_b32 exec_lo, exec_lo, s3
.LBB45_23:                              ;   in Loop: Header=BB45_24 Depth=2
	s_delay_alu instid0(SALU_CYCLE_1)
	s_or_b32 exec_lo, exec_lo, s2
	s_waitcnt vmcnt(0) lgkmcnt(0)
	;;#ASMSTART
	v_dot2_f32_f16 v65, v28, v20, v65
	;;#ASMEND
	;;#ASMSTART
	v_dot2_f32_f16 v64, v28, v16, v64
	;;#ASMEND
	;; [unrolled: 3-line block ×24, first 2 shown]
	s_addk_i32 s1, 0x200
	;;#ASMSTART
	v_dot2_f32_f16 v65, v36, v8, v65
	;;#ASMEND
	;;#ASMSTART
	v_dot2_f32_f16 v64, v36, v4, v64
	;;#ASMEND
	;; [unrolled: 3-line block ×12, first 2 shown]
	s_cmp_ge_u32 s1, s4
	;;#ASMSTART
	v_dot2_f32_f16 v65, v38, v10, v65
	;;#ASMEND
	;;#ASMSTART
	v_dot2_f32_f16 v64, v38, v6, v64
	;;#ASMEND
	;; [unrolled: 3-line block ×12, first 2 shown]
	s_cbranch_scc1 .LBB45_42
.LBB45_24:                              ;   Parent Loop BB45_19 Depth=1
                                        ; =>  This Inner Loop Header: Depth=2
	v_dual_mov_b32 v34, 0 :: v_dual_add_nc_u32 v55, s1, v57
	v_dual_mov_b32 v33, 0 :: v_dual_mov_b32 v32, 0
	v_dual_mov_b32 v39, 0 :: v_dual_mov_b32 v38, 0
	s_delay_alu instid0(VALU_DEP_3) | instskip(SKIP_2) | instid1(VALU_DEP_3)
	v_min_u32_e32 v44, s21, v55
	v_dual_mov_b32 v35, 0 :: v_dual_add_nc_u32 v54, 0x100, v55
	v_dual_mov_b32 v37, 0 :: v_dual_mov_b32 v36, 0
	v_lshlrev_b64 v[0:1], 1, v[44:45]
	s_delay_alu instid0(VALU_DEP_3) | instskip(SKIP_2) | instid1(VALU_DEP_4)
	v_min_u32_e32 v44, s21, v54
	v_dual_mov_b32 v31, 0 :: v_dual_mov_b32 v30, 0
	v_dual_mov_b32 v29, 0 :: v_dual_mov_b32 v28, 0
	v_add_co_u32 v6, vcc_lo, s16, v0
	v_add_co_ci_u32_e32 v7, vcc_lo, s17, v1, vcc_lo
	v_lshlrev_b64 v[0:1], 1, v[44:45]
	s_delay_alu instid0(VALU_DEP_3) | instskip(NEXT) | instid1(VALU_DEP_3)
	v_add_co_u32 v2, vcc_lo, v6, v48
	v_add_co_ci_u32_e32 v3, vcc_lo, v7, v49, vcc_lo
	v_add_co_u32 v4, vcc_lo, v6, v50
	v_add_co_ci_u32_e32 v5, vcc_lo, v7, v51, vcc_lo
	;; [unrolled: 2-line block ×4, first 2 shown]
	s_delay_alu instid0(VALU_DEP_4) | instskip(NEXT) | instid1(VALU_DEP_4)
	v_add_co_u32 v6, vcc_lo, v8, v48
	v_add_co_ci_u32_e32 v7, vcc_lo, v9, v49, vcc_lo
	v_add_co_u32 v24, vcc_lo, v8, v50
	v_add_co_ci_u32_e32 v25, vcc_lo, v9, v51, vcc_lo
	;; [unrolled: 2-line block ×3, first 2 shown]
	s_clause 0x5
	global_load_b128 v[20:23], v[2:3], off slc dlc
	global_load_b128 v[16:19], v[4:5], off slc dlc
	;; [unrolled: 1-line block ×6, first 2 shown]
	v_dual_mov_b32 v27, 0 :: v_dual_mov_b32 v26, 0
	v_dual_mov_b32 v25, 0 :: v_dual_mov_b32 v24, 0
	s_mov_b32 s2, exec_lo
	v_cmpx_gt_u32_e64 s4, v55
	s_cbranch_execz .LBB45_23
; %bb.25:                               ;   in Loop: Header=BB45_24 Depth=2
	s_mov_b32 s3, exec_lo
                                        ; implicit-def: $vgpr31
	v_cmpx_lt_u32_e32 0x7fff, v55
	s_xor_b32 s3, exec_lo, s3
	s_cbranch_execz .LBB45_27
; %bb.26:                               ;   in Loop: Header=BB45_24 Depth=2
	v_mov_b32_e32 v56, v45
	s_delay_alu instid0(VALU_DEP_1) | instskip(NEXT) | instid1(VALU_DEP_1)
	v_lshlrev_b64 v[24:25], 1, v[55:56]
	v_add_co_u32 v24, vcc_lo, s12, v24
	s_delay_alu instid0(VALU_DEP_2)
	v_add_co_ci_u32_e32 v25, vcc_lo, s13, v25, vcc_lo
	global_load_b128 v[28:31], v[24:25], off
.LBB45_27:                              ;   in Loop: Header=BB45_24 Depth=2
	s_and_not1_saveexec_b32 s3, s3
	s_cbranch_execz .LBB45_29
; %bb.28:                               ;   in Loop: Header=BB45_24 Depth=2
	v_lshlrev_b32_e32 v24, 1, v55
	s_waitcnt vmcnt(0)
	ds_load_b128 v[28:31], v24
.LBB45_29:                              ;   in Loop: Header=BB45_24 Depth=2
	s_or_b32 exec_lo, exec_lo, s3
	v_add_nc_u32_e32 v44, s6, v55
	s_mov_b32 s3, exec_lo
                                        ; implicit-def: $vgpr27
	s_delay_alu instid0(VALU_DEP_1)
	v_cmpx_lt_u32_e32 0x7fff, v44
	s_xor_b32 s3, exec_lo, s3
	s_cbranch_execz .LBB45_31
; %bb.30:                               ;   in Loop: Header=BB45_24 Depth=2
	v_lshlrev_b64 v[24:25], 1, v[44:45]
	s_delay_alu instid0(VALU_DEP_1) | instskip(NEXT) | instid1(VALU_DEP_2)
	v_add_co_u32 v24, vcc_lo, s12, v24
	v_add_co_ci_u32_e32 v25, vcc_lo, s13, v25, vcc_lo
	global_load_b128 v[24:27], v[24:25], off
.LBB45_31:                              ;   in Loop: Header=BB45_24 Depth=2
	s_and_not1_saveexec_b32 s3, s3
	s_cbranch_execz .LBB45_33
; %bb.32:                               ;   in Loop: Header=BB45_24 Depth=2
	s_waitcnt vmcnt(0)
	v_lshlrev_b32_e32 v24, 1, v44
	ds_load_b128 v[24:27], v24
.LBB45_33:                              ;   in Loop: Header=BB45_24 Depth=2
	s_or_b32 exec_lo, exec_lo, s3
	v_dual_mov_b32 v35, 0 :: v_dual_mov_b32 v34, 0
	v_dual_mov_b32 v33, 0 :: v_dual_mov_b32 v32, 0
	;; [unrolled: 1-line block ×4, first 2 shown]
	s_mov_b32 s3, exec_lo
	v_cmpx_gt_u32_e64 s4, v54
	s_cbranch_execz .LBB45_22
; %bb.34:                               ;   in Loop: Header=BB45_24 Depth=2
	s_mov_b32 s18, exec_lo
                                        ; implicit-def: $vgpr39
	v_cmpx_lt_u32_e32 0x7fff, v54
	s_xor_b32 s18, exec_lo, s18
	s_cbranch_execz .LBB45_36
; %bb.35:                               ;   in Loop: Header=BB45_24 Depth=2
	v_mov_b32_e32 v55, v45
	s_delay_alu instid0(VALU_DEP_1) | instskip(NEXT) | instid1(VALU_DEP_1)
	v_lshlrev_b64 v[32:33], 1, v[54:55]
                                        ; implicit-def: $vgpr55
	v_add_co_u32 v32, vcc_lo, s12, v32
	s_delay_alu instid0(VALU_DEP_2)
	v_add_co_ci_u32_e32 v33, vcc_lo, s13, v33, vcc_lo
	global_load_b128 v[36:39], v[32:33], off
.LBB45_36:                              ;   in Loop: Header=BB45_24 Depth=2
	s_and_not1_saveexec_b32 s18, s18
	s_cbranch_execz .LBB45_38
; %bb.37:                               ;   in Loop: Header=BB45_24 Depth=2
	v_lshlrev_b32_e32 v32, 1, v55
	s_waitcnt vmcnt(0)
	ds_load_b128 v[36:39], v32 offset:512
.LBB45_38:                              ;   in Loop: Header=BB45_24 Depth=2
	s_or_b32 exec_lo, exec_lo, s18
	v_add_nc_u32_e32 v32, s6, v54
	s_mov_b32 s18, exec_lo
                                        ; implicit-def: $vgpr35
	s_delay_alu instid0(VALU_DEP_1)
	v_cmpx_lt_u32_e32 0x7fff, v32
	s_xor_b32 s18, exec_lo, s18
	s_cbranch_execz .LBB45_40
; %bb.39:                               ;   in Loop: Header=BB45_24 Depth=2
	v_mov_b32_e32 v33, v45
	s_delay_alu instid0(VALU_DEP_1) | instskip(NEXT) | instid1(VALU_DEP_1)
	v_lshlrev_b64 v[32:33], 1, v[32:33]
	v_add_co_u32 v32, vcc_lo, s12, v32
	s_delay_alu instid0(VALU_DEP_2)
	v_add_co_ci_u32_e32 v33, vcc_lo, s13, v33, vcc_lo
	global_load_b128 v[32:35], v[32:33], off
.LBB45_40:                              ;   in Loop: Header=BB45_24 Depth=2
	s_and_not1_saveexec_b32 s18, s18
	s_cbranch_execz .LBB45_21
; %bb.41:                               ;   in Loop: Header=BB45_24 Depth=2
	s_waitcnt vmcnt(0)
	v_lshlrev_b32_e32 v32, 1, v44
	ds_load_b128 v[32:35], v32 offset:512
	s_branch .LBB45_21
.LBB45_42:                              ;   in Loop: Header=BB45_19 Depth=1
	v_cvt_i32_f32_e32 v0, v65
	s_waitcnt lgkmcnt(0)
	v_xor_b32_e32 v1, 16, v59
	v_cvt_i32_f32_e32 v5, v61
	v_cvt_i32_f32_e32 v6, v60
	;; [unrolled: 1-line block ×3, first 2 shown]
	v_cvt_f32_i32_dpp v0, v0 row_shr:8 row_mask:0xf bank_mask:0xf bound_ctrl:1
	v_cmp_gt_i32_e32 vcc_lo, 32, v1
	v_cvt_f32_i32_dpp v5, v5 row_shr:8 row_mask:0xf bank_mask:0xf bound_ctrl:1
	v_cvt_i32_f32_e32 v3, v63
	v_cvt_i32_f32_e32 v4, v62
	v_dual_add_f32 v0, v65, v0 :: v_dual_cndmask_b32 v1, v59, v1
	v_cvt_f32_i32_dpp v6, v6 row_shr:8 row_mask:0xf bank_mask:0xf bound_ctrl:1
	v_add_f32_e32 v5, v61, v5
	v_cvt_f32_i32_dpp v2, v2 row_shr:8 row_mask:0xf bank_mask:0xf bound_ctrl:1
	s_delay_alu instid0(VALU_DEP_4)
	v_cvt_i32_f32_e32 v7, v0
	v_cvt_f32_i32_dpp v3, v3 row_shr:8 row_mask:0xf bank_mask:0xf bound_ctrl:1
	v_add_f32_e32 v6, v60, v6
	v_cvt_f32_i32_dpp v4, v4 row_shr:8 row_mask:0xf bank_mask:0xf bound_ctrl:1
	v_cvt_i32_f32_e32 v10, v5
	v_cvt_f32_i32_dpp v7, v7 row_shr:4 row_mask:0xf bank_mask:0xf bound_ctrl:1
	v_dual_add_f32 v2, v64, v2 :: v_dual_lshlrev_b32 v1, 2, v1
	s_delay_alu instid0(VALU_DEP_4)
	v_dual_add_f32 v3, v63, v3 :: v_dual_add_f32 v4, v62, v4
	v_cvt_i32_f32_e32 v11, v6
	v_cvt_f32_i32_dpp v10, v10 row_shr:4 row_mask:0xf bank_mask:0xf bound_ctrl:1
	v_add_f32_e32 v0, v0, v7
	v_cvt_i32_f32_e32 v8, v2
	v_cvt_i32_f32_e32 v7, v3
	;; [unrolled: 1-line block ×3, first 2 shown]
	v_add_f32_e32 v5, v5, v10
	s_waitcnt vmcnt(0)
	v_cvt_i32_f32_e32 v12, v0
	v_cvt_f32_i32_dpp v11, v11 row_shr:4 row_mask:0xf bank_mask:0xf bound_ctrl:1
	v_cvt_f32_i32_dpp v8, v8 row_shr:4 row_mask:0xf bank_mask:0xf bound_ctrl:1
	;; [unrolled: 1-line block ×5, first 2 shown]
	v_add_f32_e32 v6, v6, v11
	v_cvt_i32_f32_e32 v11, v5
	v_dual_add_f32 v2, v2, v8 :: v_dual_add_f32 v3, v3, v7
	s_delay_alu instid0(VALU_DEP_4) | instskip(NEXT) | instid1(VALU_DEP_3)
	v_add_f32_e32 v0, v0, v12
	v_cvt_f32_i32_dpp v11, v11 row_shr:2 row_mask:0xf bank_mask:0xf bound_ctrl:1
	v_add_f32_e32 v4, v4, v9
	s_delay_alu instid0(VALU_DEP_4)
	v_cvt_i32_f32_e32 v7, v2
	v_cvt_i32_f32_e32 v8, v3
	;; [unrolled: 1-line block ×3, first 2 shown]
	v_add_f32_e32 v5, v5, v11
	v_cvt_i32_f32_e32 v10, v4
	v_cvt_f32_i32_dpp v7, v7 row_shr:2 row_mask:0xf bank_mask:0xf bound_ctrl:1
	v_cvt_f32_i32_dpp v8, v8 row_shr:2 row_mask:0xf bank_mask:0xf bound_ctrl:1
	;; [unrolled: 1-line block ×3, first 2 shown]
	s_delay_alu instid0(VALU_DEP_4) | instskip(NEXT) | instid1(VALU_DEP_2)
	v_cvt_f32_i32_dpp v13, v10 row_shr:2 row_mask:0xf bank_mask:0xf bound_ctrl:1
	v_add_f32_e32 v10, v0, v9
	v_add_f32_e32 v0, v2, v7
	s_delay_alu instid0(VALU_DEP_3) | instskip(SKIP_2) | instid1(VALU_DEP_4)
	v_dual_add_f32 v2, v3, v8 :: v_dual_add_f32 v3, v4, v13
	v_cvt_i32_f32_e32 v12, v6
	v_cvt_i32_f32_e32 v9, v5
	;; [unrolled: 1-line block ×3, first 2 shown]
	s_delay_alu instid0(VALU_DEP_4) | instskip(NEXT) | instid1(VALU_DEP_4)
	v_cvt_i32_f32_e32 v8, v3
	v_cvt_f32_i32_dpp v12, v12 row_shr:2 row_mask:0xf bank_mask:0xf bound_ctrl:1
	s_delay_alu instid0(VALU_DEP_4) | instskip(NEXT) | instid1(VALU_DEP_4)
	v_cvt_f32_i32_dpp v9, v9 row_shr:1 row_mask:0xf bank_mask:0xf bound_ctrl:1
	v_cvt_f32_i32_dpp v4, v4 row_shr:1 row_mask:0xf bank_mask:0xf bound_ctrl:1
	s_delay_alu instid0(VALU_DEP_4) | instskip(NEXT) | instid1(VALU_DEP_4)
	v_cvt_f32_i32_dpp v13, v8 row_shr:1 row_mask:0xf bank_mask:0xf bound_ctrl:1
	v_add_f32_e32 v7, v6, v12
	v_cvt_i32_f32_e32 v6, v2
	s_delay_alu instid0(VALU_DEP_4) | instskip(SKIP_4) | instid1(VALU_DEP_2)
	v_add_f32_e32 v8, v0, v4
	ds_bpermute_b32 v11, v1, v10
	v_add_f32_e32 v4, v3, v13
	v_cvt_i32_f32_e32 v12, v7
	v_cvt_f32_i32_dpp v6, v6 row_shr:1 row_mask:0xf bank_mask:0xf bound_ctrl:1
	v_cvt_f32_i32_dpp v12, v12 row_shr:1 row_mask:0xf bank_mask:0xf bound_ctrl:1
	s_delay_alu instid0(VALU_DEP_2)
	v_add_f32_e32 v6, v2, v6
	v_add_f32_e32 v2, v5, v9
	ds_bpermute_b32 v9, v1, v8
	ds_bpermute_b32 v5, v1, v4
	v_add_f32_e32 v0, v7, v12
	ds_bpermute_b32 v7, v1, v6
	ds_bpermute_b32 v3, v1, v2
	ds_bpermute_b32 v1, v1, v0
	s_and_saveexec_b32 s18, s0
	s_cbranch_execz .LBB45_52
; %bb.43:                               ;   in Loop: Header=BB45_19 Depth=1
	v_dual_mov_b32 v17, 0 :: v_dual_mov_b32 v16, 0
	v_dual_mov_b32 v15, 0 :: v_dual_mov_b32 v14, 0
	;; [unrolled: 1-line block ×3, first 2 shown]
	s_and_not1_b32 vcc_lo, exec_lo, s23
	s_cbranch_vccnz .LBB45_45
; %bb.44:                               ;   in Loop: Header=BB45_19 Depth=1
	v_mul_hi_u32 v12, v43, v58
	v_mul_hi_u32 v13, v47, v58
	;; [unrolled: 1-line block ×3, first 2 shown]
	s_delay_alu instid0(VALU_DEP_3) | instskip(NEXT) | instid1(VALU_DEP_3)
	v_mul_lo_u32 v12, v12, s14
	v_mul_lo_u32 v13, v13, s14
	s_delay_alu instid0(VALU_DEP_3) | instskip(NEXT) | instid1(VALU_DEP_3)
	v_mul_lo_u32 v14, v14, s14
	v_sub_nc_u32_e32 v12, v43, v12
	s_delay_alu instid0(VALU_DEP_3) | instskip(NEXT) | instid1(VALU_DEP_3)
	v_sub_nc_u32_e32 v13, v47, v13
	v_sub_nc_u32_e32 v14, v46, v14
	s_delay_alu instid0(VALU_DEP_3) | instskip(SKIP_1) | instid1(VALU_DEP_4)
	v_subrev_nc_u32_e32 v15, s14, v12
	v_cmp_le_u32_e32 vcc_lo, s14, v12
	v_subrev_nc_u32_e32 v16, s14, v13
	s_delay_alu instid0(VALU_DEP_4) | instskip(NEXT) | instid1(VALU_DEP_4)
	v_subrev_nc_u32_e32 v17, s14, v14
	v_cndmask_b32_e32 v12, v12, v15, vcc_lo
	v_cmp_le_u32_e32 vcc_lo, s14, v13
	v_mov_b32_e32 v15, v45
	v_cndmask_b32_e32 v16, v13, v16, vcc_lo
	v_mov_b32_e32 v13, v45
	v_cmp_le_u32_e32 vcc_lo, s14, v14
	s_delay_alu instid0(VALU_DEP_3) | instskip(SKIP_3) | instid1(VALU_DEP_3)
	v_subrev_nc_u32_e32 v18, s14, v16
	v_cndmask_b32_e32 v14, v14, v17, vcc_lo
	v_subrev_nc_u32_e32 v17, s14, v12
	v_cmp_le_u32_e32 vcc_lo, s14, v12
	v_subrev_nc_u32_e32 v19, s14, v14
	s_delay_alu instid0(VALU_DEP_3) | instskip(SKIP_3) | instid1(VALU_DEP_4)
	v_cndmask_b32_e32 v44, v12, v17, vcc_lo
	v_cmp_le_u32_e32 vcc_lo, s14, v16
	v_cndmask_b32_e32 v12, v16, v18, vcc_lo
	v_cmp_le_u32_e32 vcc_lo, s14, v14
	v_lshlrev_b64 v[16:17], 1, v[44:45]
	v_add_nc_u32_e32 v44, s26, v44
	v_cndmask_b32_e32 v14, v14, v19, vcc_lo
	v_lshlrev_b64 v[18:19], 1, v[12:13]
	s_delay_alu instid0(VALU_DEP_3)
	v_lshlrev_b64 v[22:23], 1, v[44:45]
	v_add_nc_u32_e32 v44, s26, v12
	v_add_co_u32 v12, vcc_lo, s8, v16
	v_lshlrev_b64 v[20:21], 1, v[14:15]
	v_add_co_ci_u32_e32 v13, vcc_lo, s9, v17, vcc_lo
	v_add_co_u32 v15, vcc_lo, s8, v18
	v_add_co_ci_u32_e32 v16, vcc_lo, s9, v19, vcc_lo
	s_delay_alu instid0(VALU_DEP_4)
	v_add_co_u32 v18, vcc_lo, s8, v20
	v_add_co_ci_u32_e32 v19, vcc_lo, s9, v21, vcc_lo
	v_lshlrev_b64 v[20:21], 1, v[44:45]
	v_add_nc_u32_e32 v44, s26, v14
	v_add_co_u32 v22, vcc_lo, s8, v22
	v_add_co_ci_u32_e32 v23, vcc_lo, s9, v23, vcc_lo
	s_delay_alu instid0(VALU_DEP_3) | instskip(SKIP_2) | instid1(VALU_DEP_3)
	v_lshlrev_b64 v[24:25], 1, v[44:45]
	v_add_co_u32 v20, vcc_lo, s8, v20
	v_add_co_ci_u32_e32 v21, vcc_lo, s9, v21, vcc_lo
	v_add_co_u32 v24, vcc_lo, s8, v24
	s_delay_alu instid0(VALU_DEP_4)
	v_add_co_ci_u32_e32 v25, vcc_lo, s9, v25, vcc_lo
	s_clause 0x5
	global_load_u16 v17, v[12:13], off
	global_load_u16 v16, v[15:16], off
	;; [unrolled: 1-line block ×6, first 2 shown]
.LBB45_45:                              ;   in Loop: Header=BB45_19 Depth=1
	v_cmp_ne_u32_e32 vcc_lo, 0, v40
	s_and_saveexec_b32 s2, vcc_lo
	s_cbranch_execnz .LBB45_57
; %bb.46:                               ;   in Loop: Header=BB45_19 Depth=1
	s_or_b32 exec_lo, exec_lo, s2
	v_cmp_ne_u32_e64 s1, 0, v41
	s_delay_alu instid0(VALU_DEP_1)
	s_and_saveexec_b32 s3, s1
	s_cbranch_execnz .LBB45_58
.LBB45_47:                              ;   in Loop: Header=BB45_19 Depth=1
	s_or_b32 exec_lo, exec_lo, s3
	v_cmp_ne_u32_e64 s2, 0, v42
	s_delay_alu instid0(VALU_DEP_1)
	s_and_saveexec_b32 s19, s2
	s_cbranch_execnz .LBB45_59
.LBB45_48:                              ;   in Loop: Header=BB45_19 Depth=1
	s_or_b32 exec_lo, exec_lo, s19
	v_add_nc_u32_e32 v44, s7, v43
	s_and_saveexec_b32 s3, vcc_lo
	s_cbranch_execnz .LBB45_60
.LBB45_49:                              ;   in Loop: Header=BB45_19 Depth=1
	s_or_b32 exec_lo, exec_lo, s3
	s_and_saveexec_b32 s3, s1
	s_cbranch_execnz .LBB45_61
.LBB45_50:                              ;   in Loop: Header=BB45_19 Depth=1
	s_or_b32 exec_lo, exec_lo, s3
	s_delay_alu instid0(SALU_CYCLE_1)
	s_and_b32 exec_lo, exec_lo, s2
	s_cbranch_execz .LBB45_52
.LBB45_51:                              ;   in Loop: Header=BB45_19 Depth=1
	s_waitcnt lgkmcnt(0)
	v_add_f32_e32 v0, v0, v1
	s_waitcnt vmcnt(0)
	v_cvt_f32_f16_e32 v1, v12
	v_add_nc_u32_e32 v44, 2, v44
	s_delay_alu instid0(VALU_DEP_2) | instskip(NEXT) | instid1(VALU_DEP_2)
	v_add_f32_e32 v2, v0, v1
	v_lshlrev_b64 v[0:1], 1, v[44:45]
	s_delay_alu instid0(VALU_DEP_2) | instskip(NEXT) | instid1(VALU_DEP_2)
	v_cvt_f16_f32_e32 v2, v2
	v_add_co_u32 v0, vcc_lo, s10, v0
	s_delay_alu instid0(VALU_DEP_3)
	v_add_co_ci_u32_e32 v1, vcc_lo, s11, v1, vcc_lo
	global_store_b16 v[0:1], v2, off
.LBB45_52:                              ;   in Loop: Header=BB45_19 Depth=1
	s_or_b32 exec_lo, exec_lo, s18
	v_add_nc_u32_e32 v43, s15, v43
	s_delay_alu instid0(VALU_DEP_1) | instskip(SKIP_1) | instid1(VALU_DEP_2)
	v_add_nc_u32_e32 v0, 3, v43
	v_cmp_gt_u32_e32 vcc_lo, s7, v43
	v_cmp_le_u32_e64 s1, s7, v0
	s_delay_alu instid0(VALU_DEP_1) | instskip(NEXT) | instid1(SALU_CYCLE_1)
	s_and_b32 s1, vcc_lo, s1
	s_and_saveexec_b32 s27, s1
	s_cbranch_execz .LBB45_18
; %bb.53:                               ;   in Loop: Header=BB45_19 Depth=1
	s_mov_b32 s28, exec_lo
	v_cmpx_ne_u32_e64 s25, v43
	s_cbranch_execz .LBB45_17
; %bb.54:                               ;   in Loop: Header=BB45_19 Depth=1
	v_subrev_nc_u32_e32 v0, s25, v43
	s_mov_b32 s29, 0
	s_mov_b64 s[18:19], 0
	s_delay_alu instid0(VALU_DEP_1)
	v_cmp_lt_u32_e32 vcc_lo, 1, v0
	v_cndmask_b32_e32 v0, 1, v0, vcc_lo
	.p2align	6
.LBB45_55:                              ;   Parent Loop BB45_19 Depth=1
                                        ; =>  This Inner Loop Header: Depth=2
	s_cmp_lg_u32 s18, 2
	s_cselect_b32 vcc_lo, -1, 0
	s_cmp_lg_u32 s18, 1
	v_cndmask_b32_e32 v42, 0, v42, vcc_lo
	s_cselect_b32 s1, -1, 0
	s_cmp_lg_u32 s18, 0
	v_cndmask_b32_e64 v41, 0, v41, s1
	s_cselect_b32 s2, -1, 0
	s_add_u32 s18, s18, 1
	v_cndmask_b32_e64 v40, 0, v40, s2
	v_cmp_eq_u32_e64 s3, s18, v0
	s_addc_u32 s19, s19, 0
	s_delay_alu instid0(VALU_DEP_1) | instskip(NEXT) | instid1(SALU_CYCLE_1)
	s_or_b32 s29, s3, s29
	s_and_not1_b32 exec_lo, exec_lo, s29
	s_cbranch_execnz .LBB45_55
; %bb.56:                               ;   in Loop: Header=BB45_19 Depth=1
	s_or_b32 exec_lo, exec_lo, s29
	s_branch .LBB45_17
.LBB45_57:                              ;   in Loop: Header=BB45_19 Depth=1
	s_waitcnt lgkmcnt(5)
	v_add_f32_e32 v10, v10, v11
	s_waitcnt vmcnt(5)
	v_cvt_f32_f16_e32 v11, v17
	s_delay_alu instid0(VALU_DEP_1) | instskip(NEXT) | instid1(VALU_DEP_1)
	v_dual_mov_b32 v44, v45 :: v_dual_add_f32 v17, v10, v11
	v_lshlrev_b64 v[10:11], 1, v[43:44]
	s_delay_alu instid0(VALU_DEP_2) | instskip(NEXT) | instid1(VALU_DEP_2)
	v_cvt_f16_f32_e32 v17, v17
	v_add_co_u32 v10, s1, s10, v10
	s_delay_alu instid0(VALU_DEP_1) | instskip(SKIP_3) | instid1(VALU_DEP_1)
	v_add_co_ci_u32_e64 v11, s1, s11, v11, s1
	global_store_b16 v[10:11], v17, off
	s_or_b32 exec_lo, exec_lo, s2
	v_cmp_ne_u32_e64 s1, 0, v41
	s_and_saveexec_b32 s3, s1
	s_cbranch_execz .LBB45_47
.LBB45_58:                              ;   in Loop: Header=BB45_19 Depth=1
	s_waitcnt lgkmcnt(4)
	v_add_f32_e32 v8, v8, v9
	s_waitcnt vmcnt(4)
	v_cvt_f32_f16_e32 v9, v16
	v_mov_b32_e32 v48, v45
	s_delay_alu instid0(VALU_DEP_2) | instskip(NEXT) | instid1(VALU_DEP_2)
	v_add_f32_e32 v10, v8, v9
	v_lshlrev_b64 v[8:9], 1, v[47:48]
	s_delay_alu instid0(VALU_DEP_2) | instskip(NEXT) | instid1(VALU_DEP_2)
	v_cvt_f16_f32_e32 v10, v10
	v_add_co_u32 v8, s2, s10, v8
	s_delay_alu instid0(VALU_DEP_1) | instskip(SKIP_3) | instid1(VALU_DEP_1)
	v_add_co_ci_u32_e64 v9, s2, s11, v9, s2
	global_store_b16 v[8:9], v10, off
	s_or_b32 exec_lo, exec_lo, s3
	v_cmp_ne_u32_e64 s2, 0, v42
	s_and_saveexec_b32 s19, s2
	s_cbranch_execz .LBB45_48
.LBB45_59:                              ;   in Loop: Header=BB45_19 Depth=1
	s_waitcnt lgkmcnt(2)
	v_dual_add_f32 v6, v6, v7 :: v_dual_mov_b32 v47, v45
	s_waitcnt vmcnt(3)
	v_cvt_f32_f16_e32 v7, v15
	s_delay_alu instid0(VALU_DEP_1) | instskip(NEXT) | instid1(VALU_DEP_3)
	v_add_f32_e32 v8, v6, v7
	v_lshlrev_b64 v[6:7], 1, v[46:47]
	s_delay_alu instid0(VALU_DEP_2) | instskip(NEXT) | instid1(VALU_DEP_2)
	v_cvt_f16_f32_e32 v8, v8
	v_add_co_u32 v6, s3, s10, v6
	s_delay_alu instid0(VALU_DEP_1)
	v_add_co_ci_u32_e64 v7, s3, s11, v7, s3
	global_store_b16 v[6:7], v8, off
	s_or_b32 exec_lo, exec_lo, s19
	v_add_nc_u32_e32 v44, s7, v43
	s_and_saveexec_b32 s3, vcc_lo
	s_cbranch_execz .LBB45_49
.LBB45_60:                              ;   in Loop: Header=BB45_19 Depth=1
	s_waitcnt lgkmcnt(3)
	v_add_f32_e32 v4, v4, v5
	s_waitcnt vmcnt(2)
	v_cvt_f32_f16_e32 v5, v14
	s_delay_alu instid0(VALU_DEP_1) | instskip(SKIP_1) | instid1(VALU_DEP_2)
	v_add_f32_e32 v6, v4, v5
	v_lshlrev_b64 v[4:5], 1, v[44:45]
	v_cvt_f16_f32_e32 v6, v6
	s_delay_alu instid0(VALU_DEP_2) | instskip(NEXT) | instid1(VALU_DEP_3)
	v_add_co_u32 v4, vcc_lo, s10, v4
	v_add_co_ci_u32_e32 v5, vcc_lo, s11, v5, vcc_lo
	global_store_b16 v[4:5], v6, off
	s_or_b32 exec_lo, exec_lo, s3
	s_and_saveexec_b32 s3, s1
	s_cbranch_execz .LBB45_50
.LBB45_61:                              ;   in Loop: Header=BB45_19 Depth=1
	s_waitcnt lgkmcnt(1)
	v_dual_add_f32 v4, v2, v3 :: v_dual_mov_b32 v3, v45
	v_add_nc_u32_e32 v2, 1, v44
	s_waitcnt vmcnt(1)
	v_cvt_f32_f16_e32 v5, v13
	s_delay_alu instid0(VALU_DEP_2) | instskip(NEXT) | instid1(VALU_DEP_2)
	v_lshlrev_b64 v[2:3], 1, v[2:3]
	v_add_f32_e32 v4, v4, v5
	s_delay_alu instid0(VALU_DEP_1) | instskip(NEXT) | instid1(VALU_DEP_3)
	v_cvt_f16_f32_e32 v4, v4
	v_add_co_u32 v2, vcc_lo, s10, v2
	s_delay_alu instid0(VALU_DEP_4) | instskip(SKIP_2) | instid1(SALU_CYCLE_1)
	v_add_co_ci_u32_e32 v3, vcc_lo, s11, v3, vcc_lo
	global_store_b16 v[2:3], v4, off
	s_or_b32 exec_lo, exec_lo, s3
	s_and_b32 exec_lo, exec_lo, s2
	s_cbranch_execnz .LBB45_51
	s_branch .LBB45_52
.LBB45_62:
	s_nop 0
	s_sendmsg sendmsg(MSG_DEALLOC_VGPRS)
	s_endpgm
	.section	.rodata,"a",@progbits
	.p2align	6, 0x0
	.amdhsa_kernel _Z12wvSplitK_hf_I6__halfLi32ELi3ELi16ELi8ELi2ELi2EEviiiiiiPKT_S3_S3_PS1_ii
		.amdhsa_group_segment_fixed_size 65536
		.amdhsa_private_segment_fixed_size 0
		.amdhsa_kernarg_size 64
		.amdhsa_user_sgpr_count 15
		.amdhsa_user_sgpr_dispatch_ptr 0
		.amdhsa_user_sgpr_queue_ptr 0
		.amdhsa_user_sgpr_kernarg_segment_ptr 1
		.amdhsa_user_sgpr_dispatch_id 0
		.amdhsa_user_sgpr_private_segment_size 0
		.amdhsa_wavefront_size32 1
		.amdhsa_uses_dynamic_stack 0
		.amdhsa_enable_private_segment 0
		.amdhsa_system_sgpr_workgroup_id_x 1
		.amdhsa_system_sgpr_workgroup_id_y 0
		.amdhsa_system_sgpr_workgroup_id_z 0
		.amdhsa_system_sgpr_workgroup_info 0
		.amdhsa_system_vgpr_workitem_id 1
		.amdhsa_next_free_vgpr 66
		.amdhsa_next_free_sgpr 30
		.amdhsa_reserve_vcc 1
		.amdhsa_float_round_mode_32 0
		.amdhsa_float_round_mode_16_64 0
		.amdhsa_float_denorm_mode_32 3
		.amdhsa_float_denorm_mode_16_64 3
		.amdhsa_dx10_clamp 1
		.amdhsa_ieee_mode 1
		.amdhsa_fp16_overflow 0
		.amdhsa_workgroup_processor_mode 1
		.amdhsa_memory_ordered 1
		.amdhsa_forward_progress 0
		.amdhsa_shared_vgpr_count 0
		.amdhsa_exception_fp_ieee_invalid_op 0
		.amdhsa_exception_fp_denorm_src 0
		.amdhsa_exception_fp_ieee_div_zero 0
		.amdhsa_exception_fp_ieee_overflow 0
		.amdhsa_exception_fp_ieee_underflow 0
		.amdhsa_exception_fp_ieee_inexact 0
		.amdhsa_exception_int_div_zero 0
	.end_amdhsa_kernel
	.section	.text._Z12wvSplitK_hf_I6__halfLi32ELi3ELi16ELi8ELi2ELi2EEviiiiiiPKT_S3_S3_PS1_ii,"axG",@progbits,_Z12wvSplitK_hf_I6__halfLi32ELi3ELi16ELi8ELi2ELi2EEviiiiiiPKT_S3_S3_PS1_ii,comdat
.Lfunc_end45:
	.size	_Z12wvSplitK_hf_I6__halfLi32ELi3ELi16ELi8ELi2ELi2EEviiiiiiPKT_S3_S3_PS1_ii, .Lfunc_end45-_Z12wvSplitK_hf_I6__halfLi32ELi3ELi16ELi8ELi2ELi2EEviiiiiiPKT_S3_S3_PS1_ii
                                        ; -- End function
	.section	.AMDGPU.csdata,"",@progbits
; Kernel info:
; codeLenInByte = 4624
; NumSgprs: 32
; NumVgprs: 66
; ScratchSize: 0
; MemoryBound: 0
; FloatMode: 240
; IeeeMode: 1
; LDSByteSize: 65536 bytes/workgroup (compile time only)
; SGPRBlocks: 3
; VGPRBlocks: 8
; NumSGPRsForWavesPerEU: 32
; NumVGPRsForWavesPerEU: 66
; Occupancy: 8
; WaveLimiterHint : 0
; COMPUTE_PGM_RSRC2:SCRATCH_EN: 0
; COMPUTE_PGM_RSRC2:USER_SGPR: 15
; COMPUTE_PGM_RSRC2:TRAP_HANDLER: 0
; COMPUTE_PGM_RSRC2:TGID_X_EN: 1
; COMPUTE_PGM_RSRC2:TGID_Y_EN: 0
; COMPUTE_PGM_RSRC2:TGID_Z_EN: 0
; COMPUTE_PGM_RSRC2:TIDIG_COMP_CNT: 1
	.section	.text._Z16wvSplitK_hf_big_I6__halfLi32ELi3ELi16ELi8ELi2ELi2EEviiiiiiPKT_S3_S3_PS1_ii,"axG",@progbits,_Z16wvSplitK_hf_big_I6__halfLi32ELi3ELi16ELi8ELi2ELi2EEviiiiiiPKT_S3_S3_PS1_ii,comdat
	.protected	_Z16wvSplitK_hf_big_I6__halfLi32ELi3ELi16ELi8ELi2ELi2EEviiiiiiPKT_S3_S3_PS1_ii ; -- Begin function _Z16wvSplitK_hf_big_I6__halfLi32ELi3ELi16ELi8ELi2ELi2EEviiiiiiPKT_S3_S3_PS1_ii
	.globl	_Z16wvSplitK_hf_big_I6__halfLi32ELi3ELi16ELi8ELi2ELi2EEviiiiiiPKT_S3_S3_PS1_ii
	.p2align	8
	.type	_Z16wvSplitK_hf_big_I6__halfLi32ELi3ELi16ELi8ELi2ELi2EEviiiiiiPKT_S3_S3_PS1_ii,@function
_Z16wvSplitK_hf_big_I6__halfLi32ELi3ELi16ELi8ELi2ELi2EEviiiiiiPKT_S3_S3_PS1_ii: ; @_Z16wvSplitK_hf_big_I6__halfLi32ELi3ELi16ELi8ELi2ELi2EEviiiiiiPKT_S3_S3_PS1_ii
; %bb.0:
	s_load_b64 s[20:21], s[0:1], 0x38
	v_bfe_u32 v1, v0, 10, 10
	s_mov_b32 s2, exec_lo
	s_waitcnt lgkmcnt(0)
	s_delay_alu instid0(VALU_DEP_1)
	v_cmpx_gt_u32_e64 s20, v1
	s_cbranch_execz .LBB46_52
; %bb.1:
	s_load_b128 s[16:19], s[0:1], 0x0
	v_mad_u64_u32 v[2:3], null, s15, s20, v[1:2]
	s_mov_b32 s4, 1
	s_delay_alu instid0(SALU_CYCLE_1) | instskip(SKIP_1) | instid1(SALU_CYCLE_1)
	s_mov_b32 s5, s4
	s_mov_b32 s6, s4
	v_mov_b32_e32 v42, s6
	s_delay_alu instid0(VALU_DEP_2) | instskip(SKIP_1) | instid1(VALU_DEP_2)
	v_lshl_add_u32 v43, v2, 1, v2
	v_dual_mov_b32 v40, s4 :: v_dual_mov_b32 v41, s5
	v_add_nc_u32_e32 v2, 3, v43
	s_waitcnt lgkmcnt(0)
	v_cmp_gt_u32_e32 vcc_lo, s19, v43
	s_delay_alu instid0(VALU_DEP_2) | instskip(NEXT) | instid1(VALU_DEP_1)
	v_cmp_le_u32_e64 s2, s19, v2
	s_and_b32 s2, vcc_lo, s2
	s_delay_alu instid0(SALU_CYCLE_1)
	s_and_saveexec_b32 s7, s2
	s_cbranch_execz .LBB46_7
; %bb.2:
	v_dual_mov_b32 v42, s6 :: v_dual_mov_b32 v41, s5
	v_mov_b32_e32 v40, s4
	s_add_i32 s8, s19, -3
	s_mov_b32 s9, exec_lo
	v_cmpx_ne_u32_e64 s8, v43
	s_cbranch_execz .LBB46_6
; %bb.3:
	v_subrev_nc_u32_e32 v2, s8, v43
	s_mov_b32 s10, 0
	s_mov_b64 s[2:3], 0
	s_mov_b32 s5, s4
	s_mov_b32 s6, s4
	v_cmp_lt_u32_e32 vcc_lo, 1, v2
	v_cndmask_b32_e32 v2, 1, v2, vcc_lo
.LBB46_4:                               ; =>This Inner Loop Header: Depth=1
	s_cmp_lg_u32 s2, 2
	s_cselect_b32 s6, s6, 0
	s_cmp_lg_u32 s2, 1
	s_cselect_b32 s5, s5, 0
	;; [unrolled: 2-line block ×3, first 2 shown]
	s_add_u32 s2, s2, 1
	v_dual_mov_b32 v42, s6 :: v_dual_mov_b32 v41, s5
	v_cmp_eq_u32_e32 vcc_lo, s2, v2
	v_mov_b32_e32 v40, s4
	s_addc_u32 s3, s3, 0
	s_or_b32 s10, vcc_lo, s10
	s_delay_alu instid0(SALU_CYCLE_1)
	s_and_not1_b32 exec_lo, exec_lo, s10
	s_cbranch_execnz .LBB46_4
; %bb.5:
	s_or_b32 exec_lo, exec_lo, s10
	v_mov_b32_e32 v43, s8
.LBB46_6:
	s_or_b32 exec_lo, exec_lo, s9
.LBB46_7:
	s_delay_alu instid0(SALU_CYCLE_1)
	s_or_b32 exec_lo, exec_lo, s7
	s_mul_i32 s2, s20, 3
	s_abs_i32 s6, s19
	s_abs_i32 s3, s2
	s_mov_b32 s23, 0
	v_cvt_f32_u32_e32 v2, s3
	s_sub_i32 s5, 0, s3
	s_delay_alu instid0(VALU_DEP_1) | instskip(SKIP_2) | instid1(VALU_DEP_1)
	v_rcp_iflag_f32_e32 v2, v2
	s_waitcnt_depctr 0xfff
	v_mul_f32_e32 v2, 0x4f7ffffe, v2
	v_cvt_u32_f32_e32 v2, v2
	s_delay_alu instid0(VALU_DEP_1) | instskip(NEXT) | instid1(VALU_DEP_1)
	v_readfirstlane_b32 s4, v2
	s_mul_i32 s5, s5, s4
	s_delay_alu instid0(SALU_CYCLE_1) | instskip(NEXT) | instid1(SALU_CYCLE_1)
	s_mul_hi_u32 s5, s4, s5
	s_add_i32 s4, s4, s5
	s_ashr_i32 s5, s19, 31
	s_mul_hi_u32 s4, s6, s4
	s_delay_alu instid0(SALU_CYCLE_1) | instskip(NEXT) | instid1(SALU_CYCLE_1)
	s_mul_i32 s4, s4, s3
	s_sub_i32 s4, s6, s4
	s_delay_alu instid0(SALU_CYCLE_1) | instskip(SKIP_2) | instid1(SALU_CYCLE_1)
	s_sub_i32 s6, s4, s3
	s_cmp_ge_u32 s4, s3
	s_cselect_b32 s4, s6, s4
	s_sub_i32 s6, s4, s3
	s_cmp_ge_u32 s4, s3
	s_cselect_b32 s3, s6, s4
	s_add_i32 s4, s2, s19
	s_xor_b32 s3, s3, s5
	s_delay_alu instid0(SALU_CYCLE_1) | instskip(NEXT) | instid1(SALU_CYCLE_1)
	s_sub_i32 s3, s3, s5
	s_sub_i32 s4, s4, s3
	s_cmp_eq_u32 s3, 0
	s_cselect_b32 s22, s19, s4
	s_delay_alu instid0(SALU_CYCLE_1)
	v_cmp_gt_u32_e32 vcc_lo, s22, v43
	s_and_b32 exec_lo, exec_lo, vcc_lo
	s_cbranch_execz .LBB46_52
; %bb.8:
	s_load_b256 s[4:11], s[0:1], 0x10
	v_dual_mov_b32 v45, 0 :: v_dual_and_b32 v0, 0x3ff, v0
	s_min_u32 s24, s18, 0x4000
	s_cmp_lg_u32 s16, 0
	s_load_b64 s[12:13], s[0:1], 0x30
	s_delay_alu instid0(VALU_DEP_1)
	v_lshlrev_b32_e32 v52, 3, v0
	s_cselect_b32 s25, -1, 0
	s_cmp_lg_u32 s18, 0
	s_mul_i32 s21, s2, s21
	s_cselect_b32 s26, -1, 0
	v_lshl_add_u32 v53, v1, 8, v52
	s_lshl_b32 s27, s20, 8
	s_add_i32 s28, s16, -8
	s_add_i32 s29, s19, -1
	v_cmp_eq_u32_e64 s0, 31, v0
	v_lshlrev_b32_e32 v0, 4, v0
	v_mbcnt_lo_u32_b32 v57, -1, 0
	v_add_nc_u32_e32 v55, s18, v53
	s_waitcnt lgkmcnt(0)
	v_cvt_f32_u32_e32 v2, s4
	s_cmp_lg_u64 s[10:11], 0
	v_lshl_add_u32 v54, v1, 9, v0
	s_cselect_b32 s30, -1, 0
	s_sub_i32 s1, 0, s4
	v_rcp_iflag_f32_e32 v2, v2
	s_waitcnt_depctr 0xfff
	v_mul_f32_e32 v2, 0x4f7ffffe, v2
	s_delay_alu instid0(VALU_DEP_1) | instskip(NEXT) | instid1(VALU_DEP_1)
	v_cvt_u32_f32_e32 v2, v2
	v_mul_lo_u32 v3, s1, v2
	s_abs_i32 s1, s5
	s_add_i32 s5, s19, -3
	s_sub_i32 s2, 1, s1
	s_cmp_lt_u32 s1, 2
	s_cselect_b32 s2, s2, 1
	s_delay_alu instid0(SALU_CYCLE_1) | instskip(NEXT) | instid1(VALU_DEP_1)
	s_sub_i32 s3, s2, s1
	v_mul_hi_u32 v3, v2, v3
	s_cmp_ge_u32 s2, s1
	s_cselect_b32 s33, s3, s2
	s_add_u32 s31, s12, 2
	s_mul_i32 s33, s33, s4
	s_addc_u32 s34, s13, 0
	s_lshl_b32 s35, s24, 1
	s_delay_alu instid0(VALU_DEP_1)
	v_add_nc_u32_e32 v56, v2, v3
	s_lshl_b32 s20, s20, 9
	s_branch .LBB46_12
.LBB46_9:                               ;   in Loop: Header=BB46_12 Depth=1
	s_or_b32 exec_lo, exec_lo, s38
	v_mov_b32_e32 v43, s5
.LBB46_10:                              ;   in Loop: Header=BB46_12 Depth=1
	s_or_b32 exec_lo, exec_lo, s37
.LBB46_11:                              ;   in Loop: Header=BB46_12 Depth=1
	s_delay_alu instid0(SALU_CYCLE_1) | instskip(NEXT) | instid1(VALU_DEP_1)
	s_or_b32 exec_lo, exec_lo, s36
	v_cmp_le_u32_e32 vcc_lo, s22, v43
	s_or_b32 s23, vcc_lo, s23
	s_delay_alu instid0(SALU_CYCLE_1)
	s_and_not1_b32 exec_lo, exec_lo, s23
	s_cbranch_execz .LBB46_52
.LBB46_12:                              ; =>This Loop Header: Depth=1
                                        ;     Child Loop BB46_17 Depth 2
                                        ;       Child Loop BB46_22 Depth 3
                                        ;     Child Loop BB46_45 Depth 2
	v_mov_b32_e32 v63, v45
	v_mov_b32_e32 v62, v45
	;; [unrolled: 1-line block ×6, first 2 shown]
	s_and_not1_b32 vcc_lo, exec_lo, s25
	s_mov_b32 s3, 0
	s_cbranch_vccnz .LBB46_29
; %bb.13:                               ;   in Loop: Header=BB46_12 Depth=1
	v_add_nc_u32_e32 v0, 1, v43
	v_dual_mov_b32 v58, 0 :: v_dual_add_nc_u32 v1, 2, v43
	v_min_u32_e32 v2, s29, v43
	v_cmp_gt_u32_e64 s1, s19, v43
	v_dual_mov_b32 v59, 0 :: v_dual_mov_b32 v62, 0
	s_waitcnt lgkmcnt(1)
	v_min_u32_e32 v3, s29, v1
	v_mov_b32_e32 v1, v45
	v_min_u32_e32 v0, s29, v0
	v_mul_lo_u32 v44, v2, s17
	v_mov_b32_e32 v60, 0
	v_mul_lo_u32 v2, v3, s17
	v_mov_b32_e32 v3, v45
	;; [unrolled: 2-line block ×3, first 2 shown]
	v_mov_b32_e32 v63, 0
	s_mov_b32 s14, 0
	v_lshlrev_b64 v[46:47], 1, v[44:45]
	v_lshlrev_b64 v[50:51], 1, v[2:3]
	;; [unrolled: 1-line block ×3, first 2 shown]
	s_branch .LBB46_17
.LBB46_14:                              ;   in Loop: Header=BB46_17 Depth=2
	s_or_b32 exec_lo, exec_lo, s36
.LBB46_15:                              ;   in Loop: Header=BB46_17 Depth=2
	s_delay_alu instid0(SALU_CYCLE_1)
	s_or_b32 exec_lo, exec_lo, s15
	s_waitcnt vmcnt(5) lgkmcnt(1)
	;;#ASMSTART
	v_dot2_f32_f16 v63, v36, v32, v63
	;;#ASMEND
	s_waitcnt vmcnt(4)
	;;#ASMSTART
	v_dot2_f32_f16 v62, v36, v24, v62
	;;#ASMEND
	s_waitcnt vmcnt(3)
	;;#ASMSTART
	v_dot2_f32_f16 v61, v36, v20, v61
	;;#ASMEND
	s_waitcnt lgkmcnt(0)
	;;#ASMSTART
	v_dot2_f32_f16 v60, v28, v32, v60
	;;#ASMEND
	;;#ASMSTART
	v_dot2_f32_f16 v59, v28, v24, v59
	;;#ASMEND
	;; [unrolled: 3-line block ×21, first 2 shown]
	s_waitcnt vmcnt(2)
	;;#ASMSTART
	v_dot2_f32_f16 v63, v16, v12, v63
	;;#ASMEND
	s_waitcnt vmcnt(1)
	;;#ASMSTART
	v_dot2_f32_f16 v62, v16, v4, v62
	;;#ASMEND
	;; [unrolled: 4-line block ×3, first 2 shown]
	;;#ASMSTART
	v_dot2_f32_f16 v60, v8, v12, v60
	;;#ASMEND
	;;#ASMSTART
	v_dot2_f32_f16 v59, v8, v4, v59
	;;#ASMEND
	;; [unrolled: 3-line block ×21, first 2 shown]
.LBB46_16:                              ;   in Loop: Header=BB46_17 Depth=2
	s_or_b32 exec_lo, exec_lo, s2
	s_addk_i32 s14, 0x200
	s_delay_alu instid0(SALU_CYCLE_1)
	s_cmp_ge_u32 s14, s16
	s_cbranch_scc1 .LBB46_29
.LBB46_17:                              ;   Parent Loop BB46_12 Depth=1
                                        ; =>  This Loop Header: Depth=2
                                        ;       Child Loop BB46_22 Depth 3
	s_cmp_eq_u32 s14, 0
	s_cselect_b32 s15, -1, 0
	s_add_i32 s2, s3, s24
	s_delay_alu instid0(SALU_CYCLE_1) | instskip(SKIP_1) | instid1(SALU_CYCLE_1)
	s_cmp_eq_u32 s14, s2
	s_cselect_b32 s36, -1, 0
	s_or_b32 s36, s15, s36
	s_delay_alu instid0(SALU_CYCLE_1)
	s_and_not1_b32 vcc_lo, exec_lo, s36
	s_cbranch_vccz .LBB46_19
; %bb.18:                               ;   in Loop: Header=BB46_17 Depth=2
	s_and_saveexec_b32 s2, s1
	s_cbranch_execz .LBB46_16
	s_branch .LBB46_26
.LBB46_19:                              ;   in Loop: Header=BB46_17 Depth=2
	s_and_b32 s15, s15, exec_lo
	s_cselect_b32 s3, s3, s2
	s_and_not1_b32 vcc_lo, exec_lo, s26
	s_waitcnt vmcnt(0) lgkmcnt(0)
	s_waitcnt_vscnt null, 0x0
	s_barrier
	buffer_gl0_inv
	s_cbranch_vccnz .LBB46_25
; %bb.20:                               ;   in Loop: Header=BB46_17 Depth=2
	v_add_nc_u32_e32 v0, s3, v55
	v_dual_mov_b32 v2, v54 :: v_dual_add_nc_u32 v1, s3, v53
	s_mov_b32 s15, 0
	s_mov_b32 s36, 0
                                        ; implicit-def: $sgpr37
	s_set_inst_prefetch_distance 0x1
	s_branch .LBB46_22
	.p2align	6
.LBB46_21:                              ;   in Loop: Header=BB46_22 Depth=3
	s_or_b32 exec_lo, exec_lo, s2
	s_delay_alu instid0(SALU_CYCLE_1) | instskip(NEXT) | instid1(SALU_CYCLE_1)
	s_and_b32 s2, exec_lo, s37
	s_or_b32 s15, s2, s15
	s_delay_alu instid0(SALU_CYCLE_1)
	s_and_not1_b32 exec_lo, exec_lo, s15
	s_cbranch_execz .LBB46_24
.LBB46_22:                              ;   Parent Loop BB46_12 Depth=1
                                        ;     Parent Loop BB46_17 Depth=2
                                        ; =>    This Inner Loop Header: Depth=3
	v_add_nc_u32_e32 v44, s36, v1
	v_add_nc_u32_e32 v3, s36, v53
	s_or_b32 s37, s37, exec_lo
	s_delay_alu instid0(VALU_DEP_2) | instskip(NEXT) | instid1(VALU_DEP_2)
	v_cmp_gt_u32_e32 vcc_lo, s18, v44
	v_cmp_gt_u32_e64 s2, s24, v3
	s_delay_alu instid0(VALU_DEP_1) | instskip(NEXT) | instid1(SALU_CYCLE_1)
	s_and_b32 s38, s2, vcc_lo
	s_and_saveexec_b32 s2, s38
	s_cbranch_execz .LBB46_21
; %bb.23:                               ;   in Loop: Header=BB46_22 Depth=3
	v_lshlrev_b64 v[3:4], 1, v[44:45]
	v_add_nc_u32_e32 v44, s36, v0
	s_add_i32 s36, s36, s27
	v_add_nc_u32_e32 v11, s35, v2
	s_cmp_ge_u32 s36, s24
	s_delay_alu instid0(VALU_DEP_2) | instskip(SKIP_3) | instid1(VALU_DEP_3)
	v_lshlrev_b64 v[7:8], 1, v[44:45]
	v_add_co_u32 v3, vcc_lo, s8, v3
	v_add_co_ci_u32_e32 v4, vcc_lo, s9, v4, vcc_lo
	s_cselect_b32 s38, -1, 0
	v_add_co_u32 v7, vcc_lo, s8, v7
	global_load_b128 v[3:6], v[3:4], off
	v_add_co_ci_u32_e32 v8, vcc_lo, s9, v8, vcc_lo
	s_and_not1_b32 s37, s37, exec_lo
	s_and_b32 s38, s38, exec_lo
	global_load_b128 v[7:10], v[7:8], off
	s_or_b32 s37, s37, s38
	s_waitcnt vmcnt(1)
	ds_store_b128 v2, v[3:6]
	v_add_nc_u32_e32 v2, s20, v2
	s_waitcnt vmcnt(0)
	ds_store_2addr_b64 v11, v[7:8], v[9:10] offset1:1
	s_branch .LBB46_21
.LBB46_24:                              ;   in Loop: Header=BB46_17 Depth=2
	s_set_inst_prefetch_distance 0x2
	s_or_b32 exec_lo, exec_lo, s15
.LBB46_25:                              ;   in Loop: Header=BB46_17 Depth=2
	s_waitcnt lgkmcnt(0)
	s_barrier
	buffer_gl0_inv
	s_and_saveexec_b32 s2, s1
	s_cbranch_execz .LBB46_16
.LBB46_26:                              ;   in Loop: Header=BB46_17 Depth=2
	v_dual_mov_b32 v37, 0 :: v_dual_add_nc_u32 v64, s14, v52
	v_dual_mov_b32 v38, 0 :: v_dual_mov_b32 v39, 0
	s_waitcnt vmcnt(3)
	v_dual_mov_b32 v16, 0 :: v_dual_mov_b32 v17, 0
	s_delay_alu instid0(VALU_DEP_3) | instskip(SKIP_2) | instid1(VALU_DEP_3)
	v_min_u32_e32 v44, s28, v64
	v_dual_mov_b32 v36, 0 :: v_dual_add_nc_u32 v65, 0x100, v64
	v_dual_mov_b32 v18, 0 :: v_dual_mov_b32 v19, 0
	v_lshlrev_b64 v[0:1], 1, v[44:45]
	s_delay_alu instid0(VALU_DEP_3) | instskip(SKIP_2) | instid1(VALU_DEP_4)
	v_min_u32_e32 v44, s28, v65
	v_dual_mov_b32 v28, 0 :: v_dual_mov_b32 v29, 0
	v_dual_mov_b32 v30, 0 :: v_dual_mov_b32 v31, 0
	v_add_co_u32 v6, vcc_lo, s6, v0
	v_add_co_ci_u32_e32 v7, vcc_lo, s7, v1, vcc_lo
	v_lshlrev_b64 v[0:1], 1, v[44:45]
	s_delay_alu instid0(VALU_DEP_3) | instskip(NEXT) | instid1(VALU_DEP_3)
	v_add_co_u32 v2, vcc_lo, v6, v46
	v_add_co_ci_u32_e32 v3, vcc_lo, v7, v47, vcc_lo
	v_add_co_u32 v4, vcc_lo, v6, v48
	s_waitcnt lgkmcnt(0)
	v_add_co_ci_u32_e32 v5, vcc_lo, v7, v49, vcc_lo
	v_add_co_u32 v10, vcc_lo, s6, v0
	v_add_co_ci_u32_e32 v11, vcc_lo, s7, v1, vcc_lo
	v_add_co_u32 v0, vcc_lo, v6, v50
	v_add_co_ci_u32_e32 v1, vcc_lo, v7, v51, vcc_lo
	s_delay_alu instid0(VALU_DEP_4) | instskip(NEXT) | instid1(VALU_DEP_4)
	v_add_co_u32 v6, vcc_lo, v10, v46
	v_add_co_ci_u32_e32 v7, vcc_lo, v11, v47, vcc_lo
	v_add_co_u32 v8, vcc_lo, v10, v48
	v_add_co_ci_u32_e32 v9, vcc_lo, v11, v49, vcc_lo
	;; [unrolled: 2-line block ×3, first 2 shown]
	s_clause 0x5
	global_load_b128 v[32:35], v[2:3], off slc dlc
	global_load_b128 v[24:27], v[4:5], off slc dlc
	;; [unrolled: 1-line block ×6, first 2 shown]
	v_dual_mov_b32 v8, 0 :: v_dual_mov_b32 v9, 0
	v_dual_mov_b32 v10, 0 :: v_dual_mov_b32 v11, 0
	s_mov_b32 s15, exec_lo
	v_cmpx_gt_u32_e64 s16, v64
	s_cbranch_execz .LBB46_15
; %bb.27:                               ;   in Loop: Header=BB46_17 Depth=2
	v_subrev_nc_u32_e32 v8, s3, v64
	v_dual_mov_b32 v10, 0 :: v_dual_mov_b32 v9, 0
	v_dual_mov_b32 v18, 0 :: v_dual_mov_b32 v17, 0
	s_delay_alu instid0(VALU_DEP_3) | instskip(SKIP_2) | instid1(VALU_DEP_3)
	v_dual_mov_b32 v11, 0 :: v_dual_lshlrev_b32 v64, 1, v8
	v_dual_mov_b32 v8, 0 :: v_dual_mov_b32 v19, 0
	v_mov_b32_e32 v16, 0
	v_lshl_add_u32 v44, s24, 1, v64
	s_mov_b32 s36, exec_lo
	ds_load_b128 v[36:39], v64
	ds_load_b128 v[28:31], v44
	v_cmpx_gt_u32_e64 s16, v65
	s_cbranch_execz .LBB46_14
; %bb.28:                               ;   in Loop: Header=BB46_17 Depth=2
	ds_load_b128 v[16:19], v64 offset:512
	ds_load_b128 v[8:11], v44 offset:512
	s_branch .LBB46_14
.LBB46_29:                              ;   in Loop: Header=BB46_12 Depth=1
	s_mov_b32 s1, exec_lo
	v_cmpx_le_u32_e64 s19, v43
	s_xor_b32 s1, exec_lo, s1
; %bb.30:                               ;   in Loop: Header=BB46_12 Depth=1
	v_add_nc_u32_e32 v43, s21, v43
                                        ; implicit-def: $vgpr63
                                        ; implicit-def: $vgpr62
                                        ; implicit-def: $vgpr61
                                        ; implicit-def: $vgpr60
                                        ; implicit-def: $vgpr59
                                        ; implicit-def: $vgpr58
; %bb.31:                               ;   in Loop: Header=BB46_12 Depth=1
	s_and_not1_saveexec_b32 s36, s1
	s_cbranch_execz .LBB46_11
; %bb.32:                               ;   in Loop: Header=BB46_12 Depth=1
	v_cvt_i32_f32_e32 v0, v63
	v_xor_b32_e32 v1, 16, v57
	s_waitcnt lgkmcnt(0)
	v_cvt_i32_f32_e32 v5, v59
	v_cvt_i32_f32_e32 v6, v58
	;; [unrolled: 1-line block ×3, first 2 shown]
	v_cvt_f32_i32_dpp v0, v0 row_shr:8 row_mask:0xf bank_mask:0xf bound_ctrl:1
	v_cmp_gt_i32_e32 vcc_lo, 32, v1
	v_cvt_i32_f32_e32 v3, v61
	v_cvt_i32_f32_e32 v4, v60
	v_cvt_f32_i32_dpp v5, v5 row_shr:8 row_mask:0xf bank_mask:0xf bound_ctrl:1
	v_dual_add_f32 v0, v63, v0 :: v_dual_cndmask_b32 v1, v57, v1
	v_cvt_f32_i32_dpp v6, v6 row_shr:8 row_mask:0xf bank_mask:0xf bound_ctrl:1
	v_cvt_f32_i32_dpp v2, v2 row_shr:8 row_mask:0xf bank_mask:0xf bound_ctrl:1
	;; [unrolled: 1-line block ×4, first 2 shown]
	v_cvt_i32_f32_e32 v7, v0
	v_dual_add_f32 v5, v59, v5 :: v_dual_add_f32 v6, v58, v6
	s_waitcnt vmcnt(0)
	v_lshlrev_b32_e32 v13, 2, v1
	v_dual_add_f32 v1, v62, v2 :: v_dual_add_f32 v4, v60, v4
	v_add_f32_e32 v2, v61, v3
	v_cvt_f32_i32_dpp v3, v7 row_shr:4 row_mask:0xf bank_mask:0xf bound_ctrl:1
	v_cvt_i32_f32_e32 v10, v6
	v_cvt_i32_f32_e32 v9, v5
	;; [unrolled: 1-line block ×4, first 2 shown]
	s_delay_alu instid0(VALU_DEP_4)
	v_cvt_f32_i32_dpp v10, v10 row_shr:4 row_mask:0xf bank_mask:0xf bound_ctrl:1
	v_add_f32_e32 v0, v0, v3
	v_cvt_i32_f32_e32 v3, v2
	v_cvt_f32_i32_dpp v8, v8 row_shr:4 row_mask:0xf bank_mask:0xf bound_ctrl:1
	v_cvt_f32_i32_dpp v9, v9 row_shr:4 row_mask:0xf bank_mask:0xf bound_ctrl:1
	;; [unrolled: 1-line block ×3, first 2 shown]
	s_delay_alu instid0(VALU_DEP_4) | instskip(NEXT) | instid1(VALU_DEP_1)
	v_cvt_f32_i32_dpp v3, v3 row_shr:4 row_mask:0xf bank_mask:0xf bound_ctrl:1
	v_dual_add_f32 v2, v2, v3 :: v_dual_add_f32 v3, v4, v8
	s_delay_alu instid0(VALU_DEP_4) | instskip(SKIP_1) | instid1(VALU_DEP_3)
	v_dual_add_f32 v4, v5, v9 :: v_dual_add_f32 v5, v6, v10
	v_cvt_i32_f32_e32 v11, v0
	v_cvt_i32_f32_e32 v9, v3
	s_delay_alu instid0(VALU_DEP_2) | instskip(NEXT) | instid1(VALU_DEP_2)
	v_cvt_f32_i32_dpp v11, v11 row_shr:2 row_mask:0xf bank_mask:0xf bound_ctrl:1
	v_cvt_f32_i32_dpp v9, v9 row_shr:2 row_mask:0xf bank_mask:0xf bound_ctrl:1
	v_add_f32_e32 v1, v1, v7
	v_cvt_i32_f32_e32 v7, v2
	s_delay_alu instid0(VALU_DEP_4) | instskip(SKIP_1) | instid1(VALU_DEP_4)
	v_add_f32_e32 v0, v0, v11
	v_cvt_i32_f32_e32 v11, v5
	v_cvt_i32_f32_e32 v6, v1
	s_delay_alu instid0(VALU_DEP_4) | instskip(NEXT) | instid1(VALU_DEP_3)
	v_cvt_f32_i32_dpp v7, v7 row_shr:2 row_mask:0xf bank_mask:0xf bound_ctrl:1
	v_cvt_f32_i32_dpp v14, v11 row_shr:2 row_mask:0xf bank_mask:0xf bound_ctrl:1
	s_delay_alu instid0(VALU_DEP_3) | instskip(NEXT) | instid1(VALU_DEP_2)
	v_cvt_f32_i32_dpp v6, v6 row_shr:2 row_mask:0xf bank_mask:0xf bound_ctrl:1
	v_add_f32_e32 v5, v5, v14
	v_cvt_i32_f32_e32 v8, v0
	s_delay_alu instid0(VALU_DEP_1) | instskip(NEXT) | instid1(VALU_DEP_1)
	v_cvt_f32_i32_dpp v8, v8 row_shr:1 row_mask:0xf bank_mask:0xf bound_ctrl:1
	v_add_f32_e32 v11, v0, v8
	v_cvt_i32_f32_e32 v10, v4
	v_dual_add_f32 v0, v1, v6 :: v_dual_add_f32 v1, v2, v7
	v_add_f32_e32 v2, v3, v9
	v_cvt_i32_f32_e32 v9, v5
	s_delay_alu instid0(VALU_DEP_4) | instskip(SKIP_3) | instid1(VALU_DEP_2)
	v_cvt_f32_i32_dpp v10, v10 row_shr:2 row_mask:0xf bank_mask:0xf bound_ctrl:1
	ds_bpermute_b32 v12, v13, v11
	v_cvt_i32_f32_e32 v6, v1
	v_cvt_i32_f32_e32 v7, v2
	v_cvt_f32_i32_dpp v6, v6 row_shr:1 row_mask:0xf bank_mask:0xf bound_ctrl:1
	s_delay_alu instid0(VALU_DEP_2) | instskip(SKIP_3) | instid1(VALU_DEP_4)
	v_cvt_f32_i32_dpp v7, v7 row_shr:1 row_mask:0xf bank_mask:0xf bound_ctrl:1
	v_add_f32_e32 v3, v4, v10
	v_cvt_i32_f32_e32 v4, v0
	v_cvt_f32_i32_dpp v10, v9 row_shr:1 row_mask:0xf bank_mask:0xf bound_ctrl:1
	v_dual_add_f32 v1, v1, v6 :: v_dual_add_f32 v6, v2, v7
	s_delay_alu instid0(VALU_DEP_4) | instskip(NEXT) | instid1(VALU_DEP_4)
	v_cvt_i32_f32_e32 v8, v3
	v_cvt_f32_i32_dpp v4, v4 row_shr:1 row_mask:0xf bank_mask:0xf bound_ctrl:1
	s_delay_alu instid0(VALU_DEP_4) | instskip(SKIP_3) | instid1(VALU_DEP_2)
	v_add_f32_e32 v2, v5, v10
	ds_bpermute_b32 v7, v13, v6
	v_cvt_f32_i32_dpp v8, v8 row_shr:1 row_mask:0xf bank_mask:0xf bound_ctrl:1
	v_add_f32_e32 v9, v0, v4
	v_add_f32_e32 v4, v3, v8
	ds_bpermute_b32 v10, v13, v9
	ds_bpermute_b32 v8, v13, v1
	;; [unrolled: 1-line block ×4, first 2 shown]
	s_and_saveexec_b32 s14, s0
	s_cbranch_execz .LBB46_42
; %bb.33:                               ;   in Loop: Header=BB46_12 Depth=1
	v_dual_mov_b32 v18, 0 :: v_dual_mov_b32 v17, 0
	v_dual_mov_b32 v15, 0 :: v_dual_add_nc_u32 v0, 2, v43
	v_dual_mov_b32 v16, 0 :: v_dual_mov_b32 v13, 0
	v_mov_b32_e32 v14, 0
	s_and_not1_b32 vcc_lo, exec_lo, s30
	s_cbranch_vccnz .LBB46_35
; %bb.34:                               ;   in Loop: Header=BB46_12 Depth=1
	v_mul_hi_u32 v13, v43, v56
	v_mul_hi_u32 v15, v0, v56
	s_delay_alu instid0(VALU_DEP_2) | instskip(NEXT) | instid1(VALU_DEP_2)
	v_mul_lo_u32 v13, v13, s4
	v_mul_lo_u32 v15, v15, s4
	s_delay_alu instid0(VALU_DEP_2) | instskip(NEXT) | instid1(VALU_DEP_2)
	v_sub_nc_u32_e32 v13, v43, v13
	v_sub_nc_u32_e32 v15, v0, v15
	s_delay_alu instid0(VALU_DEP_2) | instskip(SKIP_1) | instid1(VALU_DEP_2)
	v_subrev_nc_u32_e32 v17, s4, v13
	v_cmp_le_u32_e32 vcc_lo, s4, v13
	v_dual_cndmask_b32 v13, v13, v17 :: v_dual_add_nc_u32 v14, 1, v43
	s_delay_alu instid0(VALU_DEP_1) | instskip(SKIP_1) | instid1(VALU_DEP_3)
	v_mul_hi_u32 v16, v14, v56
	v_cmp_le_u32_e32 vcc_lo, s4, v15
	v_subrev_nc_u32_e32 v18, s4, v13
	s_delay_alu instid0(VALU_DEP_3) | instskip(NEXT) | instid1(VALU_DEP_1)
	v_mul_lo_u32 v16, v16, s4
	v_sub_nc_u32_e32 v16, v14, v16
	v_subrev_nc_u32_e32 v14, s4, v15
	s_delay_alu instid0(VALU_DEP_2) | instskip(NEXT) | instid1(VALU_DEP_2)
	v_subrev_nc_u32_e32 v17, s4, v16
	v_dual_cndmask_b32 v15, v15, v14 :: v_dual_mov_b32 v14, v45
	v_cmp_le_u32_e32 vcc_lo, s4, v16
	s_delay_alu instid0(VALU_DEP_3) | instskip(SKIP_1) | instid1(VALU_DEP_4)
	v_cndmask_b32_e32 v19, v16, v17, vcc_lo
	v_cmp_le_u32_e32 vcc_lo, s4, v13
	v_subrev_nc_u32_e32 v17, s4, v15
	v_cndmask_b32_e32 v44, v13, v18, vcc_lo
	v_cmp_le_u32_e32 vcc_lo, s4, v15
	v_mov_b32_e32 v16, v45
	v_subrev_nc_u32_e32 v13, s4, v19
	v_cndmask_b32_e32 v15, v15, v17, vcc_lo
	v_cmp_le_u32_e32 vcc_lo, s4, v19
	v_lshlrev_b64 v[17:18], 1, v[44:45]
	s_delay_alu instid0(VALU_DEP_4) | instskip(NEXT) | instid1(VALU_DEP_4)
	v_dual_cndmask_b32 v13, v19, v13 :: v_dual_add_nc_u32 v44, s33, v44
	v_lshlrev_b64 v[19:20], 1, v[15:16]
	s_delay_alu instid0(VALU_DEP_2) | instskip(NEXT) | instid1(VALU_DEP_3)
	v_lshlrev_b64 v[23:24], 1, v[44:45]
	v_add_nc_u32_e32 v44, s33, v13
	v_lshlrev_b64 v[21:22], 1, v[13:14]
	v_add_co_u32 v13, vcc_lo, s10, v17
	v_add_co_ci_u32_e32 v14, vcc_lo, s11, v18, vcc_lo
	v_add_co_u32 v19, vcc_lo, s10, v19
	v_lshlrev_b64 v[16:17], 1, v[44:45]
	v_add_nc_u32_e32 v44, s33, v15
	v_add_co_ci_u32_e32 v20, vcc_lo, s11, v20, vcc_lo
	v_add_co_u32 v21, vcc_lo, s10, v21
	v_add_co_ci_u32_e32 v22, vcc_lo, s11, v22, vcc_lo
	v_add_co_u32 v23, vcc_lo, s10, v23
	v_lshlrev_b64 v[25:26], 1, v[44:45]
	v_add_co_ci_u32_e32 v24, vcc_lo, s11, v24, vcc_lo
	v_add_co_u32 v27, vcc_lo, s10, v16
	v_add_co_ci_u32_e32 v28, vcc_lo, s11, v17, vcc_lo
	s_delay_alu instid0(VALU_DEP_4)
	v_add_co_u32 v25, vcc_lo, s10, v25
	v_add_co_ci_u32_e32 v26, vcc_lo, s11, v26, vcc_lo
	s_clause 0x5
	global_load_u16 v18, v[13:14], off
	global_load_u16 v17, v[21:22], off
	;; [unrolled: 1-line block ×6, first 2 shown]
.LBB46_35:                              ;   in Loop: Header=BB46_12 Depth=1
	v_cmp_ne_u32_e32 vcc_lo, 0, v40
	s_and_saveexec_b32 s2, vcc_lo
	s_cbranch_execnz .LBB46_47
; %bb.36:                               ;   in Loop: Header=BB46_12 Depth=1
	s_or_b32 exec_lo, exec_lo, s2
	v_cmp_ne_u32_e64 s1, 0, v41
	s_delay_alu instid0(VALU_DEP_1)
	s_and_saveexec_b32 s3, s1
	s_cbranch_execnz .LBB46_48
.LBB46_37:                              ;   in Loop: Header=BB46_12 Depth=1
	s_or_b32 exec_lo, exec_lo, s3
	v_cmp_ne_u32_e64 s2, 0, v42
	s_delay_alu instid0(VALU_DEP_1)
	s_and_saveexec_b32 s15, s2
	s_cbranch_execnz .LBB46_49
.LBB46_38:                              ;   in Loop: Header=BB46_12 Depth=1
	s_or_b32 exec_lo, exec_lo, s15
	v_add_nc_u32_e32 v44, s19, v43
	s_and_saveexec_b32 s3, vcc_lo
	s_cbranch_execnz .LBB46_50
.LBB46_39:                              ;   in Loop: Header=BB46_12 Depth=1
	s_or_b32 exec_lo, exec_lo, s3
	s_and_saveexec_b32 s3, s1
	s_cbranch_execnz .LBB46_51
.LBB46_40:                              ;   in Loop: Header=BB46_12 Depth=1
	s_or_b32 exec_lo, exec_lo, s3
	s_delay_alu instid0(SALU_CYCLE_1)
	s_and_b32 exec_lo, exec_lo, s2
	s_cbranch_execz .LBB46_42
.LBB46_41:                              ;   in Loop: Header=BB46_12 Depth=1
	s_waitcnt lgkmcnt(1)
	v_add_f32_e32 v0, v2, v3
	s_waitcnt vmcnt(0)
	v_cvt_f32_f16_e32 v1, v13
	v_add_nc_u32_e32 v44, 2, v44
	s_delay_alu instid0(VALU_DEP_2) | instskip(NEXT) | instid1(VALU_DEP_2)
	v_add_f32_e32 v2, v0, v1
	v_lshlrev_b64 v[0:1], 1, v[44:45]
	s_delay_alu instid0(VALU_DEP_2) | instskip(NEXT) | instid1(VALU_DEP_2)
	v_cvt_f16_f32_e32 v2, v2
	v_add_co_u32 v0, vcc_lo, s12, v0
	s_delay_alu instid0(VALU_DEP_3)
	v_add_co_ci_u32_e32 v1, vcc_lo, s13, v1, vcc_lo
	global_store_b16 v[0:1], v2, off
.LBB46_42:                              ;   in Loop: Header=BB46_12 Depth=1
	s_or_b32 exec_lo, exec_lo, s14
	v_add_nc_u32_e32 v43, s21, v43
	s_delay_alu instid0(VALU_DEP_1) | instskip(SKIP_1) | instid1(VALU_DEP_2)
	v_add_nc_u32_e32 v0, 3, v43
	v_cmp_gt_u32_e32 vcc_lo, s19, v43
	v_cmp_le_u32_e64 s1, s19, v0
	s_delay_alu instid0(VALU_DEP_1) | instskip(NEXT) | instid1(SALU_CYCLE_1)
	s_and_b32 s1, vcc_lo, s1
	s_and_saveexec_b32 s37, s1
	s_cbranch_execz .LBB46_10
; %bb.43:                               ;   in Loop: Header=BB46_12 Depth=1
	s_mov_b32 s38, exec_lo
	v_cmpx_ne_u32_e64 s5, v43
	s_cbranch_execz .LBB46_9
; %bb.44:                               ;   in Loop: Header=BB46_12 Depth=1
	v_subrev_nc_u32_e32 v0, s5, v43
	s_mov_b32 s39, 0
	s_mov_b64 s[14:15], 0
	s_delay_alu instid0(VALU_DEP_1)
	v_cmp_lt_u32_e32 vcc_lo, 1, v0
	v_cndmask_b32_e32 v0, 1, v0, vcc_lo
	.p2align	6
.LBB46_45:                              ;   Parent Loop BB46_12 Depth=1
                                        ; =>  This Inner Loop Header: Depth=2
	s_cmp_lg_u32 s14, 2
	s_cselect_b32 vcc_lo, -1, 0
	s_cmp_lg_u32 s14, 1
	v_cndmask_b32_e32 v42, 0, v42, vcc_lo
	s_cselect_b32 s1, -1, 0
	s_cmp_lg_u32 s14, 0
	v_cndmask_b32_e64 v41, 0, v41, s1
	s_cselect_b32 s2, -1, 0
	s_add_u32 s14, s14, 1
	v_cndmask_b32_e64 v40, 0, v40, s2
	v_cmp_eq_u32_e64 s3, s14, v0
	s_addc_u32 s15, s15, 0
	s_delay_alu instid0(VALU_DEP_1) | instskip(NEXT) | instid1(SALU_CYCLE_1)
	s_or_b32 s39, s3, s39
	s_and_not1_b32 exec_lo, exec_lo, s39
	s_cbranch_execnz .LBB46_45
; %bb.46:                               ;   in Loop: Header=BB46_12 Depth=1
	s_or_b32 exec_lo, exec_lo, s39
	s_branch .LBB46_9
.LBB46_47:                              ;   in Loop: Header=BB46_12 Depth=1
	s_waitcnt lgkmcnt(5)
	v_dual_add_f32 v11, v11, v12 :: v_dual_mov_b32 v44, v45
	s_waitcnt vmcnt(5)
	v_cvt_f32_f16_e32 v12, v18
	s_delay_alu instid0(VALU_DEP_1) | instskip(NEXT) | instid1(VALU_DEP_3)
	v_add_f32_e32 v18, v11, v12
	v_lshlrev_b64 v[11:12], 1, v[43:44]
	s_delay_alu instid0(VALU_DEP_2) | instskip(NEXT) | instid1(VALU_DEP_2)
	v_cvt_f16_f32_e32 v18, v18
	v_add_co_u32 v11, s1, s12, v11
	s_delay_alu instid0(VALU_DEP_1) | instskip(SKIP_3) | instid1(VALU_DEP_1)
	v_add_co_ci_u32_e64 v12, s1, s13, v12, s1
	global_store_b16 v[11:12], v18, off
	s_or_b32 exec_lo, exec_lo, s2
	v_cmp_ne_u32_e64 s1, 0, v41
	s_and_saveexec_b32 s3, s1
	s_cbranch_execz .LBB46_37
.LBB46_48:                              ;   in Loop: Header=BB46_12 Depth=1
	s_waitcnt lgkmcnt(3)
	v_add_f32_e32 v9, v9, v10
	s_waitcnt vmcnt(4)
	v_cvt_f32_f16_e32 v10, v17
	v_mov_b32_e32 v44, v45
	s_delay_alu instid0(VALU_DEP_2) | instskip(NEXT) | instid1(VALU_DEP_2)
	v_add_f32_e32 v11, v9, v10
	v_lshlrev_b64 v[9:10], 1, v[43:44]
	s_delay_alu instid0(VALU_DEP_2) | instskip(NEXT) | instid1(VALU_DEP_2)
	v_cvt_f16_f32_e32 v11, v11
	v_add_co_u32 v9, s2, s31, v9
	s_delay_alu instid0(VALU_DEP_1) | instskip(SKIP_3) | instid1(VALU_DEP_1)
	v_add_co_ci_u32_e64 v10, s2, s34, v10, s2
	global_store_b16 v[9:10], v11, off
	s_or_b32 exec_lo, exec_lo, s3
	v_cmp_ne_u32_e64 s2, 0, v42
	s_and_saveexec_b32 s15, s2
	s_cbranch_execz .LBB46_38
.LBB46_49:                              ;   in Loop: Header=BB46_12 Depth=1
	s_waitcnt lgkmcnt(2)
	v_add_f32_e32 v8, v1, v8
	s_waitcnt vmcnt(3)
	v_cvt_f32_f16_e32 v9, v16
	s_delay_alu instid0(VALU_DEP_1) | instskip(NEXT) | instid1(VALU_DEP_1)
	v_dual_mov_b32 v1, v45 :: v_dual_add_f32 v8, v8, v9
	v_lshlrev_b64 v[0:1], 1, v[0:1]
	s_delay_alu instid0(VALU_DEP_2) | instskip(NEXT) | instid1(VALU_DEP_2)
	v_cvt_f16_f32_e32 v8, v8
	v_add_co_u32 v0, s3, s12, v0
	s_delay_alu instid0(VALU_DEP_1)
	v_add_co_ci_u32_e64 v1, s3, s13, v1, s3
	global_store_b16 v[0:1], v8, off
	s_or_b32 exec_lo, exec_lo, s15
	v_add_nc_u32_e32 v44, s19, v43
	s_and_saveexec_b32 s3, vcc_lo
	s_cbranch_execz .LBB46_39
.LBB46_50:                              ;   in Loop: Header=BB46_12 Depth=1
	s_waitcnt lgkmcnt(4)
	v_add_f32_e32 v0, v6, v7
	s_waitcnt vmcnt(2)
	v_cvt_f32_f16_e32 v1, v15
	s_delay_alu instid0(VALU_DEP_1) | instskip(SKIP_1) | instid1(VALU_DEP_2)
	v_add_f32_e32 v6, v0, v1
	v_lshlrev_b64 v[0:1], 1, v[44:45]
	v_cvt_f16_f32_e32 v6, v6
	s_delay_alu instid0(VALU_DEP_2) | instskip(NEXT) | instid1(VALU_DEP_3)
	v_add_co_u32 v0, vcc_lo, s12, v0
	v_add_co_ci_u32_e32 v1, vcc_lo, s13, v1, vcc_lo
	global_store_b16 v[0:1], v6, off
	s_or_b32 exec_lo, exec_lo, s3
	s_and_saveexec_b32 s3, s1
	s_cbranch_execz .LBB46_40
.LBB46_51:                              ;   in Loop: Header=BB46_12 Depth=1
	s_waitcnt lgkmcnt(0)
	v_dual_add_f32 v4, v4, v5 :: v_dual_mov_b32 v1, v45
	v_add_nc_u32_e32 v0, 1, v44
	s_waitcnt vmcnt(1)
	v_cvt_f32_f16_e32 v5, v14
	s_delay_alu instid0(VALU_DEP_2) | instskip(NEXT) | instid1(VALU_DEP_2)
	v_lshlrev_b64 v[0:1], 1, v[0:1]
	v_add_f32_e32 v4, v4, v5
	s_delay_alu instid0(VALU_DEP_1) | instskip(NEXT) | instid1(VALU_DEP_3)
	v_cvt_f16_f32_e32 v4, v4
	v_add_co_u32 v0, vcc_lo, s12, v0
	s_delay_alu instid0(VALU_DEP_4) | instskip(SKIP_2) | instid1(SALU_CYCLE_1)
	v_add_co_ci_u32_e32 v1, vcc_lo, s13, v1, vcc_lo
	global_store_b16 v[0:1], v4, off
	s_or_b32 exec_lo, exec_lo, s3
	s_and_b32 exec_lo, exec_lo, s2
	s_cbranch_execnz .LBB46_41
	s_branch .LBB46_42
.LBB46_52:
	s_nop 0
	s_sendmsg sendmsg(MSG_DEALLOC_VGPRS)
	s_endpgm
	.section	.rodata,"a",@progbits
	.p2align	6, 0x0
	.amdhsa_kernel _Z16wvSplitK_hf_big_I6__halfLi32ELi3ELi16ELi8ELi2ELi2EEviiiiiiPKT_S3_S3_PS1_ii
		.amdhsa_group_segment_fixed_size 65536
		.amdhsa_private_segment_fixed_size 0
		.amdhsa_kernarg_size 64
		.amdhsa_user_sgpr_count 15
		.amdhsa_user_sgpr_dispatch_ptr 0
		.amdhsa_user_sgpr_queue_ptr 0
		.amdhsa_user_sgpr_kernarg_segment_ptr 1
		.amdhsa_user_sgpr_dispatch_id 0
		.amdhsa_user_sgpr_private_segment_size 0
		.amdhsa_wavefront_size32 1
		.amdhsa_uses_dynamic_stack 0
		.amdhsa_enable_private_segment 0
		.amdhsa_system_sgpr_workgroup_id_x 1
		.amdhsa_system_sgpr_workgroup_id_y 0
		.amdhsa_system_sgpr_workgroup_id_z 0
		.amdhsa_system_sgpr_workgroup_info 0
		.amdhsa_system_vgpr_workitem_id 1
		.amdhsa_next_free_vgpr 66
		.amdhsa_next_free_sgpr 40
		.amdhsa_reserve_vcc 1
		.amdhsa_float_round_mode_32 0
		.amdhsa_float_round_mode_16_64 0
		.amdhsa_float_denorm_mode_32 3
		.amdhsa_float_denorm_mode_16_64 3
		.amdhsa_dx10_clamp 1
		.amdhsa_ieee_mode 1
		.amdhsa_fp16_overflow 0
		.amdhsa_workgroup_processor_mode 1
		.amdhsa_memory_ordered 1
		.amdhsa_forward_progress 0
		.amdhsa_shared_vgpr_count 0
		.amdhsa_exception_fp_ieee_invalid_op 0
		.amdhsa_exception_fp_denorm_src 0
		.amdhsa_exception_fp_ieee_div_zero 0
		.amdhsa_exception_fp_ieee_overflow 0
		.amdhsa_exception_fp_ieee_underflow 0
		.amdhsa_exception_fp_ieee_inexact 0
		.amdhsa_exception_int_div_zero 0
	.end_amdhsa_kernel
	.section	.text._Z16wvSplitK_hf_big_I6__halfLi32ELi3ELi16ELi8ELi2ELi2EEviiiiiiPKT_S3_S3_PS1_ii,"axG",@progbits,_Z16wvSplitK_hf_big_I6__halfLi32ELi3ELi16ELi8ELi2ELi2EEviiiiiiPKT_S3_S3_PS1_ii,comdat
.Lfunc_end46:
	.size	_Z16wvSplitK_hf_big_I6__halfLi32ELi3ELi16ELi8ELi2ELi2EEviiiiiiPKT_S3_S3_PS1_ii, .Lfunc_end46-_Z16wvSplitK_hf_big_I6__halfLi32ELi3ELi16ELi8ELi2ELi2EEviiiiiiPKT_S3_S3_PS1_ii
                                        ; -- End function
	.section	.AMDGPU.csdata,"",@progbits
; Kernel info:
; codeLenInByte = 4368
; NumSgprs: 42
; NumVgprs: 66
; ScratchSize: 0
; MemoryBound: 0
; FloatMode: 240
; IeeeMode: 1
; LDSByteSize: 65536 bytes/workgroup (compile time only)
; SGPRBlocks: 5
; VGPRBlocks: 8
; NumSGPRsForWavesPerEU: 42
; NumVGPRsForWavesPerEU: 66
; Occupancy: 8
; WaveLimiterHint : 0
; COMPUTE_PGM_RSRC2:SCRATCH_EN: 0
; COMPUTE_PGM_RSRC2:USER_SGPR: 15
; COMPUTE_PGM_RSRC2:TRAP_HANDLER: 0
; COMPUTE_PGM_RSRC2:TGID_X_EN: 1
; COMPUTE_PGM_RSRC2:TGID_Y_EN: 0
; COMPUTE_PGM_RSRC2:TGID_Z_EN: 0
; COMPUTE_PGM_RSRC2:TIDIG_COMP_CNT: 1
	.section	.text._Z16wvSplitK_hf_sml_I6__halfLi32ELi4ELi16ELi8ELi1ELi2EEviiiiiiPKT_S3_S3_PS1_ii,"axG",@progbits,_Z16wvSplitK_hf_sml_I6__halfLi32ELi4ELi16ELi8ELi1ELi2EEviiiiiiPKT_S3_S3_PS1_ii,comdat
	.protected	_Z16wvSplitK_hf_sml_I6__halfLi32ELi4ELi16ELi8ELi1ELi2EEviiiiiiPKT_S3_S3_PS1_ii ; -- Begin function _Z16wvSplitK_hf_sml_I6__halfLi32ELi4ELi16ELi8ELi1ELi2EEviiiiiiPKT_S3_S3_PS1_ii
	.globl	_Z16wvSplitK_hf_sml_I6__halfLi32ELi4ELi16ELi8ELi1ELi2EEviiiiiiPKT_S3_S3_PS1_ii
	.p2align	8
	.type	_Z16wvSplitK_hf_sml_I6__halfLi32ELi4ELi16ELi8ELi1ELi2EEviiiiiiPKT_S3_S3_PS1_ii,@function
_Z16wvSplitK_hf_sml_I6__halfLi32ELi4ELi16ELi8ELi1ELi2EEviiiiiiPKT_S3_S3_PS1_ii: ; @_Z16wvSplitK_hf_sml_I6__halfLi32ELi4ELi16ELi8ELi1ELi2EEviiiiiiPKT_S3_S3_PS1_ii
; %bb.0:
	s_load_b128 s[4:7], s[0:1], 0x0
	v_and_b32_e32 v1, 0x3ff, v0
	v_bfe_u32 v0, v0, 10, 10
	s_mov_b32 s8, exec_lo
	s_delay_alu instid0(VALU_DEP_2) | instskip(NEXT) | instid1(VALU_DEP_1)
	v_lshlrev_b32_e32 v35, 3, v1
	v_lshl_add_u32 v3, v0, 8, v35
	s_waitcnt lgkmcnt(0)
	s_lshl_b32 s6, s6, 1
	s_delay_alu instid0(SALU_CYCLE_1)
	s_min_u32 s9, s6, 0x8000
	s_delay_alu instid0(VALU_DEP_1) | instid1(SALU_CYCLE_1)
	v_cmpx_gt_u32_e64 s9, v3
	s_cbranch_execz .LBB47_9
; %bb.1:
	s_load_b64 s[2:3], s[0:1], 0x20
	v_lshlrev_b32_e32 v2, 1, v3
	v_add_nc_u32_e32 v8, 0x1000, v3
	s_mov_b32 s10, exec_lo
	s_waitcnt lgkmcnt(0)
	global_load_b128 v[4:7], v2, s[2:3]
	s_waitcnt vmcnt(0)
	ds_store_b128 v2, v[4:7]
	v_cmpx_gt_u32_e64 s9, v8
	s_xor_b32 s10, exec_lo, s10
	s_cbranch_execz .LBB47_9
; %bb.2:
	v_add_co_u32 v4, s2, s2, v2
	s_delay_alu instid0(VALU_DEP_1) | instskip(SKIP_1) | instid1(VALU_DEP_3)
	v_add_co_ci_u32_e64 v5, null, s3, 0, s2
	v_add_nc_u32_e32 v10, 0x2000, v3
	v_add_co_u32 v6, vcc_lo, 0x2000, v4
	s_delay_alu instid0(VALU_DEP_3)
	v_add_co_ci_u32_e32 v7, vcc_lo, 0, v5, vcc_lo
	s_mov_b32 s2, exec_lo
	global_load_b128 v[6:9], v[6:7], off
	s_waitcnt vmcnt(0)
	ds_store_b128 v2, v[6:9] offset:8192
	v_cmpx_gt_u32_e64 s9, v10
	s_xor_b32 s2, exec_lo, s2
	s_cbranch_execz .LBB47_9
; %bb.3:
	v_add_co_u32 v6, vcc_lo, 0x4000, v4
	v_add_co_ci_u32_e32 v7, vcc_lo, 0, v5, vcc_lo
	v_add_nc_u32_e32 v10, 0x3000, v3
	s_mov_b32 s2, exec_lo
	global_load_b128 v[6:9], v[6:7], off
	s_waitcnt vmcnt(0)
	ds_store_b128 v2, v[6:9] offset:16384
	v_cmpx_gt_u32_e64 s9, v10
	s_xor_b32 s2, exec_lo, s2
	s_cbranch_execz .LBB47_9
; %bb.4:
	v_add_co_u32 v6, vcc_lo, 0x6000, v4
	v_add_co_ci_u32_e32 v7, vcc_lo, 0, v5, vcc_lo
	v_add_nc_u32_e32 v10, 0x4000, v3
	;; [unrolled: 11-line block ×5, first 2 shown]
	s_mov_b32 s2, exec_lo
	global_load_b128 v[6:9], v[6:7], off
	s_waitcnt vmcnt(0)
	ds_store_b128 v2, v[6:9] offset:49152
	v_cmpx_gt_u32_e64 s9, v3
	s_xor_b32 s2, exec_lo, s2
	s_cbranch_execz .LBB47_9
; %bb.8:
	v_add_co_u32 v3, vcc_lo, 0xe000, v4
	v_add_co_ci_u32_e32 v4, vcc_lo, 0, v5, vcc_lo
	global_load_b128 v[3:6], v[3:4], off
	s_waitcnt vmcnt(0)
	ds_store_b128 v2, v[3:6] offset:57344
.LBB47_9:
	s_or_b32 exec_lo, exec_lo, s8
	s_load_b64 s[16:17], s[0:1], 0x38
	s_waitcnt lgkmcnt(0)
	s_barrier
	buffer_gl0_inv
	s_mov_b32 s2, exec_lo
	v_cmpx_gt_u32_e64 s16, v0
	s_cbranch_execz .LBB47_24
; %bb.10:
	s_load_b64 s[2:3], s[0:1], 0x10
	s_mul_i32 s15, s15, s16
	s_delay_alu instid0(SALU_CYCLE_1) | instskip(NEXT) | instid1(VALU_DEP_1)
	v_add_lshl_u32 v24, s15, v0, 2
	v_cmp_gt_u32_e32 vcc_lo, s7, v24
	s_and_b32 exec_lo, exec_lo, vcc_lo
	s_cbranch_execz .LBB47_24
; %bb.11:
	s_waitcnt lgkmcnt(0)
	v_cvt_f32_u32_e32 v0, s2
	s_clause 0x1
	s_load_b128 s[8:11], s[0:1], 0x28
	s_load_b64 s[12:13], s[0:1], 0x18
	s_cmp_lg_u32 s4, 0
	s_mul_i32 s16, s16, s17
	v_rcp_iflag_f32_e32 v0, v0
	s_cselect_b32 s1, -1, 0
	s_add_i32 s14, s4, -8
	s_add_i32 s15, s7, -1
	v_lshlrev_b32_e32 v36, 4, v1
	v_mbcnt_lo_u32_b32 v37, -1, 0
	v_mov_b32_e32 v26, 0
	s_delay_alu instid0(VALU_DEP_2) | instskip(SKIP_2) | instid1(VALU_DEP_1)
	v_xor_b32_e32 v39, 16, v37
	s_waitcnt_depctr 0xfff
	v_mul_f32_e32 v0, 0x4f7ffffe, v0
	v_cvt_u32_f32_e32 v0, v0
	s_waitcnt lgkmcnt(0)
	s_cmp_lg_u64 s[8:9], 0
	s_cselect_b32 s18, -1, 0
	s_sub_i32 s0, 0, s2
	s_abs_i32 s3, s3
	v_mul_lo_u32 v2, s0, v0
	v_cmp_eq_u32_e64 s0, 31, v1
	s_lshl_b32 s16, s16, 2
	s_sub_i32 s17, 1, s3
	s_cmp_lt_u32 s3, 2
	s_cselect_b32 s17, s17, 1
	s_delay_alu instid0(VALU_DEP_2) | instskip(SKIP_4) | instid1(SALU_CYCLE_1)
	v_mul_hi_u32 v1, v0, v2
	s_sub_i32 s19, s17, s3
	s_cmp_ge_u32 s17, s3
	s_mov_b32 s3, 0
	s_cselect_b32 s17, s19, s17
	s_mul_i32 s17, s17, s2
	s_delay_alu instid0(VALU_DEP_1)
	v_add_nc_u32_e32 v38, v0, v1
	s_branch .LBB47_14
.LBB47_12:                              ;   in Loop: Header=BB47_14 Depth=1
	s_waitcnt lgkmcnt(5)
	v_dual_add_f32 v0, v0, v3 :: v_dual_add_f32 v3, v1, v4
	s_waitcnt vmcnt(7)
	v_cvt_f32_f16_e32 v1, v23
	v_add_f32_e32 v2, v2, v5
	s_waitcnt lgkmcnt(2)
	v_dual_add_f32 v4, v7, v12 :: v_dual_add_f32 v5, v8, v13
	s_waitcnt lgkmcnt(0)
	v_dual_add_f32 v11, v6, v11 :: v_dual_add_f32 v0, v0, v1
	s_waitcnt vmcnt(6)
	v_cvt_f32_f16_e32 v6, v22
	v_add_f32_e32 v7, v9, v14
	s_waitcnt vmcnt(5)
	v_cvt_f32_f16_e32 v8, v21
	s_waitcnt vmcnt(4)
	v_cvt_f32_f16_e32 v9, v20
	v_dual_add_f32 v10, v10, v15 :: v_dual_add_f32 v3, v3, v6
	s_waitcnt vmcnt(3)
	v_cvt_f32_f16_e32 v6, v19
	v_add_f32_e32 v2, v2, v8
	v_add_f32_e32 v4, v4, v9
	v_cvt_f16_f32_e32 v12, v0
	v_lshlrev_b64 v[0:1], 1, v[24:25]
	v_add_nc_u32_e32 v25, s7, v24
	v_add_f32_e32 v5, v5, v6
	s_waitcnt vmcnt(2)
	v_cvt_f32_f16_e32 v6, v18
	v_cvt_f16_f32_e32 v2, v2
	v_cvt_f16_f32_e32 v4, v4
	v_cvt_f16_f32_e32 v8, v3
	s_waitcnt vmcnt(1)
	v_cvt_f32_f16_e32 v14, v17
	v_dual_add_f32 v13, v7, v6 :: v_dual_add_nc_u32 v6, 1, v25
	v_mov_b32_e32 v7, v26
	v_pack_b32_f16 v3, v2, v4
	v_pack_b32_f16 v2, v12, v8
	v_add_nc_u32_e32 v8, 2, v25
	v_cvt_f16_f32_e32 v12, v5
	v_lshlrev_b64 v[4:5], 1, v[25:26]
	v_dual_add_f32 v10, v10, v14 :: v_dual_add_nc_u32 v25, 3, v25
	s_waitcnt vmcnt(0)
	v_cvt_f32_f16_e32 v14, v16
	v_mov_b32_e32 v9, v26
	v_add_co_u32 v0, vcc_lo, s10, v0
	v_lshlrev_b64 v[6:7], 1, v[6:7]
	s_delay_alu instid0(VALU_DEP_4)
	v_add_f32_e32 v14, v11, v14
	v_add_co_ci_u32_e32 v1, vcc_lo, s11, v1, vcc_lo
	v_add_co_u32 v4, vcc_lo, s10, v4
	v_lshlrev_b64 v[8:9], 1, v[8:9]
	v_add_co_ci_u32_e32 v5, vcc_lo, s11, v5, vcc_lo
	v_add_co_u32 v6, vcc_lo, s10, v6
	v_cvt_f16_f32_e32 v15, v10
	v_lshlrev_b64 v[10:11], 1, v[25:26]
	v_add_co_ci_u32_e32 v7, vcc_lo, s11, v7, vcc_lo
	v_add_co_u32 v8, vcc_lo, s10, v8
	v_add_co_ci_u32_e32 v9, vcc_lo, s11, v9, vcc_lo
	v_cvt_f16_f32_e32 v13, v13
	v_add_co_u32 v10, vcc_lo, s10, v10
	v_cvt_f16_f32_e32 v14, v14
	v_add_co_ci_u32_e32 v11, vcc_lo, s11, v11, vcc_lo
	s_clause 0x4
	global_store_b64 v[0:1], v[2:3], off
	global_store_b16 v[4:5], v12, off
	global_store_b16 v[6:7], v13, off
	;; [unrolled: 1-line block ×4, first 2 shown]
.LBB47_13:                              ;   in Loop: Header=BB47_14 Depth=1
	s_or_b32 exec_lo, exec_lo, s19
	v_add_nc_u32_e32 v24, s16, v24
	s_delay_alu instid0(VALU_DEP_1) | instskip(SKIP_1) | instid1(SALU_CYCLE_1)
	v_cmp_le_u32_e32 vcc_lo, s7, v24
	s_or_b32 s3, vcc_lo, s3
	s_and_not1_b32 exec_lo, exec_lo, s3
	s_cbranch_execz .LBB47_24
.LBB47_14:                              ; =>This Loop Header: Depth=1
                                        ;     Child Loop BB47_17 Depth 2
	v_mov_b32_e32 v47, v26
	v_mov_b32_e32 v46, v26
	;; [unrolled: 1-line block ×8, first 2 shown]
	s_and_not1_b32 vcc_lo, exec_lo, s1
	s_cbranch_vccnz .LBB47_19
; %bb.15:                               ;   in Loop: Header=BB47_14 Depth=1
	v_or_b32_e32 v0, 1, v24
	v_or_b32_e32 v1, 2, v24
	;; [unrolled: 1-line block ×3, first 2 shown]
	s_waitcnt lgkmcnt(5)
	v_min_u32_e32 v3, s15, v24
	v_dual_mov_b32 v5, v26 :: v_dual_mov_b32 v42, 0
	v_min_u32_e32 v0, s15, v0
	v_min_u32_e32 v1, s15, v1
	;; [unrolled: 1-line block ×3, first 2 shown]
	v_mul_lo_u32 v25, v3, s5
	v_dual_mov_b32 v3, v26 :: v_dual_mov_b32 v48, v36
	v_mul_lo_u32 v0, v0, s5
	v_mul_lo_u32 v2, v1, s5
	;; [unrolled: 1-line block ×3, first 2 shown]
	v_dual_mov_b32 v1, v26 :: v_dual_mov_b32 v40, 0
	v_lshlrev_b64 v[27:28], 1, v[25:26]
	v_dual_mov_b32 v43, 0 :: v_dual_mov_b32 v44, 0
	s_delay_alu instid0(VALU_DEP_3)
	v_lshlrev_b64 v[29:30], 1, v[0:1]
	v_lshlrev_b64 v[31:32], 1, v[2:3]
	;; [unrolled: 1-line block ×3, first 2 shown]
	v_dual_mov_b32 v41, 0 :: v_dual_mov_b32 v46, 0
	v_mov_b32_e32 v45, 0
	v_mov_b32_e32 v47, 0
	s_mov_b32 s19, 0
	s_branch .LBB47_17
.LBB47_16:                              ;   in Loop: Header=BB47_17 Depth=2
	s_or_b32 exec_lo, exec_lo, s20
	v_add_nc_u32_e32 v48, 0x200, v48
	s_addk_i32 s19, 0x100
	s_waitcnt vmcnt(3) lgkmcnt(1)
	;;#ASMSTART
	v_dot2_f32_f16 v47, v20, v16, v47
	;;#ASMEND
	s_waitcnt vmcnt(2)
	;;#ASMSTART
	v_dot2_f32_f16 v46, v20, v12, v46
	;;#ASMEND
	s_waitcnt vmcnt(1)
	;; [unrolled: 4-line block ×3, first 2 shown]
	;;#ASMSTART
	v_dot2_f32_f16 v44, v20, v0, v44
	;;#ASMEND
	s_waitcnt lgkmcnt(0)
	;;#ASMSTART
	v_dot2_f32_f16 v40, v4, v16, v40
	;;#ASMEND
	;;#ASMSTART
	v_dot2_f32_f16 v43, v4, v12, v43
	;;#ASMEND
	;;#ASMSTART
	v_dot2_f32_f16 v42, v4, v8, v42
	;;#ASMEND
	;;#ASMSTART
	v_dot2_f32_f16 v41, v4, v0, v41
	;;#ASMEND
	;;#ASMSTART
	v_dot2_f32_f16 v47, v21, v17, v47
	;;#ASMEND
	;;#ASMSTART
	v_dot2_f32_f16 v46, v21, v13, v46
	;;#ASMEND
	;;#ASMSTART
	v_dot2_f32_f16 v45, v21, v9, v45
	;;#ASMEND
	;;#ASMSTART
	v_dot2_f32_f16 v44, v21, v1, v44
	;;#ASMEND
	;;#ASMSTART
	v_dot2_f32_f16 v40, v5, v17, v40
	;;#ASMEND
	;;#ASMSTART
	v_dot2_f32_f16 v43, v5, v13, v43
	;;#ASMEND
	;;#ASMSTART
	v_dot2_f32_f16 v42, v5, v9, v42
	;;#ASMEND
	;;#ASMSTART
	v_dot2_f32_f16 v41, v5, v1, v41
	;;#ASMEND
	s_cmp_ge_u32 s19, s4
	;;#ASMSTART
	v_dot2_f32_f16 v47, v22, v18, v47
	;;#ASMEND
	;;#ASMSTART
	v_dot2_f32_f16 v46, v22, v14, v46
	;;#ASMEND
	;; [unrolled: 3-line block ×16, first 2 shown]
	s_cbranch_scc1 .LBB47_19
.LBB47_17:                              ;   Parent Loop BB47_14 Depth=1
                                        ; =>  This Inner Loop Header: Depth=2
	v_dual_mov_b32 v21, 0 :: v_dual_add_nc_u32 v20, s19, v35
	v_dual_mov_b32 v22, 0 :: v_dual_mov_b32 v23, 0
	s_delay_alu instid0(VALU_DEP_2) | instskip(NEXT) | instid1(VALU_DEP_1)
	v_min_u32_e32 v25, s14, v20
	v_lshlrev_b64 v[0:1], 1, v[25:26]
	s_delay_alu instid0(VALU_DEP_1) | instskip(NEXT) | instid1(VALU_DEP_2)
	v_add_co_u32 v6, vcc_lo, s12, v0
	v_add_co_ci_u32_e32 v7, vcc_lo, s13, v1, vcc_lo
	s_delay_alu instid0(VALU_DEP_2) | instskip(NEXT) | instid1(VALU_DEP_2)
	v_add_co_u32 v0, vcc_lo, v6, v27
	v_add_co_ci_u32_e32 v1, vcc_lo, v7, v28, vcc_lo
	v_add_co_u32 v2, vcc_lo, v6, v29
	v_add_co_ci_u32_e32 v3, vcc_lo, v7, v30, vcc_lo
	;; [unrolled: 2-line block ×4, first 2 shown]
	global_load_b128 v[16:19], v[0:1], off slc dlc
	s_waitcnt lgkmcnt(1)
	global_load_b128 v[12:15], v[2:3], off slc dlc
	s_waitcnt lgkmcnt(0)
	s_clause 0x1
	global_load_b128 v[8:11], v[4:5], off slc dlc
	global_load_b128 v[0:3], v[6:7], off slc dlc
	v_mov_b32_e32 v5, 0
	v_cmp_gt_u32_e32 vcc_lo, s4, v20
	v_mov_b32_e32 v20, 0
	v_dual_mov_b32 v4, 0 :: v_dual_mov_b32 v7, 0
	v_mov_b32_e32 v6, 0
	s_and_saveexec_b32 s20, vcc_lo
	s_cbranch_execz .LBB47_16
; %bb.18:                               ;   in Loop: Header=BB47_17 Depth=2
	v_add_nc_u32_e32 v4, s6, v48
	ds_load_b128 v[20:23], v48
	ds_load_b128 v[4:7], v4
	s_branch .LBB47_16
.LBB47_19:                              ;   in Loop: Header=BB47_14 Depth=1
	; sched_barrier mask(0x00000000)
	v_cvt_i32_f32_e32 v0, v47
	v_cvt_i32_f32_e32 v1, v46
	;; [unrolled: 1-line block ×3, first 2 shown]
	v_cmp_gt_i32_e32 vcc_lo, 32, v39
	s_waitcnt lgkmcnt(7)
	v_cvt_i32_f32_e32 v4, v44
	v_cvt_f32_i32_dpp v0, v0 row_shr:8 row_mask:0xf bank_mask:0xf bound_ctrl:1
	v_cvt_f32_i32_dpp v1, v1 row_shr:8 row_mask:0xf bank_mask:0xf bound_ctrl:1
	;; [unrolled: 1-line block ×3, first 2 shown]
	s_waitcnt lgkmcnt(5)
	v_cndmask_b32_e32 v3, v37, v39, vcc_lo
	v_cvt_i32_f32_e32 v5, v40
	v_dual_add_f32 v0, v47, v0 :: v_dual_add_f32 v1, v46, v1
	v_add_f32_e32 v2, v45, v2
	v_cvt_i32_f32_e32 v9, v43
	v_cvt_i32_f32_e32 v10, v42
	s_delay_alu instid0(VALU_DEP_4)
	v_cvt_i32_f32_e32 v6, v0
	v_cvt_i32_f32_e32 v7, v1
	v_cvt_i32_f32_e32 v8, v2
	s_waitcnt lgkmcnt(0)
	v_cvt_i32_f32_e32 v11, v41
	v_cvt_f32_i32_dpp v6, v6 row_shr:4 row_mask:0xf bank_mask:0xf bound_ctrl:1
	v_cvt_f32_i32_dpp v7, v7 row_shr:4 row_mask:0xf bank_mask:0xf bound_ctrl:1
	;; [unrolled: 1-line block ×3, first 2 shown]
	s_delay_alu instid0(VALU_DEP_2) | instskip(NEXT) | instid1(VALU_DEP_1)
	v_dual_add_f32 v0, v0, v6 :: v_dual_add_f32 v1, v1, v7
	v_cvt_i32_f32_e32 v6, v1
	s_delay_alu instid0(VALU_DEP_1)
	v_cvt_f32_i32_dpp v6, v6 row_shr:2 row_mask:0xf bank_mask:0xf bound_ctrl:1
	v_lshlrev_b32_e32 v16, 2, v3
	v_cvt_f32_i32_dpp v3, v4 row_shr:8 row_mask:0xf bank_mask:0xf bound_ctrl:1
	v_add_f32_e32 v2, v2, v8
	v_cvt_f32_i32_dpp v4, v5 row_shr:8 row_mask:0xf bank_mask:0xf bound_ctrl:1
	v_cvt_i32_f32_e32 v5, v0
	v_cvt_f32_i32_dpp v8, v9 row_shr:8 row_mask:0xf bank_mask:0xf bound_ctrl:1
	v_cvt_f32_i32_dpp v9, v10 row_shr:8 row_mask:0xf bank_mask:0xf bound_ctrl:1
	;; [unrolled: 1-line block ×3, first 2 shown]
	v_add_f32_e32 v11, v44, v3
	v_cvt_i32_f32_e32 v7, v2
	v_cvt_f32_i32_dpp v5, v5 row_shr:2 row_mask:0xf bank_mask:0xf bound_ctrl:1
	v_add_f32_e32 v1, v1, v6
	s_delay_alu instid0(VALU_DEP_3) | instskip(NEXT) | instid1(VALU_DEP_3)
	v_cvt_f32_i32_dpp v7, v7 row_shr:2 row_mask:0xf bank_mask:0xf bound_ctrl:1
	v_add_f32_e32 v0, v0, v5
	s_delay_alu instid0(VALU_DEP_2) | instskip(NEXT) | instid1(VALU_DEP_2)
	v_dual_add_f32 v2, v2, v7 :: v_dual_add_f32 v7, v43, v8
	v_cvt_i32_f32_e32 v3, v0
	s_delay_alu instid0(VALU_DEP_2) | instskip(NEXT) | instid1(VALU_DEP_2)
	v_cvt_i32_f32_e32 v13, v7
	v_cvt_f32_i32_dpp v3, v3 row_shr:1 row_mask:0xf bank_mask:0xf bound_ctrl:1
	s_delay_alu instid0(VALU_DEP_2) | instskip(SKIP_2) | instid1(VALU_DEP_3)
	v_cvt_f32_i32_dpp v13, v13 row_shr:4 row_mask:0xf bank_mask:0xf bound_ctrl:1
	v_add_f32_e32 v6, v40, v4
	v_cvt_i32_f32_e32 v4, v1
	v_add_f32_e32 v7, v7, v13
	s_delay_alu instid0(VALU_DEP_3) | instskip(NEXT) | instid1(VALU_DEP_3)
	v_cvt_i32_f32_e32 v12, v6
	v_cvt_f32_i32_dpp v4, v4 row_shr:1 row_mask:0xf bank_mask:0xf bound_ctrl:1
	v_dual_add_f32 v8, v42, v9 :: v_dual_add_f32 v9, v41, v10
	v_cvt_i32_f32_e32 v5, v2
	v_cvt_i32_f32_e32 v10, v11
	s_delay_alu instid0(VALU_DEP_4)
	v_add_f32_e32 v1, v1, v4
	v_cvt_i32_f32_e32 v13, v7
	v_cvt_i32_f32_e32 v15, v9
	v_cvt_f32_i32_dpp v5, v5 row_shr:1 row_mask:0xf bank_mask:0xf bound_ctrl:1
	v_cvt_f32_i32_dpp v10, v10 row_shr:4 row_mask:0xf bank_mask:0xf bound_ctrl:1
	v_cvt_i32_f32_e32 v14, v8
	v_cvt_f32_i32_dpp v13, v13 row_shr:2 row_mask:0xf bank_mask:0xf bound_ctrl:1
	v_cvt_f32_i32_dpp v15, v15 row_shr:4 row_mask:0xf bank_mask:0xf bound_ctrl:1
	v_add_f32_e32 v2, v2, v5
	v_add_f32_e32 v0, v0, v3
	v_cvt_f32_i32_dpp v12, v12 row_shr:4 row_mask:0xf bank_mask:0xf bound_ctrl:1
	v_cvt_f32_i32_dpp v14, v14 row_shr:4 row_mask:0xf bank_mask:0xf bound_ctrl:1
	v_add_f32_e32 v9, v9, v15
	ds_bpermute_b32 v4, v16, v1
	ds_bpermute_b32 v5, v16, v2
	v_cvt_i32_f32_e32 v15, v9
	s_delay_alu instid0(VALU_DEP_1) | instskip(SKIP_1) | instid1(VALU_DEP_1)
	v_cvt_f32_i32_dpp v15, v15 row_shr:2 row_mask:0xf bank_mask:0xf bound_ctrl:1
	v_add_f32_e32 v10, v11, v10
	v_cvt_i32_f32_e32 v11, v10
	s_delay_alu instid0(VALU_DEP_1) | instskip(NEXT) | instid1(VALU_DEP_1)
	v_cvt_f32_i32_dpp v11, v11 row_shr:2 row_mask:0xf bank_mask:0xf bound_ctrl:1
	v_dual_add_f32 v10, v10, v11 :: v_dual_add_f32 v11, v7, v13
	v_add_f32_e32 v13, v9, v15
	ds_bpermute_b32 v3, v16, v0
	v_cvt_i32_f32_e32 v7, v10
	v_cvt_i32_f32_e32 v9, v11
	;; [unrolled: 1-line block ×3, first 2 shown]
	s_delay_alu instid0(VALU_DEP_3) | instskip(SKIP_1) | instid1(VALU_DEP_4)
	v_cvt_f32_i32_dpp v7, v7 row_shr:1 row_mask:0xf bank_mask:0xf bound_ctrl:1
	v_add_f32_e32 v8, v8, v14
	v_cvt_f32_i32_dpp v9, v9 row_shr:1 row_mask:0xf bank_mask:0xf bound_ctrl:1
	v_add_f32_e32 v6, v6, v12
	;; [unrolled: 2-line block ×3, first 2 shown]
	v_cvt_i32_f32_e32 v14, v8
	v_add_f32_e32 v9, v11, v9
	v_cvt_i32_f32_e32 v12, v6
	s_delay_alu instid0(VALU_DEP_3) | instskip(NEXT) | instid1(VALU_DEP_2)
	v_cvt_f32_i32_dpp v14, v14 row_shr:2 row_mask:0xf bank_mask:0xf bound_ctrl:1
	v_cvt_f32_i32_dpp v12, v12 row_shr:2 row_mask:0xf bank_mask:0xf bound_ctrl:1
	s_delay_alu instid0(VALU_DEP_1) | instskip(NEXT) | instid1(VALU_DEP_3)
	v_add_f32_e32 v6, v6, v12
	v_add_f32_e32 v12, v8, v14
	s_delay_alu instid0(VALU_DEP_2) | instskip(NEXT) | instid1(VALU_DEP_2)
	v_cvt_i32_f32_e32 v8, v6
	v_cvt_i32_f32_e32 v14, v12
	s_delay_alu instid0(VALU_DEP_2) | instskip(NEXT) | instid1(VALU_DEP_2)
	v_cvt_f32_i32_dpp v8, v8 row_shr:1 row_mask:0xf bank_mask:0xf bound_ctrl:1
	v_cvt_f32_i32_dpp v14, v14 row_shr:1 row_mask:0xf bank_mask:0xf bound_ctrl:1
	s_delay_alu instid0(VALU_DEP_2) | instskip(NEXT) | instid1(VALU_DEP_2)
	v_add_f32_e32 v8, v6, v8
	v_add_f32_e32 v10, v12, v14
	;; [unrolled: 1-line block ×3, first 2 shown]
	ds_bpermute_b32 v12, v16, v7
	ds_bpermute_b32 v14, v16, v9
	;; [unrolled: 1-line block ×5, first 2 shown]
	s_and_saveexec_b32 s19, s0
	s_cbranch_execz .LBB47_13
; %bb.20:                               ;   in Loop: Header=BB47_14 Depth=1
	s_and_b32 vcc_lo, exec_lo, s18
	s_cbranch_vccz .LBB47_22
; %bb.21:                               ;   in Loop: Header=BB47_14 Depth=1
	v_mul_hi_u32 v16, v24, v38
	v_or_b32_e32 v18, 1, v24
	v_or_b32_e32 v20, 2, v24
	;; [unrolled: 1-line block ×3, first 2 shown]
	s_delay_alu instid0(VALU_DEP_3) | instskip(NEXT) | instid1(VALU_DEP_3)
	v_mul_hi_u32 v17, v18, v38
	v_mul_hi_u32 v19, v20, v38
	v_mul_lo_u32 v16, v16, s2
	s_delay_alu instid0(VALU_DEP_4) | instskip(NEXT) | instid1(VALU_DEP_4)
	v_mul_hi_u32 v22, v21, v38
	v_mul_lo_u32 v23, v17, s2
	s_delay_alu instid0(VALU_DEP_4) | instskip(NEXT) | instid1(VALU_DEP_4)
	v_mul_lo_u32 v25, v19, s2
	v_sub_nc_u32_e32 v16, v24, v16
	s_delay_alu instid0(VALU_DEP_4) | instskip(NEXT) | instid1(VALU_DEP_2)
	v_mul_lo_u32 v22, v22, s2
	v_subrev_nc_u32_e32 v27, s2, v16
	v_sub_nc_u32_e32 v18, v18, v23
	v_cmp_le_u32_e32 vcc_lo, s2, v16
	v_mov_b32_e32 v17, v26
	v_sub_nc_u32_e32 v20, v20, v25
	v_sub_nc_u32_e32 v22, v21, v22
	v_subrev_nc_u32_e32 v23, s2, v18
	v_cndmask_b32_e32 v16, v16, v27, vcc_lo
	v_cmp_le_u32_e32 vcc_lo, s2, v18
	v_subrev_nc_u32_e32 v25, s2, v20
	v_subrev_nc_u32_e32 v27, s2, v22
	s_delay_alu instid0(VALU_DEP_4) | instskip(SKIP_4) | instid1(VALU_DEP_2)
	v_subrev_nc_u32_e32 v28, s2, v16
	v_cndmask_b32_e32 v18, v18, v23, vcc_lo
	v_cmp_le_u32_e32 vcc_lo, s2, v20
	v_dual_mov_b32 v19, v26 :: v_dual_cndmask_b32 v20, v20, v25
	v_cmp_le_u32_e32 vcc_lo, s2, v22
	v_subrev_nc_u32_e32 v23, s2, v20
	v_cndmask_b32_e32 v27, v22, v27, vcc_lo
	v_cmp_le_u32_e32 vcc_lo, s2, v16
	v_cndmask_b32_e32 v25, v16, v28, vcc_lo
	v_subrev_nc_u32_e32 v22, s2, v18
	v_cmp_le_u32_e32 vcc_lo, s2, v18
	v_subrev_nc_u32_e32 v28, s2, v27
	s_delay_alu instid0(VALU_DEP_3)
	v_cndmask_b32_e32 v16, v18, v22, vcc_lo
	v_cmp_le_u32_e32 vcc_lo, s2, v20
	v_dual_mov_b32 v21, v26 :: v_dual_cndmask_b32 v18, v20, v23
	v_cmp_le_u32_e32 vcc_lo, s2, v27
	v_lshlrev_b64 v[22:23], 1, v[25:26]
	v_add_nc_u32_e32 v25, s17, v25
	s_delay_alu instid0(VALU_DEP_4) | instskip(SKIP_4) | instid1(VALU_DEP_4)
	v_lshlrev_b64 v[29:30], 1, v[18:19]
	v_cndmask_b32_e32 v20, v27, v28, vcc_lo
	v_lshlrev_b64 v[27:28], 1, v[16:17]
	v_add_co_u32 v22, vcc_lo, s8, v22
	v_add_co_ci_u32_e32 v23, vcc_lo, s9, v23, vcc_lo
	v_lshlrev_b64 v[31:32], 1, v[20:21]
	s_delay_alu instid0(VALU_DEP_4)
	v_add_co_u32 v27, vcc_lo, s8, v27
	v_add_co_ci_u32_e32 v28, vcc_lo, s9, v28, vcc_lo
	v_add_co_u32 v29, vcc_lo, s8, v29
	v_lshlrev_b64 v[33:34], 1, v[25:26]
	v_add_nc_u32_e32 v25, s17, v16
	v_add_co_ci_u32_e32 v30, vcc_lo, s9, v30, vcc_lo
	v_add_co_u32 v16, vcc_lo, s8, v31
	v_add_co_ci_u32_e32 v17, vcc_lo, s9, v32, vcc_lo
	s_delay_alu instid0(VALU_DEP_4) | instskip(SKIP_3) | instid1(VALU_DEP_3)
	v_lshlrev_b64 v[31:32], 1, v[25:26]
	v_add_nc_u32_e32 v25, s17, v18
	v_add_co_u32 v18, vcc_lo, s8, v33
	v_add_co_ci_u32_e32 v19, vcc_lo, s9, v34, vcc_lo
	v_lshlrev_b64 v[33:34], 1, v[25:26]
	v_add_nc_u32_e32 v25, s17, v20
	v_add_co_u32 v31, vcc_lo, s8, v31
	v_add_co_ci_u32_e32 v32, vcc_lo, s9, v32, vcc_lo
	s_delay_alu instid0(VALU_DEP_3) | instskip(SKIP_3) | instid1(VALU_DEP_4)
	v_lshlrev_b64 v[20:21], 1, v[25:26]
	v_add_co_u32 v33, vcc_lo, s8, v33
	v_add_co_ci_u32_e32 v34, vcc_lo, s9, v34, vcc_lo
	v_mov_b32_e32 v25, v26
	v_add_co_u32 v40, vcc_lo, s8, v20
	v_add_co_ci_u32_e32 v41, vcc_lo, s9, v21, vcc_lo
	s_clause 0x7
	global_load_u16 v23, v[22:23], off
	global_load_u16 v22, v[27:28], off
	;; [unrolled: 1-line block ×8, first 2 shown]
	s_cbranch_execnz .LBB47_12
	s_branch .LBB47_23
.LBB47_22:                              ;   in Loop: Header=BB47_14 Depth=1
                                        ; implicit-def: $vgpr16
                                        ; implicit-def: $vgpr17
                                        ; implicit-def: $vgpr18
                                        ; implicit-def: $vgpr19
                                        ; implicit-def: $vgpr20
                                        ; implicit-def: $vgpr21
                                        ; implicit-def: $vgpr22
                                        ; implicit-def: $vgpr23
.LBB47_23:                              ;   in Loop: Header=BB47_14 Depth=1
	s_waitcnt vmcnt(6)
	v_dual_mov_b32 v25, v26 :: v_dual_mov_b32 v22, 0
	s_waitcnt vmcnt(4)
	v_dual_mov_b32 v23, 0 :: v_dual_mov_b32 v20, 0
	;; [unrolled: 2-line block ×4, first 2 shown]
	v_mov_b32_e32 v17, 0
	s_branch .LBB47_12
.LBB47_24:
	s_nop 0
	s_sendmsg sendmsg(MSG_DEALLOC_VGPRS)
	s_endpgm
	.section	.rodata,"a",@progbits
	.p2align	6, 0x0
	.amdhsa_kernel _Z16wvSplitK_hf_sml_I6__halfLi32ELi4ELi16ELi8ELi1ELi2EEviiiiiiPKT_S3_S3_PS1_ii
		.amdhsa_group_segment_fixed_size 65536
		.amdhsa_private_segment_fixed_size 0
		.amdhsa_kernarg_size 64
		.amdhsa_user_sgpr_count 15
		.amdhsa_user_sgpr_dispatch_ptr 0
		.amdhsa_user_sgpr_queue_ptr 0
		.amdhsa_user_sgpr_kernarg_segment_ptr 1
		.amdhsa_user_sgpr_dispatch_id 0
		.amdhsa_user_sgpr_private_segment_size 0
		.amdhsa_wavefront_size32 1
		.amdhsa_uses_dynamic_stack 0
		.amdhsa_enable_private_segment 0
		.amdhsa_system_sgpr_workgroup_id_x 1
		.amdhsa_system_sgpr_workgroup_id_y 0
		.amdhsa_system_sgpr_workgroup_id_z 0
		.amdhsa_system_sgpr_workgroup_info 0
		.amdhsa_system_vgpr_workitem_id 1
		.amdhsa_next_free_vgpr 49
		.amdhsa_next_free_sgpr 21
		.amdhsa_reserve_vcc 1
		.amdhsa_float_round_mode_32 0
		.amdhsa_float_round_mode_16_64 0
		.amdhsa_float_denorm_mode_32 3
		.amdhsa_float_denorm_mode_16_64 3
		.amdhsa_dx10_clamp 1
		.amdhsa_ieee_mode 1
		.amdhsa_fp16_overflow 0
		.amdhsa_workgroup_processor_mode 1
		.amdhsa_memory_ordered 1
		.amdhsa_forward_progress 0
		.amdhsa_shared_vgpr_count 0
		.amdhsa_exception_fp_ieee_invalid_op 0
		.amdhsa_exception_fp_denorm_src 0
		.amdhsa_exception_fp_ieee_div_zero 0
		.amdhsa_exception_fp_ieee_overflow 0
		.amdhsa_exception_fp_ieee_underflow 0
		.amdhsa_exception_fp_ieee_inexact 0
		.amdhsa_exception_int_div_zero 0
	.end_amdhsa_kernel
	.section	.text._Z16wvSplitK_hf_sml_I6__halfLi32ELi4ELi16ELi8ELi1ELi2EEviiiiiiPKT_S3_S3_PS1_ii,"axG",@progbits,_Z16wvSplitK_hf_sml_I6__halfLi32ELi4ELi16ELi8ELi1ELi2EEviiiiiiPKT_S3_S3_PS1_ii,comdat
.Lfunc_end47:
	.size	_Z16wvSplitK_hf_sml_I6__halfLi32ELi4ELi16ELi8ELi1ELi2EEviiiiiiPKT_S3_S3_PS1_ii, .Lfunc_end47-_Z16wvSplitK_hf_sml_I6__halfLi32ELi4ELi16ELi8ELi1ELi2EEviiiiiiPKT_S3_S3_PS1_ii
                                        ; -- End function
	.section	.AMDGPU.csdata,"",@progbits
; Kernel info:
; codeLenInByte = 3572
; NumSgprs: 23
; NumVgprs: 49
; ScratchSize: 0
; MemoryBound: 0
; FloatMode: 240
; IeeeMode: 1
; LDSByteSize: 65536 bytes/workgroup (compile time only)
; SGPRBlocks: 2
; VGPRBlocks: 6
; NumSGPRsForWavesPerEU: 23
; NumVGPRsForWavesPerEU: 49
; Occupancy: 8
; WaveLimiterHint : 0
; COMPUTE_PGM_RSRC2:SCRATCH_EN: 0
; COMPUTE_PGM_RSRC2:USER_SGPR: 15
; COMPUTE_PGM_RSRC2:TRAP_HANDLER: 0
; COMPUTE_PGM_RSRC2:TGID_X_EN: 1
; COMPUTE_PGM_RSRC2:TGID_Y_EN: 0
; COMPUTE_PGM_RSRC2:TGID_Z_EN: 0
; COMPUTE_PGM_RSRC2:TIDIG_COMP_CNT: 1
	.section	.text._Z12wvSplitK_hf_I6__halfLi32ELi4ELi16ELi8ELi1ELi2EEviiiiiiPKT_S3_S3_PS1_ii,"axG",@progbits,_Z12wvSplitK_hf_I6__halfLi32ELi4ELi16ELi8ELi1ELi2EEviiiiiiPKT_S3_S3_PS1_ii,comdat
	.protected	_Z12wvSplitK_hf_I6__halfLi32ELi4ELi16ELi8ELi1ELi2EEviiiiiiPKT_S3_S3_PS1_ii ; -- Begin function _Z12wvSplitK_hf_I6__halfLi32ELi4ELi16ELi8ELi1ELi2EEviiiiiiPKT_S3_S3_PS1_ii
	.globl	_Z12wvSplitK_hf_I6__halfLi32ELi4ELi16ELi8ELi1ELi2EEviiiiiiPKT_S3_S3_PS1_ii
	.p2align	8
	.type	_Z12wvSplitK_hf_I6__halfLi32ELi4ELi16ELi8ELi1ELi2EEviiiiiiPKT_S3_S3_PS1_ii,@function
_Z12wvSplitK_hf_I6__halfLi32ELi4ELi16ELi8ELi1ELi2EEviiiiiiPKT_S3_S3_PS1_ii: ; @_Z12wvSplitK_hf_I6__halfLi32ELi4ELi16ELi8ELi1ELi2EEviiiiiiPKT_S3_S3_PS1_ii
; %bb.0:
	s_clause 0x1
	s_load_b64 s[20:21], s[0:1], 0x38
	s_load_b128 s[8:11], s[0:1], 0x0
	v_bfe_u32 v5, v0, 10, 10
	s_clause 0x1
	s_load_b64 s[16:17], s[0:1], 0x20
	s_load_b64 s[18:19], s[0:1], 0x10
	s_mov_b32 s4, 1
	s_delay_alu instid0(SALU_CYCLE_1) | instskip(SKIP_4) | instid1(SALU_CYCLE_1)
	s_mov_b32 s5, s4
	s_mov_b32 s6, s4
	s_mov_b32 s7, s4
	s_waitcnt lgkmcnt(0)
	s_mul_i32 s15, s15, s20
	v_add_lshl_u32 v29, s15, v5, 2
	s_delay_alu instid0(VALU_DEP_1) | instskip(SKIP_1) | instid1(VALU_DEP_2)
	v_add_nc_u32_e32 v1, 4, v29
	v_cmp_gt_u32_e32 vcc_lo, s11, v29
	v_cmp_le_u32_e64 s2, s11, v1
	v_dual_mov_b32 v1, s4 :: v_dual_mov_b32 v4, s7
	v_dual_mov_b32 v2, s5 :: v_dual_mov_b32 v3, s6
	s_delay_alu instid0(VALU_DEP_3) | instskip(NEXT) | instid1(SALU_CYCLE_1)
	s_and_b32 s2, vcc_lo, s2
	s_and_saveexec_b32 s12, s2
	s_cbranch_execz .LBB48_6
; %bb.1:
	v_dual_mov_b32 v1, s4 :: v_dual_mov_b32 v2, s5
	v_dual_mov_b32 v3, s6 :: v_dual_mov_b32 v4, s7
	s_add_i32 s13, s11, -4
	s_mov_b32 s14, exec_lo
	v_cmpx_ne_u32_e64 s13, v29
	s_cbranch_execz .LBB48_5
; %bb.2:
	v_subrev_nc_u32_e32 v1, s13, v29
	s_mov_b32 s15, 0
	s_mov_b64 s[2:3], 0
	s_mov_b32 s5, s4
	s_mov_b32 s6, s4
	v_cmp_lt_u32_e32 vcc_lo, 1, v1
	s_mov_b32 s7, s4
	v_cndmask_b32_e32 v6, 1, v1, vcc_lo
	.p2align	6
.LBB48_3:                               ; =>This Inner Loop Header: Depth=1
	s_cmp_lg_u32 s2, 3
	s_cselect_b32 s7, s7, 0
	s_cmp_lg_u32 s2, 2
	s_cselect_b32 s6, s6, 0
	;; [unrolled: 2-line block ×4, first 2 shown]
	s_add_u32 s2, s2, 1
	v_dual_mov_b32 v1, s4 :: v_dual_mov_b32 v2, s5
	v_cmp_eq_u32_e32 vcc_lo, s2, v6
	v_dual_mov_b32 v3, s6 :: v_dual_mov_b32 v4, s7
	s_addc_u32 s3, s3, 0
	s_or_b32 s15, vcc_lo, s15
	s_delay_alu instid0(SALU_CYCLE_1)
	s_and_not1_b32 exec_lo, exec_lo, s15
	s_cbranch_execnz .LBB48_3
; %bb.4:
	s_or_b32 exec_lo, exec_lo, s15
	v_mov_b32_e32 v29, s13
.LBB48_5:
	s_or_b32 exec_lo, exec_lo, s14
.LBB48_6:
	s_delay_alu instid0(SALU_CYCLE_1) | instskip(SKIP_4) | instid1(VALU_DEP_1)
	s_or_b32 exec_lo, exec_lo, s12
	v_and_b32_e32 v6, 0x3ff, v0
	s_lshl_b32 s22, s10, 1
	s_mov_b32 s2, exec_lo
	s_min_u32 s3, s22, 0x8000
	v_lshlrev_b32_e32 v0, 3, v6
	s_delay_alu instid0(VALU_DEP_1) | instskip(NEXT) | instid1(VALU_DEP_1)
	v_lshl_add_u32 v8, v5, 8, v0
	v_cmpx_gt_u32_e64 s3, v8
	s_cbranch_execz .LBB48_15
; %bb.7:
	v_lshlrev_b32_e32 v7, 1, v8
	v_add_nc_u32_e32 v13, 0x1000, v8
	s_mov_b32 s4, exec_lo
	global_load_b128 v[9:12], v7, s[16:17]
	s_waitcnt vmcnt(0)
	ds_store_b128 v7, v[9:12]
	v_cmpx_gt_u32_e64 s3, v13
	s_xor_b32 s4, exec_lo, s4
	s_cbranch_execz .LBB48_15
; %bb.8:
	v_add_co_u32 v9, s4, s16, v7
	s_delay_alu instid0(VALU_DEP_1) | instskip(SKIP_1) | instid1(VALU_DEP_3)
	v_add_co_ci_u32_e64 v10, null, s17, 0, s4
	v_add_nc_u32_e32 v15, 0x2000, v8
	v_add_co_u32 v11, vcc_lo, 0x2000, v9
	s_delay_alu instid0(VALU_DEP_3)
	v_add_co_ci_u32_e32 v12, vcc_lo, 0, v10, vcc_lo
	s_mov_b32 s4, exec_lo
	global_load_b128 v[11:14], v[11:12], off
	s_waitcnt vmcnt(0)
	ds_store_b128 v7, v[11:14] offset:8192
	v_cmpx_gt_u32_e64 s3, v15
	s_xor_b32 s4, exec_lo, s4
	s_cbranch_execz .LBB48_15
; %bb.9:
	v_add_co_u32 v11, vcc_lo, 0x4000, v9
	v_add_co_ci_u32_e32 v12, vcc_lo, 0, v10, vcc_lo
	v_add_nc_u32_e32 v15, 0x3000, v8
	s_mov_b32 s4, exec_lo
	global_load_b128 v[11:14], v[11:12], off
	s_waitcnt vmcnt(0)
	ds_store_b128 v7, v[11:14] offset:16384
	v_cmpx_gt_u32_e64 s3, v15
	s_xor_b32 s4, exec_lo, s4
	s_cbranch_execz .LBB48_15
; %bb.10:
	v_add_co_u32 v11, vcc_lo, 0x6000, v9
	v_add_co_ci_u32_e32 v12, vcc_lo, 0, v10, vcc_lo
	v_add_nc_u32_e32 v15, 0x4000, v8
	s_mov_b32 s4, exec_lo
	global_load_b128 v[11:14], v[11:12], off
	s_waitcnt vmcnt(0)
	ds_store_b128 v7, v[11:14] offset:24576
	v_cmpx_gt_u32_e64 s3, v15
	s_xor_b32 s4, exec_lo, s4
	s_cbranch_execz .LBB48_15
; %bb.11:
	v_add_co_u32 v11, vcc_lo, 0x8000, v9
	v_add_co_ci_u32_e32 v12, vcc_lo, 0, v10, vcc_lo
	v_add_nc_u32_e32 v15, 0x5000, v8
	s_mov_b32 s4, exec_lo
	global_load_b128 v[11:14], v[11:12], off
	s_waitcnt vmcnt(0)
	ds_store_b128 v7, v[11:14] offset:32768
	v_cmpx_gt_u32_e64 s3, v15
	s_xor_b32 s4, exec_lo, s4
	s_cbranch_execz .LBB48_15
; %bb.12:
	v_add_co_u32 v11, vcc_lo, 0xa000, v9
	v_add_co_ci_u32_e32 v12, vcc_lo, 0, v10, vcc_lo
	v_add_nc_u32_e32 v15, 0x6000, v8
	s_mov_b32 s4, exec_lo
	global_load_b128 v[11:14], v[11:12], off
	s_waitcnt vmcnt(0)
	ds_store_b128 v7, v[11:14] offset:40960
	v_cmpx_gt_u32_e64 s3, v15
	s_xor_b32 s4, exec_lo, s4
	s_cbranch_execz .LBB48_15
; %bb.13:
	v_add_co_u32 v11, vcc_lo, 0xc000, v9
	v_add_co_ci_u32_e32 v12, vcc_lo, 0, v10, vcc_lo
	v_add_nc_u32_e32 v8, 0x7000, v8
	global_load_b128 v[11:14], v[11:12], off
	v_cmp_gt_u32_e32 vcc_lo, s3, v8
	s_waitcnt vmcnt(0)
	ds_store_b128 v7, v[11:14] offset:49152
	s_and_saveexec_b32 s3, vcc_lo
	s_delay_alu instid0(SALU_CYCLE_1)
	s_xor_b32 s3, exec_lo, s3
	s_cbranch_execz .LBB48_15
; %bb.14:
	v_add_co_u32 v8, vcc_lo, 0xe000, v9
	v_add_co_ci_u32_e32 v9, vcc_lo, 0, v10, vcc_lo
	global_load_b128 v[8:11], v[8:9], off
	s_waitcnt vmcnt(0)
	ds_store_b128 v7, v[8:11] offset:57344
.LBB48_15:
	s_or_b32 exec_lo, exec_lo, s2
	v_cmp_gt_u32_e32 vcc_lo, s20, v5
	v_cmp_gt_u32_e64 s2, s11, v29
	s_waitcnt lgkmcnt(0)
	s_barrier
	buffer_gl0_inv
	s_and_b32 s2, vcc_lo, s2
	s_delay_alu instid0(SALU_CYCLE_1)
	s_and_saveexec_b32 s3, s2
	s_cbranch_execz .LBB48_56
; %bb.16:
	v_cvt_f32_u32_e32 v5, s18
	s_clause 0x1
	s_load_b128 s[12:15], s[0:1], 0x28
	s_load_b64 s[6:7], s[0:1], 0x18
	s_cmp_lg_u32 s8, 0
	s_mul_i32 s1, s20, s21
	v_rcp_iflag_f32_e32 v5, v5
	s_cselect_b32 s23, -1, 0
	s_add_i32 s24, s8, -8
	s_add_i32 s25, s11, -1
	v_lshlrev_b32_e32 v45, 4, v6
	v_mbcnt_lo_u32_b32 v47, -1, 0
	s_waitcnt_depctr 0xfff
	v_dual_mul_f32 v5, 0x4f7ffffe, v5 :: v_dual_add_nc_u32 v46, s10, v0
	v_xor_b32_e32 v49, 16, v47
	s_delay_alu instid0(VALU_DEP_2)
	v_cvt_u32_f32_e32 v5, v5
	s_waitcnt lgkmcnt(0)
	s_cmp_lg_u64 s[12:13], 0
	s_cselect_b32 s26, -1, 0
	s_sub_i32 s0, 0, s18
	s_lshl_b32 s10, s1, 2
	v_mul_lo_u32 v7, s0, v5
	s_abs_i32 s1, s19
	v_cmp_eq_u32_e64 s0, 31, v6
	s_add_i32 s20, s11, -4
	s_sub_i32 s2, 1, s1
	s_cmp_lt_u32 s1, 2
	s_mov_b32 s19, 0
	s_cselect_b32 s2, s2, 1
	v_mul_hi_u32 v6, v5, v7
	s_sub_i32 s3, s2, s1
	s_cmp_ge_u32 s2, s1
	v_mov_b32_e32 v31, 0
	s_cselect_b32 s21, s3, s2
	s_delay_alu instid0(SALU_CYCLE_1) | instskip(NEXT) | instid1(VALU_DEP_2)
	s_mul_i32 s21, s21, s18
	v_add_nc_u32_e32 v48, v5, v6
	s_branch .LBB48_19
.LBB48_17:                              ;   in Loop: Header=BB48_19 Depth=1
	s_or_b32 exec_lo, exec_lo, s28
	v_mov_b32_e32 v29, s20
.LBB48_18:                              ;   in Loop: Header=BB48_19 Depth=1
	s_or_b32 exec_lo, exec_lo, s27
	s_delay_alu instid0(VALU_DEP_1) | instskip(SKIP_1) | instid1(SALU_CYCLE_1)
	v_cmp_le_u32_e32 vcc_lo, s11, v29
	s_or_b32 s19, vcc_lo, s19
	s_and_not1_b32 exec_lo, exec_lo, s19
	s_cbranch_execz .LBB48_56
.LBB48_19:                              ; =>This Loop Header: Depth=1
                                        ;     Child Loop BB48_23 Depth 2
                                        ;     Child Loop BB48_47 Depth 2
	v_dual_mov_b32 v57, v31 :: v_dual_add_nc_u32 v34, 1, v29
	v_dual_mov_b32 v56, v31 :: v_dual_add_nc_u32 v33, 2, v29
	v_dual_mov_b32 v55, v31 :: v_dual_add_nc_u32 v32, 3, v29
	v_mov_b32_e32 v54, v31
	v_mov_b32_e32 v51, v31
	;; [unrolled: 1-line block ×5, first 2 shown]
	s_and_not1_b32 vcc_lo, exec_lo, s23
	s_cbranch_vccnz .LBB48_32
; %bb.20:                               ;   in Loop: Header=BB48_19 Depth=1
	v_min_u32_e32 v5, s25, v29
	s_waitcnt lgkmcnt(0)
	v_min_u32_e32 v6, s25, v34
	v_min_u32_e32 v7, s25, v33
	;; [unrolled: 1-line block ×3, first 2 shown]
	v_dual_mov_b32 v10, v31 :: v_dual_mov_b32 v55, 0
	v_mul_lo_u32 v30, v5, s9
	v_mul_lo_u32 v5, v6, s9
	;; [unrolled: 1-line block ×4, first 2 shown]
	v_dual_mov_b32 v6, v31 :: v_dual_mov_b32 v53, 0
	v_dual_mov_b32 v8, v31 :: v_dual_mov_b32 v51, 0
	v_lshlrev_b64 v[35:36], 1, v[30:31]
	s_delay_alu instid0(VALU_DEP_3) | instskip(SKIP_1) | instid1(VALU_DEP_4)
	v_lshlrev_b64 v[37:38], 1, v[5:6]
	v_dual_mov_b32 v50, 0 :: v_dual_mov_b32 v57, 0
	v_lshlrev_b64 v[39:40], 1, v[7:8]
	v_lshlrev_b64 v[41:42], 1, v[9:10]
	v_mov_b32_e32 v58, v45
	v_mov_b32_e32 v52, 0
	;; [unrolled: 1-line block ×4, first 2 shown]
	s_mov_b32 s1, 0
	s_branch .LBB48_23
.LBB48_21:                              ;   in Loop: Header=BB48_23 Depth=2
	s_or_b32 exec_lo, exec_lo, s3
.LBB48_22:                              ;   in Loop: Header=BB48_23 Depth=2
	s_delay_alu instid0(SALU_CYCLE_1)
	s_or_b32 exec_lo, exec_lo, s2
	v_add_nc_u32_e32 v58, 0x200, v58
	s_addk_i32 s1, 0x100
	s_waitcnt vmcnt(0) lgkmcnt(0)
	;;#ASMSTART
	v_dot2_f32_f16 v57, v25, v17, v57
	;;#ASMEND
	;;#ASMSTART
	v_dot2_f32_f16 v56, v25, v13, v56
	;;#ASMEND
	;; [unrolled: 3-line block ×16, first 2 shown]
	s_cmp_ge_u32 s1, s8
	;;#ASMSTART
	v_dot2_f32_f16 v57, v27, v19, v57
	;;#ASMEND
	;;#ASMSTART
	v_dot2_f32_f16 v56, v27, v15, v56
	;;#ASMEND
	;; [unrolled: 3-line block ×16, first 2 shown]
	s_cbranch_scc1 .LBB48_32
.LBB48_23:                              ;   Parent Loop BB48_19 Depth=1
                                        ; =>  This Inner Loop Header: Depth=2
	s_waitcnt vmcnt(3)
	v_dual_mov_b32 v24, 0 :: v_dual_add_nc_u32 v43, s1, v0
	s_waitcnt vmcnt(2)
	v_mov_b32_e32 v23, 0
	v_dual_mov_b32 v27, 0 :: v_dual_mov_b32 v26, 0
	s_delay_alu instid0(VALU_DEP_3) | instskip(SKIP_3) | instid1(VALU_DEP_3)
	v_min_u32_e32 v30, s24, v43
	v_mov_b32_e32 v25, 0
	s_mov_b32 s2, exec_lo
	v_mov_b32_e32 v28, 0
	v_lshlrev_b64 v[5:6], 1, v[30:31]
	s_delay_alu instid0(VALU_DEP_1) | instskip(NEXT) | instid1(VALU_DEP_2)
	v_add_co_u32 v11, vcc_lo, s6, v5
	v_add_co_ci_u32_e32 v12, vcc_lo, s7, v6, vcc_lo
	s_delay_alu instid0(VALU_DEP_2) | instskip(NEXT) | instid1(VALU_DEP_2)
	v_add_co_u32 v5, vcc_lo, v11, v35
	v_add_co_ci_u32_e32 v6, vcc_lo, v12, v36, vcc_lo
	v_add_co_u32 v7, vcc_lo, v11, v37
	v_add_co_ci_u32_e32 v8, vcc_lo, v12, v38, vcc_lo
	;; [unrolled: 2-line block ×3, first 2 shown]
	s_waitcnt vmcnt(0)
	v_add_co_u32 v21, vcc_lo, v11, v41
	v_add_co_ci_u32_e32 v22, vcc_lo, v12, v42, vcc_lo
	s_clause 0x3
	global_load_b128 v[17:20], v[5:6], off slc dlc
	global_load_b128 v[13:16], v[7:8], off slc dlc
	;; [unrolled: 1-line block ×4, first 2 shown]
	v_dual_mov_b32 v22, 0 :: v_dual_mov_b32 v21, 0
	v_cmpx_gt_u32_e64 s8, v43
	s_cbranch_execz .LBB48_22
; %bb.24:                               ;   in Loop: Header=BB48_23 Depth=2
	s_mov_b32 s3, exec_lo
                                        ; implicit-def: $vgpr28
	v_cmpx_lt_u32_e32 0x7fff, v43
	s_xor_b32 s3, exec_lo, s3
	s_cbranch_execz .LBB48_26
; %bb.25:                               ;   in Loop: Header=BB48_23 Depth=2
	v_mov_b32_e32 v44, v31
	s_delay_alu instid0(VALU_DEP_1) | instskip(NEXT) | instid1(VALU_DEP_1)
	v_lshlrev_b64 v[21:22], 1, v[43:44]
	v_add_co_u32 v21, vcc_lo, s16, v21
	s_delay_alu instid0(VALU_DEP_2)
	v_add_co_ci_u32_e32 v22, vcc_lo, s17, v22, vcc_lo
	global_load_b128 v[25:28], v[21:22], off
.LBB48_26:                              ;   in Loop: Header=BB48_23 Depth=2
	s_and_not1_saveexec_b32 s3, s3
	s_cbranch_execz .LBB48_28
; %bb.27:                               ;   in Loop: Header=BB48_23 Depth=2
	s_waitcnt vmcnt(0)
	ds_load_b128 v[25:28], v58
.LBB48_28:                              ;   in Loop: Header=BB48_23 Depth=2
	s_or_b32 exec_lo, exec_lo, s3
	v_add_nc_u32_e32 v30, s1, v46
	s_mov_b32 s3, exec_lo
                                        ; implicit-def: $vgpr24
	s_delay_alu instid0(VALU_DEP_1)
	v_cmpx_lt_u32_e32 0x7fff, v30
	s_xor_b32 s3, exec_lo, s3
	s_cbranch_execz .LBB48_30
; %bb.29:                               ;   in Loop: Header=BB48_23 Depth=2
	v_lshlrev_b64 v[21:22], 1, v[30:31]
	s_delay_alu instid0(VALU_DEP_1) | instskip(NEXT) | instid1(VALU_DEP_2)
	v_add_co_u32 v21, vcc_lo, s16, v21
	v_add_co_ci_u32_e32 v22, vcc_lo, s17, v22, vcc_lo
	global_load_b128 v[21:24], v[21:22], off
.LBB48_30:                              ;   in Loop: Header=BB48_23 Depth=2
	s_and_not1_saveexec_b32 s3, s3
	s_cbranch_execz .LBB48_21
; %bb.31:                               ;   in Loop: Header=BB48_23 Depth=2
	s_waitcnt vmcnt(0)
	v_add_nc_u32_e32 v21, s22, v58
	ds_load_b128 v[21:24], v21
	s_branch .LBB48_21
.LBB48_32:                              ;   in Loop: Header=BB48_19 Depth=1
	v_cvt_i32_f32_e32 v5, v57
	s_waitcnt lgkmcnt(0)
	v_cvt_i32_f32_e32 v6, v56
	v_cvt_i32_f32_e32 v7, v55
	v_cmp_gt_i32_e32 vcc_lo, 32, v49
	v_cvt_i32_f32_e32 v9, v54
	v_cvt_f32_i32_dpp v5, v5 row_shr:8 row_mask:0xf bank_mask:0xf bound_ctrl:1
	v_cvt_f32_i32_dpp v6, v6 row_shr:8 row_mask:0xf bank_mask:0xf bound_ctrl:1
	v_cvt_f32_i32_dpp v7, v7 row_shr:8 row_mask:0xf bank_mask:0xf bound_ctrl:1
	v_cvt_i32_f32_e32 v10, v50
	v_cvt_i32_f32_e32 v14, v53
	s_delay_alu instid0(VALU_DEP_4) | instskip(SKIP_2) | instid1(VALU_DEP_3)
	v_dual_add_f32 v5, v57, v5 :: v_dual_add_f32 v6, v56, v6
	v_cvt_i32_f32_e32 v15, v52
	v_cvt_i32_f32_e32 v16, v51
	;; [unrolled: 1-line block ×3, first 2 shown]
	s_delay_alu instid0(VALU_DEP_4) | instskip(NEXT) | instid1(VALU_DEP_2)
	v_cvt_i32_f32_e32 v12, v6
	v_cvt_f32_i32_dpp v11, v11 row_shr:4 row_mask:0xf bank_mask:0xf bound_ctrl:1
	s_delay_alu instid0(VALU_DEP_2) | instskip(SKIP_1) | instid1(VALU_DEP_3)
	v_cvt_f32_i32_dpp v12, v12 row_shr:4 row_mask:0xf bank_mask:0xf bound_ctrl:1
	v_add_f32_e32 v7, v55, v7
	v_dual_cndmask_b32 v8, v47, v49 :: v_dual_add_f32 v5, v5, v11
	s_delay_alu instid0(VALU_DEP_3) | instskip(NEXT) | instid1(VALU_DEP_3)
	v_add_f32_e32 v6, v6, v12
	v_cvt_i32_f32_e32 v13, v7
	s_delay_alu instid0(VALU_DEP_2) | instskip(NEXT) | instid1(VALU_DEP_2)
	v_cvt_i32_f32_e32 v11, v6
	v_cvt_f32_i32_dpp v13, v13 row_shr:4 row_mask:0xf bank_mask:0xf bound_ctrl:1
	s_delay_alu instid0(VALU_DEP_2)
	v_cvt_f32_i32_dpp v11, v11 row_shr:2 row_mask:0xf bank_mask:0xf bound_ctrl:1
	s_waitcnt vmcnt(0)
	v_lshlrev_b32_e32 v21, 2, v8
	v_cvt_f32_i32_dpp v8, v9 row_shr:8 row_mask:0xf bank_mask:0xf bound_ctrl:1
	v_add_f32_e32 v7, v7, v13
	v_cvt_f32_i32_dpp v9, v10 row_shr:8 row_mask:0xf bank_mask:0xf bound_ctrl:1
	v_cvt_i32_f32_e32 v10, v5
	v_add_f32_e32 v6, v6, v11
	v_add_f32_e32 v8, v54, v8
	v_cvt_i32_f32_e32 v12, v7
	v_cvt_f32_i32_dpp v13, v14 row_shr:8 row_mask:0xf bank_mask:0xf bound_ctrl:1
	v_cvt_f32_i32_dpp v10, v10 row_shr:2 row_mask:0xf bank_mask:0xf bound_ctrl:1
	;; [unrolled: 1-line block ×5, first 2 shown]
	v_cvt_i32_f32_e32 v22, v8
	s_delay_alu instid0(VALU_DEP_2) | instskip(SKIP_1) | instid1(VALU_DEP_1)
	v_add_f32_e32 v7, v7, v12
	v_cvt_i32_f32_e32 v12, v6
	v_cvt_f32_i32_dpp v12, v12 row_shr:1 row_mask:0xf bank_mask:0xf bound_ctrl:1
	v_add_f32_e32 v5, v5, v10
	v_add_f32_e32 v10, v53, v13
	v_cvt_i32_f32_e32 v13, v7
	s_delay_alu instid0(VALU_DEP_4) | instskip(NEXT) | instid1(VALU_DEP_4)
	v_add_f32_e32 v16, v6, v12
	v_cvt_i32_f32_e32 v11, v5
	s_delay_alu instid0(VALU_DEP_3)
	v_cvt_f32_i32_dpp v13, v13 row_shr:1 row_mask:0xf bank_mask:0xf bound_ctrl:1
	v_add_f32_e32 v17, v52, v14
	ds_bpermute_b32 v18, v21, v16
	v_cvt_f32_i32_dpp v11, v11 row_shr:1 row_mask:0xf bank_mask:0xf bound_ctrl:1
	v_add_f32_e32 v12, v7, v13
	v_cvt_i32_f32_e32 v6, v17
	s_delay_alu instid0(VALU_DEP_3) | instskip(SKIP_2) | instid1(VALU_DEP_4)
	v_add_f32_e32 v19, v5, v11
	v_cvt_f32_i32_dpp v11, v22 row_shr:4 row_mask:0xf bank_mask:0xf bound_ctrl:1
	v_add_f32_e32 v9, v50, v9
	v_cvt_f32_i32_dpp v6, v6 row_shr:4 row_mask:0xf bank_mask:0xf bound_ctrl:1
	v_add_f32_e32 v15, v51, v15
	v_cvt_i32_f32_e32 v5, v10
	v_add_f32_e32 v8, v8, v11
	v_cvt_i32_f32_e32 v23, v9
	;; [unrolled: 2-line block ×3, first 2 shown]
	v_cvt_f32_i32_dpp v5, v5 row_shr:4 row_mask:0xf bank_mask:0xf bound_ctrl:1
	ds_bpermute_b32 v14, v21, v12
	v_cvt_f32_i32_dpp v13, v23 row_shr:4 row_mask:0xf bank_mask:0xf bound_ctrl:1
	v_cvt_f32_i32_dpp v7, v7 row_shr:4 row_mask:0xf bank_mask:0xf bound_ctrl:1
	v_add_f32_e32 v5, v10, v5
	v_cvt_i32_f32_e32 v10, v8
	s_delay_alu instid0(VALU_DEP_3) | instskip(SKIP_1) | instid1(VALU_DEP_3)
	v_add_f32_e32 v7, v15, v7
	v_cvt_i32_f32_e32 v15, v6
	v_cvt_f32_i32_dpp v10, v10 row_shr:2 row_mask:0xf bank_mask:0xf bound_ctrl:1
	s_delay_alu instid0(VALU_DEP_3) | instskip(NEXT) | instid1(VALU_DEP_3)
	v_cvt_i32_f32_e32 v17, v7
	v_cvt_f32_i32_dpp v15, v15 row_shr:2 row_mask:0xf bank_mask:0xf bound_ctrl:1
	v_add_f32_e32 v9, v9, v13
	v_cvt_i32_f32_e32 v13, v5
	v_add_f32_e32 v8, v8, v10
	v_cvt_f32_i32_dpp v17, v17 row_shr:2 row_mask:0xf bank_mask:0xf bound_ctrl:1
	v_add_f32_e32 v6, v6, v15
	v_cvt_i32_f32_e32 v11, v9
	v_cvt_f32_i32_dpp v13, v13 row_shr:2 row_mask:0xf bank_mask:0xf bound_ctrl:1
	ds_bpermute_b32 v20, v21, v19
	v_add_f32_e32 v10, v7, v17
	v_cvt_i32_f32_e32 v7, v8
	v_cvt_f32_i32_dpp v11, v11 row_shr:2 row_mask:0xf bank_mask:0xf bound_ctrl:1
	v_add_f32_e32 v5, v5, v13
	v_cvt_i32_f32_e32 v15, v6
	v_cvt_i32_f32_e32 v17, v10
	v_cvt_f32_i32_dpp v7, v7 row_shr:1 row_mask:0xf bank_mask:0xf bound_ctrl:1
	v_add_f32_e32 v9, v9, v11
	v_cvt_i32_f32_e32 v13, v5
	v_cvt_f32_i32_dpp v22, v15 row_shr:1 row_mask:0xf bank_mask:0xf bound_ctrl:1
	v_cvt_f32_i32_dpp v17, v17 row_shr:1 row_mask:0xf bank_mask:0xf bound_ctrl:1
	v_add_f32_e32 v15, v8, v7
	v_cvt_i32_f32_e32 v11, v9
	v_cvt_f32_i32_dpp v13, v13 row_shr:1 row_mask:0xf bank_mask:0xf bound_ctrl:1
	v_add_f32_e32 v7, v6, v22
	s_delay_alu instid0(VALU_DEP_3)
	v_cvt_f32_i32_dpp v11, v11 row_shr:1 row_mask:0xf bank_mask:0xf bound_ctrl:1
	ds_bpermute_b32 v8, v21, v7
	v_add_f32_e32 v11, v9, v11
	v_add_f32_e32 v9, v5, v13
	;; [unrolled: 1-line block ×3, first 2 shown]
	ds_bpermute_b32 v17, v21, v15
	ds_bpermute_b32 v13, v21, v11
	;; [unrolled: 1-line block ×4, first 2 shown]
	s_and_saveexec_b32 s5, s0
	s_cbranch_execz .LBB48_44
; %bb.33:                               ;   in Loop: Header=BB48_19 Depth=1
	v_dual_mov_b32 v28, 0 :: v_dual_mov_b32 v27, 0
	v_dual_mov_b32 v26, 0 :: v_dual_mov_b32 v25, 0
	;; [unrolled: 1-line block ×4, first 2 shown]
	s_and_not1_b32 vcc_lo, exec_lo, s26
	s_cbranch_vccnz .LBB48_35
; %bb.34:                               ;   in Loop: Header=BB48_19 Depth=1
	v_mul_hi_u32 v21, v29, v48
	v_mul_hi_u32 v22, v34, v48
	;; [unrolled: 1-line block ×4, first 2 shown]
	s_delay_alu instid0(VALU_DEP_4) | instskip(NEXT) | instid1(VALU_DEP_4)
	v_mul_lo_u32 v21, v21, s18
	v_mul_lo_u32 v25, v22, s18
	s_delay_alu instid0(VALU_DEP_4) | instskip(NEXT) | instid1(VALU_DEP_4)
	v_mul_lo_u32 v23, v23, s18
	v_mul_lo_u32 v24, v24, s18
	s_delay_alu instid0(VALU_DEP_4) | instskip(NEXT) | instid1(VALU_DEP_4)
	v_sub_nc_u32_e32 v21, v29, v21
	v_sub_nc_u32_e32 v25, v34, v25
	s_delay_alu instid0(VALU_DEP_4) | instskip(NEXT) | instid1(VALU_DEP_4)
	v_sub_nc_u32_e32 v23, v33, v23
	v_sub_nc_u32_e32 v26, v32, v24
	s_delay_alu instid0(VALU_DEP_4)
	v_subrev_nc_u32_e32 v27, s18, v21
	v_cmp_le_u32_e32 vcc_lo, s18, v21
	v_mov_b32_e32 v22, v31
	v_subrev_nc_u32_e32 v28, s18, v25
	v_subrev_nc_u32_e32 v30, s18, v23
	;; [unrolled: 1-line block ×3, first 2 shown]
	v_cndmask_b32_e32 v21, v21, v27, vcc_lo
	v_cmp_le_u32_e32 vcc_lo, s18, v25
	v_mov_b32_e32 v24, v31
	s_delay_alu instid0(VALU_DEP_3) | instskip(SKIP_2) | instid1(VALU_DEP_2)
	v_subrev_nc_u32_e32 v27, s18, v21
	v_cndmask_b32_e32 v25, v25, v28, vcc_lo
	v_cmp_le_u32_e32 vcc_lo, s18, v23
	v_subrev_nc_u32_e32 v28, s18, v25
	v_cndmask_b32_e32 v23, v23, v30, vcc_lo
	v_cmp_le_u32_e32 vcc_lo, s18, v26
	v_dual_cndmask_b32 v35, v26, v35 :: v_dual_mov_b32 v26, v31
	v_cmp_le_u32_e32 vcc_lo, s18, v21
	s_delay_alu instid0(VALU_DEP_2)
	v_subrev_nc_u32_e32 v37, s18, v35
	v_cndmask_b32_e32 v30, v21, v27, vcc_lo
	v_cmp_le_u32_e32 vcc_lo, s18, v25
	v_subrev_nc_u32_e32 v36, s18, v23
	v_cndmask_b32_e32 v21, v25, v28, vcc_lo
	v_cmp_le_u32_e32 vcc_lo, s18, v23
	v_lshlrev_b64 v[27:28], 1, v[30:31]
	s_delay_alu instid0(VALU_DEP_4) | instskip(SKIP_1) | instid1(VALU_DEP_2)
	v_dual_cndmask_b32 v23, v23, v36 :: v_dual_add_nc_u32 v30, s21, v30
	v_cmp_le_u32_e32 vcc_lo, s18, v35
	v_lshlrev_b64 v[41:42], 1, v[30:31]
	v_add_nc_u32_e32 v30, s21, v21
	v_cndmask_b32_e32 v25, v35, v37, vcc_lo
	v_lshlrev_b64 v[35:36], 1, v[21:22]
	v_lshlrev_b64 v[37:38], 1, v[23:24]
	v_add_co_u32 v27, vcc_lo, s12, v27
	v_add_co_ci_u32_e32 v28, vcc_lo, s13, v28, vcc_lo
	s_delay_alu instid0(VALU_DEP_4) | instskip(SKIP_4) | instid1(VALU_DEP_4)
	v_add_co_u32 v35, vcc_lo, s12, v35
	v_lshlrev_b64 v[39:40], 1, v[25:26]
	v_add_co_ci_u32_e32 v36, vcc_lo, s13, v36, vcc_lo
	v_add_co_u32 v37, vcc_lo, s12, v37
	v_add_co_ci_u32_e32 v38, vcc_lo, s13, v38, vcc_lo
	v_add_co_u32 v21, vcc_lo, s12, v39
	v_add_co_ci_u32_e32 v22, vcc_lo, s13, v40, vcc_lo
	v_lshlrev_b64 v[39:40], 1, v[30:31]
	v_add_nc_u32_e32 v30, s21, v23
	v_add_co_u32 v23, vcc_lo, s12, v41
	v_add_co_ci_u32_e32 v24, vcc_lo, s13, v42, vcc_lo
	s_delay_alu instid0(VALU_DEP_3) | instskip(SKIP_3) | instid1(VALU_DEP_3)
	v_lshlrev_b64 v[41:42], 1, v[30:31]
	v_add_nc_u32_e32 v30, s21, v25
	v_add_co_u32 v39, vcc_lo, s12, v39
	v_add_co_ci_u32_e32 v40, vcc_lo, s13, v40, vcc_lo
	v_lshlrev_b64 v[25:26], 1, v[30:31]
	v_add_co_u32 v41, vcc_lo, s12, v41
	v_add_co_ci_u32_e32 v42, vcc_lo, s13, v42, vcc_lo
	s_delay_alu instid0(VALU_DEP_3) | instskip(NEXT) | instid1(VALU_DEP_4)
	v_add_co_u32 v43, vcc_lo, s12, v25
	v_add_co_ci_u32_e32 v44, vcc_lo, s13, v26, vcc_lo
	s_clause 0x7
	global_load_u16 v28, v[27:28], off
	global_load_u16 v27, v[35:36], off
	;; [unrolled: 1-line block ×8, first 2 shown]
.LBB48_35:                              ;   in Loop: Header=BB48_19 Depth=1
	v_cmp_ne_u32_e32 vcc_lo, 0, v1
	s_and_saveexec_b32 s2, vcc_lo
	s_cbranch_execnz .LBB48_49
; %bb.36:                               ;   in Loop: Header=BB48_19 Depth=1
	s_or_b32 exec_lo, exec_lo, s2
	v_cmp_ne_u32_e64 s1, 0, v2
	s_delay_alu instid0(VALU_DEP_1)
	s_and_saveexec_b32 s3, s1
	s_cbranch_execnz .LBB48_50
.LBB48_37:                              ;   in Loop: Header=BB48_19 Depth=1
	s_or_b32 exec_lo, exec_lo, s3
	v_cmp_ne_u32_e64 s2, 0, v3
	s_delay_alu instid0(VALU_DEP_1)
	s_and_saveexec_b32 s4, s2
	s_cbranch_execnz .LBB48_51
.LBB48_38:                              ;   in Loop: Header=BB48_19 Depth=1
	s_or_b32 exec_lo, exec_lo, s4
	v_cmp_ne_u32_e64 s3, 0, v4
	s_delay_alu instid0(VALU_DEP_1)
	s_and_saveexec_b32 s27, s3
	s_cbranch_execnz .LBB48_52
.LBB48_39:                              ;   in Loop: Header=BB48_19 Depth=1
	s_or_b32 exec_lo, exec_lo, s27
	v_add_nc_u32_e32 v30, s11, v29
	s_and_saveexec_b32 s4, vcc_lo
	s_cbranch_execnz .LBB48_53
.LBB48_40:                              ;   in Loop: Header=BB48_19 Depth=1
	s_or_b32 exec_lo, exec_lo, s4
	s_and_saveexec_b32 s4, s1
	s_cbranch_execnz .LBB48_54
.LBB48_41:                              ;   in Loop: Header=BB48_19 Depth=1
	s_or_b32 exec_lo, exec_lo, s4
	s_and_saveexec_b32 s1, s2
	s_cbranch_execnz .LBB48_55
.LBB48_42:                              ;   in Loop: Header=BB48_19 Depth=1
	s_or_b32 exec_lo, exec_lo, s1
	s_delay_alu instid0(SALU_CYCLE_1)
	s_and_b32 exec_lo, exec_lo, s3
	s_cbranch_execz .LBB48_44
.LBB48_43:                              ;   in Loop: Header=BB48_19 Depth=1
	s_waitcnt lgkmcnt(0)
	v_add_f32_e32 v5, v5, v6
	s_waitcnt vmcnt(0)
	v_cvt_f32_f16_e32 v6, v21
	v_add_nc_u32_e32 v30, 3, v30
	s_delay_alu instid0(VALU_DEP_2) | instskip(NEXT) | instid1(VALU_DEP_2)
	v_add_f32_e32 v7, v5, v6
	v_lshlrev_b64 v[5:6], 1, v[30:31]
	s_delay_alu instid0(VALU_DEP_2) | instskip(NEXT) | instid1(VALU_DEP_2)
	v_cvt_f16_f32_e32 v7, v7
	v_add_co_u32 v5, vcc_lo, s14, v5
	s_delay_alu instid0(VALU_DEP_3)
	v_add_co_ci_u32_e32 v6, vcc_lo, s15, v6, vcc_lo
	global_store_b16 v[5:6], v7, off
.LBB48_44:                              ;   in Loop: Header=BB48_19 Depth=1
	s_or_b32 exec_lo, exec_lo, s5
	v_add_nc_u32_e32 v29, s10, v29
	s_delay_alu instid0(VALU_DEP_1) | instskip(SKIP_1) | instid1(VALU_DEP_2)
	v_add_nc_u32_e32 v5, 4, v29
	v_cmp_gt_u32_e32 vcc_lo, s11, v29
	v_cmp_le_u32_e64 s1, s11, v5
	s_delay_alu instid0(VALU_DEP_1) | instskip(NEXT) | instid1(SALU_CYCLE_1)
	s_and_b32 s1, vcc_lo, s1
	s_and_saveexec_b32 s27, s1
	s_cbranch_execz .LBB48_18
; %bb.45:                               ;   in Loop: Header=BB48_19 Depth=1
	s_mov_b32 s28, exec_lo
	v_cmpx_ne_u32_e64 s20, v29
	s_cbranch_execz .LBB48_17
; %bb.46:                               ;   in Loop: Header=BB48_19 Depth=1
	v_subrev_nc_u32_e32 v5, s20, v29
	s_mov_b32 s29, 0
	s_mov_b64 s[4:5], 0
	s_delay_alu instid0(VALU_DEP_1)
	v_cmp_lt_u32_e32 vcc_lo, 1, v5
	v_cndmask_b32_e32 v5, 1, v5, vcc_lo
	.p2align	6
.LBB48_47:                              ;   Parent Loop BB48_19 Depth=1
                                        ; =>  This Inner Loop Header: Depth=2
	s_cmp_lg_u32 s4, 3
	s_cselect_b32 vcc_lo, -1, 0
	s_cmp_lg_u32 s4, 2
	v_cndmask_b32_e32 v4, 0, v4, vcc_lo
	s_cselect_b32 s1, -1, 0
	s_cmp_lg_u32 s4, 1
	v_cndmask_b32_e64 v3, 0, v3, s1
	s_cselect_b32 s2, -1, 0
	s_cmp_lg_u32 s4, 0
	v_cndmask_b32_e64 v2, 0, v2, s2
	s_cselect_b32 s3, -1, 0
	s_add_u32 s4, s4, 1
	v_cndmask_b32_e64 v1, 0, v1, s3
	v_cmp_eq_u32_e32 vcc_lo, s4, v5
	s_addc_u32 s5, s5, 0
	s_or_b32 s29, vcc_lo, s29
	s_delay_alu instid0(SALU_CYCLE_1)
	s_and_not1_b32 exec_lo, exec_lo, s29
	s_cbranch_execnz .LBB48_47
; %bb.48:                               ;   in Loop: Header=BB48_19 Depth=1
	s_or_b32 exec_lo, exec_lo, s29
	s_branch .LBB48_17
.LBB48_49:                              ;   in Loop: Header=BB48_19 Depth=1
	s_waitcnt lgkmcnt(5)
	v_add_f32_e32 v19, v19, v20
	s_waitcnt vmcnt(7)
	v_cvt_f32_f16_e32 v20, v28
	v_mov_b32_e32 v30, v31
	s_delay_alu instid0(VALU_DEP_2) | instskip(NEXT) | instid1(VALU_DEP_2)
	v_add_f32_e32 v28, v19, v20
	v_lshlrev_b64 v[19:20], 1, v[29:30]
	s_delay_alu instid0(VALU_DEP_2) | instskip(NEXT) | instid1(VALU_DEP_2)
	v_cvt_f16_f32_e32 v28, v28
	v_add_co_u32 v19, s1, s14, v19
	s_delay_alu instid0(VALU_DEP_1) | instskip(SKIP_3) | instid1(VALU_DEP_1)
	v_add_co_ci_u32_e64 v20, s1, s15, v20, s1
	global_store_b16 v[19:20], v28, off
	s_or_b32 exec_lo, exec_lo, s2
	v_cmp_ne_u32_e64 s1, 0, v2
	s_and_saveexec_b32 s3, s1
	s_cbranch_execz .LBB48_37
.LBB48_50:                              ;   in Loop: Header=BB48_19 Depth=1
	s_waitcnt lgkmcnt(7)
	v_dual_add_f32 v16, v16, v18 :: v_dual_mov_b32 v35, v31
	s_waitcnt vmcnt(6)
	v_cvt_f32_f16_e32 v18, v27
	s_delay_alu instid0(VALU_DEP_1) | instskip(NEXT) | instid1(VALU_DEP_3)
	v_add_f32_e32 v16, v16, v18
	v_lshlrev_b64 v[18:19], 1, v[34:35]
	s_delay_alu instid0(VALU_DEP_2) | instskip(NEXT) | instid1(VALU_DEP_2)
	v_cvt_f16_f32_e32 v16, v16
	v_add_co_u32 v18, s2, s14, v18
	s_delay_alu instid0(VALU_DEP_1) | instskip(SKIP_3) | instid1(VALU_DEP_1)
	v_add_co_ci_u32_e64 v19, s2, s15, v19, s2
	global_store_b16 v[18:19], v16, off
	s_or_b32 exec_lo, exec_lo, s3
	v_cmp_ne_u32_e64 s2, 0, v3
	s_and_saveexec_b32 s4, s2
	s_cbranch_execz .LBB48_38
.LBB48_51:                              ;   in Loop: Header=BB48_19 Depth=1
	v_mov_b32_e32 v34, v31
	s_waitcnt lgkmcnt(6)
	v_add_f32_e32 v12, v12, v14
	s_waitcnt vmcnt(5)
	v_cvt_f32_f16_e32 v14, v26
	v_lshlrev_b64 v[18:19], 1, v[33:34]
	s_delay_alu instid0(VALU_DEP_2) | instskip(NEXT) | instid1(VALU_DEP_2)
	v_add_f32_e32 v12, v12, v14
	v_add_co_u32 v18, s3, s14, v18
	s_delay_alu instid0(VALU_DEP_2) | instskip(NEXT) | instid1(VALU_DEP_4)
	v_cvt_f16_f32_e32 v12, v12
	v_add_co_ci_u32_e64 v19, s3, s15, v19, s3
	global_store_b16 v[18:19], v12, off
	s_or_b32 exec_lo, exec_lo, s4
	v_cmp_ne_u32_e64 s3, 0, v4
	s_delay_alu instid0(VALU_DEP_1)
	s_and_saveexec_b32 s27, s3
	s_cbranch_execz .LBB48_39
.LBB48_52:                              ;   in Loop: Header=BB48_19 Depth=1
	s_waitcnt lgkmcnt(3)
	v_add_f32_e32 v12, v15, v17
	s_waitcnt vmcnt(4)
	v_cvt_f32_f16_e32 v14, v25
	s_delay_alu instid0(VALU_DEP_1) | instskip(NEXT) | instid1(VALU_DEP_1)
	v_dual_mov_b32 v33, v31 :: v_dual_add_f32 v12, v12, v14
	v_lshlrev_b64 v[14:15], 1, v[32:33]
	s_delay_alu instid0(VALU_DEP_2) | instskip(NEXT) | instid1(VALU_DEP_2)
	v_cvt_f16_f32_e32 v12, v12
	v_add_co_u32 v14, s4, s14, v14
	s_delay_alu instid0(VALU_DEP_1)
	v_add_co_ci_u32_e64 v15, s4, s15, v15, s4
	global_store_b16 v[14:15], v12, off
	s_or_b32 exec_lo, exec_lo, s27
	v_add_nc_u32_e32 v30, s11, v29
	s_and_saveexec_b32 s4, vcc_lo
	s_cbranch_execz .LBB48_40
.LBB48_53:                              ;   in Loop: Header=BB48_19 Depth=1
	s_waitcnt lgkmcnt(2)
	v_add_f32_e32 v11, v11, v13
	s_waitcnt vmcnt(3)
	v_cvt_f32_f16_e32 v12, v24
	s_delay_alu instid0(VALU_DEP_1) | instskip(SKIP_1) | instid1(VALU_DEP_2)
	v_add_f32_e32 v13, v11, v12
	v_lshlrev_b64 v[11:12], 1, v[30:31]
	v_cvt_f16_f32_e32 v13, v13
	s_delay_alu instid0(VALU_DEP_2) | instskip(NEXT) | instid1(VALU_DEP_3)
	v_add_co_u32 v11, vcc_lo, s14, v11
	v_add_co_ci_u32_e32 v12, vcc_lo, s15, v12, vcc_lo
	global_store_b16 v[11:12], v13, off
	s_or_b32 exec_lo, exec_lo, s4
	s_and_saveexec_b32 s4, s1
	s_cbranch_execz .LBB48_41
.LBB48_54:                              ;   in Loop: Header=BB48_19 Depth=1
	s_waitcnt lgkmcnt(1)
	v_dual_add_f32 v11, v9, v10 :: v_dual_mov_b32 v10, v31
	v_add_nc_u32_e32 v9, 1, v30
	s_waitcnt vmcnt(2)
	v_cvt_f32_f16_e32 v12, v23
	s_delay_alu instid0(VALU_DEP_2) | instskip(NEXT) | instid1(VALU_DEP_2)
	v_lshlrev_b64 v[9:10], 1, v[9:10]
	v_add_f32_e32 v11, v11, v12
	s_delay_alu instid0(VALU_DEP_1) | instskip(NEXT) | instid1(VALU_DEP_3)
	v_cvt_f16_f32_e32 v11, v11
	v_add_co_u32 v9, vcc_lo, s14, v9
	s_delay_alu instid0(VALU_DEP_4)
	v_add_co_ci_u32_e32 v10, vcc_lo, s15, v10, vcc_lo
	global_store_b16 v[9:10], v11, off
	s_or_b32 exec_lo, exec_lo, s4
	s_and_saveexec_b32 s1, s2
	s_cbranch_execz .LBB48_42
.LBB48_55:                              ;   in Loop: Header=BB48_19 Depth=1
	s_waitcnt lgkmcnt(4)
	v_add_f32_e32 v9, v7, v8
	v_dual_mov_b32 v8, v31 :: v_dual_add_nc_u32 v7, 2, v30
	s_waitcnt vmcnt(1) lgkmcnt(1)
	v_cvt_f32_f16_e32 v10, v22
	s_delay_alu instid0(VALU_DEP_2) | instskip(NEXT) | instid1(VALU_DEP_2)
	v_lshlrev_b64 v[7:8], 1, v[7:8]
	v_add_f32_e32 v9, v9, v10
	s_delay_alu instid0(VALU_DEP_1) | instskip(NEXT) | instid1(VALU_DEP_3)
	v_cvt_f16_f32_e32 v9, v9
	v_add_co_u32 v7, vcc_lo, s14, v7
	s_delay_alu instid0(VALU_DEP_4) | instskip(SKIP_2) | instid1(SALU_CYCLE_1)
	v_add_co_ci_u32_e32 v8, vcc_lo, s15, v8, vcc_lo
	global_store_b16 v[7:8], v9, off
	s_or_b32 exec_lo, exec_lo, s1
	s_and_b32 exec_lo, exec_lo, s3
	s_cbranch_execnz .LBB48_43
	s_branch .LBB48_44
.LBB48_56:
	s_nop 0
	s_sendmsg sendmsg(MSG_DEALLOC_VGPRS)
	s_endpgm
	.section	.rodata,"a",@progbits
	.p2align	6, 0x0
	.amdhsa_kernel _Z12wvSplitK_hf_I6__halfLi32ELi4ELi16ELi8ELi1ELi2EEviiiiiiPKT_S3_S3_PS1_ii
		.amdhsa_group_segment_fixed_size 65536
		.amdhsa_private_segment_fixed_size 0
		.amdhsa_kernarg_size 64
		.amdhsa_user_sgpr_count 15
		.amdhsa_user_sgpr_dispatch_ptr 0
		.amdhsa_user_sgpr_queue_ptr 0
		.amdhsa_user_sgpr_kernarg_segment_ptr 1
		.amdhsa_user_sgpr_dispatch_id 0
		.amdhsa_user_sgpr_private_segment_size 0
		.amdhsa_wavefront_size32 1
		.amdhsa_uses_dynamic_stack 0
		.amdhsa_enable_private_segment 0
		.amdhsa_system_sgpr_workgroup_id_x 1
		.amdhsa_system_sgpr_workgroup_id_y 0
		.amdhsa_system_sgpr_workgroup_id_z 0
		.amdhsa_system_sgpr_workgroup_info 0
		.amdhsa_system_vgpr_workitem_id 1
		.amdhsa_next_free_vgpr 59
		.amdhsa_next_free_sgpr 30
		.amdhsa_reserve_vcc 1
		.amdhsa_float_round_mode_32 0
		.amdhsa_float_round_mode_16_64 0
		.amdhsa_float_denorm_mode_32 3
		.amdhsa_float_denorm_mode_16_64 3
		.amdhsa_dx10_clamp 1
		.amdhsa_ieee_mode 1
		.amdhsa_fp16_overflow 0
		.amdhsa_workgroup_processor_mode 1
		.amdhsa_memory_ordered 1
		.amdhsa_forward_progress 0
		.amdhsa_shared_vgpr_count 0
		.amdhsa_exception_fp_ieee_invalid_op 0
		.amdhsa_exception_fp_denorm_src 0
		.amdhsa_exception_fp_ieee_div_zero 0
		.amdhsa_exception_fp_ieee_overflow 0
		.amdhsa_exception_fp_ieee_underflow 0
		.amdhsa_exception_fp_ieee_inexact 0
		.amdhsa_exception_int_div_zero 0
	.end_amdhsa_kernel
	.section	.text._Z12wvSplitK_hf_I6__halfLi32ELi4ELi16ELi8ELi1ELi2EEviiiiiiPKT_S3_S3_PS1_ii,"axG",@progbits,_Z12wvSplitK_hf_I6__halfLi32ELi4ELi16ELi8ELi1ELi2EEviiiiiiPKT_S3_S3_PS1_ii,comdat
.Lfunc_end48:
	.size	_Z12wvSplitK_hf_I6__halfLi32ELi4ELi16ELi8ELi1ELi2EEviiiiiiPKT_S3_S3_PS1_ii, .Lfunc_end48-_Z12wvSplitK_hf_I6__halfLi32ELi4ELi16ELi8ELi1ELi2EEviiiiiiPKT_S3_S3_PS1_ii
                                        ; -- End function
	.section	.AMDGPU.csdata,"",@progbits
; Kernel info:
; codeLenInByte = 4524
; NumSgprs: 32
; NumVgprs: 59
; ScratchSize: 0
; MemoryBound: 0
; FloatMode: 240
; IeeeMode: 1
; LDSByteSize: 65536 bytes/workgroup (compile time only)
; SGPRBlocks: 3
; VGPRBlocks: 7
; NumSGPRsForWavesPerEU: 32
; NumVGPRsForWavesPerEU: 59
; Occupancy: 8
; WaveLimiterHint : 0
; COMPUTE_PGM_RSRC2:SCRATCH_EN: 0
; COMPUTE_PGM_RSRC2:USER_SGPR: 15
; COMPUTE_PGM_RSRC2:TRAP_HANDLER: 0
; COMPUTE_PGM_RSRC2:TGID_X_EN: 1
; COMPUTE_PGM_RSRC2:TGID_Y_EN: 0
; COMPUTE_PGM_RSRC2:TGID_Z_EN: 0
; COMPUTE_PGM_RSRC2:TIDIG_COMP_CNT: 1
	.section	.text._Z16wvSplitK_hf_big_I6__halfLi32ELi4ELi16ELi8ELi1ELi2EEviiiiiiPKT_S3_S3_PS1_ii,"axG",@progbits,_Z16wvSplitK_hf_big_I6__halfLi32ELi4ELi16ELi8ELi1ELi2EEviiiiiiPKT_S3_S3_PS1_ii,comdat
	.protected	_Z16wvSplitK_hf_big_I6__halfLi32ELi4ELi16ELi8ELi1ELi2EEviiiiiiPKT_S3_S3_PS1_ii ; -- Begin function _Z16wvSplitK_hf_big_I6__halfLi32ELi4ELi16ELi8ELi1ELi2EEviiiiiiPKT_S3_S3_PS1_ii
	.globl	_Z16wvSplitK_hf_big_I6__halfLi32ELi4ELi16ELi8ELi1ELi2EEviiiiiiPKT_S3_S3_PS1_ii
	.p2align	8
	.type	_Z16wvSplitK_hf_big_I6__halfLi32ELi4ELi16ELi8ELi1ELi2EEviiiiiiPKT_S3_S3_PS1_ii,@function
_Z16wvSplitK_hf_big_I6__halfLi32ELi4ELi16ELi8ELi1ELi2EEviiiiiiPKT_S3_S3_PS1_ii: ; @_Z16wvSplitK_hf_big_I6__halfLi32ELi4ELi16ELi8ELi1ELi2EEviiiiiiPKT_S3_S3_PS1_ii
; %bb.0:
	s_load_b64 s[20:21], s[0:1], 0x38
	v_bfe_u32 v5, v0, 10, 10
	s_mov_b32 s2, exec_lo
	s_waitcnt lgkmcnt(0)
	s_delay_alu instid0(VALU_DEP_1)
	v_cmpx_gt_u32_e64 s20, v5
	s_cbranch_execz .LBB49_54
; %bb.1:
	s_load_b128 s[16:19], s[0:1], 0x0
	s_mul_i32 s15, s15, s20
	s_mov_b32 s4, 1
	v_add_lshl_u32 v29, s15, v5, 2
	s_mov_b32 s5, s4
	s_mov_b32 s6, s4
	;; [unrolled: 1-line block ×3, first 2 shown]
	s_delay_alu instid0(VALU_DEP_1) | instskip(SKIP_2) | instid1(VALU_DEP_2)
	v_add_nc_u32_e32 v1, 4, v29
	s_waitcnt lgkmcnt(0)
	v_cmp_gt_u32_e32 vcc_lo, s19, v29
	v_cmp_le_u32_e64 s2, s19, v1
	v_dual_mov_b32 v1, s4 :: v_dual_mov_b32 v4, s7
	v_dual_mov_b32 v2, s5 :: v_dual_mov_b32 v3, s6
	s_delay_alu instid0(VALU_DEP_3) | instskip(NEXT) | instid1(SALU_CYCLE_1)
	s_and_b32 s2, vcc_lo, s2
	s_and_saveexec_b32 s8, s2
	s_cbranch_execz .LBB49_7
; %bb.2:
	v_dual_mov_b32 v1, s4 :: v_dual_mov_b32 v2, s5
	v_dual_mov_b32 v3, s6 :: v_dual_mov_b32 v4, s7
	s_add_i32 s9, s19, -4
	s_mov_b32 s10, exec_lo
	v_cmpx_ne_u32_e64 s9, v29
	s_cbranch_execz .LBB49_6
; %bb.3:
	v_subrev_nc_u32_e32 v1, s9, v29
	s_mov_b32 s11, 0
	s_mov_b64 s[2:3], 0
	s_mov_b32 s5, s4
	s_mov_b32 s6, s4
	v_cmp_lt_u32_e32 vcc_lo, 1, v1
	s_mov_b32 s7, s4
	v_cndmask_b32_e32 v6, 1, v1, vcc_lo
	.p2align	6
.LBB49_4:                               ; =>This Inner Loop Header: Depth=1
	s_cmp_lg_u32 s2, 3
	s_cselect_b32 s7, s7, 0
	s_cmp_lg_u32 s2, 2
	s_cselect_b32 s6, s6, 0
	;; [unrolled: 2-line block ×4, first 2 shown]
	s_add_u32 s2, s2, 1
	v_dual_mov_b32 v1, s4 :: v_dual_mov_b32 v2, s5
	v_cmp_eq_u32_e32 vcc_lo, s2, v6
	v_dual_mov_b32 v3, s6 :: v_dual_mov_b32 v4, s7
	s_addc_u32 s3, s3, 0
	s_or_b32 s11, vcc_lo, s11
	s_delay_alu instid0(SALU_CYCLE_1)
	s_and_not1_b32 exec_lo, exec_lo, s11
	s_cbranch_execnz .LBB49_4
; %bb.5:
	s_or_b32 exec_lo, exec_lo, s11
	v_mov_b32_e32 v29, s9
.LBB49_6:
	s_or_b32 exec_lo, exec_lo, s10
.LBB49_7:
	s_delay_alu instid0(SALU_CYCLE_1)
	s_or_b32 exec_lo, exec_lo, s8
	s_lshl_b32 s2, s20, 2
	s_abs_i32 s6, s19
	s_abs_i32 s3, s2
	s_mov_b32 s23, 0
	v_cvt_f32_u32_e32 v6, s3
	s_sub_i32 s5, 0, s3
	s_delay_alu instid0(VALU_DEP_1) | instskip(SKIP_2) | instid1(VALU_DEP_1)
	v_rcp_iflag_f32_e32 v6, v6
	s_waitcnt_depctr 0xfff
	v_mul_f32_e32 v6, 0x4f7ffffe, v6
	v_cvt_u32_f32_e32 v6, v6
	s_delay_alu instid0(VALU_DEP_1) | instskip(NEXT) | instid1(VALU_DEP_1)
	v_readfirstlane_b32 s4, v6
	s_mul_i32 s5, s5, s4
	s_delay_alu instid0(SALU_CYCLE_1) | instskip(NEXT) | instid1(SALU_CYCLE_1)
	s_mul_hi_u32 s5, s4, s5
	s_add_i32 s4, s4, s5
	s_ashr_i32 s5, s19, 31
	s_mul_hi_u32 s4, s6, s4
	s_delay_alu instid0(SALU_CYCLE_1) | instskip(NEXT) | instid1(SALU_CYCLE_1)
	s_mul_i32 s4, s4, s3
	s_sub_i32 s4, s6, s4
	s_delay_alu instid0(SALU_CYCLE_1) | instskip(SKIP_2) | instid1(SALU_CYCLE_1)
	s_sub_i32 s6, s4, s3
	s_cmp_ge_u32 s4, s3
	s_cselect_b32 s4, s6, s4
	s_sub_i32 s6, s4, s3
	s_cmp_ge_u32 s4, s3
	s_cselect_b32 s3, s6, s4
	s_add_i32 s2, s2, s19
	s_xor_b32 s3, s3, s5
	s_delay_alu instid0(SALU_CYCLE_1) | instskip(NEXT) | instid1(SALU_CYCLE_1)
	s_sub_i32 s3, s3, s5
	s_sub_i32 s2, s2, s3
	s_cmp_eq_u32 s3, 0
	s_cselect_b32 s22, s19, s2
	s_delay_alu instid0(SALU_CYCLE_1)
	v_cmp_gt_u32_e32 vcc_lo, s22, v29
	s_and_b32 exec_lo, exec_lo, vcc_lo
	s_cbranch_execz .LBB49_54
; %bb.8:
	s_load_b256 s[8:15], s[0:1], 0x10
	s_min_u32 s24, s18, 0x4000
	v_and_b32_e32 v7, 0x3ff, v0
	s_cmp_lg_u32 s16, 0
	s_load_b64 s[6:7], s[0:1], 0x30
	s_mul_i32 s0, s21, s20
	s_cselect_b32 s21, -1, 0
	s_cmp_lg_u32 s18, 0
	v_dual_mov_b32 v31, 0 :: v_dual_lshlrev_b32 v0, 3, v7
	s_cselect_b32 s25, -1, 0
	s_lshl_b32 s26, s20, 8
	s_add_i32 s27, s16, -8
	s_add_i32 s28, s19, -1
	s_lshl_b32 s29, s0, 2
	v_cmp_eq_u32_e64 s0, 31, v7
	v_lshl_add_u32 v40, v5, 8, v0
	v_mbcnt_lo_u32_b32 v44, -1, 0
	v_lshlrev_b32_e32 v7, 4, v7
	s_waitcnt lgkmcnt(0)
	v_cvt_f32_u32_e32 v6, s8
	s_cmp_lg_u64 s[14:15], 0
	v_add_nc_u32_e32 v42, s18, v40
	s_cselect_b32 s30, -1, 0
	s_sub_i32 s1, 0, s8
	v_rcp_iflag_f32_e32 v6, v6
	v_lshl_add_u32 v41, v5, 9, v7
	s_waitcnt_depctr 0xfff
	v_mul_f32_e32 v6, 0x4f7ffffe, v6
	s_delay_alu instid0(VALU_DEP_1) | instskip(NEXT) | instid1(VALU_DEP_1)
	v_cvt_u32_f32_e32 v6, v6
	v_mul_lo_u32 v8, s1, v6
	s_abs_i32 s1, s9
	s_add_i32 s9, s19, -4
	s_sub_i32 s2, 1, s1
	s_cmp_lt_u32 s1, 2
	s_cselect_b32 s2, s2, 1
	s_delay_alu instid0(SALU_CYCLE_1) | instskip(NEXT) | instid1(VALU_DEP_1)
	s_sub_i32 s3, s2, s1
	v_mul_hi_u32 v8, v6, v8
	s_cmp_ge_u32 s2, s1
	s_cselect_b32 s33, s3, s2
	s_add_u32 s31, s6, 2
	s_mul_i32 s33, s33, s8
	s_addc_u32 s34, s7, 0
	s_lshl_b32 s35, s24, 1
	s_delay_alu instid0(VALU_DEP_1)
	v_add_nc_u32_e32 v43, v6, v8
	s_lshl_b32 s20, s20, 9
	s_branch .LBB49_12
.LBB49_9:                               ;   in Loop: Header=BB49_12 Depth=1
	s_or_b32 exec_lo, exec_lo, s38
	v_mov_b32_e32 v29, s9
.LBB49_10:                              ;   in Loop: Header=BB49_12 Depth=1
	s_or_b32 exec_lo, exec_lo, s37
.LBB49_11:                              ;   in Loop: Header=BB49_12 Depth=1
	s_delay_alu instid0(SALU_CYCLE_1) | instskip(NEXT) | instid1(VALU_DEP_1)
	s_or_b32 exec_lo, exec_lo, s36
	v_cmp_le_u32_e32 vcc_lo, s22, v29
	s_or_b32 s23, vcc_lo, s23
	s_delay_alu instid0(SALU_CYCLE_1)
	s_and_not1_b32 exec_lo, exec_lo, s23
	s_cbranch_execz .LBB49_54
.LBB49_12:                              ; =>This Loop Header: Depth=1
                                        ;     Child Loop BB49_16 Depth 2
                                        ;       Child Loop BB49_21 Depth 3
                                        ;     Child Loop BB49_45 Depth 2
	v_mov_b32_e32 v52, v31
	v_mov_b32_e32 v51, v31
	;; [unrolled: 1-line block ×8, first 2 shown]
	s_and_not1_b32 vcc_lo, exec_lo, s21
	s_mov_b32 s3, 0
	s_cbranch_vccnz .LBB49_27
; %bb.13:                               ;   in Loop: Header=BB49_12 Depth=1
	v_dual_mov_b32 v47, 0 :: v_dual_add_nc_u32 v6, 2, v29
	v_add_nc_u32_e32 v5, 1, v29
	v_add_nc_u32_e32 v7, 3, v29
	v_min_u32_e32 v8, s28, v29
	s_delay_alu instid0(VALU_DEP_4) | instskip(SKIP_2) | instid1(VALU_DEP_4)
	v_min_u32_e32 v6, s28, v6
	v_dual_mov_b32 v10, v31 :: v_dual_mov_b32 v45, 0
	v_cmp_gt_u32_e64 s1, s19, v29
	v_mul_lo_u32 v30, v8, s17
	v_mov_b32_e32 v8, v31
	s_waitcnt lgkmcnt(0)
	v_min_u32_e32 v9, s28, v7
	v_mul_lo_u32 v7, v6, s17
	v_mov_b32_e32 v6, v31
	v_min_u32_e32 v5, s28, v5
	v_dual_mov_b32 v48, 0 :: v_dual_mov_b32 v49, 0
	v_mul_lo_u32 v9, v9, s17
	s_waitcnt vmcnt(6)
	v_lshlrev_b64 v[32:33], 1, v[30:31]
	v_mul_lo_u32 v5, v5, s17
	v_lshlrev_b64 v[36:37], 1, v[7:8]
	v_dual_mov_b32 v46, 0 :: v_dual_mov_b32 v51, 0
	v_mov_b32_e32 v50, 0
	v_mov_b32_e32 v52, 0
	v_lshlrev_b64 v[38:39], 1, v[9:10]
	s_mov_b32 s4, 0
	v_lshlrev_b64 v[34:35], 1, v[5:6]
	s_branch .LBB49_16
.LBB49_14:                              ;   in Loop: Header=BB49_16 Depth=2
	s_or_b32 exec_lo, exec_lo, s5
	s_waitcnt vmcnt(3) lgkmcnt(1)
	;;#ASMSTART
	v_dot2_f32_f16 v52, v25, v21, v52
	;;#ASMEND
	s_waitcnt vmcnt(2)
	;;#ASMSTART
	v_dot2_f32_f16 v51, v25, v17, v51
	;;#ASMEND
	s_waitcnt vmcnt(1)
	;;#ASMSTART
	v_dot2_f32_f16 v50, v25, v9, v50
	;;#ASMEND
	s_waitcnt vmcnt(0)
	;;#ASMSTART
	v_dot2_f32_f16 v49, v25, v5, v49
	;;#ASMEND
	s_waitcnt lgkmcnt(0)
	;;#ASMSTART
	v_dot2_f32_f16 v47, v13, v21, v47
	;;#ASMEND
	;;#ASMSTART
	v_dot2_f32_f16 v48, v13, v17, v48
	;;#ASMEND
	;; [unrolled: 3-line block ×28, first 2 shown]
.LBB49_15:                              ;   in Loop: Header=BB49_16 Depth=2
	s_or_b32 exec_lo, exec_lo, s2
	s_addk_i32 s4, 0x100
	s_delay_alu instid0(SALU_CYCLE_1)
	s_cmp_ge_u32 s4, s16
	s_cbranch_scc1 .LBB49_27
.LBB49_16:                              ;   Parent Loop BB49_12 Depth=1
                                        ; =>  This Loop Header: Depth=2
                                        ;       Child Loop BB49_21 Depth 3
	s_cmp_eq_u32 s4, 0
	s_cselect_b32 s5, -1, 0
	s_add_i32 s2, s3, s24
	s_delay_alu instid0(SALU_CYCLE_1) | instskip(SKIP_1) | instid1(SALU_CYCLE_1)
	s_cmp_eq_u32 s4, s2
	s_cselect_b32 s36, -1, 0
	s_or_b32 s36, s5, s36
	s_delay_alu instid0(SALU_CYCLE_1)
	s_and_not1_b32 vcc_lo, exec_lo, s36
	s_cbranch_vccz .LBB49_18
; %bb.17:                               ;   in Loop: Header=BB49_16 Depth=2
	s_and_saveexec_b32 s2, s1
	s_cbranch_execz .LBB49_15
	s_branch .LBB49_25
.LBB49_18:                              ;   in Loop: Header=BB49_16 Depth=2
	s_and_b32 s5, s5, exec_lo
	s_cselect_b32 s3, s3, s2
	s_and_not1_b32 vcc_lo, exec_lo, s25
	s_waitcnt vmcnt(0)
	s_waitcnt_vscnt null, 0x0
	s_barrier
	buffer_gl0_inv
	s_cbranch_vccnz .LBB49_24
; %bb.19:                               ;   in Loop: Header=BB49_16 Depth=2
	v_add_nc_u32_e32 v5, s3, v42
	v_dual_mov_b32 v7, v41 :: v_dual_add_nc_u32 v6, s3, v40
	s_mov_b32 s5, 0
	s_mov_b32 s36, 0
                                        ; implicit-def: $sgpr37
	s_set_inst_prefetch_distance 0x1
	s_branch .LBB49_21
	.p2align	6
.LBB49_20:                              ;   in Loop: Header=BB49_21 Depth=3
	s_or_b32 exec_lo, exec_lo, s2
	s_delay_alu instid0(SALU_CYCLE_1) | instskip(NEXT) | instid1(SALU_CYCLE_1)
	s_and_b32 s2, exec_lo, s37
	s_or_b32 s5, s2, s5
	s_delay_alu instid0(SALU_CYCLE_1)
	s_and_not1_b32 exec_lo, exec_lo, s5
	s_cbranch_execz .LBB49_23
.LBB49_21:                              ;   Parent Loop BB49_12 Depth=1
                                        ;     Parent Loop BB49_16 Depth=2
                                        ; =>    This Inner Loop Header: Depth=3
	v_add_nc_u32_e32 v30, s36, v6
	v_add_nc_u32_e32 v8, s36, v40
	s_or_b32 s37, s37, exec_lo
	s_delay_alu instid0(VALU_DEP_2) | instskip(NEXT) | instid1(VALU_DEP_2)
	v_cmp_gt_u32_e32 vcc_lo, s18, v30
	v_cmp_gt_u32_e64 s2, s24, v8
	s_delay_alu instid0(VALU_DEP_1) | instskip(NEXT) | instid1(SALU_CYCLE_1)
	s_and_b32 s38, s2, vcc_lo
	s_and_saveexec_b32 s2, s38
	s_cbranch_execz .LBB49_20
; %bb.22:                               ;   in Loop: Header=BB49_21 Depth=3
	v_lshlrev_b64 v[8:9], 1, v[30:31]
	v_add_nc_u32_e32 v30, s36, v5
	s_add_i32 s36, s36, s26
	v_add_nc_u32_e32 v16, s35, v7
	s_cmp_ge_u32 s36, s24
	s_delay_alu instid0(VALU_DEP_2) | instskip(SKIP_3) | instid1(VALU_DEP_3)
	v_lshlrev_b64 v[12:13], 1, v[30:31]
	v_add_co_u32 v8, vcc_lo, s12, v8
	v_add_co_ci_u32_e32 v9, vcc_lo, s13, v9, vcc_lo
	s_cselect_b32 s38, -1, 0
	v_add_co_u32 v12, vcc_lo, s12, v12
	global_load_b128 v[8:11], v[8:9], off
	v_add_co_ci_u32_e32 v13, vcc_lo, s13, v13, vcc_lo
	s_and_not1_b32 s37, s37, exec_lo
	s_and_b32 s38, s38, exec_lo
	global_load_b128 v[12:15], v[12:13], off
	s_or_b32 s37, s37, s38
	s_waitcnt vmcnt(1)
	ds_store_b128 v7, v[8:11]
	v_add_nc_u32_e32 v7, s20, v7
	s_waitcnt vmcnt(0)
	ds_store_2addr_b64 v16, v[12:13], v[14:15] offset1:1
	s_branch .LBB49_20
.LBB49_23:                              ;   in Loop: Header=BB49_16 Depth=2
	s_set_inst_prefetch_distance 0x2
	s_or_b32 exec_lo, exec_lo, s5
.LBB49_24:                              ;   in Loop: Header=BB49_16 Depth=2
	s_waitcnt lgkmcnt(0)
	s_barrier
	buffer_gl0_inv
	s_and_saveexec_b32 s2, s1
	s_cbranch_execz .LBB49_15
.LBB49_25:                              ;   in Loop: Header=BB49_16 Depth=2
	s_waitcnt vmcnt(3)
	v_dual_mov_b32 v26, 0 :: v_dual_add_nc_u32 v53, s4, v0
	s_waitcnt vmcnt(2)
	v_dual_mov_b32 v25, 0 :: v_dual_mov_b32 v28, 0
	v_mov_b32_e32 v27, 0
	s_delay_alu instid0(VALU_DEP_3) | instskip(SKIP_3) | instid1(VALU_DEP_3)
	v_min_u32_e32 v30, s27, v53
	v_mov_b32_e32 v15, 0
	s_mov_b32 s5, exec_lo
	v_mov_b32_e32 v16, 0
	v_lshlrev_b64 v[5:6], 1, v[30:31]
	s_delay_alu instid0(VALU_DEP_1) | instskip(NEXT) | instid1(VALU_DEP_2)
	v_add_co_u32 v11, vcc_lo, s10, v5
	v_add_co_ci_u32_e32 v12, vcc_lo, s11, v6, vcc_lo
	s_delay_alu instid0(VALU_DEP_2) | instskip(NEXT) | instid1(VALU_DEP_2)
	v_add_co_u32 v5, vcc_lo, v11, v32
	v_add_co_ci_u32_e32 v6, vcc_lo, v12, v33, vcc_lo
	v_add_co_u32 v7, vcc_lo, v11, v34
	v_add_co_ci_u32_e32 v8, vcc_lo, v12, v35, vcc_lo
	;; [unrolled: 2-line block ×4, first 2 shown]
	s_clause 0x3
	global_load_b128 v[21:24], v[5:6], off slc dlc
	global_load_b128 v[17:20], v[7:8], off slc dlc
	;; [unrolled: 1-line block ×4, first 2 shown]
	v_dual_mov_b32 v14, 0 :: v_dual_mov_b32 v13, 0
	v_cmpx_gt_u32_e64 s16, v53
	s_cbranch_execz .LBB49_14
; %bb.26:                               ;   in Loop: Header=BB49_16 Depth=2
	v_subrev_nc_u32_e32 v13, s3, v53
	s_delay_alu instid0(VALU_DEP_1) | instskip(NEXT) | instid1(VALU_DEP_1)
	v_lshlrev_b32_e32 v13, 1, v13
	v_lshl_add_u32 v14, s24, 1, v13
	ds_load_b128 v[25:28], v13
	ds_load_b128 v[13:16], v14
	s_branch .LBB49_14
.LBB49_27:                              ;   in Loop: Header=BB49_12 Depth=1
	s_mov_b32 s1, exec_lo
	v_cmpx_le_u32_e64 s19, v29
	s_xor_b32 s1, exec_lo, s1
; %bb.28:                               ;   in Loop: Header=BB49_12 Depth=1
	v_add_nc_u32_e32 v29, s29, v29
                                        ; implicit-def: $vgpr52
                                        ; implicit-def: $vgpr51
                                        ; implicit-def: $vgpr50
                                        ; implicit-def: $vgpr49
                                        ; implicit-def: $vgpr45
                                        ; implicit-def: $vgpr46
                                        ; implicit-def: $vgpr48
                                        ; implicit-def: $vgpr47
; %bb.29:                               ;   in Loop: Header=BB49_12 Depth=1
	s_and_not1_saveexec_b32 s36, s1
	s_cbranch_execz .LBB49_11
; %bb.30:                               ;   in Loop: Header=BB49_12 Depth=1
	v_cvt_i32_f32_e32 v5, v52
	v_cvt_i32_f32_e32 v6, v51
	;; [unrolled: 1-line block ×3, first 2 shown]
	v_xor_b32_e32 v8, 16, v44
	s_waitcnt lgkmcnt(3)
	v_cvt_i32_f32_e32 v15, v46
	v_cvt_f32_i32_dpp v5, v5 row_shr:8 row_mask:0xf bank_mask:0xf bound_ctrl:1
	v_cvt_f32_i32_dpp v6, v6 row_shr:8 row_mask:0xf bank_mask:0xf bound_ctrl:1
	v_cvt_f32_i32_dpp v7, v7 row_shr:8 row_mask:0xf bank_mask:0xf bound_ctrl:1
	v_cmp_gt_i32_e32 vcc_lo, 32, v8
	s_waitcnt lgkmcnt(0)
	v_cvt_i32_f32_e32 v9, v49
	v_dual_add_f32 v5, v52, v5 :: v_dual_add_f32 v6, v51, v6
	v_dual_add_f32 v7, v50, v7 :: v_dual_cndmask_b32 v8, v44, v8
	v_cvt_f32_i32_dpp v15, v15 row_shr:8 row_mask:0xf bank_mask:0xf bound_ctrl:1
	s_delay_alu instid0(VALU_DEP_3) | instskip(NEXT) | instid1(VALU_DEP_4)
	v_cvt_i32_f32_e32 v12, v5
	v_cvt_i32_f32_e32 v13, v6
	s_delay_alu instid0(VALU_DEP_4)
	v_cvt_i32_f32_e32 v14, v7
	v_cvt_f32_i32_dpp v9, v9 row_shr:8 row_mask:0xf bank_mask:0xf bound_ctrl:1
	v_cvt_i32_f32_e32 v10, v47
	v_cvt_f32_i32_dpp v12, v12 row_shr:4 row_mask:0xf bank_mask:0xf bound_ctrl:1
	v_cvt_f32_i32_dpp v13, v13 row_shr:4 row_mask:0xf bank_mask:0xf bound_ctrl:1
	;; [unrolled: 1-line block ×3, first 2 shown]
	s_waitcnt vmcnt(0)
	v_dual_add_f32 v8, v49, v9 :: v_dual_lshlrev_b32 v23, 2, v8
	s_delay_alu instid0(VALU_DEP_3) | instskip(SKIP_2) | instid1(VALU_DEP_4)
	v_dual_add_f32 v5, v5, v12 :: v_dual_add_f32 v6, v6, v13
	v_cvt_i32_f32_e32 v16, v45
	v_cvt_f32_i32_dpp v10, v10 row_shr:8 row_mask:0xf bank_mask:0xf bound_ctrl:1
	v_cvt_i32_f32_e32 v17, v8
	s_delay_alu instid0(VALU_DEP_4) | instskip(SKIP_3) | instid1(VALU_DEP_4)
	v_cvt_i32_f32_e32 v12, v5
	v_cvt_i32_f32_e32 v13, v6
	v_cvt_f32_i32_dpp v16, v16 row_shr:8 row_mask:0xf bank_mask:0xf bound_ctrl:1
	v_cvt_i32_f32_e32 v11, v48
	v_cvt_f32_i32_dpp v12, v12 row_shr:2 row_mask:0xf bank_mask:0xf bound_ctrl:1
	s_delay_alu instid0(VALU_DEP_4) | instskip(SKIP_1) | instid1(VALU_DEP_4)
	v_cvt_f32_i32_dpp v13, v13 row_shr:2 row_mask:0xf bank_mask:0xf bound_ctrl:1
	v_add_f32_e32 v7, v7, v14
	v_cvt_f32_i32_dpp v11, v11 row_shr:8 row_mask:0xf bank_mask:0xf bound_ctrl:1
	s_delay_alu instid0(VALU_DEP_3) | instskip(NEXT) | instid1(VALU_DEP_3)
	v_dual_add_f32 v5, v5, v12 :: v_dual_add_f32 v6, v6, v13
	v_cvt_i32_f32_e32 v14, v7
	s_delay_alu instid0(VALU_DEP_2) | instskip(NEXT) | instid1(VALU_DEP_2)
	v_cvt_i32_f32_e32 v12, v6
	v_cvt_f32_i32_dpp v14, v14 row_shr:2 row_mask:0xf bank_mask:0xf bound_ctrl:1
	s_delay_alu instid0(VALU_DEP_2) | instskip(NEXT) | instid1(VALU_DEP_2)
	v_cvt_f32_i32_dpp v12, v12 row_shr:1 row_mask:0xf bank_mask:0xf bound_ctrl:1
	v_dual_add_f32 v7, v7, v14 :: v_dual_add_f32 v14, v46, v15
	v_add_f32_e32 v15, v45, v16
	s_delay_alu instid0(VALU_DEP_3) | instskip(NEXT) | instid1(VALU_DEP_3)
	v_add_f32_e32 v18, v6, v12
	v_cvt_i32_f32_e32 v13, v7
	s_delay_alu instid0(VALU_DEP_3) | instskip(SKIP_4) | instid1(VALU_DEP_3)
	v_cvt_i32_f32_e32 v12, v15
	ds_bpermute_b32 v20, v23, v18
	v_cvt_f32_i32_dpp v13, v13 row_shr:1 row_mask:0xf bank_mask:0xf bound_ctrl:1
	v_cvt_f32_i32_dpp v12, v12 row_shr:4 row_mask:0xf bank_mask:0xf bound_ctrl:1
	v_add_f32_e32 v11, v48, v11
	v_add_f32_e32 v7, v7, v13
	v_cvt_f32_i32_dpp v13, v17 row_shr:4 row_mask:0xf bank_mask:0xf bound_ctrl:1
	v_add_f32_e32 v9, v47, v10
	v_cvt_i32_f32_e32 v10, v5
	s_delay_alu instid0(VALU_DEP_3) | instskip(NEXT) | instid1(VALU_DEP_2)
	v_add_f32_e32 v8, v8, v13
	v_cvt_f32_i32_dpp v10, v10 row_shr:1 row_mask:0xf bank_mask:0xf bound_ctrl:1
	s_delay_alu instid0(VALU_DEP_1) | instskip(SKIP_2) | instid1(VALU_DEP_2)
	v_add_f32_e32 v21, v5, v10
	v_cvt_i32_f32_e32 v5, v9
	v_cvt_i32_f32_e32 v10, v14
	v_cvt_f32_i32_dpp v5, v5 row_shr:4 row_mask:0xf bank_mask:0xf bound_ctrl:1
	s_delay_alu instid0(VALU_DEP_2) | instskip(NEXT) | instid1(VALU_DEP_2)
	v_cvt_f32_i32_dpp v10, v10 row_shr:4 row_mask:0xf bank_mask:0xf bound_ctrl:1
	v_add_f32_e32 v5, v9, v5
	s_delay_alu instid0(VALU_DEP_2) | instskip(SKIP_1) | instid1(VALU_DEP_2)
	v_dual_add_f32 v9, v14, v10 :: v_dual_add_f32 v10, v15, v12
	v_cvt_i32_f32_e32 v6, v11
	v_cvt_i32_f32_e32 v14, v9
	s_delay_alu instid0(VALU_DEP_3) | instskip(NEXT) | instid1(VALU_DEP_3)
	v_cvt_i32_f32_e32 v15, v10
	v_cvt_f32_i32_dpp v6, v6 row_shr:4 row_mask:0xf bank_mask:0xf bound_ctrl:1
	s_delay_alu instid0(VALU_DEP_3) | instskip(NEXT) | instid1(VALU_DEP_3)
	v_cvt_f32_i32_dpp v14, v14 row_shr:2 row_mask:0xf bank_mask:0xf bound_ctrl:1
	v_cvt_f32_i32_dpp v15, v15 row_shr:2 row_mask:0xf bank_mask:0xf bound_ctrl:1
	s_delay_alu instid0(VALU_DEP_3) | instskip(SKIP_1) | instid1(VALU_DEP_2)
	v_add_f32_e32 v6, v11, v6
	v_cvt_i32_f32_e32 v11, v8
	v_cvt_i32_f32_e32 v13, v6
	s_delay_alu instid0(VALU_DEP_2) | instskip(NEXT) | instid1(VALU_DEP_2)
	v_cvt_f32_i32_dpp v11, v11 row_shr:2 row_mask:0xf bank_mask:0xf bound_ctrl:1
	v_cvt_f32_i32_dpp v13, v13 row_shr:2 row_mask:0xf bank_mask:0xf bound_ctrl:1
	s_delay_alu instid0(VALU_DEP_2)
	v_add_f32_e32 v8, v8, v11
	v_add_f32_e32 v11, v10, v15
	ds_bpermute_b32 v22, v23, v21
	v_add_f32_e32 v6, v6, v13
	v_cvt_i32_f32_e32 v10, v8
	v_cvt_i32_f32_e32 v15, v11
	s_delay_alu instid0(VALU_DEP_3) | instskip(NEXT) | instid1(VALU_DEP_3)
	v_cvt_i32_f32_e32 v13, v6
	v_cvt_f32_i32_dpp v10, v10 row_shr:1 row_mask:0xf bank_mask:0xf bound_ctrl:1
	s_delay_alu instid0(VALU_DEP_3) | instskip(NEXT) | instid1(VALU_DEP_3)
	v_cvt_f32_i32_dpp v15, v15 row_shr:1 row_mask:0xf bank_mask:0xf bound_ctrl:1
	v_cvt_f32_i32_dpp v13, v13 row_shr:1 row_mask:0xf bank_mask:0xf bound_ctrl:1
	s_delay_alu instid0(VALU_DEP_2) | instskip(SKIP_2) | instid1(VALU_DEP_2)
	v_dual_add_f32 v17, v8, v10 :: v_dual_add_f32 v8, v11, v15
	v_cvt_i32_f32_e32 v12, v5
	v_add_f32_e32 v9, v9, v14
	v_cvt_f32_i32_dpp v12, v12 row_shr:2 row_mask:0xf bank_mask:0xf bound_ctrl:1
	s_delay_alu instid0(VALU_DEP_2) | instskip(NEXT) | instid1(VALU_DEP_2)
	v_cvt_i32_f32_e32 v14, v9
	v_add_f32_e32 v5, v5, v12
	s_delay_alu instid0(VALU_DEP_2) | instskip(NEXT) | instid1(VALU_DEP_2)
	v_cvt_f32_i32_dpp v19, v14 row_shr:1 row_mask:0xf bank_mask:0xf bound_ctrl:1
	v_cvt_i32_f32_e32 v12, v5
	s_delay_alu instid0(VALU_DEP_1) | instskip(NEXT) | instid1(VALU_DEP_1)
	v_cvt_f32_i32_dpp v12, v12 row_shr:1 row_mask:0xf bank_mask:0xf bound_ctrl:1
	v_add_f32_e32 v14, v5, v12
	v_add_f32_e32 v12, v6, v13
	;; [unrolled: 1-line block ×3, first 2 shown]
	ds_bpermute_b32 v16, v23, v7
	ds_bpermute_b32 v19, v23, v17
	;; [unrolled: 1-line block ×6, first 2 shown]
	s_and_saveexec_b32 s5, s0
	s_cbranch_execz .LBB49_42
; %bb.31:                               ;   in Loop: Header=BB49_12 Depth=1
	v_dual_mov_b32 v30, 0 :: v_dual_add_nc_u32 v5, 3, v29
	v_dual_mov_b32 v27, 0 :: v_dual_add_nc_u32 v6, 2, v29
	v_dual_mov_b32 v32, 0 :: v_dual_mov_b32 v25, 0
	v_dual_mov_b32 v28, 0 :: v_dual_mov_b32 v23, 0
	v_mov_b32_e32 v26, 0
	v_mov_b32_e32 v24, 0
	s_and_not1_b32 vcc_lo, exec_lo, s30
	s_cbranch_vccnz .LBB49_33
; %bb.32:                               ;   in Loop: Header=BB49_12 Depth=1
	v_mul_hi_u32 v23, v29, v43
	v_mul_hi_u32 v24, v6, v43
	v_add_nc_u32_e32 v25, 1, v29
	v_mul_hi_u32 v26, v5, v43
	s_delay_alu instid0(VALU_DEP_4) | instskip(NEXT) | instid1(VALU_DEP_4)
	v_mul_lo_u32 v23, v23, s8
	v_mul_lo_u32 v28, v24, s8
	v_mov_b32_e32 v24, v31
	v_mul_hi_u32 v27, v25, v43
	v_mul_lo_u32 v30, v26, s8
	v_sub_nc_u32_e32 v23, v29, v23
	v_sub_nc_u32_e32 v32, v6, v28
	s_delay_alu instid0(VALU_DEP_4) | instskip(NEXT) | instid1(VALU_DEP_4)
	v_mul_lo_u32 v27, v27, s8
	v_sub_nc_u32_e32 v30, v5, v30
	s_delay_alu instid0(VALU_DEP_4) | instskip(SKIP_1) | instid1(VALU_DEP_3)
	v_subrev_nc_u32_e32 v33, s8, v23
	v_cmp_le_u32_e32 vcc_lo, s8, v23
	v_subrev_nc_u32_e32 v34, s8, v30
	v_sub_nc_u32_e32 v25, v25, v27
	v_subrev_nc_u32_e32 v27, s8, v32
	v_cndmask_b32_e32 v23, v23, v33, vcc_lo
	v_cmp_le_u32_e32 vcc_lo, s8, v32
	v_mov_b32_e32 v26, v31
	v_subrev_nc_u32_e32 v33, s8, v25
	v_cndmask_b32_e32 v27, v32, v27, vcc_lo
	v_cmp_le_u32_e32 vcc_lo, s8, v30
	v_cndmask_b32_e32 v32, v30, v34, vcc_lo
	v_cmp_le_u32_e32 vcc_lo, s8, v25
	v_mov_b32_e32 v28, v31
	v_subrev_nc_u32_e32 v30, s8, v23
	s_delay_alu instid0(VALU_DEP_4)
	v_subrev_nc_u32_e32 v34, s8, v32
	v_cndmask_b32_e32 v33, v25, v33, vcc_lo
	v_cmp_le_u32_e32 vcc_lo, s8, v23
	v_subrev_nc_u32_e32 v25, s8, v27
	v_cndmask_b32_e32 v30, v23, v30, vcc_lo
	v_cmp_le_u32_e32 vcc_lo, s8, v27
	v_subrev_nc_u32_e32 v23, s8, v33
	s_delay_alu instid0(VALU_DEP_4)
	v_cndmask_b32_e32 v25, v27, v25, vcc_lo
	v_cmp_le_u32_e32 vcc_lo, s8, v32
	v_cndmask_b32_e32 v27, v32, v34, vcc_lo
	v_cmp_le_u32_e32 vcc_lo, s8, v33
	v_cndmask_b32_e32 v23, v33, v23, vcc_lo
	v_lshlrev_b64 v[32:33], 1, v[30:31]
	v_add_nc_u32_e32 v30, s33, v30
	v_lshlrev_b64 v[34:35], 1, v[25:26]
	s_delay_alu instid0(VALU_DEP_4) | instskip(NEXT) | instid1(VALU_DEP_4)
	v_lshlrev_b64 v[38:39], 1, v[23:24]
	v_add_co_u32 v32, vcc_lo, s14, v32
	v_add_co_ci_u32_e32 v33, vcc_lo, s15, v33, vcc_lo
	s_delay_alu instid0(VALU_DEP_3)
	v_add_co_u32 v38, vcc_lo, s14, v38
	v_lshlrev_b64 v[45:46], 1, v[30:31]
	v_add_nc_u32_e32 v30, s33, v23
	v_lshlrev_b64 v[36:37], 1, v[27:28]
	v_add_co_ci_u32_e32 v39, vcc_lo, s15, v39, vcc_lo
	v_add_co_u32 v34, vcc_lo, s14, v34
	v_add_co_ci_u32_e32 v35, vcc_lo, s15, v35, vcc_lo
	s_delay_alu instid0(VALU_DEP_4)
	v_add_co_u32 v23, vcc_lo, s14, v36
	v_add_co_ci_u32_e32 v24, vcc_lo, s15, v37, vcc_lo
	v_lshlrev_b64 v[36:37], 1, v[30:31]
	v_add_nc_u32_e32 v30, s33, v25
	v_add_co_u32 v25, vcc_lo, s14, v45
	v_add_co_ci_u32_e32 v26, vcc_lo, s15, v46, vcc_lo
	s_delay_alu instid0(VALU_DEP_3) | instskip(SKIP_3) | instid1(VALU_DEP_3)
	v_lshlrev_b64 v[45:46], 1, v[30:31]
	v_add_nc_u32_e32 v30, s33, v27
	v_add_co_u32 v36, vcc_lo, s14, v36
	v_add_co_ci_u32_e32 v37, vcc_lo, s15, v37, vcc_lo
	v_lshlrev_b64 v[27:28], 1, v[30:31]
	v_add_co_u32 v45, vcc_lo, s14, v45
	v_add_co_ci_u32_e32 v46, vcc_lo, s15, v46, vcc_lo
	s_delay_alu instid0(VALU_DEP_3) | instskip(NEXT) | instid1(VALU_DEP_4)
	v_add_co_u32 v47, vcc_lo, s14, v27
	v_add_co_ci_u32_e32 v48, vcc_lo, s15, v28, vcc_lo
	s_clause 0x7
	global_load_u16 v30, v[32:33], off
	global_load_u16 v32, v[38:39], off
	;; [unrolled: 1-line block ×8, first 2 shown]
.LBB49_33:                              ;   in Loop: Header=BB49_12 Depth=1
	v_cmp_ne_u32_e32 vcc_lo, 0, v1
	s_and_saveexec_b32 s2, vcc_lo
	s_cbranch_execnz .LBB49_47
; %bb.34:                               ;   in Loop: Header=BB49_12 Depth=1
	s_or_b32 exec_lo, exec_lo, s2
	v_cmp_ne_u32_e64 s1, 0, v2
	s_delay_alu instid0(VALU_DEP_1)
	s_and_saveexec_b32 s3, s1
	s_cbranch_execnz .LBB49_48
.LBB49_35:                              ;   in Loop: Header=BB49_12 Depth=1
	s_or_b32 exec_lo, exec_lo, s3
	v_cmp_ne_u32_e64 s2, 0, v3
	s_delay_alu instid0(VALU_DEP_1)
	s_and_saveexec_b32 s4, s2
	s_cbranch_execnz .LBB49_49
.LBB49_36:                              ;   in Loop: Header=BB49_12 Depth=1
	s_or_b32 exec_lo, exec_lo, s4
	v_cmp_ne_u32_e64 s3, 0, v4
	s_delay_alu instid0(VALU_DEP_1)
	s_and_saveexec_b32 s37, s3
	s_cbranch_execnz .LBB49_50
.LBB49_37:                              ;   in Loop: Header=BB49_12 Depth=1
	s_or_b32 exec_lo, exec_lo, s37
	s_waitcnt vmcnt(7)
	v_add_nc_u32_e32 v30, s19, v29
	s_and_saveexec_b32 s4, vcc_lo
	s_cbranch_execnz .LBB49_51
.LBB49_38:                              ;   in Loop: Header=BB49_12 Depth=1
	s_or_b32 exec_lo, exec_lo, s4
	s_and_saveexec_b32 s4, s1
	s_cbranch_execnz .LBB49_52
.LBB49_39:                              ;   in Loop: Header=BB49_12 Depth=1
	s_or_b32 exec_lo, exec_lo, s4
	s_and_saveexec_b32 s1, s2
	s_cbranch_execnz .LBB49_53
.LBB49_40:                              ;   in Loop: Header=BB49_12 Depth=1
	s_or_b32 exec_lo, exec_lo, s1
	s_delay_alu instid0(SALU_CYCLE_1)
	s_and_b32 exec_lo, exec_lo, s3
	s_cbranch_execz .LBB49_42
.LBB49_41:                              ;   in Loop: Header=BB49_12 Depth=1
	s_waitcnt lgkmcnt(0)
	v_dual_add_f32 v5, v8, v9 :: v_dual_add_nc_u32 v30, 3, v30
	s_waitcnt vmcnt(0)
	v_cvt_f32_f16_e32 v6, v23
	s_delay_alu instid0(VALU_DEP_1) | instskip(NEXT) | instid1(VALU_DEP_3)
	v_add_f32_e32 v7, v5, v6
	v_lshlrev_b64 v[5:6], 1, v[30:31]
	s_delay_alu instid0(VALU_DEP_2) | instskip(NEXT) | instid1(VALU_DEP_2)
	v_cvt_f16_f32_e32 v7, v7
	v_add_co_u32 v5, vcc_lo, s6, v5
	s_delay_alu instid0(VALU_DEP_3)
	v_add_co_ci_u32_e32 v6, vcc_lo, s7, v6, vcc_lo
	global_store_b16 v[5:6], v7, off
.LBB49_42:                              ;   in Loop: Header=BB49_12 Depth=1
	s_or_b32 exec_lo, exec_lo, s5
	v_add_nc_u32_e32 v29, s29, v29
	s_delay_alu instid0(VALU_DEP_1) | instskip(SKIP_1) | instid1(VALU_DEP_2)
	v_add_nc_u32_e32 v5, 4, v29
	v_cmp_gt_u32_e32 vcc_lo, s19, v29
	v_cmp_le_u32_e64 s1, s19, v5
	s_delay_alu instid0(VALU_DEP_1) | instskip(NEXT) | instid1(SALU_CYCLE_1)
	s_and_b32 s1, vcc_lo, s1
	s_and_saveexec_b32 s37, s1
	s_cbranch_execz .LBB49_10
; %bb.43:                               ;   in Loop: Header=BB49_12 Depth=1
	s_mov_b32 s38, exec_lo
	v_cmpx_ne_u32_e64 s9, v29
	s_cbranch_execz .LBB49_9
; %bb.44:                               ;   in Loop: Header=BB49_12 Depth=1
	v_subrev_nc_u32_e32 v5, s9, v29
	s_mov_b32 s39, 0
	s_mov_b64 s[4:5], 0
	s_delay_alu instid0(VALU_DEP_1)
	v_cmp_lt_u32_e32 vcc_lo, 1, v5
	v_cndmask_b32_e32 v5, 1, v5, vcc_lo
	.p2align	6
.LBB49_45:                              ;   Parent Loop BB49_12 Depth=1
                                        ; =>  This Inner Loop Header: Depth=2
	s_cmp_lg_u32 s4, 3
	s_cselect_b32 vcc_lo, -1, 0
	s_cmp_lg_u32 s4, 2
	v_cndmask_b32_e32 v4, 0, v4, vcc_lo
	s_cselect_b32 s1, -1, 0
	s_cmp_lg_u32 s4, 1
	v_cndmask_b32_e64 v3, 0, v3, s1
	s_cselect_b32 s2, -1, 0
	s_cmp_lg_u32 s4, 0
	v_cndmask_b32_e64 v2, 0, v2, s2
	s_cselect_b32 s3, -1, 0
	s_add_u32 s4, s4, 1
	v_cndmask_b32_e64 v1, 0, v1, s3
	v_cmp_eq_u32_e32 vcc_lo, s4, v5
	s_addc_u32 s5, s5, 0
	s_or_b32 s39, vcc_lo, s39
	s_delay_alu instid0(SALU_CYCLE_1)
	s_and_not1_b32 exec_lo, exec_lo, s39
	s_cbranch_execnz .LBB49_45
; %bb.46:                               ;   in Loop: Header=BB49_12 Depth=1
	s_or_b32 exec_lo, exec_lo, s39
	s_branch .LBB49_9
.LBB49_47:                              ;   in Loop: Header=BB49_12 Depth=1
	s_waitcnt lgkmcnt(6)
	v_add_f32_e32 v21, v21, v22
	s_waitcnt vmcnt(7)
	v_cvt_f32_f16_e32 v22, v30
	s_delay_alu instid0(VALU_DEP_1) | instskip(NEXT) | instid1(VALU_DEP_1)
	v_dual_mov_b32 v30, v31 :: v_dual_add_f32 v33, v21, v22
	v_lshlrev_b64 v[21:22], 1, v[29:30]
	s_delay_alu instid0(VALU_DEP_2) | instskip(NEXT) | instid1(VALU_DEP_2)
	v_cvt_f16_f32_e32 v30, v33
	v_add_co_u32 v21, s1, s6, v21
	s_delay_alu instid0(VALU_DEP_1) | instskip(SKIP_3) | instid1(VALU_DEP_1)
	v_add_co_ci_u32_e64 v22, s1, s7, v22, s1
	global_store_b16 v[21:22], v30, off
	s_or_b32 exec_lo, exec_lo, s2
	v_cmp_ne_u32_e64 s1, 0, v2
	s_and_saveexec_b32 s3, s1
	s_cbranch_execz .LBB49_35
.LBB49_48:                              ;   in Loop: Header=BB49_12 Depth=1
	s_waitcnt lgkmcnt(7)
	v_add_f32_e32 v18, v18, v20
	s_waitcnt vmcnt(6)
	v_cvt_f32_f16_e32 v20, v32
	v_mov_b32_e32 v30, v31
	s_delay_alu instid0(VALU_DEP_2) | instskip(NEXT) | instid1(VALU_DEP_2)
	v_add_f32_e32 v18, v18, v20
	v_lshlrev_b64 v[20:21], 1, v[29:30]
	s_delay_alu instid0(VALU_DEP_2) | instskip(NEXT) | instid1(VALU_DEP_2)
	v_cvt_f16_f32_e32 v18, v18
	v_add_co_u32 v20, s2, s31, v20
	s_delay_alu instid0(VALU_DEP_1) | instskip(SKIP_3) | instid1(VALU_DEP_1)
	v_add_co_ci_u32_e64 v21, s2, s34, v21, s2
	global_store_b16 v[20:21], v18, off
	s_or_b32 exec_lo, exec_lo, s3
	v_cmp_ne_u32_e64 s2, 0, v3
	s_and_saveexec_b32 s4, s2
	s_cbranch_execz .LBB49_36
.LBB49_49:                              ;   in Loop: Header=BB49_12 Depth=1
	s_waitcnt lgkmcnt(5)
	v_add_f32_e32 v16, v7, v16
	s_waitcnt vmcnt(5)
	v_cvt_f32_f16_e32 v18, v28
	s_delay_alu instid0(VALU_DEP_1) | instskip(NEXT) | instid1(VALU_DEP_1)
	v_dual_mov_b32 v7, v31 :: v_dual_add_f32 v16, v16, v18
	v_lshlrev_b64 v[6:7], 1, v[6:7]
	s_delay_alu instid0(VALU_DEP_2) | instskip(NEXT) | instid1(VALU_DEP_2)
	v_cvt_f16_f32_e32 v16, v16
	v_add_co_u32 v6, s3, s6, v6
	s_delay_alu instid0(VALU_DEP_1) | instskip(SKIP_3) | instid1(VALU_DEP_1)
	v_add_co_ci_u32_e64 v7, s3, s7, v7, s3
	global_store_b16 v[6:7], v16, off
	s_or_b32 exec_lo, exec_lo, s4
	v_cmp_ne_u32_e64 s3, 0, v4
	s_and_saveexec_b32 s37, s3
	s_cbranch_execz .LBB49_37
.LBB49_50:                              ;   in Loop: Header=BB49_12 Depth=1
	s_waitcnt lgkmcnt(4)
	v_dual_add_f32 v7, v17, v19 :: v_dual_mov_b32 v6, v31
	s_waitcnt vmcnt(4)
	v_cvt_f32_f16_e32 v16, v27
	s_delay_alu instid0(VALU_DEP_2) | instskip(NEXT) | instid1(VALU_DEP_2)
	v_lshlrev_b64 v[5:6], 1, v[5:6]
	v_add_f32_e32 v7, v7, v16
	s_delay_alu instid0(VALU_DEP_1) | instskip(NEXT) | instid1(VALU_DEP_3)
	v_cvt_f16_f32_e32 v7, v7
	v_add_co_u32 v5, s4, s6, v5
	s_delay_alu instid0(VALU_DEP_1)
	v_add_co_ci_u32_e64 v6, s4, s7, v6, s4
	global_store_b16 v[5:6], v7, off
	s_or_b32 exec_lo, exec_lo, s37
	v_add_nc_u32_e32 v30, s19, v29
	s_and_saveexec_b32 s4, vcc_lo
	s_cbranch_execz .LBB49_38
.LBB49_51:                              ;   in Loop: Header=BB49_12 Depth=1
	s_waitcnt lgkmcnt(3)
	v_add_f32_e32 v5, v14, v15
	s_waitcnt vmcnt(3)
	v_cvt_f32_f16_e32 v6, v26
	s_delay_alu instid0(VALU_DEP_1) | instskip(SKIP_1) | instid1(VALU_DEP_2)
	v_add_f32_e32 v7, v5, v6
	v_lshlrev_b64 v[5:6], 1, v[30:31]
	v_cvt_f16_f32_e32 v7, v7
	s_delay_alu instid0(VALU_DEP_2) | instskip(NEXT) | instid1(VALU_DEP_3)
	v_add_co_u32 v5, vcc_lo, s6, v5
	v_add_co_ci_u32_e32 v6, vcc_lo, s7, v6, vcc_lo
	global_store_b16 v[5:6], v7, off
	s_or_b32 exec_lo, exec_lo, s4
	s_and_saveexec_b32 s4, s1
	s_cbranch_execz .LBB49_39
.LBB49_52:                              ;   in Loop: Header=BB49_12 Depth=1
	s_waitcnt lgkmcnt(2)
	v_dual_add_f32 v7, v12, v13 :: v_dual_mov_b32 v6, v31
	v_add_nc_u32_e32 v5, 1, v30
	s_waitcnt vmcnt(2)
	v_cvt_f32_f16_e32 v12, v25
	s_delay_alu instid0(VALU_DEP_2) | instskip(NEXT) | instid1(VALU_DEP_2)
	v_lshlrev_b64 v[5:6], 1, v[5:6]
	v_add_f32_e32 v7, v7, v12
	s_delay_alu instid0(VALU_DEP_1) | instskip(NEXT) | instid1(VALU_DEP_3)
	v_cvt_f16_f32_e32 v7, v7
	v_add_co_u32 v5, vcc_lo, s6, v5
	s_delay_alu instid0(VALU_DEP_4)
	v_add_co_ci_u32_e32 v6, vcc_lo, s7, v6, vcc_lo
	global_store_b16 v[5:6], v7, off
	s_or_b32 exec_lo, exec_lo, s4
	s_and_saveexec_b32 s1, s2
	s_cbranch_execz .LBB49_40
.LBB49_53:                              ;   in Loop: Header=BB49_12 Depth=1
	s_waitcnt lgkmcnt(1)
	v_dual_add_f32 v7, v10, v11 :: v_dual_mov_b32 v6, v31
	v_add_nc_u32_e32 v5, 2, v30
	s_waitcnt vmcnt(1)
	v_cvt_f32_f16_e32 v10, v24
	s_delay_alu instid0(VALU_DEP_2) | instskip(NEXT) | instid1(VALU_DEP_2)
	v_lshlrev_b64 v[5:6], 1, v[5:6]
	v_add_f32_e32 v7, v7, v10
	s_delay_alu instid0(VALU_DEP_1) | instskip(NEXT) | instid1(VALU_DEP_3)
	v_cvt_f16_f32_e32 v7, v7
	v_add_co_u32 v5, vcc_lo, s6, v5
	s_delay_alu instid0(VALU_DEP_4) | instskip(SKIP_2) | instid1(SALU_CYCLE_1)
	v_add_co_ci_u32_e32 v6, vcc_lo, s7, v6, vcc_lo
	global_store_b16 v[5:6], v7, off
	s_or_b32 exec_lo, exec_lo, s1
	s_and_b32 exec_lo, exec_lo, s3
	s_cbranch_execnz .LBB49_41
	s_branch .LBB49_42
.LBB49_54:
	s_nop 0
	s_sendmsg sendmsg(MSG_DEALLOC_VGPRS)
	s_endpgm
	.section	.rodata,"a",@progbits
	.p2align	6, 0x0
	.amdhsa_kernel _Z16wvSplitK_hf_big_I6__halfLi32ELi4ELi16ELi8ELi1ELi2EEviiiiiiPKT_S3_S3_PS1_ii
		.amdhsa_group_segment_fixed_size 65536
		.amdhsa_private_segment_fixed_size 0
		.amdhsa_kernarg_size 64
		.amdhsa_user_sgpr_count 15
		.amdhsa_user_sgpr_dispatch_ptr 0
		.amdhsa_user_sgpr_queue_ptr 0
		.amdhsa_user_sgpr_kernarg_segment_ptr 1
		.amdhsa_user_sgpr_dispatch_id 0
		.amdhsa_user_sgpr_private_segment_size 0
		.amdhsa_wavefront_size32 1
		.amdhsa_uses_dynamic_stack 0
		.amdhsa_enable_private_segment 0
		.amdhsa_system_sgpr_workgroup_id_x 1
		.amdhsa_system_sgpr_workgroup_id_y 0
		.amdhsa_system_sgpr_workgroup_id_z 0
		.amdhsa_system_sgpr_workgroup_info 0
		.amdhsa_system_vgpr_workitem_id 1
		.amdhsa_next_free_vgpr 54
		.amdhsa_next_free_sgpr 40
		.amdhsa_reserve_vcc 1
		.amdhsa_float_round_mode_32 0
		.amdhsa_float_round_mode_16_64 0
		.amdhsa_float_denorm_mode_32 3
		.amdhsa_float_denorm_mode_16_64 3
		.amdhsa_dx10_clamp 1
		.amdhsa_ieee_mode 1
		.amdhsa_fp16_overflow 0
		.amdhsa_workgroup_processor_mode 1
		.amdhsa_memory_ordered 1
		.amdhsa_forward_progress 0
		.amdhsa_shared_vgpr_count 0
		.amdhsa_exception_fp_ieee_invalid_op 0
		.amdhsa_exception_fp_denorm_src 0
		.amdhsa_exception_fp_ieee_div_zero 0
		.amdhsa_exception_fp_ieee_overflow 0
		.amdhsa_exception_fp_ieee_underflow 0
		.amdhsa_exception_fp_ieee_inexact 0
		.amdhsa_exception_int_div_zero 0
	.end_amdhsa_kernel
	.section	.text._Z16wvSplitK_hf_big_I6__halfLi32ELi4ELi16ELi8ELi1ELi2EEviiiiiiPKT_S3_S3_PS1_ii,"axG",@progbits,_Z16wvSplitK_hf_big_I6__halfLi32ELi4ELi16ELi8ELi1ELi2EEviiiiiiPKT_S3_S3_PS1_ii,comdat
.Lfunc_end49:
	.size	_Z16wvSplitK_hf_big_I6__halfLi32ELi4ELi16ELi8ELi1ELi2EEviiiiiiPKT_S3_S3_PS1_ii, .Lfunc_end49-_Z16wvSplitK_hf_big_I6__halfLi32ELi4ELi16ELi8ELi1ELi2EEviiiiiiPKT_S3_S3_PS1_ii
                                        ; -- End function
	.section	.AMDGPU.csdata,"",@progbits
; Kernel info:
; codeLenInByte = 4476
; NumSgprs: 42
; NumVgprs: 54
; ScratchSize: 0
; MemoryBound: 0
; FloatMode: 240
; IeeeMode: 1
; LDSByteSize: 65536 bytes/workgroup (compile time only)
; SGPRBlocks: 5
; VGPRBlocks: 6
; NumSGPRsForWavesPerEU: 42
; NumVGPRsForWavesPerEU: 54
; Occupancy: 8
; WaveLimiterHint : 0
; COMPUTE_PGM_RSRC2:SCRATCH_EN: 0
; COMPUTE_PGM_RSRC2:USER_SGPR: 15
; COMPUTE_PGM_RSRC2:TRAP_HANDLER: 0
; COMPUTE_PGM_RSRC2:TGID_X_EN: 1
; COMPUTE_PGM_RSRC2:TGID_Y_EN: 0
; COMPUTE_PGM_RSRC2:TGID_Z_EN: 0
; COMPUTE_PGM_RSRC2:TIDIG_COMP_CNT: 1
	.section	.text._Z16wvSplitK_hf_sml_I6__halfLi32ELi4ELi16ELi8ELi2ELi2EEviiiiiiPKT_S3_S3_PS1_ii,"axG",@progbits,_Z16wvSplitK_hf_sml_I6__halfLi32ELi4ELi16ELi8ELi2ELi2EEviiiiiiPKT_S3_S3_PS1_ii,comdat
	.protected	_Z16wvSplitK_hf_sml_I6__halfLi32ELi4ELi16ELi8ELi2ELi2EEviiiiiiPKT_S3_S3_PS1_ii ; -- Begin function _Z16wvSplitK_hf_sml_I6__halfLi32ELi4ELi16ELi8ELi2ELi2EEviiiiiiPKT_S3_S3_PS1_ii
	.globl	_Z16wvSplitK_hf_sml_I6__halfLi32ELi4ELi16ELi8ELi2ELi2EEviiiiiiPKT_S3_S3_PS1_ii
	.p2align	8
	.type	_Z16wvSplitK_hf_sml_I6__halfLi32ELi4ELi16ELi8ELi2ELi2EEviiiiiiPKT_S3_S3_PS1_ii,@function
_Z16wvSplitK_hf_sml_I6__halfLi32ELi4ELi16ELi8ELi2ELi2EEviiiiiiPKT_S3_S3_PS1_ii: ; @_Z16wvSplitK_hf_sml_I6__halfLi32ELi4ELi16ELi8ELi2ELi2EEviiiiiiPKT_S3_S3_PS1_ii
; %bb.0:
	s_load_b128 s[4:7], s[0:1], 0x0
	v_and_b32_e32 v1, 0x3ff, v0
	v_bfe_u32 v0, v0, 10, 10
	s_mov_b32 s8, exec_lo
	s_delay_alu instid0(VALU_DEP_2) | instskip(NEXT) | instid1(VALU_DEP_1)
	v_lshlrev_b32_e32 v59, 3, v1
	v_lshl_add_u32 v3, v0, 8, v59
	s_waitcnt lgkmcnt(0)
	s_lshl_b32 s6, s6, 1
	s_delay_alu instid0(SALU_CYCLE_1)
	s_min_u32 s9, s6, 0x8000
	s_delay_alu instid0(VALU_DEP_1) | instid1(SALU_CYCLE_1)
	v_cmpx_gt_u32_e64 s9, v3
	s_cbranch_execz .LBB50_9
; %bb.1:
	s_load_b64 s[2:3], s[0:1], 0x20
	v_lshlrev_b32_e32 v2, 1, v3
	v_add_nc_u32_e32 v8, 0x1000, v3
	s_mov_b32 s10, exec_lo
	s_waitcnt lgkmcnt(0)
	global_load_b128 v[4:7], v2, s[2:3]
	s_waitcnt vmcnt(0)
	ds_store_b128 v2, v[4:7]
	v_cmpx_gt_u32_e64 s9, v8
	s_xor_b32 s10, exec_lo, s10
	s_cbranch_execz .LBB50_9
; %bb.2:
	v_add_co_u32 v4, s2, s2, v2
	s_delay_alu instid0(VALU_DEP_1) | instskip(SKIP_1) | instid1(VALU_DEP_3)
	v_add_co_ci_u32_e64 v5, null, s3, 0, s2
	v_add_nc_u32_e32 v10, 0x2000, v3
	v_add_co_u32 v6, vcc_lo, 0x2000, v4
	s_delay_alu instid0(VALU_DEP_3)
	v_add_co_ci_u32_e32 v7, vcc_lo, 0, v5, vcc_lo
	s_mov_b32 s2, exec_lo
	global_load_b128 v[6:9], v[6:7], off
	s_waitcnt vmcnt(0)
	ds_store_b128 v2, v[6:9] offset:8192
	v_cmpx_gt_u32_e64 s9, v10
	s_xor_b32 s2, exec_lo, s2
	s_cbranch_execz .LBB50_9
; %bb.3:
	v_add_co_u32 v6, vcc_lo, 0x4000, v4
	v_add_co_ci_u32_e32 v7, vcc_lo, 0, v5, vcc_lo
	v_add_nc_u32_e32 v10, 0x3000, v3
	s_mov_b32 s2, exec_lo
	global_load_b128 v[6:9], v[6:7], off
	s_waitcnt vmcnt(0)
	ds_store_b128 v2, v[6:9] offset:16384
	v_cmpx_gt_u32_e64 s9, v10
	s_xor_b32 s2, exec_lo, s2
	s_cbranch_execz .LBB50_9
; %bb.4:
	v_add_co_u32 v6, vcc_lo, 0x6000, v4
	v_add_co_ci_u32_e32 v7, vcc_lo, 0, v5, vcc_lo
	v_add_nc_u32_e32 v10, 0x4000, v3
	;; [unrolled: 11-line block ×5, first 2 shown]
	s_mov_b32 s2, exec_lo
	global_load_b128 v[6:9], v[6:7], off
	s_waitcnt vmcnt(0)
	ds_store_b128 v2, v[6:9] offset:49152
	v_cmpx_gt_u32_e64 s9, v3
	s_xor_b32 s2, exec_lo, s2
	s_cbranch_execz .LBB50_9
; %bb.8:
	v_add_co_u32 v3, vcc_lo, 0xe000, v4
	v_add_co_ci_u32_e32 v4, vcc_lo, 0, v5, vcc_lo
	global_load_b128 v[3:6], v[3:4], off
	s_waitcnt vmcnt(0)
	ds_store_b128 v2, v[3:6] offset:57344
.LBB50_9:
	s_or_b32 exec_lo, exec_lo, s8
	s_load_b64 s[16:17], s[0:1], 0x38
	s_waitcnt lgkmcnt(0)
	s_barrier
	buffer_gl0_inv
	s_mov_b32 s2, exec_lo
	v_cmpx_gt_u32_e64 s16, v0
	s_cbranch_execz .LBB50_26
; %bb.10:
	s_load_b64 s[2:3], s[0:1], 0x10
	s_mul_i32 s15, s15, s16
	s_delay_alu instid0(SALU_CYCLE_1) | instskip(NEXT) | instid1(VALU_DEP_1)
	v_add_lshl_u32 v48, s15, v0, 2
	v_cmp_gt_u32_e32 vcc_lo, s7, v48
	s_and_b32 exec_lo, exec_lo, vcc_lo
	s_cbranch_execz .LBB50_26
; %bb.11:
	s_waitcnt lgkmcnt(0)
	v_cvt_f32_u32_e32 v0, s2
	s_clause 0x1
	s_load_b128 s[8:11], s[0:1], 0x28
	s_load_b64 s[12:13], s[0:1], 0x18
	s_cmp_lg_u32 s4, 0
	s_mul_i32 s16, s16, s17
	v_rcp_iflag_f32_e32 v0, v0
	s_cselect_b32 s1, -1, 0
	s_add_i32 s14, s4, -8
	s_add_i32 s15, s7, -1
	v_lshlrev_b32_e32 v60, 4, v1
	v_mbcnt_lo_u32_b32 v62, -1, 0
	s_waitcnt_depctr 0xfff
	v_mul_f32_e32 v0, 0x4f7ffffe, v0
	s_delay_alu instid0(VALU_DEP_1)
	v_cvt_u32_f32_e32 v0, v0
	s_waitcnt lgkmcnt(0)
	s_cmp_lg_u64 s[8:9], 0
	s_cselect_b32 s18, -1, 0
	s_sub_i32 s0, 0, s2
	s_abs_i32 s3, s3
	v_mul_lo_u32 v2, s0, v0
	s_lshl_b32 s16, s16, 2
	s_sub_i32 s17, 1, s3
	s_cmp_lt_u32 s3, 2
	v_cmp_eq_u32_e64 s0, 31, v1
	s_cselect_b32 s17, s17, 1
	s_delay_alu instid0(SALU_CYCLE_1) | instskip(NEXT) | instid1(VALU_DEP_2)
	s_sub_i32 s19, s17, s3
	v_mul_hi_u32 v2, v0, v2
	s_cmp_ge_u32 s17, s3
	v_mov_b32_e32 v50, 0
	s_cselect_b32 s17, s19, s17
	s_mov_b32 s3, 0
	s_mul_i32 s17, s17, s2
	s_delay_alu instid0(VALU_DEP_2)
	v_add_nc_u32_e32 v61, v0, v2
	s_branch .LBB50_14
.LBB50_12:                              ;   in Loop: Header=BB50_14 Depth=1
	s_waitcnt lgkmcnt(5)
	v_dual_add_f32 v0, v0, v3 :: v_dual_add_f32 v3, v1, v4
	s_waitcnt vmcnt(7)
	v_cvt_f32_f16_e32 v1, v23
	v_add_f32_e32 v2, v2, v5
	s_waitcnt lgkmcnt(2)
	v_dual_add_f32 v4, v7, v12 :: v_dual_add_f32 v5, v8, v13
	s_waitcnt lgkmcnt(0)
	v_dual_add_f32 v11, v6, v11 :: v_dual_add_f32 v0, v0, v1
	s_waitcnt vmcnt(6)
	v_cvt_f32_f16_e32 v6, v22
	v_add_f32_e32 v7, v9, v14
	s_waitcnt vmcnt(5)
	v_cvt_f32_f16_e32 v8, v21
	s_waitcnt vmcnt(4)
	v_cvt_f32_f16_e32 v9, v20
	v_dual_add_f32 v10, v10, v15 :: v_dual_add_f32 v3, v3, v6
	s_waitcnt vmcnt(3)
	v_cvt_f32_f16_e32 v6, v19
	v_add_f32_e32 v2, v2, v8
	v_add_f32_e32 v4, v4, v9
	v_cvt_f16_f32_e32 v12, v0
	v_lshlrev_b64 v[0:1], 1, v[48:49]
	v_add_nc_u32_e32 v49, s7, v48
	v_add_f32_e32 v5, v5, v6
	s_waitcnt vmcnt(2)
	v_cvt_f32_f16_e32 v6, v18
	v_cvt_f16_f32_e32 v2, v2
	v_cvt_f16_f32_e32 v4, v4
	;; [unrolled: 1-line block ×3, first 2 shown]
	s_waitcnt vmcnt(1)
	v_cvt_f32_f16_e32 v14, v17
	v_dual_add_f32 v13, v7, v6 :: v_dual_add_nc_u32 v6, 1, v49
	v_mov_b32_e32 v7, v50
	v_pack_b32_f16 v3, v2, v4
	v_pack_b32_f16 v2, v12, v8
	v_add_nc_u32_e32 v8, 2, v49
	v_cvt_f16_f32_e32 v12, v5
	v_lshlrev_b64 v[4:5], 1, v[49:50]
	v_dual_add_f32 v10, v10, v14 :: v_dual_add_nc_u32 v49, 3, v49
	s_waitcnt vmcnt(0)
	v_cvt_f32_f16_e32 v14, v16
	v_mov_b32_e32 v9, v50
	v_add_co_u32 v0, vcc_lo, s10, v0
	v_lshlrev_b64 v[6:7], 1, v[6:7]
	s_delay_alu instid0(VALU_DEP_4)
	v_add_f32_e32 v14, v11, v14
	v_add_co_ci_u32_e32 v1, vcc_lo, s11, v1, vcc_lo
	v_add_co_u32 v4, vcc_lo, s10, v4
	v_lshlrev_b64 v[8:9], 1, v[8:9]
	v_add_co_ci_u32_e32 v5, vcc_lo, s11, v5, vcc_lo
	v_add_co_u32 v6, vcc_lo, s10, v6
	v_cvt_f16_f32_e32 v15, v10
	v_lshlrev_b64 v[10:11], 1, v[49:50]
	v_add_co_ci_u32_e32 v7, vcc_lo, s11, v7, vcc_lo
	v_add_co_u32 v8, vcc_lo, s10, v8
	v_add_co_ci_u32_e32 v9, vcc_lo, s11, v9, vcc_lo
	v_cvt_f16_f32_e32 v13, v13
	v_add_co_u32 v10, vcc_lo, s10, v10
	v_cvt_f16_f32_e32 v14, v14
	v_add_co_ci_u32_e32 v11, vcc_lo, s11, v11, vcc_lo
	s_clause 0x4
	global_store_b64 v[0:1], v[2:3], off
	global_store_b16 v[4:5], v12, off
	global_store_b16 v[6:7], v13, off
	;; [unrolled: 1-line block ×4, first 2 shown]
.LBB50_13:                              ;   in Loop: Header=BB50_14 Depth=1
	s_or_b32 exec_lo, exec_lo, s19
	v_add_nc_u32_e32 v48, s16, v48
	s_delay_alu instid0(VALU_DEP_1) | instskip(SKIP_1) | instid1(SALU_CYCLE_1)
	v_cmp_le_u32_e32 vcc_lo, s7, v48
	s_or_b32 s3, vcc_lo, s3
	s_and_not1_b32 exec_lo, exec_lo, s3
	s_cbranch_execz .LBB50_26
.LBB50_14:                              ; =>This Loop Header: Depth=1
                                        ;     Child Loop BB50_18 Depth 2
	v_mov_b32_e32 v70, v50
	v_mov_b32_e32 v69, v50
	;; [unrolled: 1-line block ×8, first 2 shown]
	s_and_not1_b32 vcc_lo, exec_lo, s1
	s_cbranch_vccnz .LBB50_21
; %bb.15:                               ;   in Loop: Header=BB50_14 Depth=1
	v_or_b32_e32 v0, 1, v48
	v_or_b32_e32 v1, 2, v48
	;; [unrolled: 1-line block ×3, first 2 shown]
	s_waitcnt lgkmcnt(5)
	v_min_u32_e32 v3, s15, v48
	v_dual_mov_b32 v5, v50 :: v_dual_mov_b32 v68, 0
	v_min_u32_e32 v0, s15, v0
	v_min_u32_e32 v1, s15, v1
	v_min_u32_e32 v4, s15, v2
	v_mul_lo_u32 v49, v3, s5
	v_dual_mov_b32 v3, v50 :: v_dual_mov_b32 v66, 0
	v_mul_lo_u32 v0, v0, s5
	v_mul_lo_u32 v2, v1, s5
	;; [unrolled: 1-line block ×3, first 2 shown]
	v_dual_mov_b32 v1, v50 :: v_dual_mov_b32 v64, 0
	v_lshlrev_b64 v[51:52], 1, v[49:50]
	v_dual_mov_b32 v63, 0 :: v_dual_mov_b32 v70, 0
	s_delay_alu instid0(VALU_DEP_3)
	v_lshlrev_b64 v[53:54], 1, v[0:1]
	v_lshlrev_b64 v[55:56], 1, v[2:3]
	;; [unrolled: 1-line block ×3, first 2 shown]
	v_mov_b32_e32 v71, v60
	v_mov_b32_e32 v65, 0
	;; [unrolled: 1-line block ×4, first 2 shown]
	s_mov_b32 s19, 0
	s_branch .LBB50_18
.LBB50_16:                              ;   in Loop: Header=BB50_18 Depth=2
	s_or_b32 exec_lo, exec_lo, s21
.LBB50_17:                              ;   in Loop: Header=BB50_18 Depth=2
	s_delay_alu instid0(SALU_CYCLE_1)
	s_or_b32 exec_lo, exec_lo, s20
	s_waitcnt vmcnt(7) lgkmcnt(1)
	;;#ASMSTART
	v_dot2_f32_f16 v70, v44, v36, v70
	;;#ASMEND
	s_waitcnt vmcnt(6)
	;;#ASMSTART
	v_dot2_f32_f16 v69, v44, v28, v69
	;;#ASMEND
	s_waitcnt vmcnt(5)
	;; [unrolled: 4-line block ×3, first 2 shown]
	;;#ASMSTART
	v_dot2_f32_f16 v67, v44, v24, v67
	;;#ASMEND
	s_waitcnt lgkmcnt(0)
	;;#ASMSTART
	v_dot2_f32_f16 v66, v40, v36, v66
	;;#ASMEND
	;;#ASMSTART
	v_dot2_f32_f16 v65, v40, v28, v65
	;;#ASMEND
	;; [unrolled: 3-line block ×20, first 2 shown]
	v_add_nc_u32_e32 v71, 0x400, v71
	;;#ASMSTART
	v_dot2_f32_f16 v70, v47, v39, v70
	;;#ASMEND
	;;#ASMSTART
	v_dot2_f32_f16 v69, v47, v31, v69
	;;#ASMEND
	;; [unrolled: 3-line block ×8, first 2 shown]
	s_addk_i32 s19, 0x200
	s_waitcnt vmcnt(3)
	;;#ASMSTART
	v_dot2_f32_f16 v70, v20, v16, v70
	;;#ASMEND
	s_waitcnt vmcnt(2)
	;;#ASMSTART
	v_dot2_f32_f16 v69, v20, v12, v69
	;;#ASMEND
	;; [unrolled: 4-line block ×4, first 2 shown]
	;;#ASMSTART
	v_dot2_f32_f16 v66, v8, v16, v66
	;;#ASMEND
	;;#ASMSTART
	v_dot2_f32_f16 v65, v8, v12, v65
	;;#ASMEND
	;;#ASMSTART
	v_dot2_f32_f16 v64, v8, v4, v64
	;;#ASMEND
	;;#ASMSTART
	v_dot2_f32_f16 v63, v8, v0, v63
	;;#ASMEND
	;;#ASMSTART
	v_dot2_f32_f16 v70, v21, v17, v70
	;;#ASMEND
	;;#ASMSTART
	v_dot2_f32_f16 v69, v21, v13, v69
	;;#ASMEND
	;;#ASMSTART
	v_dot2_f32_f16 v68, v21, v5, v68
	;;#ASMEND
	;;#ASMSTART
	v_dot2_f32_f16 v67, v21, v1, v67
	;;#ASMEND
	;;#ASMSTART
	v_dot2_f32_f16 v66, v9, v17, v66
	;;#ASMEND
	;;#ASMSTART
	v_dot2_f32_f16 v65, v9, v13, v65
	;;#ASMEND
	;;#ASMSTART
	v_dot2_f32_f16 v64, v9, v5, v64
	;;#ASMEND
	;;#ASMSTART
	v_dot2_f32_f16 v63, v9, v1, v63
	;;#ASMEND
	s_cmp_ge_u32 s19, s4
	;;#ASMSTART
	v_dot2_f32_f16 v70, v22, v18, v70
	;;#ASMEND
	;;#ASMSTART
	v_dot2_f32_f16 v69, v22, v14, v69
	;;#ASMEND
	;; [unrolled: 3-line block ×16, first 2 shown]
	s_cbranch_scc1 .LBB50_21
.LBB50_18:                              ;   Parent Loop BB50_14 Depth=1
                                        ; =>  This Inner Loop Header: Depth=2
	v_dual_mov_b32 v45, 0 :: v_dual_add_nc_u32 v20, s19, v59
	v_dual_mov_b32 v44, 0 :: v_dual_mov_b32 v21, 0
	v_dual_mov_b32 v46, 0 :: v_dual_mov_b32 v23, 0
	s_delay_alu instid0(VALU_DEP_3) | instskip(SKIP_2) | instid1(VALU_DEP_3)
	v_min_u32_e32 v49, s14, v20
	v_dual_mov_b32 v47, 0 :: v_dual_add_nc_u32 v72, 0x100, v20
	v_dual_mov_b32 v22, 0 :: v_dual_mov_b32 v43, 0
	v_lshlrev_b64 v[0:1], 1, v[49:50]
	s_delay_alu instid0(VALU_DEP_3) | instskip(SKIP_2) | instid1(VALU_DEP_4)
	v_min_u32_e32 v49, s14, v72
	v_mov_b32_e32 v40, 0
	v_dual_mov_b32 v42, 0 :: v_dual_mov_b32 v41, 0
	v_add_co_u32 v8, vcc_lo, s12, v0
	v_add_co_ci_u32_e32 v9, vcc_lo, s13, v1, vcc_lo
	v_lshlrev_b64 v[0:1], 1, v[49:50]
	s_delay_alu instid0(VALU_DEP_3) | instskip(NEXT) | instid1(VALU_DEP_3)
	v_add_co_u32 v2, vcc_lo, v8, v51
	v_add_co_ci_u32_e32 v3, vcc_lo, v9, v52, vcc_lo
	v_add_co_u32 v4, vcc_lo, v8, v53
	v_add_co_ci_u32_e32 v5, vcc_lo, v9, v54, vcc_lo
	;; [unrolled: 2-line block ×3, first 2 shown]
	v_add_co_u32 v10, vcc_lo, s12, v0
	s_waitcnt lgkmcnt(0)
	v_add_co_ci_u32_e32 v11, vcc_lo, s13, v1, vcc_lo
	v_add_co_u32 v0, vcc_lo, v8, v57
	v_add_co_ci_u32_e32 v1, vcc_lo, v9, v58, vcc_lo
	s_clause 0x1
	global_load_b128 v[36:39], v[2:3], off slc dlc
	global_load_b128 v[28:31], v[4:5], off slc dlc
	v_add_co_u32 v2, vcc_lo, v10, v51
	v_add_co_ci_u32_e32 v3, vcc_lo, v11, v52, vcc_lo
	v_add_co_u32 v4, vcc_lo, v10, v53
	v_add_co_ci_u32_e32 v5, vcc_lo, v11, v54, vcc_lo
	;; [unrolled: 2-line block ×4, first 2 shown]
	s_clause 0x5
	global_load_b128 v[32:35], v[6:7], off slc dlc
	global_load_b128 v[24:27], v[0:1], off slc dlc
	global_load_b128 v[16:19], v[2:3], off slc dlc
	global_load_b128 v[12:15], v[4:5], off slc dlc
	global_load_b128 v[4:7], v[8:9], off slc dlc
	global_load_b128 v[0:3], v[10:11], off slc dlc
	v_mov_b32_e32 v11, 0
	v_cmp_gt_u32_e32 vcc_lo, s4, v20
	v_mov_b32_e32 v20, 0
	v_dual_mov_b32 v8, 0 :: v_dual_mov_b32 v9, 0
	v_mov_b32_e32 v10, 0
	s_and_saveexec_b32 s20, vcc_lo
	s_cbranch_execz .LBB50_17
; %bb.19:                               ;   in Loop: Header=BB50_18 Depth=2
	v_dual_mov_b32 v10, 0 :: v_dual_add_nc_u32 v49, s6, v71
	v_dual_mov_b32 v11, 0 :: v_dual_mov_b32 v8, 0
	ds_load_b128 v[44:47], v71
	ds_load_b128 v[40:43], v49
	v_dual_mov_b32 v9, 0 :: v_dual_mov_b32 v22, 0
	v_dual_mov_b32 v23, 0 :: v_dual_mov_b32 v20, 0
	v_mov_b32_e32 v21, 0
	s_mov_b32 s21, exec_lo
	v_cmpx_gt_u32_e64 s4, v72
	s_cbranch_execz .LBB50_16
; %bb.20:                               ;   in Loop: Header=BB50_18 Depth=2
	ds_load_b128 v[20:23], v71 offset:512
	ds_load_b128 v[8:11], v49 offset:512
	s_branch .LBB50_16
.LBB50_21:                              ;   in Loop: Header=BB50_14 Depth=1
	; sched_barrier mask(0x00000000)
	v_cvt_i32_f32_e32 v0, v70
	v_cvt_i32_f32_e32 v1, v69
	;; [unrolled: 1-line block ×3, first 2 shown]
	s_waitcnt lgkmcnt(5)
	v_xor_b32_e32 v3, 16, v62
	v_cvt_i32_f32_e32 v10, v64
	v_cvt_f32_i32_dpp v0, v0 row_shr:8 row_mask:0xf bank_mask:0xf bound_ctrl:1
	v_cvt_f32_i32_dpp v1, v1 row_shr:8 row_mask:0xf bank_mask:0xf bound_ctrl:1
	v_cvt_f32_i32_dpp v2, v2 row_shr:8 row_mask:0xf bank_mask:0xf bound_ctrl:1
	v_cmp_gt_i32_e32 vcc_lo, 32, v3
	v_cvt_i32_f32_e32 v4, v67
	s_delay_alu instid0(VALU_DEP_4) | instskip(NEXT) | instid1(VALU_DEP_4)
	v_dual_add_f32 v0, v70, v0 :: v_dual_add_f32 v1, v69, v1
	v_dual_add_f32 v2, v68, v2 :: v_dual_cndmask_b32 v3, v62, v3
	v_cvt_f32_i32_dpp v10, v10 row_shr:8 row_mask:0xf bank_mask:0xf bound_ctrl:1
	s_delay_alu instid0(VALU_DEP_3) | instskip(NEXT) | instid1(VALU_DEP_4)
	v_cvt_i32_f32_e32 v7, v0
	v_cvt_i32_f32_e32 v8, v1
	s_delay_alu instid0(VALU_DEP_4)
	v_cvt_i32_f32_e32 v9, v2
	s_waitcnt lgkmcnt(0)
	v_cvt_i32_f32_e32 v11, v63
	v_cvt_f32_i32_dpp v4, v4 row_shr:8 row_mask:0xf bank_mask:0xf bound_ctrl:1
	v_cvt_f32_i32_dpp v7, v7 row_shr:4 row_mask:0xf bank_mask:0xf bound_ctrl:1
	;; [unrolled: 1-line block ×5, first 2 shown]
	v_lshlrev_b32_e32 v16, 2, v3
	s_delay_alu instid0(VALU_DEP_4) | instskip(SKIP_2) | instid1(VALU_DEP_3)
	v_dual_add_f32 v0, v0, v7 :: v_dual_add_f32 v1, v1, v8
	v_cvt_i32_f32_e32 v5, v66
	v_cvt_i32_f32_e32 v6, v65
	;; [unrolled: 1-line block ×3, first 2 shown]
	s_delay_alu instid0(VALU_DEP_4) | instskip(NEXT) | instid1(VALU_DEP_4)
	v_cvt_i32_f32_e32 v8, v1
	v_cvt_f32_i32_dpp v5, v5 row_shr:8 row_mask:0xf bank_mask:0xf bound_ctrl:1
	s_delay_alu instid0(VALU_DEP_4) | instskip(NEXT) | instid1(VALU_DEP_4)
	v_cvt_f32_i32_dpp v6, v6 row_shr:8 row_mask:0xf bank_mask:0xf bound_ctrl:1
	v_cvt_f32_i32_dpp v7, v7 row_shr:2 row_mask:0xf bank_mask:0xf bound_ctrl:1
	s_delay_alu instid0(VALU_DEP_4) | instskip(NEXT) | instid1(VALU_DEP_1)
	v_cvt_f32_i32_dpp v8, v8 row_shr:2 row_mask:0xf bank_mask:0xf bound_ctrl:1
	v_dual_add_f32 v2, v2, v9 :: v_dual_add_f32 v1, v1, v8
	s_delay_alu instid0(VALU_DEP_1) | instskip(NEXT) | instid1(VALU_DEP_4)
	v_cvt_i32_f32_e32 v9, v2
	v_dual_add_f32 v0, v0, v7 :: v_dual_add_f32 v7, v67, v4
	s_delay_alu instid0(VALU_DEP_3) | instskip(NEXT) | instid1(VALU_DEP_3)
	v_cvt_i32_f32_e32 v4, v1
	v_cvt_f32_i32_dpp v9, v9 row_shr:2 row_mask:0xf bank_mask:0xf bound_ctrl:1
	s_delay_alu instid0(VALU_DEP_2) | instskip(NEXT) | instid1(VALU_DEP_2)
	v_cvt_f32_i32_dpp v4, v4 row_shr:1 row_mask:0xf bank_mask:0xf bound_ctrl:1
	v_dual_add_f32 v2, v2, v9 :: v_dual_add_f32 v9, v64, v10
	s_delay_alu instid0(VALU_DEP_2) | instskip(SKIP_1) | instid1(VALU_DEP_3)
	v_add_f32_e32 v1, v1, v4
	v_cvt_i32_f32_e32 v3, v0
	v_cvt_i32_f32_e32 v14, v9
	ds_bpermute_b32 v4, v16, v1
	v_cvt_f32_i32_dpp v3, v3 row_shr:1 row_mask:0xf bank_mask:0xf bound_ctrl:1
	v_cvt_f32_i32_dpp v14, v14 row_shr:4 row_mask:0xf bank_mask:0xf bound_ctrl:1
	v_add_f32_e32 v10, v63, v11
	v_cvt_i32_f32_e32 v11, v7
	s_delay_alu instid0(VALU_DEP_3) | instskip(NEXT) | instid1(VALU_DEP_3)
	v_add_f32_e32 v9, v9, v14
	v_cvt_i32_f32_e32 v15, v10
	s_delay_alu instid0(VALU_DEP_3)
	v_cvt_f32_i32_dpp v11, v11 row_shr:4 row_mask:0xf bank_mask:0xf bound_ctrl:1
	v_add_f32_e32 v8, v66, v5
	v_cvt_i32_f32_e32 v5, v2
	v_cvt_i32_f32_e32 v14, v9
	v_cvt_f32_i32_dpp v15, v15 row_shr:4 row_mask:0xf bank_mask:0xf bound_ctrl:1
	v_add_f32_e32 v7, v7, v11
	v_cvt_i32_f32_e32 v12, v8
	v_cvt_f32_i32_dpp v5, v5 row_shr:1 row_mask:0xf bank_mask:0xf bound_ctrl:1
	v_cvt_f32_i32_dpp v14, v14 row_shr:2 row_mask:0xf bank_mask:0xf bound_ctrl:1
	v_add_f32_e32 v0, v0, v3
	v_cvt_i32_f32_e32 v11, v7
	v_cvt_f32_i32_dpp v12, v12 row_shr:4 row_mask:0xf bank_mask:0xf bound_ctrl:1
	v_add_f32_e32 v10, v10, v15
	v_add_f32_e32 v2, v2, v5
	s_delay_alu instid0(VALU_DEP_4) | instskip(SKIP_1) | instid1(VALU_DEP_4)
	v_cvt_f32_i32_dpp v11, v11 row_shr:2 row_mask:0xf bank_mask:0xf bound_ctrl:1
	v_add_f32_e32 v6, v65, v6
	v_cvt_i32_f32_e32 v15, v10
	ds_bpermute_b32 v5, v16, v2
	v_add_f32_e32 v7, v7, v11
	v_cvt_i32_f32_e32 v13, v6
	v_add_f32_e32 v11, v9, v14
	v_cvt_f32_i32_dpp v15, v15 row_shr:2 row_mask:0xf bank_mask:0xf bound_ctrl:1
	ds_bpermute_b32 v3, v16, v0
	v_cvt_i32_f32_e32 v9, v7
	v_cvt_f32_i32_dpp v13, v13 row_shr:4 row_mask:0xf bank_mask:0xf bound_ctrl:1
	v_cvt_i32_f32_e32 v14, v11
	s_delay_alu instid0(VALU_DEP_3) | instskip(NEXT) | instid1(VALU_DEP_3)
	v_cvt_f32_i32_dpp v9, v9 row_shr:1 row_mask:0xf bank_mask:0xf bound_ctrl:1
	v_add_f32_e32 v6, v6, v13
	v_add_f32_e32 v8, v8, v12
	s_delay_alu instid0(VALU_DEP_4) | instskip(NEXT) | instid1(VALU_DEP_4)
	v_cvt_f32_i32_dpp v14, v14 row_shr:1 row_mask:0xf bank_mask:0xf bound_ctrl:1
	v_add_f32_e32 v7, v7, v9
	s_delay_alu instid0(VALU_DEP_4) | instskip(NEXT) | instid1(VALU_DEP_4)
	v_cvt_i32_f32_e32 v13, v6
	v_cvt_i32_f32_e32 v12, v8
	s_delay_alu instid0(VALU_DEP_2) | instskip(NEXT) | instid1(VALU_DEP_2)
	v_cvt_f32_i32_dpp v13, v13 row_shr:2 row_mask:0xf bank_mask:0xf bound_ctrl:1
	v_cvt_f32_i32_dpp v12, v12 row_shr:2 row_mask:0xf bank_mask:0xf bound_ctrl:1
	s_delay_alu instid0(VALU_DEP_2) | instskip(NEXT) | instid1(VALU_DEP_1)
	v_add_f32_e32 v6, v6, v13
	v_cvt_i32_f32_e32 v13, v6
	s_delay_alu instid0(VALU_DEP_1) | instskip(NEXT) | instid1(VALU_DEP_4)
	v_cvt_f32_i32_dpp v13, v13 row_shr:1 row_mask:0xf bank_mask:0xf bound_ctrl:1
	v_add_f32_e32 v8, v8, v12
	v_add_f32_e32 v12, v10, v15
	s_delay_alu instid0(VALU_DEP_3) | instskip(NEXT) | instid1(VALU_DEP_3)
	v_add_f32_e32 v9, v6, v13
	v_cvt_i32_f32_e32 v10, v8
	s_delay_alu instid0(VALU_DEP_3) | instskip(NEXT) | instid1(VALU_DEP_2)
	v_cvt_i32_f32_e32 v15, v12
	v_cvt_f32_i32_dpp v10, v10 row_shr:1 row_mask:0xf bank_mask:0xf bound_ctrl:1
	s_delay_alu instid0(VALU_DEP_2) | instskip(NEXT) | instid1(VALU_DEP_2)
	v_cvt_f32_i32_dpp v15, v15 row_shr:1 row_mask:0xf bank_mask:0xf bound_ctrl:1
	v_add_f32_e32 v8, v8, v10
	v_add_f32_e32 v10, v11, v14
	s_delay_alu instid0(VALU_DEP_3)
	v_add_f32_e32 v6, v12, v15
	ds_bpermute_b32 v12, v16, v7
	ds_bpermute_b32 v14, v16, v9
	;; [unrolled: 1-line block ×5, first 2 shown]
	s_and_saveexec_b32 s19, s0
	s_cbranch_execz .LBB50_13
; %bb.22:                               ;   in Loop: Header=BB50_14 Depth=1
	s_and_b32 vcc_lo, exec_lo, s18
	s_cbranch_vccz .LBB50_24
; %bb.23:                               ;   in Loop: Header=BB50_14 Depth=1
	v_mul_hi_u32 v16, v48, v61
	v_or_b32_e32 v18, 1, v48
	v_or_b32_e32 v20, 2, v48
	v_or_b32_e32 v21, 3, v48
	s_delay_alu instid0(VALU_DEP_3) | instskip(NEXT) | instid1(VALU_DEP_3)
	v_mul_hi_u32 v17, v18, v61
	v_mul_hi_u32 v19, v20, v61
	v_mul_lo_u32 v16, v16, s2
	s_delay_alu instid0(VALU_DEP_4) | instskip(NEXT) | instid1(VALU_DEP_4)
	v_mul_hi_u32 v22, v21, v61
	v_mul_lo_u32 v23, v17, s2
	s_delay_alu instid0(VALU_DEP_4) | instskip(NEXT) | instid1(VALU_DEP_4)
	v_mul_lo_u32 v24, v19, s2
	v_sub_nc_u32_e32 v16, v48, v16
	s_delay_alu instid0(VALU_DEP_4) | instskip(NEXT) | instid1(VALU_DEP_2)
	v_mul_lo_u32 v22, v22, s2
	v_subrev_nc_u32_e32 v25, s2, v16
	v_sub_nc_u32_e32 v18, v18, v23
	v_cmp_le_u32_e32 vcc_lo, s2, v16
	v_mov_b32_e32 v17, v50
	v_sub_nc_u32_e32 v20, v20, v24
	v_sub_nc_u32_e32 v22, v21, v22
	v_subrev_nc_u32_e32 v23, s2, v18
	v_cndmask_b32_e32 v16, v16, v25, vcc_lo
	v_cmp_le_u32_e32 vcc_lo, s2, v18
	v_subrev_nc_u32_e32 v24, s2, v20
	v_subrev_nc_u32_e32 v25, s2, v22
	s_delay_alu instid0(VALU_DEP_4) | instskip(SKIP_4) | instid1(VALU_DEP_2)
	v_subrev_nc_u32_e32 v26, s2, v16
	v_cndmask_b32_e32 v18, v18, v23, vcc_lo
	v_cmp_le_u32_e32 vcc_lo, s2, v20
	v_dual_mov_b32 v19, v50 :: v_dual_cndmask_b32 v20, v20, v24
	v_cmp_le_u32_e32 vcc_lo, s2, v22
	v_subrev_nc_u32_e32 v23, s2, v20
	v_cndmask_b32_e32 v24, v22, v25, vcc_lo
	v_cmp_le_u32_e32 vcc_lo, s2, v16
	v_cndmask_b32_e32 v49, v16, v26, vcc_lo
	v_subrev_nc_u32_e32 v22, s2, v18
	v_cmp_le_u32_e32 vcc_lo, s2, v18
	s_delay_alu instid0(VALU_DEP_2) | instskip(SKIP_4) | instid1(VALU_DEP_3)
	v_cndmask_b32_e32 v16, v18, v22, vcc_lo
	v_cmp_le_u32_e32 vcc_lo, s2, v20
	v_dual_mov_b32 v21, v50 :: v_dual_cndmask_b32 v18, v20, v23
	v_lshlrev_b64 v[22:23], 1, v[49:50]
	v_add_nc_u32_e32 v49, s17, v49
	v_lshlrev_b64 v[26:27], 1, v[18:19]
	s_delay_alu instid0(VALU_DEP_2) | instskip(SKIP_3) | instid1(VALU_DEP_2)
	v_lshlrev_b64 v[30:31], 1, v[49:50]
	v_add_nc_u32_e32 v49, s17, v16
	v_subrev_nc_u32_e32 v25, s2, v24
	v_cmp_le_u32_e32 vcc_lo, s2, v24
	v_cndmask_b32_e32 v20, v24, v25, vcc_lo
	v_lshlrev_b64 v[24:25], 1, v[16:17]
	v_add_co_u32 v22, vcc_lo, s8, v22
	v_add_co_ci_u32_e32 v23, vcc_lo, s9, v23, vcc_lo
	s_delay_alu instid0(VALU_DEP_4) | instskip(NEXT) | instid1(VALU_DEP_4)
	v_lshlrev_b64 v[28:29], 1, v[20:21]
	v_add_co_u32 v24, vcc_lo, s8, v24
	v_add_co_ci_u32_e32 v25, vcc_lo, s9, v25, vcc_lo
	v_add_co_u32 v26, vcc_lo, s8, v26
	v_add_co_ci_u32_e32 v27, vcc_lo, s9, v27, vcc_lo
	;; [unrolled: 2-line block ×3, first 2 shown]
	v_lshlrev_b64 v[28:29], 1, v[49:50]
	v_add_nc_u32_e32 v49, s17, v18
	v_add_co_u32 v18, vcc_lo, s8, v30
	v_add_co_ci_u32_e32 v19, vcc_lo, s9, v31, vcc_lo
	s_delay_alu instid0(VALU_DEP_3) | instskip(SKIP_3) | instid1(VALU_DEP_3)
	v_lshlrev_b64 v[30:31], 1, v[49:50]
	v_add_nc_u32_e32 v49, s17, v20
	v_add_co_u32 v28, vcc_lo, s8, v28
	v_add_co_ci_u32_e32 v29, vcc_lo, s9, v29, vcc_lo
	v_lshlrev_b64 v[20:21], 1, v[49:50]
	v_add_co_u32 v30, vcc_lo, s8, v30
	v_add_co_ci_u32_e32 v31, vcc_lo, s9, v31, vcc_lo
	v_mov_b32_e32 v49, v50
	s_delay_alu instid0(VALU_DEP_4)
	v_add_co_u32 v32, vcc_lo, s8, v20
	v_add_co_ci_u32_e32 v33, vcc_lo, s9, v21, vcc_lo
	s_clause 0x7
	global_load_u16 v23, v[22:23], off
	global_load_u16 v22, v[24:25], off
	;; [unrolled: 1-line block ×8, first 2 shown]
	s_cbranch_execnz .LBB50_12
	s_branch .LBB50_25
.LBB50_24:                              ;   in Loop: Header=BB50_14 Depth=1
                                        ; implicit-def: $vgpr16
                                        ; implicit-def: $vgpr17
                                        ; implicit-def: $vgpr18
                                        ; implicit-def: $vgpr19
                                        ; implicit-def: $vgpr20
                                        ; implicit-def: $vgpr21
                                        ; implicit-def: $vgpr22
                                        ; implicit-def: $vgpr23
.LBB50_25:                              ;   in Loop: Header=BB50_14 Depth=1
	s_waitcnt vmcnt(6)
	v_dual_mov_b32 v49, v50 :: v_dual_mov_b32 v22, 0
	s_waitcnt vmcnt(4)
	v_dual_mov_b32 v23, 0 :: v_dual_mov_b32 v20, 0
	;; [unrolled: 2-line block ×4, first 2 shown]
	v_mov_b32_e32 v17, 0
	s_branch .LBB50_12
.LBB50_26:
	s_nop 0
	s_sendmsg sendmsg(MSG_DEALLOC_VGPRS)
	s_endpgm
	.section	.rodata,"a",@progbits
	.p2align	6, 0x0
	.amdhsa_kernel _Z16wvSplitK_hf_sml_I6__halfLi32ELi4ELi16ELi8ELi2ELi2EEviiiiiiPKT_S3_S3_PS1_ii
		.amdhsa_group_segment_fixed_size 65536
		.amdhsa_private_segment_fixed_size 0
		.amdhsa_kernarg_size 64
		.amdhsa_user_sgpr_count 15
		.amdhsa_user_sgpr_dispatch_ptr 0
		.amdhsa_user_sgpr_queue_ptr 0
		.amdhsa_user_sgpr_kernarg_segment_ptr 1
		.amdhsa_user_sgpr_dispatch_id 0
		.amdhsa_user_sgpr_private_segment_size 0
		.amdhsa_wavefront_size32 1
		.amdhsa_uses_dynamic_stack 0
		.amdhsa_enable_private_segment 0
		.amdhsa_system_sgpr_workgroup_id_x 1
		.amdhsa_system_sgpr_workgroup_id_y 0
		.amdhsa_system_sgpr_workgroup_id_z 0
		.amdhsa_system_sgpr_workgroup_info 0
		.amdhsa_system_vgpr_workitem_id 1
		.amdhsa_next_free_vgpr 73
		.amdhsa_next_free_sgpr 22
		.amdhsa_reserve_vcc 1
		.amdhsa_float_round_mode_32 0
		.amdhsa_float_round_mode_16_64 0
		.amdhsa_float_denorm_mode_32 3
		.amdhsa_float_denorm_mode_16_64 3
		.amdhsa_dx10_clamp 1
		.amdhsa_ieee_mode 1
		.amdhsa_fp16_overflow 0
		.amdhsa_workgroup_processor_mode 1
		.amdhsa_memory_ordered 1
		.amdhsa_forward_progress 0
		.amdhsa_shared_vgpr_count 0
		.amdhsa_exception_fp_ieee_invalid_op 0
		.amdhsa_exception_fp_denorm_src 0
		.amdhsa_exception_fp_ieee_div_zero 0
		.amdhsa_exception_fp_ieee_overflow 0
		.amdhsa_exception_fp_ieee_underflow 0
		.amdhsa_exception_fp_ieee_inexact 0
		.amdhsa_exception_int_div_zero 0
	.end_amdhsa_kernel
	.section	.text._Z16wvSplitK_hf_sml_I6__halfLi32ELi4ELi16ELi8ELi2ELi2EEviiiiiiPKT_S3_S3_PS1_ii,"axG",@progbits,_Z16wvSplitK_hf_sml_I6__halfLi32ELi4ELi16ELi8ELi2ELi2EEviiiiiiPKT_S3_S3_PS1_ii,comdat
.Lfunc_end50:
	.size	_Z16wvSplitK_hf_sml_I6__halfLi32ELi4ELi16ELi8ELi2ELi2EEviiiiiiPKT_S3_S3_PS1_ii, .Lfunc_end50-_Z16wvSplitK_hf_sml_I6__halfLi32ELi4ELi16ELi8ELi2ELi2EEviiiiiiPKT_S3_S3_PS1_ii
                                        ; -- End function
	.section	.AMDGPU.csdata,"",@progbits
; Kernel info:
; codeLenInByte = 4468
; NumSgprs: 24
; NumVgprs: 73
; ScratchSize: 0
; MemoryBound: 0
; FloatMode: 240
; IeeeMode: 1
; LDSByteSize: 65536 bytes/workgroup (compile time only)
; SGPRBlocks: 2
; VGPRBlocks: 9
; NumSGPRsForWavesPerEU: 24
; NumVGPRsForWavesPerEU: 73
; Occupancy: 8
; WaveLimiterHint : 0
; COMPUTE_PGM_RSRC2:SCRATCH_EN: 0
; COMPUTE_PGM_RSRC2:USER_SGPR: 15
; COMPUTE_PGM_RSRC2:TRAP_HANDLER: 0
; COMPUTE_PGM_RSRC2:TGID_X_EN: 1
; COMPUTE_PGM_RSRC2:TGID_Y_EN: 0
; COMPUTE_PGM_RSRC2:TGID_Z_EN: 0
; COMPUTE_PGM_RSRC2:TIDIG_COMP_CNT: 1
	.section	.text._Z12wvSplitK_hf_I6__halfLi32ELi4ELi16ELi8ELi2ELi2EEviiiiiiPKT_S3_S3_PS1_ii,"axG",@progbits,_Z12wvSplitK_hf_I6__halfLi32ELi4ELi16ELi8ELi2ELi2EEviiiiiiPKT_S3_S3_PS1_ii,comdat
	.protected	_Z12wvSplitK_hf_I6__halfLi32ELi4ELi16ELi8ELi2ELi2EEviiiiiiPKT_S3_S3_PS1_ii ; -- Begin function _Z12wvSplitK_hf_I6__halfLi32ELi4ELi16ELi8ELi2ELi2EEviiiiiiPKT_S3_S3_PS1_ii
	.globl	_Z12wvSplitK_hf_I6__halfLi32ELi4ELi16ELi8ELi2ELi2EEviiiiiiPKT_S3_S3_PS1_ii
	.p2align	8
	.type	_Z12wvSplitK_hf_I6__halfLi32ELi4ELi16ELi8ELi2ELi2EEviiiiiiPKT_S3_S3_PS1_ii,@function
_Z12wvSplitK_hf_I6__halfLi32ELi4ELi16ELi8ELi2ELi2EEviiiiiiPKT_S3_S3_PS1_ii: ; @_Z12wvSplitK_hf_I6__halfLi32ELi4ELi16ELi8ELi2ELi2EEviiiiiiPKT_S3_S3_PS1_ii
; %bb.0:
	s_clause 0x1
	s_load_b64 s[20:21], s[0:1], 0x38
	s_load_b128 s[8:11], s[0:1], 0x0
	v_bfe_u32 v5, v0, 10, 10
	s_clause 0x1
	s_load_b64 s[16:17], s[0:1], 0x20
	s_load_b64 s[18:19], s[0:1], 0x10
	s_mov_b32 s4, 1
	s_delay_alu instid0(SALU_CYCLE_1) | instskip(SKIP_4) | instid1(SALU_CYCLE_1)
	s_mov_b32 s5, s4
	s_mov_b32 s6, s4
	;; [unrolled: 1-line block ×3, first 2 shown]
	s_waitcnt lgkmcnt(0)
	s_mul_i32 s15, s15, s20
	v_add_lshl_u32 v53, s15, v5, 2
	s_delay_alu instid0(VALU_DEP_1) | instskip(SKIP_1) | instid1(VALU_DEP_2)
	v_add_nc_u32_e32 v1, 4, v53
	v_cmp_gt_u32_e32 vcc_lo, s11, v53
	v_cmp_le_u32_e64 s2, s11, v1
	v_dual_mov_b32 v1, s4 :: v_dual_mov_b32 v4, s7
	v_dual_mov_b32 v2, s5 :: v_dual_mov_b32 v3, s6
	s_delay_alu instid0(VALU_DEP_3) | instskip(NEXT) | instid1(SALU_CYCLE_1)
	s_and_b32 s2, vcc_lo, s2
	s_and_saveexec_b32 s12, s2
	s_cbranch_execz .LBB51_6
; %bb.1:
	v_dual_mov_b32 v1, s4 :: v_dual_mov_b32 v2, s5
	v_dual_mov_b32 v3, s6 :: v_dual_mov_b32 v4, s7
	s_add_i32 s13, s11, -4
	s_mov_b32 s14, exec_lo
	v_cmpx_ne_u32_e64 s13, v53
	s_cbranch_execz .LBB51_5
; %bb.2:
	v_subrev_nc_u32_e32 v1, s13, v53
	s_mov_b32 s15, 0
	s_mov_b64 s[2:3], 0
	s_mov_b32 s5, s4
	s_mov_b32 s6, s4
	v_cmp_lt_u32_e32 vcc_lo, 1, v1
	s_mov_b32 s7, s4
	v_cndmask_b32_e32 v6, 1, v1, vcc_lo
	.p2align	6
.LBB51_3:                               ; =>This Inner Loop Header: Depth=1
	s_cmp_lg_u32 s2, 3
	s_cselect_b32 s7, s7, 0
	s_cmp_lg_u32 s2, 2
	s_cselect_b32 s6, s6, 0
	s_cmp_lg_u32 s2, 1
	s_cselect_b32 s5, s5, 0
	s_cmp_lg_u32 s2, 0
	s_cselect_b32 s4, s4, 0
	s_add_u32 s2, s2, 1
	v_dual_mov_b32 v1, s4 :: v_dual_mov_b32 v2, s5
	v_cmp_eq_u32_e32 vcc_lo, s2, v6
	v_dual_mov_b32 v3, s6 :: v_dual_mov_b32 v4, s7
	s_addc_u32 s3, s3, 0
	s_or_b32 s15, vcc_lo, s15
	s_delay_alu instid0(SALU_CYCLE_1)
	s_and_not1_b32 exec_lo, exec_lo, s15
	s_cbranch_execnz .LBB51_3
; %bb.4:
	s_or_b32 exec_lo, exec_lo, s15
	v_mov_b32_e32 v53, s13
.LBB51_5:
	s_or_b32 exec_lo, exec_lo, s14
.LBB51_6:
	s_delay_alu instid0(SALU_CYCLE_1) | instskip(SKIP_2) | instid1(SALU_CYCLE_1)
	s_or_b32 exec_lo, exec_lo, s12
	v_and_b32_e32 v6, 0x3ff, v0
	s_lshl_b32 s2, s10, 1
	s_min_u32 s3, s2, 0x8000
	s_mov_b32 s2, exec_lo
	s_delay_alu instid0(VALU_DEP_1) | instskip(NEXT) | instid1(VALU_DEP_1)
	v_lshlrev_b32_e32 v0, 3, v6
	v_lshl_add_u32 v8, v5, 8, v0
	s_delay_alu instid0(VALU_DEP_1)
	v_cmpx_gt_u32_e64 s3, v8
	s_cbranch_execz .LBB51_15
; %bb.7:
	v_lshlrev_b32_e32 v7, 1, v8
	v_add_nc_u32_e32 v13, 0x1000, v8
	s_mov_b32 s4, exec_lo
	global_load_b128 v[9:12], v7, s[16:17]
	s_waitcnt vmcnt(0)
	ds_store_b128 v7, v[9:12]
	v_cmpx_gt_u32_e64 s3, v13
	s_xor_b32 s4, exec_lo, s4
	s_cbranch_execz .LBB51_15
; %bb.8:
	v_add_co_u32 v9, s4, s16, v7
	s_delay_alu instid0(VALU_DEP_1) | instskip(SKIP_1) | instid1(VALU_DEP_3)
	v_add_co_ci_u32_e64 v10, null, s17, 0, s4
	v_add_nc_u32_e32 v15, 0x2000, v8
	v_add_co_u32 v11, vcc_lo, 0x2000, v9
	s_delay_alu instid0(VALU_DEP_3)
	v_add_co_ci_u32_e32 v12, vcc_lo, 0, v10, vcc_lo
	s_mov_b32 s4, exec_lo
	global_load_b128 v[11:14], v[11:12], off
	s_waitcnt vmcnt(0)
	ds_store_b128 v7, v[11:14] offset:8192
	v_cmpx_gt_u32_e64 s3, v15
	s_xor_b32 s4, exec_lo, s4
	s_cbranch_execz .LBB51_15
; %bb.9:
	v_add_co_u32 v11, vcc_lo, 0x4000, v9
	v_add_co_ci_u32_e32 v12, vcc_lo, 0, v10, vcc_lo
	v_add_nc_u32_e32 v15, 0x3000, v8
	s_mov_b32 s4, exec_lo
	global_load_b128 v[11:14], v[11:12], off
	s_waitcnt vmcnt(0)
	ds_store_b128 v7, v[11:14] offset:16384
	v_cmpx_gt_u32_e64 s3, v15
	s_xor_b32 s4, exec_lo, s4
	s_cbranch_execz .LBB51_15
; %bb.10:
	v_add_co_u32 v11, vcc_lo, 0x6000, v9
	v_add_co_ci_u32_e32 v12, vcc_lo, 0, v10, vcc_lo
	v_add_nc_u32_e32 v15, 0x4000, v8
	s_mov_b32 s4, exec_lo
	global_load_b128 v[11:14], v[11:12], off
	s_waitcnt vmcnt(0)
	ds_store_b128 v7, v[11:14] offset:24576
	v_cmpx_gt_u32_e64 s3, v15
	s_xor_b32 s4, exec_lo, s4
	s_cbranch_execz .LBB51_15
; %bb.11:
	v_add_co_u32 v11, vcc_lo, 0x8000, v9
	v_add_co_ci_u32_e32 v12, vcc_lo, 0, v10, vcc_lo
	v_add_nc_u32_e32 v15, 0x5000, v8
	s_mov_b32 s4, exec_lo
	global_load_b128 v[11:14], v[11:12], off
	s_waitcnt vmcnt(0)
	ds_store_b128 v7, v[11:14] offset:32768
	v_cmpx_gt_u32_e64 s3, v15
	s_xor_b32 s4, exec_lo, s4
	s_cbranch_execz .LBB51_15
; %bb.12:
	v_add_co_u32 v11, vcc_lo, 0xa000, v9
	v_add_co_ci_u32_e32 v12, vcc_lo, 0, v10, vcc_lo
	v_add_nc_u32_e32 v15, 0x6000, v8
	s_mov_b32 s4, exec_lo
	global_load_b128 v[11:14], v[11:12], off
	s_waitcnt vmcnt(0)
	ds_store_b128 v7, v[11:14] offset:40960
	v_cmpx_gt_u32_e64 s3, v15
	s_xor_b32 s4, exec_lo, s4
	s_cbranch_execz .LBB51_15
; %bb.13:
	v_add_co_u32 v11, vcc_lo, 0xc000, v9
	v_add_co_ci_u32_e32 v12, vcc_lo, 0, v10, vcc_lo
	v_add_nc_u32_e32 v8, 0x7000, v8
	global_load_b128 v[11:14], v[11:12], off
	v_cmp_gt_u32_e32 vcc_lo, s3, v8
	s_waitcnt vmcnt(0)
	ds_store_b128 v7, v[11:14] offset:49152
	s_and_saveexec_b32 s3, vcc_lo
	s_delay_alu instid0(SALU_CYCLE_1)
	s_xor_b32 s3, exec_lo, s3
	s_cbranch_execz .LBB51_15
; %bb.14:
	v_add_co_u32 v8, vcc_lo, 0xe000, v9
	v_add_co_ci_u32_e32 v9, vcc_lo, 0, v10, vcc_lo
	global_load_b128 v[8:11], v[8:9], off
	s_waitcnt vmcnt(0)
	ds_store_b128 v7, v[8:11] offset:57344
.LBB51_15:
	s_or_b32 exec_lo, exec_lo, s2
	v_cmp_gt_u32_e32 vcc_lo, s20, v5
	v_cmp_gt_u32_e64 s2, s11, v53
	s_waitcnt lgkmcnt(0)
	s_barrier
	buffer_gl0_inv
	s_and_b32 s2, vcc_lo, s2
	s_delay_alu instid0(SALU_CYCLE_1)
	s_and_saveexec_b32 s3, s2
	s_cbranch_execz .LBB51_66
; %bb.16:
	v_cvt_f32_u32_e32 v5, s18
	s_clause 0x1
	s_load_b128 s[12:15], s[0:1], 0x28
	s_load_b64 s[6:7], s[0:1], 0x18
	s_cmp_lg_u32 s8, 0
	s_mul_i32 s1, s20, s21
	v_rcp_iflag_f32_e32 v5, v5
	s_cselect_b32 s22, -1, 0
	s_add_i32 s23, s8, -8
	s_add_i32 s24, s11, -1
	v_mbcnt_lo_u32_b32 v71, -1, 0
	s_waitcnt_depctr 0xfff
	v_mul_f32_e32 v5, 0x4f7ffffe, v5
	s_delay_alu instid0(VALU_DEP_1)
	v_cvt_u32_f32_e32 v5, v5
	s_waitcnt lgkmcnt(0)
	s_cmp_lg_u64 s[12:13], 0
	s_cselect_b32 s25, -1, 0
	s_sub_i32 s0, 0, s18
	s_lshl_b32 s20, s1, 2
	v_mul_lo_u32 v7, s0, v5
	s_abs_i32 s1, s19
	v_cmp_eq_u32_e64 s0, 31, v6
	s_add_i32 s21, s11, -4
	s_sub_i32 s2, 1, s1
	s_cmp_lt_u32 s1, 2
	s_mov_b32 s19, 0
	s_cselect_b32 s2, s2, 1
	v_mul_hi_u32 v6, v5, v7
	s_sub_i32 s3, s2, s1
	s_cmp_ge_u32 s2, s1
	v_mov_b32_e32 v55, 0
	s_cselect_b32 s26, s3, s2
	s_delay_alu instid0(SALU_CYCLE_1) | instskip(NEXT) | instid1(VALU_DEP_2)
	s_mul_i32 s26, s26, s18
	v_add_nc_u32_e32 v70, v5, v6
	s_branch .LBB51_19
.LBB51_17:                              ;   in Loop: Header=BB51_19 Depth=1
	s_or_b32 exec_lo, exec_lo, s28
	v_mov_b32_e32 v53, s21
.LBB51_18:                              ;   in Loop: Header=BB51_19 Depth=1
	s_or_b32 exec_lo, exec_lo, s27
	s_delay_alu instid0(VALU_DEP_1) | instskip(SKIP_1) | instid1(SALU_CYCLE_1)
	v_cmp_le_u32_e32 vcc_lo, s11, v53
	s_or_b32 s19, vcc_lo, s19
	s_and_not1_b32 exec_lo, exec_lo, s19
	s_cbranch_execz .LBB51_66
.LBB51_19:                              ; =>This Loop Header: Depth=1
                                        ;     Child Loop BB51_24 Depth 2
                                        ;     Child Loop BB51_57 Depth 2
	v_dual_mov_b32 v79, v55 :: v_dual_add_nc_u32 v58, 1, v53
	v_dual_mov_b32 v78, v55 :: v_dual_add_nc_u32 v57, 2, v53
	;; [unrolled: 1-line block ×3, first 2 shown]
	v_mov_b32_e32 v76, v55
	v_mov_b32_e32 v75, v55
	;; [unrolled: 1-line block ×5, first 2 shown]
	s_and_not1_b32 vcc_lo, exec_lo, s22
	s_cbranch_vccnz .LBB51_42
; %bb.20:                               ;   in Loop: Header=BB51_19 Depth=1
	v_min_u32_e32 v5, s24, v53
	s_waitcnt lgkmcnt(3)
	v_min_u32_e32 v6, s24, v58
	v_min_u32_e32 v7, s24, v57
	s_waitcnt lgkmcnt(0)
	v_min_u32_e32 v8, s24, v56
	v_dual_mov_b32 v10, v55 :: v_dual_mov_b32 v77, 0
	v_mul_lo_u32 v54, v5, s9
	v_mul_lo_u32 v5, v6, s9
	;; [unrolled: 1-line block ×4, first 2 shown]
	v_dual_mov_b32 v6, v55 :: v_dual_mov_b32 v73, 0
	v_dual_mov_b32 v8, v55 :: v_dual_mov_b32 v75, 0
	v_lshlrev_b64 v[59:60], 1, v[54:55]
	s_delay_alu instid0(VALU_DEP_3) | instskip(SKIP_1) | instid1(VALU_DEP_4)
	v_lshlrev_b64 v[61:62], 1, v[5:6]
	v_dual_mov_b32 v72, 0 :: v_dual_mov_b32 v79, 0
	v_lshlrev_b64 v[63:64], 1, v[7:8]
	v_lshlrev_b64 v[65:66], 1, v[9:10]
	v_mov_b32_e32 v74, 0
	v_mov_b32_e32 v76, 0
	;; [unrolled: 1-line block ×3, first 2 shown]
	s_mov_b32 s1, 0
	s_branch .LBB51_24
.LBB51_21:                              ;   in Loop: Header=BB51_24 Depth=2
	s_or_b32 exec_lo, exec_lo, s4
.LBB51_22:                              ;   in Loop: Header=BB51_24 Depth=2
	s_delay_alu instid0(SALU_CYCLE_1)
	s_or_b32 exec_lo, exec_lo, s3
.LBB51_23:                              ;   in Loop: Header=BB51_24 Depth=2
	s_delay_alu instid0(SALU_CYCLE_1)
	s_or_b32 exec_lo, exec_lo, s2
	s_waitcnt vmcnt(0) lgkmcnt(0)
	;;#ASMSTART
	v_dot2_f32_f16 v79, v41, v33, v79
	;;#ASMEND
	;;#ASMSTART
	v_dot2_f32_f16 v78, v41, v25, v78
	;;#ASMEND
	;; [unrolled: 3-line block ×32, first 2 shown]
	s_addk_i32 s1, 0x200
	;;#ASMSTART
	v_dot2_f32_f16 v79, v49, v17, v79
	;;#ASMEND
	;;#ASMSTART
	v_dot2_f32_f16 v78, v49, v13, v78
	;;#ASMEND
	;; [unrolled: 3-line block ×16, first 2 shown]
	s_cmp_ge_u32 s1, s8
	;;#ASMSTART
	v_dot2_f32_f16 v79, v51, v19, v79
	;;#ASMEND
	;;#ASMSTART
	v_dot2_f32_f16 v78, v51, v15, v78
	;;#ASMEND
	;; [unrolled: 3-line block ×16, first 2 shown]
	s_cbranch_scc1 .LBB51_42
.LBB51_24:                              ;   Parent Loop BB51_19 Depth=1
                                        ; =>  This Inner Loop Header: Depth=2
	v_dual_mov_b32 v47, 0 :: v_dual_add_nc_u32 v68, s1, v0
	v_dual_mov_b32 v46, 0 :: v_dual_mov_b32 v45, 0
	v_dual_mov_b32 v52, 0 :: v_dual_mov_b32 v51, 0
	s_delay_alu instid0(VALU_DEP_3) | instskip(SKIP_2) | instid1(VALU_DEP_3)
	v_min_u32_e32 v54, s23, v68
	v_dual_mov_b32 v48, 0 :: v_dual_add_nc_u32 v67, 0x100, v68
	v_dual_mov_b32 v50, 0 :: v_dual_mov_b32 v49, 0
	v_lshlrev_b64 v[5:6], 1, v[54:55]
	s_delay_alu instid0(VALU_DEP_3) | instskip(SKIP_2) | instid1(VALU_DEP_4)
	v_min_u32_e32 v54, s23, v67
	v_dual_mov_b32 v44, 0 :: v_dual_mov_b32 v43, 0
	v_dual_mov_b32 v42, 0 :: v_dual_mov_b32 v41, 0
	v_add_co_u32 v13, vcc_lo, s6, v5
	v_add_co_ci_u32_e32 v14, vcc_lo, s7, v6, vcc_lo
	v_lshlrev_b64 v[5:6], 1, v[54:55]
	s_delay_alu instid0(VALU_DEP_3) | instskip(NEXT) | instid1(VALU_DEP_3)
	v_add_co_u32 v7, vcc_lo, v13, v59
	v_add_co_ci_u32_e32 v8, vcc_lo, v14, v60, vcc_lo
	v_add_co_u32 v9, vcc_lo, v13, v61
	v_add_co_ci_u32_e32 v10, vcc_lo, v14, v62, vcc_lo
	;; [unrolled: 2-line block ×5, first 2 shown]
	s_clause 0x1
	global_load_b128 v[33:36], v[7:8], off slc dlc
	global_load_b128 v[25:28], v[9:10], off slc dlc
	v_add_co_u32 v7, vcc_lo, v15, v59
	v_add_co_ci_u32_e32 v8, vcc_lo, v16, v60, vcc_lo
	v_add_co_u32 v9, vcc_lo, v15, v61
	v_add_co_ci_u32_e32 v10, vcc_lo, v16, v62, vcc_lo
	;; [unrolled: 2-line block ×4, first 2 shown]
	s_clause 0x5
	global_load_b128 v[29:32], v[11:12], off slc dlc
	global_load_b128 v[21:24], v[5:6], off slc dlc
	;; [unrolled: 1-line block ×6, first 2 shown]
	v_dual_mov_b32 v40, 0 :: v_dual_mov_b32 v39, 0
	v_dual_mov_b32 v38, 0 :: v_dual_mov_b32 v37, 0
	s_mov_b32 s2, exec_lo
	v_cmpx_gt_u32_e64 s8, v68
	s_cbranch_execz .LBB51_23
; %bb.25:                               ;   in Loop: Header=BB51_24 Depth=2
	s_mov_b32 s3, exec_lo
                                        ; implicit-def: $vgpr44
	v_cmpx_lt_u32_e32 0x7fff, v68
	s_xor_b32 s3, exec_lo, s3
	s_cbranch_execz .LBB51_27
; %bb.26:                               ;   in Loop: Header=BB51_24 Depth=2
	v_mov_b32_e32 v69, v55
	s_delay_alu instid0(VALU_DEP_1) | instskip(NEXT) | instid1(VALU_DEP_1)
	v_lshlrev_b64 v[37:38], 1, v[68:69]
	v_add_co_u32 v37, vcc_lo, s16, v37
	s_delay_alu instid0(VALU_DEP_2)
	v_add_co_ci_u32_e32 v38, vcc_lo, s17, v38, vcc_lo
	global_load_b128 v[41:44], v[37:38], off
.LBB51_27:                              ;   in Loop: Header=BB51_24 Depth=2
	s_and_not1_saveexec_b32 s3, s3
	s_cbranch_execz .LBB51_29
; %bb.28:                               ;   in Loop: Header=BB51_24 Depth=2
	v_lshlrev_b32_e32 v37, 1, v68
	s_waitcnt vmcnt(0)
	ds_load_b128 v[41:44], v37
.LBB51_29:                              ;   in Loop: Header=BB51_24 Depth=2
	s_or_b32 exec_lo, exec_lo, s3
	v_add_nc_u32_e32 v54, s10, v68
	s_mov_b32 s3, exec_lo
                                        ; implicit-def: $vgpr40
	s_delay_alu instid0(VALU_DEP_1)
	v_cmpx_lt_u32_e32 0x7fff, v54
	s_xor_b32 s3, exec_lo, s3
	s_cbranch_execz .LBB51_31
; %bb.30:                               ;   in Loop: Header=BB51_24 Depth=2
	v_lshlrev_b64 v[37:38], 1, v[54:55]
	s_delay_alu instid0(VALU_DEP_1) | instskip(NEXT) | instid1(VALU_DEP_2)
	v_add_co_u32 v37, vcc_lo, s16, v37
	v_add_co_ci_u32_e32 v38, vcc_lo, s17, v38, vcc_lo
	global_load_b128 v[37:40], v[37:38], off
.LBB51_31:                              ;   in Loop: Header=BB51_24 Depth=2
	s_and_not1_saveexec_b32 s3, s3
	s_cbranch_execz .LBB51_33
; %bb.32:                               ;   in Loop: Header=BB51_24 Depth=2
	s_waitcnt vmcnt(0)
	v_lshlrev_b32_e32 v37, 1, v54
	ds_load_b128 v[37:40], v37
.LBB51_33:                              ;   in Loop: Header=BB51_24 Depth=2
	s_or_b32 exec_lo, exec_lo, s3
	v_dual_mov_b32 v48, 0 :: v_dual_mov_b32 v47, 0
	v_dual_mov_b32 v46, 0 :: v_dual_mov_b32 v45, 0
	;; [unrolled: 1-line block ×4, first 2 shown]
	s_mov_b32 s3, exec_lo
	v_cmpx_gt_u32_e64 s8, v67
	s_cbranch_execz .LBB51_22
; %bb.34:                               ;   in Loop: Header=BB51_24 Depth=2
	s_mov_b32 s4, exec_lo
                                        ; implicit-def: $vgpr52
	v_cmpx_lt_u32_e32 0x7fff, v67
	s_xor_b32 s4, exec_lo, s4
	s_cbranch_execz .LBB51_36
; %bb.35:                               ;   in Loop: Header=BB51_24 Depth=2
	v_mov_b32_e32 v68, v55
	s_delay_alu instid0(VALU_DEP_1) | instskip(NEXT) | instid1(VALU_DEP_1)
	v_lshlrev_b64 v[45:46], 1, v[67:68]
                                        ; implicit-def: $vgpr68
	v_add_co_u32 v45, vcc_lo, s16, v45
	s_delay_alu instid0(VALU_DEP_2)
	v_add_co_ci_u32_e32 v46, vcc_lo, s17, v46, vcc_lo
	global_load_b128 v[49:52], v[45:46], off
.LBB51_36:                              ;   in Loop: Header=BB51_24 Depth=2
	s_and_not1_saveexec_b32 s4, s4
	s_cbranch_execz .LBB51_38
; %bb.37:                               ;   in Loop: Header=BB51_24 Depth=2
	v_lshlrev_b32_e32 v45, 1, v68
	s_waitcnt vmcnt(0)
	ds_load_b128 v[49:52], v45 offset:512
.LBB51_38:                              ;   in Loop: Header=BB51_24 Depth=2
	s_or_b32 exec_lo, exec_lo, s4
	v_add_nc_u32_e32 v45, s10, v67
	s_mov_b32 s4, exec_lo
                                        ; implicit-def: $vgpr48
	s_delay_alu instid0(VALU_DEP_1)
	v_cmpx_lt_u32_e32 0x7fff, v45
	s_xor_b32 s4, exec_lo, s4
	s_cbranch_execz .LBB51_40
; %bb.39:                               ;   in Loop: Header=BB51_24 Depth=2
	v_mov_b32_e32 v46, v55
	s_delay_alu instid0(VALU_DEP_1) | instskip(NEXT) | instid1(VALU_DEP_1)
	v_lshlrev_b64 v[45:46], 1, v[45:46]
	v_add_co_u32 v45, vcc_lo, s16, v45
	s_delay_alu instid0(VALU_DEP_2)
	v_add_co_ci_u32_e32 v46, vcc_lo, s17, v46, vcc_lo
	global_load_b128 v[45:48], v[45:46], off
.LBB51_40:                              ;   in Loop: Header=BB51_24 Depth=2
	s_and_not1_saveexec_b32 s4, s4
	s_cbranch_execz .LBB51_21
; %bb.41:                               ;   in Loop: Header=BB51_24 Depth=2
	s_waitcnt vmcnt(0)
	v_lshlrev_b32_e32 v45, 1, v54
	ds_load_b128 v[45:48], v45 offset:512
	s_branch .LBB51_21
.LBB51_42:                              ;   in Loop: Header=BB51_19 Depth=1
	v_cvt_i32_f32_e32 v5, v79
	s_waitcnt lgkmcnt(3)
	v_cvt_i32_f32_e32 v6, v78
	v_cvt_i32_f32_e32 v7, v77
	s_waitcnt lgkmcnt(0)
	v_xor_b32_e32 v8, 16, v71
	v_cvt_i32_f32_e32 v9, v76
	v_cvt_f32_i32_dpp v5, v5 row_shr:8 row_mask:0xf bank_mask:0xf bound_ctrl:1
	v_cvt_f32_i32_dpp v6, v6 row_shr:8 row_mask:0xf bank_mask:0xf bound_ctrl:1
	;; [unrolled: 1-line block ×3, first 2 shown]
	v_cmp_gt_i32_e32 vcc_lo, 32, v8
	v_cvt_f32_i32_dpp v9, v9 row_shr:8 row_mask:0xf bank_mask:0xf bound_ctrl:1
	s_delay_alu instid0(VALU_DEP_4) | instskip(NEXT) | instid1(VALU_DEP_4)
	v_dual_add_f32 v5, v79, v5 :: v_dual_add_f32 v6, v78, v6
	v_dual_add_f32 v7, v77, v7 :: v_dual_cndmask_b32 v8, v71, v8
	v_cvt_i32_f32_e32 v10, v75
	s_delay_alu instid0(VALU_DEP_3) | instskip(NEXT) | instid1(VALU_DEP_4)
	v_cvt_i32_f32_e32 v12, v5
	v_cvt_i32_f32_e32 v13, v6
	s_delay_alu instid0(VALU_DEP_4)
	v_cvt_i32_f32_e32 v14, v7
	v_cvt_i32_f32_e32 v16, v72
	s_waitcnt vmcnt(0)
	v_dual_add_f32 v8, v76, v9 :: v_dual_lshlrev_b32 v21, 2, v8
	v_cvt_f32_i32_dpp v12, v12 row_shr:4 row_mask:0xf bank_mask:0xf bound_ctrl:1
	v_cvt_f32_i32_dpp v13, v13 row_shr:4 row_mask:0xf bank_mask:0xf bound_ctrl:1
	;; [unrolled: 1-line block ×5, first 2 shown]
	s_delay_alu instid0(VALU_DEP_4) | instskip(SKIP_2) | instid1(VALU_DEP_4)
	v_dual_add_f32 v5, v5, v12 :: v_dual_add_f32 v6, v6, v13
	v_cvt_i32_f32_e32 v22, v8
	v_cvt_i32_f32_e32 v11, v74
	v_add_f32_e32 v17, v72, v16
	s_delay_alu instid0(VALU_DEP_4) | instskip(SKIP_3) | instid1(VALU_DEP_4)
	v_cvt_i32_f32_e32 v12, v5
	v_cvt_i32_f32_e32 v13, v6
	;; [unrolled: 1-line block ×3, first 2 shown]
	v_cvt_f32_i32_dpp v11, v11 row_shr:8 row_mask:0xf bank_mask:0xf bound_ctrl:1
	v_cvt_f32_i32_dpp v12, v12 row_shr:2 row_mask:0xf bank_mask:0xf bound_ctrl:1
	s_delay_alu instid0(VALU_DEP_4) | instskip(SKIP_2) | instid1(VALU_DEP_3)
	v_cvt_f32_i32_dpp v13, v13 row_shr:2 row_mask:0xf bank_mask:0xf bound_ctrl:1
	v_add_f32_e32 v7, v7, v14
	v_cvt_f32_i32_dpp v15, v15 row_shr:8 row_mask:0xf bank_mask:0xf bound_ctrl:1
	v_add_f32_e32 v6, v6, v13
	s_delay_alu instid0(VALU_DEP_3) | instskip(NEXT) | instid1(VALU_DEP_1)
	v_cvt_i32_f32_e32 v14, v7
	v_cvt_f32_i32_dpp v14, v14 row_shr:2 row_mask:0xf bank_mask:0xf bound_ctrl:1
	s_delay_alu instid0(VALU_DEP_1) | instskip(NEXT) | instid1(VALU_DEP_1)
	v_add_f32_e32 v7, v7, v14
	v_cvt_i32_f32_e32 v13, v7
	s_delay_alu instid0(VALU_DEP_1) | instskip(SKIP_2) | instid1(VALU_DEP_1)
	v_cvt_f32_i32_dpp v13, v13 row_shr:1 row_mask:0xf bank_mask:0xf bound_ctrl:1
	v_add_f32_e32 v5, v5, v12
	v_cvt_i32_f32_e32 v12, v6
	v_cvt_f32_i32_dpp v12, v12 row_shr:1 row_mask:0xf bank_mask:0xf bound_ctrl:1
	s_delay_alu instid0(VALU_DEP_1)
	v_add_f32_e32 v16, v6, v12
	v_add_f32_e32 v12, v7, v13
	v_cvt_f32_i32_dpp v13, v22 row_shr:4 row_mask:0xf bank_mask:0xf bound_ctrl:1
	v_add_f32_e32 v9, v75, v10
	v_cvt_i32_f32_e32 v10, v5
	ds_bpermute_b32 v18, v21, v16
	ds_bpermute_b32 v14, v21, v12
	v_add_f32_e32 v8, v8, v13
	v_cvt_f32_i32_dpp v10, v10 row_shr:1 row_mask:0xf bank_mask:0xf bound_ctrl:1
	s_delay_alu instid0(VALU_DEP_1)
	v_add_f32_e32 v19, v5, v10
	v_cvt_i32_f32_e32 v5, v9
	v_cvt_i32_f32_e32 v10, v17
	ds_bpermute_b32 v20, v21, v19
	v_cvt_f32_i32_dpp v5, v5 row_shr:4 row_mask:0xf bank_mask:0xf bound_ctrl:1
	v_cvt_f32_i32_dpp v10, v10 row_shr:4 row_mask:0xf bank_mask:0xf bound_ctrl:1
	s_delay_alu instid0(VALU_DEP_2) | instskip(NEXT) | instid1(VALU_DEP_2)
	v_add_f32_e32 v5, v9, v5
	v_add_f32_e32 v9, v17, v10
	v_cvt_i32_f32_e32 v10, v8
	s_delay_alu instid0(VALU_DEP_2) | instskip(NEXT) | instid1(VALU_DEP_2)
	v_cvt_i32_f32_e32 v17, v9
	v_cvt_f32_i32_dpp v10, v10 row_shr:2 row_mask:0xf bank_mask:0xf bound_ctrl:1
	v_add_f32_e32 v11, v74, v11
	s_delay_alu instid0(VALU_DEP_3) | instskip(NEXT) | instid1(VALU_DEP_3)
	v_cvt_f32_i32_dpp v17, v17 row_shr:2 row_mask:0xf bank_mask:0xf bound_ctrl:1
	v_add_f32_e32 v8, v8, v10
	s_delay_alu instid0(VALU_DEP_3) | instskip(NEXT) | instid1(VALU_DEP_3)
	v_cvt_i32_f32_e32 v6, v11
	v_add_f32_e32 v10, v9, v17
	s_delay_alu instid0(VALU_DEP_3) | instskip(NEXT) | instid1(VALU_DEP_3)
	v_cvt_i32_f32_e32 v9, v8
	v_cvt_f32_i32_dpp v6, v6 row_shr:4 row_mask:0xf bank_mask:0xf bound_ctrl:1
	v_add_f32_e32 v15, v73, v15
	s_delay_alu instid0(VALU_DEP_4) | instskip(NEXT) | instid1(VALU_DEP_4)
	v_cvt_i32_f32_e32 v17, v10
	v_cvt_f32_i32_dpp v9, v9 row_shr:1 row_mask:0xf bank_mask:0xf bound_ctrl:1
	s_delay_alu instid0(VALU_DEP_4) | instskip(NEXT) | instid1(VALU_DEP_4)
	v_add_f32_e32 v6, v11, v6
	v_cvt_i32_f32_e32 v7, v15
	v_cvt_i32_f32_e32 v11, v5
	v_cvt_f32_i32_dpp v17, v17 row_shr:1 row_mask:0xf bank_mask:0xf bound_ctrl:1
	s_delay_alu instid0(VALU_DEP_4) | instskip(NEXT) | instid1(VALU_DEP_4)
	v_cvt_i32_f32_e32 v13, v6
	v_cvt_f32_i32_dpp v7, v7 row_shr:4 row_mask:0xf bank_mask:0xf bound_ctrl:1
	s_delay_alu instid0(VALU_DEP_4) | instskip(NEXT) | instid1(VALU_DEP_3)
	v_cvt_f32_i32_dpp v11, v11 row_shr:2 row_mask:0xf bank_mask:0xf bound_ctrl:1
	v_cvt_f32_i32_dpp v13, v13 row_shr:2 row_mask:0xf bank_mask:0xf bound_ctrl:1
	s_delay_alu instid0(VALU_DEP_3) | instskip(NEXT) | instid1(VALU_DEP_2)
	v_add_f32_e32 v7, v15, v7
	v_dual_add_f32 v5, v5, v11 :: v_dual_add_f32 v6, v6, v13
	s_delay_alu instid0(VALU_DEP_2) | instskip(NEXT) | instid1(VALU_DEP_2)
	v_cvt_i32_f32_e32 v15, v7
	v_cvt_i32_f32_e32 v11, v5
	s_delay_alu instid0(VALU_DEP_3) | instskip(NEXT) | instid1(VALU_DEP_3)
	v_cvt_i32_f32_e32 v13, v6
	v_cvt_f32_i32_dpp v15, v15 row_shr:2 row_mask:0xf bank_mask:0xf bound_ctrl:1
	s_delay_alu instid0(VALU_DEP_3) | instskip(NEXT) | instid1(VALU_DEP_3)
	v_cvt_f32_i32_dpp v11, v11 row_shr:1 row_mask:0xf bank_mask:0xf bound_ctrl:1
	v_cvt_f32_i32_dpp v13, v13 row_shr:1 row_mask:0xf bank_mask:0xf bound_ctrl:1
	s_delay_alu instid0(VALU_DEP_3) | instskip(NEXT) | instid1(VALU_DEP_3)
	v_add_f32_e32 v7, v7, v15
	v_add_f32_e32 v11, v5, v11
	;; [unrolled: 1-line block ×3, first 2 shown]
	s_delay_alu instid0(VALU_DEP_3) | instskip(NEXT) | instid1(VALU_DEP_1)
	v_cvt_i32_f32_e32 v15, v7
	v_cvt_f32_i32_dpp v22, v15 row_shr:1 row_mask:0xf bank_mask:0xf bound_ctrl:1
	v_add_f32_e32 v15, v8, v9
	v_add_f32_e32 v9, v6, v13
	ds_bpermute_b32 v13, v21, v11
	ds_bpermute_b32 v6, v21, v5
	v_add_f32_e32 v7, v7, v22
	ds_bpermute_b32 v17, v21, v15
	ds_bpermute_b32 v10, v21, v9
	;; [unrolled: 1-line block ×3, first 2 shown]
	s_and_saveexec_b32 s5, s0
	s_cbranch_execz .LBB51_54
; %bb.43:                               ;   in Loop: Header=BB51_19 Depth=1
	v_dual_mov_b32 v28, 0 :: v_dual_mov_b32 v27, 0
	v_dual_mov_b32 v26, 0 :: v_dual_mov_b32 v25, 0
	;; [unrolled: 1-line block ×4, first 2 shown]
	s_and_not1_b32 vcc_lo, exec_lo, s25
	s_cbranch_vccnz .LBB51_45
; %bb.44:                               ;   in Loop: Header=BB51_19 Depth=1
	v_mul_hi_u32 v21, v53, v70
	v_mul_hi_u32 v22, v58, v70
	;; [unrolled: 1-line block ×4, first 2 shown]
	s_delay_alu instid0(VALU_DEP_4) | instskip(NEXT) | instid1(VALU_DEP_4)
	v_mul_lo_u32 v21, v21, s18
	v_mul_lo_u32 v25, v22, s18
	s_delay_alu instid0(VALU_DEP_4) | instskip(NEXT) | instid1(VALU_DEP_4)
	v_mul_lo_u32 v23, v23, s18
	v_mul_lo_u32 v24, v24, s18
	s_delay_alu instid0(VALU_DEP_4) | instskip(NEXT) | instid1(VALU_DEP_4)
	v_sub_nc_u32_e32 v21, v53, v21
	v_sub_nc_u32_e32 v25, v58, v25
	s_delay_alu instid0(VALU_DEP_4) | instskip(NEXT) | instid1(VALU_DEP_4)
	v_sub_nc_u32_e32 v23, v57, v23
	v_sub_nc_u32_e32 v26, v56, v24
	s_delay_alu instid0(VALU_DEP_4)
	v_subrev_nc_u32_e32 v27, s18, v21
	v_cmp_le_u32_e32 vcc_lo, s18, v21
	v_mov_b32_e32 v22, v55
	v_subrev_nc_u32_e32 v28, s18, v25
	v_subrev_nc_u32_e32 v29, s18, v23
	;; [unrolled: 1-line block ×3, first 2 shown]
	v_cndmask_b32_e32 v21, v21, v27, vcc_lo
	v_cmp_le_u32_e32 vcc_lo, s18, v25
	v_mov_b32_e32 v24, v55
	s_delay_alu instid0(VALU_DEP_3) | instskip(SKIP_2) | instid1(VALU_DEP_2)
	v_subrev_nc_u32_e32 v27, s18, v21
	v_cndmask_b32_e32 v25, v25, v28, vcc_lo
	v_cmp_le_u32_e32 vcc_lo, s18, v23
	v_subrev_nc_u32_e32 v28, s18, v25
	v_cndmask_b32_e32 v23, v23, v29, vcc_lo
	v_cmp_le_u32_e32 vcc_lo, s18, v26
	v_dual_cndmask_b32 v29, v26, v30 :: v_dual_mov_b32 v26, v55
	v_cmp_le_u32_e32 vcc_lo, s18, v21
	s_delay_alu instid0(VALU_DEP_2)
	v_subrev_nc_u32_e32 v31, s18, v29
	v_cndmask_b32_e32 v54, v21, v27, vcc_lo
	v_cmp_le_u32_e32 vcc_lo, s18, v25
	v_subrev_nc_u32_e32 v30, s18, v23
	v_cndmask_b32_e32 v21, v25, v28, vcc_lo
	v_cmp_le_u32_e32 vcc_lo, s18, v23
	v_lshlrev_b64 v[27:28], 1, v[54:55]
	v_add_nc_u32_e32 v54, s26, v54
	v_cndmask_b32_e32 v23, v23, v30, vcc_lo
	v_cmp_le_u32_e32 vcc_lo, s18, v29
	s_delay_alu instid0(VALU_DEP_3)
	v_lshlrev_b64 v[35:36], 1, v[54:55]
	v_dual_cndmask_b32 v25, v29, v31 :: v_dual_add_nc_u32 v54, s26, v21
	v_lshlrev_b64 v[29:30], 1, v[21:22]
	v_lshlrev_b64 v[31:32], 1, v[23:24]
	v_add_co_u32 v27, vcc_lo, s12, v27
	v_add_co_ci_u32_e32 v28, vcc_lo, s13, v28, vcc_lo
	s_delay_alu instid0(VALU_DEP_4) | instskip(SKIP_4) | instid1(VALU_DEP_4)
	v_add_co_u32 v29, vcc_lo, s12, v29
	v_lshlrev_b64 v[33:34], 1, v[25:26]
	v_add_co_ci_u32_e32 v30, vcc_lo, s13, v30, vcc_lo
	v_add_co_u32 v31, vcc_lo, s12, v31
	v_add_co_ci_u32_e32 v32, vcc_lo, s13, v32, vcc_lo
	v_add_co_u32 v21, vcc_lo, s12, v33
	v_add_co_ci_u32_e32 v22, vcc_lo, s13, v34, vcc_lo
	v_lshlrev_b64 v[33:34], 1, v[54:55]
	v_add_nc_u32_e32 v54, s26, v23
	v_add_co_u32 v23, vcc_lo, s12, v35
	v_add_co_ci_u32_e32 v24, vcc_lo, s13, v36, vcc_lo
	s_delay_alu instid0(VALU_DEP_3) | instskip(SKIP_3) | instid1(VALU_DEP_3)
	v_lshlrev_b64 v[35:36], 1, v[54:55]
	v_add_nc_u32_e32 v54, s26, v25
	v_add_co_u32 v33, vcc_lo, s12, v33
	v_add_co_ci_u32_e32 v34, vcc_lo, s13, v34, vcc_lo
	v_lshlrev_b64 v[25:26], 1, v[54:55]
	v_add_co_u32 v35, vcc_lo, s12, v35
	v_add_co_ci_u32_e32 v36, vcc_lo, s13, v36, vcc_lo
	s_delay_alu instid0(VALU_DEP_3) | instskip(NEXT) | instid1(VALU_DEP_4)
	v_add_co_u32 v37, vcc_lo, s12, v25
	v_add_co_ci_u32_e32 v38, vcc_lo, s13, v26, vcc_lo
	s_clause 0x7
	global_load_u16 v28, v[27:28], off
	global_load_u16 v27, v[29:30], off
	;; [unrolled: 1-line block ×8, first 2 shown]
.LBB51_45:                              ;   in Loop: Header=BB51_19 Depth=1
	v_cmp_ne_u32_e32 vcc_lo, 0, v1
	s_and_saveexec_b32 s2, vcc_lo
	s_cbranch_execnz .LBB51_59
; %bb.46:                               ;   in Loop: Header=BB51_19 Depth=1
	s_or_b32 exec_lo, exec_lo, s2
	v_cmp_ne_u32_e64 s1, 0, v2
	s_delay_alu instid0(VALU_DEP_1)
	s_and_saveexec_b32 s3, s1
	s_cbranch_execnz .LBB51_60
.LBB51_47:                              ;   in Loop: Header=BB51_19 Depth=1
	s_or_b32 exec_lo, exec_lo, s3
	v_cmp_ne_u32_e64 s2, 0, v3
	s_delay_alu instid0(VALU_DEP_1)
	s_and_saveexec_b32 s4, s2
	s_cbranch_execnz .LBB51_61
.LBB51_48:                              ;   in Loop: Header=BB51_19 Depth=1
	s_or_b32 exec_lo, exec_lo, s4
	v_cmp_ne_u32_e64 s3, 0, v4
	s_delay_alu instid0(VALU_DEP_1)
	s_and_saveexec_b32 s27, s3
	s_cbranch_execnz .LBB51_62
.LBB51_49:                              ;   in Loop: Header=BB51_19 Depth=1
	s_or_b32 exec_lo, exec_lo, s27
	v_add_nc_u32_e32 v54, s11, v53
	s_and_saveexec_b32 s4, vcc_lo
	s_cbranch_execnz .LBB51_63
.LBB51_50:                              ;   in Loop: Header=BB51_19 Depth=1
	s_or_b32 exec_lo, exec_lo, s4
	s_and_saveexec_b32 s4, s1
	s_cbranch_execnz .LBB51_64
.LBB51_51:                              ;   in Loop: Header=BB51_19 Depth=1
	s_or_b32 exec_lo, exec_lo, s4
	s_and_saveexec_b32 s1, s2
	s_cbranch_execnz .LBB51_65
.LBB51_52:                              ;   in Loop: Header=BB51_19 Depth=1
	s_or_b32 exec_lo, exec_lo, s1
	s_delay_alu instid0(SALU_CYCLE_1)
	s_and_b32 exec_lo, exec_lo, s3
	s_cbranch_execz .LBB51_54
.LBB51_53:                              ;   in Loop: Header=BB51_19 Depth=1
	s_waitcnt lgkmcnt(3)
	v_add_f32_e32 v5, v5, v6
	s_waitcnt vmcnt(0)
	v_cvt_f32_f16_e32 v6, v21
	v_add_nc_u32_e32 v54, 3, v54
	s_delay_alu instid0(VALU_DEP_2) | instskip(NEXT) | instid1(VALU_DEP_2)
	v_add_f32_e32 v7, v5, v6
	v_lshlrev_b64 v[5:6], 1, v[54:55]
	s_delay_alu instid0(VALU_DEP_2) | instskip(NEXT) | instid1(VALU_DEP_2)
	v_cvt_f16_f32_e32 v7, v7
	v_add_co_u32 v5, vcc_lo, s14, v5
	s_delay_alu instid0(VALU_DEP_3)
	v_add_co_ci_u32_e32 v6, vcc_lo, s15, v6, vcc_lo
	global_store_b16 v[5:6], v7, off
.LBB51_54:                              ;   in Loop: Header=BB51_19 Depth=1
	s_or_b32 exec_lo, exec_lo, s5
	v_add_nc_u32_e32 v53, s20, v53
	s_delay_alu instid0(VALU_DEP_1) | instskip(SKIP_1) | instid1(VALU_DEP_2)
	v_add_nc_u32_e32 v5, 4, v53
	v_cmp_gt_u32_e32 vcc_lo, s11, v53
	v_cmp_le_u32_e64 s1, s11, v5
	s_delay_alu instid0(VALU_DEP_1) | instskip(NEXT) | instid1(SALU_CYCLE_1)
	s_and_b32 s1, vcc_lo, s1
	s_and_saveexec_b32 s27, s1
	s_cbranch_execz .LBB51_18
; %bb.55:                               ;   in Loop: Header=BB51_19 Depth=1
	s_mov_b32 s28, exec_lo
	v_cmpx_ne_u32_e64 s21, v53
	s_cbranch_execz .LBB51_17
; %bb.56:                               ;   in Loop: Header=BB51_19 Depth=1
	v_subrev_nc_u32_e32 v5, s21, v53
	s_mov_b32 s29, 0
	s_mov_b64 s[4:5], 0
	s_delay_alu instid0(VALU_DEP_1)
	v_cmp_lt_u32_e32 vcc_lo, 1, v5
	v_cndmask_b32_e32 v5, 1, v5, vcc_lo
	.p2align	6
.LBB51_57:                              ;   Parent Loop BB51_19 Depth=1
                                        ; =>  This Inner Loop Header: Depth=2
	s_cmp_lg_u32 s4, 3
	s_cselect_b32 vcc_lo, -1, 0
	s_cmp_lg_u32 s4, 2
	v_cndmask_b32_e32 v4, 0, v4, vcc_lo
	s_cselect_b32 s1, -1, 0
	s_cmp_lg_u32 s4, 1
	v_cndmask_b32_e64 v3, 0, v3, s1
	s_cselect_b32 s2, -1, 0
	s_cmp_lg_u32 s4, 0
	v_cndmask_b32_e64 v2, 0, v2, s2
	s_cselect_b32 s3, -1, 0
	s_add_u32 s4, s4, 1
	v_cndmask_b32_e64 v1, 0, v1, s3
	v_cmp_eq_u32_e32 vcc_lo, s4, v5
	s_addc_u32 s5, s5, 0
	s_or_b32 s29, vcc_lo, s29
	s_delay_alu instid0(SALU_CYCLE_1)
	s_and_not1_b32 exec_lo, exec_lo, s29
	s_cbranch_execnz .LBB51_57
; %bb.58:                               ;   in Loop: Header=BB51_19 Depth=1
	s_or_b32 exec_lo, exec_lo, s29
	s_branch .LBB51_17
.LBB51_59:                              ;   in Loop: Header=BB51_19 Depth=1
	s_waitcnt lgkmcnt(5)
	v_add_f32_e32 v19, v19, v20
	s_waitcnt vmcnt(7)
	v_cvt_f32_f16_e32 v20, v28
	v_mov_b32_e32 v54, v55
	s_delay_alu instid0(VALU_DEP_2) | instskip(NEXT) | instid1(VALU_DEP_2)
	v_add_f32_e32 v28, v19, v20
	v_lshlrev_b64 v[19:20], 1, v[53:54]
	s_delay_alu instid0(VALU_DEP_2) | instskip(NEXT) | instid1(VALU_DEP_2)
	v_cvt_f16_f32_e32 v28, v28
	v_add_co_u32 v19, s1, s14, v19
	s_delay_alu instid0(VALU_DEP_1) | instskip(SKIP_3) | instid1(VALU_DEP_1)
	v_add_co_ci_u32_e64 v20, s1, s15, v20, s1
	global_store_b16 v[19:20], v28, off
	s_or_b32 exec_lo, exec_lo, s2
	v_cmp_ne_u32_e64 s1, 0, v2
	s_and_saveexec_b32 s3, s1
	s_cbranch_execz .LBB51_47
.LBB51_60:                              ;   in Loop: Header=BB51_19 Depth=1
	s_waitcnt lgkmcnt(7)
	v_dual_add_f32 v16, v16, v18 :: v_dual_mov_b32 v59, v55
	s_waitcnt vmcnt(6)
	v_cvt_f32_f16_e32 v18, v27
	s_delay_alu instid0(VALU_DEP_1) | instskip(NEXT) | instid1(VALU_DEP_3)
	v_add_f32_e32 v16, v16, v18
	v_lshlrev_b64 v[18:19], 1, v[58:59]
	s_delay_alu instid0(VALU_DEP_2) | instskip(NEXT) | instid1(VALU_DEP_2)
	v_cvt_f16_f32_e32 v16, v16
	v_add_co_u32 v18, s2, s14, v18
	s_delay_alu instid0(VALU_DEP_1) | instskip(SKIP_3) | instid1(VALU_DEP_1)
	v_add_co_ci_u32_e64 v19, s2, s15, v19, s2
	global_store_b16 v[18:19], v16, off
	s_or_b32 exec_lo, exec_lo, s3
	v_cmp_ne_u32_e64 s2, 0, v3
	s_and_saveexec_b32 s4, s2
	s_cbranch_execz .LBB51_48
.LBB51_61:                              ;   in Loop: Header=BB51_19 Depth=1
	v_mov_b32_e32 v58, v55
	s_waitcnt lgkmcnt(6)
	v_add_f32_e32 v12, v12, v14
	s_waitcnt vmcnt(5)
	v_cvt_f32_f16_e32 v14, v26
	v_lshlrev_b64 v[18:19], 1, v[57:58]
	s_delay_alu instid0(VALU_DEP_2) | instskip(NEXT) | instid1(VALU_DEP_2)
	v_add_f32_e32 v12, v12, v14
	v_add_co_u32 v18, s3, s14, v18
	s_delay_alu instid0(VALU_DEP_2) | instskip(NEXT) | instid1(VALU_DEP_4)
	v_cvt_f16_f32_e32 v12, v12
	v_add_co_ci_u32_e64 v19, s3, s15, v19, s3
	global_store_b16 v[18:19], v12, off
	s_or_b32 exec_lo, exec_lo, s4
	v_cmp_ne_u32_e64 s3, 0, v4
	s_delay_alu instid0(VALU_DEP_1)
	s_and_saveexec_b32 s27, s3
	s_cbranch_execz .LBB51_49
.LBB51_62:                              ;   in Loop: Header=BB51_19 Depth=1
	s_waitcnt lgkmcnt(2)
	v_add_f32_e32 v12, v15, v17
	s_waitcnt vmcnt(4)
	v_cvt_f32_f16_e32 v14, v25
	s_delay_alu instid0(VALU_DEP_1) | instskip(NEXT) | instid1(VALU_DEP_1)
	v_dual_mov_b32 v57, v55 :: v_dual_add_f32 v12, v12, v14
	v_lshlrev_b64 v[14:15], 1, v[56:57]
	s_delay_alu instid0(VALU_DEP_2) | instskip(NEXT) | instid1(VALU_DEP_2)
	v_cvt_f16_f32_e32 v12, v12
	v_add_co_u32 v14, s4, s14, v14
	s_delay_alu instid0(VALU_DEP_1)
	v_add_co_ci_u32_e64 v15, s4, s15, v15, s4
	global_store_b16 v[14:15], v12, off
	s_or_b32 exec_lo, exec_lo, s27
	v_add_nc_u32_e32 v54, s11, v53
	s_and_saveexec_b32 s4, vcc_lo
	s_cbranch_execz .LBB51_50
.LBB51_63:                              ;   in Loop: Header=BB51_19 Depth=1
	s_waitcnt lgkmcnt(4)
	v_add_f32_e32 v11, v11, v13
	s_waitcnt vmcnt(3)
	v_cvt_f32_f16_e32 v12, v24
	s_delay_alu instid0(VALU_DEP_1) | instskip(SKIP_1) | instid1(VALU_DEP_2)
	v_add_f32_e32 v13, v11, v12
	v_lshlrev_b64 v[11:12], 1, v[54:55]
	v_cvt_f16_f32_e32 v13, v13
	s_delay_alu instid0(VALU_DEP_2) | instskip(NEXT) | instid1(VALU_DEP_3)
	v_add_co_u32 v11, vcc_lo, s14, v11
	v_add_co_ci_u32_e32 v12, vcc_lo, s15, v12, vcc_lo
	global_store_b16 v[11:12], v13, off
	s_or_b32 exec_lo, exec_lo, s4
	s_and_saveexec_b32 s4, s1
	s_cbranch_execz .LBB51_51
.LBB51_64:                              ;   in Loop: Header=BB51_19 Depth=1
	s_waitcnt lgkmcnt(1)
	v_dual_add_f32 v11, v9, v10 :: v_dual_mov_b32 v10, v55
	v_add_nc_u32_e32 v9, 1, v54
	s_waitcnt vmcnt(2)
	v_cvt_f32_f16_e32 v12, v23
	s_delay_alu instid0(VALU_DEP_2) | instskip(NEXT) | instid1(VALU_DEP_2)
	v_lshlrev_b64 v[9:10], 1, v[9:10]
	v_add_f32_e32 v11, v11, v12
	s_delay_alu instid0(VALU_DEP_1) | instskip(NEXT) | instid1(VALU_DEP_3)
	v_cvt_f16_f32_e32 v11, v11
	v_add_co_u32 v9, vcc_lo, s14, v9
	s_delay_alu instid0(VALU_DEP_4)
	v_add_co_ci_u32_e32 v10, vcc_lo, s15, v10, vcc_lo
	global_store_b16 v[9:10], v11, off
	s_or_b32 exec_lo, exec_lo, s4
	s_and_saveexec_b32 s1, s2
	s_cbranch_execz .LBB51_52
.LBB51_65:                              ;   in Loop: Header=BB51_19 Depth=1
	s_waitcnt lgkmcnt(0)
	v_add_f32_e32 v9, v7, v8
	v_dual_mov_b32 v8, v55 :: v_dual_add_nc_u32 v7, 2, v54
	s_waitcnt vmcnt(1)
	v_cvt_f32_f16_e32 v10, v22
	s_delay_alu instid0(VALU_DEP_2) | instskip(NEXT) | instid1(VALU_DEP_2)
	v_lshlrev_b64 v[7:8], 1, v[7:8]
	v_add_f32_e32 v9, v9, v10
	s_delay_alu instid0(VALU_DEP_1) | instskip(NEXT) | instid1(VALU_DEP_3)
	v_cvt_f16_f32_e32 v9, v9
	v_add_co_u32 v7, vcc_lo, s14, v7
	s_delay_alu instid0(VALU_DEP_4) | instskip(SKIP_2) | instid1(SALU_CYCLE_1)
	v_add_co_ci_u32_e32 v8, vcc_lo, s15, v8, vcc_lo
	global_store_b16 v[7:8], v9, off
	s_or_b32 exec_lo, exec_lo, s1
	s_and_b32 exec_lo, exec_lo, s3
	s_cbranch_execnz .LBB51_53
	s_branch .LBB51_54
.LBB51_66:
	s_nop 0
	s_sendmsg sendmsg(MSG_DEALLOC_VGPRS)
	s_endpgm
	.section	.rodata,"a",@progbits
	.p2align	6, 0x0
	.amdhsa_kernel _Z12wvSplitK_hf_I6__halfLi32ELi4ELi16ELi8ELi2ELi2EEviiiiiiPKT_S3_S3_PS1_ii
		.amdhsa_group_segment_fixed_size 65536
		.amdhsa_private_segment_fixed_size 0
		.amdhsa_kernarg_size 64
		.amdhsa_user_sgpr_count 15
		.amdhsa_user_sgpr_dispatch_ptr 0
		.amdhsa_user_sgpr_queue_ptr 0
		.amdhsa_user_sgpr_kernarg_segment_ptr 1
		.amdhsa_user_sgpr_dispatch_id 0
		.amdhsa_user_sgpr_private_segment_size 0
		.amdhsa_wavefront_size32 1
		.amdhsa_uses_dynamic_stack 0
		.amdhsa_enable_private_segment 0
		.amdhsa_system_sgpr_workgroup_id_x 1
		.amdhsa_system_sgpr_workgroup_id_y 0
		.amdhsa_system_sgpr_workgroup_id_z 0
		.amdhsa_system_sgpr_workgroup_info 0
		.amdhsa_system_vgpr_workitem_id 1
		.amdhsa_next_free_vgpr 80
		.amdhsa_next_free_sgpr 30
		.amdhsa_reserve_vcc 1
		.amdhsa_float_round_mode_32 0
		.amdhsa_float_round_mode_16_64 0
		.amdhsa_float_denorm_mode_32 3
		.amdhsa_float_denorm_mode_16_64 3
		.amdhsa_dx10_clamp 1
		.amdhsa_ieee_mode 1
		.amdhsa_fp16_overflow 0
		.amdhsa_workgroup_processor_mode 1
		.amdhsa_memory_ordered 1
		.amdhsa_forward_progress 0
		.amdhsa_shared_vgpr_count 0
		.amdhsa_exception_fp_ieee_invalid_op 0
		.amdhsa_exception_fp_denorm_src 0
		.amdhsa_exception_fp_ieee_div_zero 0
		.amdhsa_exception_fp_ieee_overflow 0
		.amdhsa_exception_fp_ieee_underflow 0
		.amdhsa_exception_fp_ieee_inexact 0
		.amdhsa_exception_int_div_zero 0
	.end_amdhsa_kernel
	.section	.text._Z12wvSplitK_hf_I6__halfLi32ELi4ELi16ELi8ELi2ELi2EEviiiiiiPKT_S3_S3_PS1_ii,"axG",@progbits,_Z12wvSplitK_hf_I6__halfLi32ELi4ELi16ELi8ELi2ELi2EEviiiiiiPKT_S3_S3_PS1_ii,comdat
.Lfunc_end51:
	.size	_Z12wvSplitK_hf_I6__halfLi32ELi4ELi16ELi8ELi2ELi2EEviiiiiiPKT_S3_S3_PS1_ii, .Lfunc_end51-_Z12wvSplitK_hf_I6__halfLi32ELi4ELi16ELi8ELi2ELi2EEviiiiiiPKT_S3_S3_PS1_ii
                                        ; -- End function
	.section	.AMDGPU.csdata,"",@progbits
; Kernel info:
; codeLenInByte = 5588
; NumSgprs: 32
; NumVgprs: 80
; ScratchSize: 0
; MemoryBound: 0
; FloatMode: 240
; IeeeMode: 1
; LDSByteSize: 65536 bytes/workgroup (compile time only)
; SGPRBlocks: 3
; VGPRBlocks: 9
; NumSGPRsForWavesPerEU: 32
; NumVGPRsForWavesPerEU: 80
; Occupancy: 8
; WaveLimiterHint : 0
; COMPUTE_PGM_RSRC2:SCRATCH_EN: 0
; COMPUTE_PGM_RSRC2:USER_SGPR: 15
; COMPUTE_PGM_RSRC2:TRAP_HANDLER: 0
; COMPUTE_PGM_RSRC2:TGID_X_EN: 1
; COMPUTE_PGM_RSRC2:TGID_Y_EN: 0
; COMPUTE_PGM_RSRC2:TGID_Z_EN: 0
; COMPUTE_PGM_RSRC2:TIDIG_COMP_CNT: 1
	.section	.text._Z16wvSplitK_hf_big_I6__halfLi32ELi4ELi16ELi8ELi2ELi2EEviiiiiiPKT_S3_S3_PS1_ii,"axG",@progbits,_Z16wvSplitK_hf_big_I6__halfLi32ELi4ELi16ELi8ELi2ELi2EEviiiiiiPKT_S3_S3_PS1_ii,comdat
	.protected	_Z16wvSplitK_hf_big_I6__halfLi32ELi4ELi16ELi8ELi2ELi2EEviiiiiiPKT_S3_S3_PS1_ii ; -- Begin function _Z16wvSplitK_hf_big_I6__halfLi32ELi4ELi16ELi8ELi2ELi2EEviiiiiiPKT_S3_S3_PS1_ii
	.globl	_Z16wvSplitK_hf_big_I6__halfLi32ELi4ELi16ELi8ELi2ELi2EEviiiiiiPKT_S3_S3_PS1_ii
	.p2align	8
	.type	_Z16wvSplitK_hf_big_I6__halfLi32ELi4ELi16ELi8ELi2ELi2EEviiiiiiPKT_S3_S3_PS1_ii,@function
_Z16wvSplitK_hf_big_I6__halfLi32ELi4ELi16ELi8ELi2ELi2EEviiiiiiPKT_S3_S3_PS1_ii: ; @_Z16wvSplitK_hf_big_I6__halfLi32ELi4ELi16ELi8ELi2ELi2EEviiiiiiPKT_S3_S3_PS1_ii
; %bb.0:
	s_load_b64 s[20:21], s[0:1], 0x38
	v_bfe_u32 v5, v0, 10, 10
	s_mov_b32 s2, exec_lo
	s_waitcnt lgkmcnt(0)
	s_delay_alu instid0(VALU_DEP_1)
	v_cmpx_gt_u32_e64 s20, v5
	s_cbranch_execz .LBB52_56
; %bb.1:
	s_load_b128 s[16:19], s[0:1], 0x0
	s_mul_i32 s15, s15, s20
	s_mov_b32 s4, 1
	v_add_lshl_u32 v53, s15, v5, 2
	s_mov_b32 s5, s4
	s_mov_b32 s6, s4
	;; [unrolled: 1-line block ×3, first 2 shown]
	s_delay_alu instid0(VALU_DEP_1) | instskip(SKIP_2) | instid1(VALU_DEP_2)
	v_add_nc_u32_e32 v1, 4, v53
	s_waitcnt lgkmcnt(0)
	v_cmp_gt_u32_e32 vcc_lo, s19, v53
	v_cmp_le_u32_e64 s2, s19, v1
	v_dual_mov_b32 v1, s4 :: v_dual_mov_b32 v4, s7
	v_dual_mov_b32 v2, s5 :: v_dual_mov_b32 v3, s6
	s_delay_alu instid0(VALU_DEP_3) | instskip(NEXT) | instid1(SALU_CYCLE_1)
	s_and_b32 s2, vcc_lo, s2
	s_and_saveexec_b32 s8, s2
	s_cbranch_execz .LBB52_7
; %bb.2:
	v_dual_mov_b32 v1, s4 :: v_dual_mov_b32 v2, s5
	v_dual_mov_b32 v3, s6 :: v_dual_mov_b32 v4, s7
	s_add_i32 s9, s19, -4
	s_mov_b32 s10, exec_lo
	v_cmpx_ne_u32_e64 s9, v53
	s_cbranch_execz .LBB52_6
; %bb.3:
	v_subrev_nc_u32_e32 v1, s9, v53
	s_mov_b32 s11, 0
	s_mov_b64 s[2:3], 0
	s_mov_b32 s5, s4
	s_mov_b32 s6, s4
	v_cmp_lt_u32_e32 vcc_lo, 1, v1
	s_mov_b32 s7, s4
	v_cndmask_b32_e32 v6, 1, v1, vcc_lo
	.p2align	6
.LBB52_4:                               ; =>This Inner Loop Header: Depth=1
	s_cmp_lg_u32 s2, 3
	s_cselect_b32 s7, s7, 0
	s_cmp_lg_u32 s2, 2
	s_cselect_b32 s6, s6, 0
	;; [unrolled: 2-line block ×4, first 2 shown]
	s_add_u32 s2, s2, 1
	v_dual_mov_b32 v1, s4 :: v_dual_mov_b32 v2, s5
	v_cmp_eq_u32_e32 vcc_lo, s2, v6
	v_dual_mov_b32 v3, s6 :: v_dual_mov_b32 v4, s7
	s_addc_u32 s3, s3, 0
	s_or_b32 s11, vcc_lo, s11
	s_delay_alu instid0(SALU_CYCLE_1)
	s_and_not1_b32 exec_lo, exec_lo, s11
	s_cbranch_execnz .LBB52_4
; %bb.5:
	s_or_b32 exec_lo, exec_lo, s11
	v_mov_b32_e32 v53, s9
.LBB52_6:
	s_or_b32 exec_lo, exec_lo, s10
.LBB52_7:
	s_delay_alu instid0(SALU_CYCLE_1)
	s_or_b32 exec_lo, exec_lo, s8
	s_lshl_b32 s2, s20, 2
	s_abs_i32 s6, s19
	s_abs_i32 s3, s2
	s_mov_b32 s23, 0
	v_cvt_f32_u32_e32 v6, s3
	s_sub_i32 s5, 0, s3
	s_delay_alu instid0(VALU_DEP_1) | instskip(SKIP_2) | instid1(VALU_DEP_1)
	v_rcp_iflag_f32_e32 v6, v6
	s_waitcnt_depctr 0xfff
	v_mul_f32_e32 v6, 0x4f7ffffe, v6
	v_cvt_u32_f32_e32 v6, v6
	s_delay_alu instid0(VALU_DEP_1) | instskip(NEXT) | instid1(VALU_DEP_1)
	v_readfirstlane_b32 s4, v6
	s_mul_i32 s5, s5, s4
	s_delay_alu instid0(SALU_CYCLE_1) | instskip(NEXT) | instid1(SALU_CYCLE_1)
	s_mul_hi_u32 s5, s4, s5
	s_add_i32 s4, s4, s5
	s_ashr_i32 s5, s19, 31
	s_mul_hi_u32 s4, s6, s4
	s_delay_alu instid0(SALU_CYCLE_1) | instskip(NEXT) | instid1(SALU_CYCLE_1)
	s_mul_i32 s4, s4, s3
	s_sub_i32 s4, s6, s4
	s_delay_alu instid0(SALU_CYCLE_1) | instskip(SKIP_2) | instid1(SALU_CYCLE_1)
	s_sub_i32 s6, s4, s3
	s_cmp_ge_u32 s4, s3
	s_cselect_b32 s4, s6, s4
	s_sub_i32 s6, s4, s3
	s_cmp_ge_u32 s4, s3
	s_cselect_b32 s3, s6, s4
	s_add_i32 s2, s2, s19
	s_xor_b32 s3, s3, s5
	s_delay_alu instid0(SALU_CYCLE_1) | instskip(NEXT) | instid1(SALU_CYCLE_1)
	s_sub_i32 s3, s3, s5
	s_sub_i32 s2, s2, s3
	s_cmp_eq_u32 s3, 0
	s_cselect_b32 s22, s19, s2
	s_delay_alu instid0(SALU_CYCLE_1)
	v_cmp_gt_u32_e32 vcc_lo, s22, v53
	s_and_b32 exec_lo, exec_lo, vcc_lo
	s_cbranch_execz .LBB52_56
; %bb.8:
	s_load_b256 s[8:15], s[0:1], 0x10
	s_min_u32 s24, s18, 0x4000
	v_and_b32_e32 v7, 0x3ff, v0
	s_cmp_lg_u32 s16, 0
	s_load_b64 s[6:7], s[0:1], 0x30
	s_mul_i32 s0, s21, s20
	s_cselect_b32 s21, -1, 0
	s_cmp_lg_u32 s18, 0
	v_dual_mov_b32 v55, 0 :: v_dual_lshlrev_b32 v0, 3, v7
	s_cselect_b32 s25, -1, 0
	s_lshl_b32 s26, s20, 8
	s_add_i32 s27, s16, -8
	s_add_i32 s28, s19, -1
	s_lshl_b32 s29, s0, 2
	v_cmp_eq_u32_e64 s0, 31, v7
	v_lshl_add_u32 v64, v5, 8, v0
	v_mbcnt_lo_u32_b32 v68, -1, 0
	v_lshlrev_b32_e32 v7, 4, v7
	s_waitcnt lgkmcnt(0)
	v_cvt_f32_u32_e32 v6, s8
	s_cmp_lg_u64 s[14:15], 0
	v_add_nc_u32_e32 v66, s18, v64
	s_cselect_b32 s30, -1, 0
	s_sub_i32 s1, 0, s8
	v_rcp_iflag_f32_e32 v6, v6
	v_lshl_add_u32 v65, v5, 9, v7
	s_waitcnt_depctr 0xfff
	v_mul_f32_e32 v6, 0x4f7ffffe, v6
	s_delay_alu instid0(VALU_DEP_1) | instskip(NEXT) | instid1(VALU_DEP_1)
	v_cvt_u32_f32_e32 v6, v6
	v_mul_lo_u32 v8, s1, v6
	s_abs_i32 s1, s9
	s_add_i32 s9, s19, -4
	s_sub_i32 s2, 1, s1
	s_cmp_lt_u32 s1, 2
	s_cselect_b32 s2, s2, 1
	s_delay_alu instid0(SALU_CYCLE_1) | instskip(NEXT) | instid1(VALU_DEP_1)
	s_sub_i32 s3, s2, s1
	v_mul_hi_u32 v8, v6, v8
	s_cmp_ge_u32 s2, s1
	s_cselect_b32 s33, s3, s2
	s_add_u32 s31, s6, 2
	s_mul_i32 s33, s33, s8
	s_addc_u32 s34, s7, 0
	s_lshl_b32 s35, s24, 1
	s_delay_alu instid0(VALU_DEP_1)
	v_add_nc_u32_e32 v67, v6, v8
	s_lshl_b32 s20, s20, 9
	s_branch .LBB52_12
.LBB52_9:                               ;   in Loop: Header=BB52_12 Depth=1
	s_or_b32 exec_lo, exec_lo, s38
	v_mov_b32_e32 v53, s9
.LBB52_10:                              ;   in Loop: Header=BB52_12 Depth=1
	s_or_b32 exec_lo, exec_lo, s37
.LBB52_11:                              ;   in Loop: Header=BB52_12 Depth=1
	s_delay_alu instid0(SALU_CYCLE_1) | instskip(NEXT) | instid1(VALU_DEP_1)
	s_or_b32 exec_lo, exec_lo, s36
	v_cmp_le_u32_e32 vcc_lo, s22, v53
	s_or_b32 s23, vcc_lo, s23
	s_delay_alu instid0(SALU_CYCLE_1)
	s_and_not1_b32 exec_lo, exec_lo, s23
	s_cbranch_execz .LBB52_56
.LBB52_12:                              ; =>This Loop Header: Depth=1
                                        ;     Child Loop BB52_17 Depth 2
                                        ;       Child Loop BB52_22 Depth 3
                                        ;     Child Loop BB52_47 Depth 2
	v_mov_b32_e32 v76, v55
	v_mov_b32_e32 v75, v55
	;; [unrolled: 1-line block ×8, first 2 shown]
	s_and_not1_b32 vcc_lo, exec_lo, s21
	s_mov_b32 s3, 0
	s_cbranch_vccnz .LBB52_29
; %bb.13:                               ;   in Loop: Header=BB52_12 Depth=1
	v_dual_mov_b32 v69, 0 :: v_dual_add_nc_u32 v6, 2, v53
	v_add_nc_u32_e32 v5, 1, v53
	v_add_nc_u32_e32 v7, 3, v53
	v_min_u32_e32 v8, s28, v53
	s_delay_alu instid0(VALU_DEP_4) | instskip(SKIP_2) | instid1(VALU_DEP_4)
	v_min_u32_e32 v6, s28, v6
	v_dual_mov_b32 v10, v55 :: v_dual_mov_b32 v71, 0
	v_cmp_gt_u32_e64 s1, s19, v53
	v_mul_lo_u32 v54, v8, s17
	v_mov_b32_e32 v8, v55
	s_waitcnt lgkmcnt(0)
	v_min_u32_e32 v9, s28, v7
	v_mul_lo_u32 v7, v6, s17
	v_mov_b32_e32 v6, v55
	v_min_u32_e32 v5, s28, v5
	v_dual_mov_b32 v70, 0 :: v_dual_mov_b32 v73, 0
	v_mul_lo_u32 v9, v9, s17
	v_lshlrev_b64 v[56:57], 1, v[54:55]
	s_delay_alu instid0(VALU_DEP_4)
	v_mul_lo_u32 v5, v5, s17
	v_lshlrev_b64 v[60:61], 1, v[7:8]
	v_dual_mov_b32 v72, 0 :: v_dual_mov_b32 v75, 0
	v_mov_b32_e32 v74, 0
	v_mov_b32_e32 v76, 0
	v_lshlrev_b64 v[62:63], 1, v[9:10]
	s_mov_b32 s4, 0
	v_lshlrev_b64 v[58:59], 1, v[5:6]
	s_branch .LBB52_17
.LBB52_14:                              ;   in Loop: Header=BB52_17 Depth=2
	s_or_b32 exec_lo, exec_lo, s36
.LBB52_15:                              ;   in Loop: Header=BB52_17 Depth=2
	s_delay_alu instid0(SALU_CYCLE_1)
	s_or_b32 exec_lo, exec_lo, s5
	s_waitcnt vmcnt(7) lgkmcnt(1)
	;;#ASMSTART
	v_dot2_f32_f16 v76, v49, v45, v76
	;;#ASMEND
	s_waitcnt vmcnt(6)
	;;#ASMSTART
	v_dot2_f32_f16 v75, v49, v33, v75
	;;#ASMEND
	s_waitcnt vmcnt(5)
	;; [unrolled: 4-line block ×3, first 2 shown]
	;;#ASMSTART
	v_dot2_f32_f16 v73, v49, v29, v73
	;;#ASMEND
	s_waitcnt lgkmcnt(0)
	;;#ASMSTART
	v_dot2_f32_f16 v72, v41, v45, v72
	;;#ASMEND
	;;#ASMSTART
	v_dot2_f32_f16 v71, v41, v33, v71
	;;#ASMEND
	;; [unrolled: 3-line block ×28, first 2 shown]
	s_waitcnt vmcnt(3)
	;;#ASMSTART
	v_dot2_f32_f16 v76, v25, v21, v76
	;;#ASMEND
	s_waitcnt vmcnt(2)
	;;#ASMSTART
	v_dot2_f32_f16 v75, v25, v17, v75
	;;#ASMEND
	;; [unrolled: 4-line block ×4, first 2 shown]
	;;#ASMSTART
	v_dot2_f32_f16 v72, v13, v21, v72
	;;#ASMEND
	;;#ASMSTART
	v_dot2_f32_f16 v71, v13, v17, v71
	;;#ASMEND
	;; [unrolled: 3-line block ×28, first 2 shown]
.LBB52_16:                              ;   in Loop: Header=BB52_17 Depth=2
	s_or_b32 exec_lo, exec_lo, s2
	s_addk_i32 s4, 0x200
	s_delay_alu instid0(SALU_CYCLE_1)
	s_cmp_ge_u32 s4, s16
	s_cbranch_scc1 .LBB52_29
.LBB52_17:                              ;   Parent Loop BB52_12 Depth=1
                                        ; =>  This Loop Header: Depth=2
                                        ;       Child Loop BB52_22 Depth 3
	s_cmp_eq_u32 s4, 0
	s_cselect_b32 s5, -1, 0
	s_add_i32 s2, s3, s24
	s_delay_alu instid0(SALU_CYCLE_1) | instskip(SKIP_1) | instid1(SALU_CYCLE_1)
	s_cmp_eq_u32 s4, s2
	s_cselect_b32 s36, -1, 0
	s_or_b32 s36, s5, s36
	s_delay_alu instid0(SALU_CYCLE_1)
	s_and_not1_b32 vcc_lo, exec_lo, s36
	s_cbranch_vccz .LBB52_19
; %bb.18:                               ;   in Loop: Header=BB52_17 Depth=2
	s_and_saveexec_b32 s2, s1
	s_cbranch_execz .LBB52_16
	s_branch .LBB52_26
.LBB52_19:                              ;   in Loop: Header=BB52_17 Depth=2
	s_and_b32 s5, s5, exec_lo
	s_cselect_b32 s3, s3, s2
	s_and_not1_b32 vcc_lo, exec_lo, s25
	s_waitcnt vmcnt(0)
	s_waitcnt_vscnt null, 0x0
	s_barrier
	buffer_gl0_inv
	s_cbranch_vccnz .LBB52_25
; %bb.20:                               ;   in Loop: Header=BB52_17 Depth=2
	v_add_nc_u32_e32 v5, s3, v66
	v_dual_mov_b32 v7, v65 :: v_dual_add_nc_u32 v6, s3, v64
	s_mov_b32 s5, 0
	s_mov_b32 s36, 0
                                        ; implicit-def: $sgpr37
	s_set_inst_prefetch_distance 0x1
	s_branch .LBB52_22
	.p2align	6
.LBB52_21:                              ;   in Loop: Header=BB52_22 Depth=3
	s_or_b32 exec_lo, exec_lo, s2
	s_delay_alu instid0(SALU_CYCLE_1) | instskip(NEXT) | instid1(SALU_CYCLE_1)
	s_and_b32 s2, exec_lo, s37
	s_or_b32 s5, s2, s5
	s_delay_alu instid0(SALU_CYCLE_1)
	s_and_not1_b32 exec_lo, exec_lo, s5
	s_cbranch_execz .LBB52_24
.LBB52_22:                              ;   Parent Loop BB52_12 Depth=1
                                        ;     Parent Loop BB52_17 Depth=2
                                        ; =>    This Inner Loop Header: Depth=3
	v_add_nc_u32_e32 v54, s36, v6
	v_add_nc_u32_e32 v8, s36, v64
	s_or_b32 s37, s37, exec_lo
	s_delay_alu instid0(VALU_DEP_2) | instskip(NEXT) | instid1(VALU_DEP_2)
	v_cmp_gt_u32_e32 vcc_lo, s18, v54
	v_cmp_gt_u32_e64 s2, s24, v8
	s_delay_alu instid0(VALU_DEP_1) | instskip(NEXT) | instid1(SALU_CYCLE_1)
	s_and_b32 s38, s2, vcc_lo
	s_and_saveexec_b32 s2, s38
	s_cbranch_execz .LBB52_21
; %bb.23:                               ;   in Loop: Header=BB52_22 Depth=3
	v_lshlrev_b64 v[8:9], 1, v[54:55]
	v_add_nc_u32_e32 v54, s36, v5
	s_add_i32 s36, s36, s26
	v_add_nc_u32_e32 v16, s35, v7
	s_cmp_ge_u32 s36, s24
	s_delay_alu instid0(VALU_DEP_2) | instskip(SKIP_3) | instid1(VALU_DEP_3)
	v_lshlrev_b64 v[12:13], 1, v[54:55]
	v_add_co_u32 v8, vcc_lo, s12, v8
	v_add_co_ci_u32_e32 v9, vcc_lo, s13, v9, vcc_lo
	s_cselect_b32 s38, -1, 0
	v_add_co_u32 v12, vcc_lo, s12, v12
	global_load_b128 v[8:11], v[8:9], off
	v_add_co_ci_u32_e32 v13, vcc_lo, s13, v13, vcc_lo
	s_and_not1_b32 s37, s37, exec_lo
	s_and_b32 s38, s38, exec_lo
	global_load_b128 v[12:15], v[12:13], off
	s_or_b32 s37, s37, s38
	s_waitcnt vmcnt(1)
	ds_store_b128 v7, v[8:11]
	v_add_nc_u32_e32 v7, s20, v7
	s_waitcnt vmcnt(0)
	ds_store_2addr_b64 v16, v[12:13], v[14:15] offset1:1
	s_branch .LBB52_21
.LBB52_24:                              ;   in Loop: Header=BB52_17 Depth=2
	s_set_inst_prefetch_distance 0x2
	s_or_b32 exec_lo, exec_lo, s5
.LBB52_25:                              ;   in Loop: Header=BB52_17 Depth=2
	s_waitcnt lgkmcnt(0)
	s_barrier
	buffer_gl0_inv
	s_and_saveexec_b32 s2, s1
	s_cbranch_execz .LBB52_16
.LBB52_26:                              ;   in Loop: Header=BB52_17 Depth=2
	v_dual_mov_b32 v50, 0 :: v_dual_add_nc_u32 v77, s4, v0
	v_dual_mov_b32 v51, 0 :: v_dual_mov_b32 v52, 0
	s_waitcnt vmcnt(2)
	v_dual_mov_b32 v25, 0 :: v_dual_mov_b32 v26, 0
	s_delay_alu instid0(VALU_DEP_3) | instskip(SKIP_2) | instid1(VALU_DEP_3)
	v_min_u32_e32 v54, s27, v77
	v_dual_mov_b32 v49, 0 :: v_dual_add_nc_u32 v78, 0x100, v77
	v_dual_mov_b32 v27, 0 :: v_dual_mov_b32 v28, 0
	v_lshlrev_b64 v[5:6], 1, v[54:55]
	s_delay_alu instid0(VALU_DEP_3) | instskip(SKIP_2) | instid1(VALU_DEP_4)
	v_min_u32_e32 v54, s27, v78
	v_dual_mov_b32 v41, 0 :: v_dual_mov_b32 v42, 0
	v_dual_mov_b32 v43, 0 :: v_dual_mov_b32 v44, 0
	v_add_co_u32 v13, vcc_lo, s10, v5
	v_add_co_ci_u32_e32 v14, vcc_lo, s11, v6, vcc_lo
	v_lshlrev_b64 v[5:6], 1, v[54:55]
	s_delay_alu instid0(VALU_DEP_3) | instskip(NEXT) | instid1(VALU_DEP_3)
	v_add_co_u32 v7, vcc_lo, v13, v56
	v_add_co_ci_u32_e32 v8, vcc_lo, v14, v57, vcc_lo
	v_add_co_u32 v9, vcc_lo, v13, v58
	v_add_co_ci_u32_e32 v10, vcc_lo, v14, v59, vcc_lo
	;; [unrolled: 2-line block ×5, first 2 shown]
	s_clause 0x1
	global_load_b128 v[45:48], v[7:8], off slc dlc
	global_load_b128 v[33:36], v[9:10], off slc dlc
	v_add_co_u32 v7, vcc_lo, v15, v56
	v_add_co_ci_u32_e32 v8, vcc_lo, v16, v57, vcc_lo
	v_add_co_u32 v9, vcc_lo, v15, v58
	v_add_co_ci_u32_e32 v10, vcc_lo, v16, v59, vcc_lo
	;; [unrolled: 2-line block ×4, first 2 shown]
	s_clause 0x5
	global_load_b128 v[37:40], v[11:12], off slc dlc
	global_load_b128 v[29:32], v[5:6], off slc dlc
	;; [unrolled: 1-line block ×6, first 2 shown]
	v_dual_mov_b32 v13, 0 :: v_dual_mov_b32 v14, 0
	v_dual_mov_b32 v15, 0 :: v_dual_mov_b32 v16, 0
	s_mov_b32 s5, exec_lo
	v_cmpx_gt_u32_e64 s16, v77
	s_cbranch_execz .LBB52_15
; %bb.27:                               ;   in Loop: Header=BB52_17 Depth=2
	v_subrev_nc_u32_e32 v13, s3, v77
	v_dual_mov_b32 v15, 0 :: v_dual_mov_b32 v14, 0
	v_dual_mov_b32 v27, 0 :: v_dual_mov_b32 v26, 0
	s_delay_alu instid0(VALU_DEP_3) | instskip(SKIP_2) | instid1(VALU_DEP_3)
	v_dual_mov_b32 v16, 0 :: v_dual_lshlrev_b32 v77, 1, v13
	v_dual_mov_b32 v13, 0 :: v_dual_mov_b32 v28, 0
	v_mov_b32_e32 v25, 0
	v_lshl_add_u32 v54, s24, 1, v77
	s_mov_b32 s36, exec_lo
	ds_load_b128 v[49:52], v77
	ds_load_b128 v[41:44], v54
	v_cmpx_gt_u32_e64 s16, v78
	s_cbranch_execz .LBB52_14
; %bb.28:                               ;   in Loop: Header=BB52_17 Depth=2
	ds_load_b128 v[25:28], v77 offset:512
	ds_load_b128 v[13:16], v54 offset:512
	s_branch .LBB52_14
.LBB52_29:                              ;   in Loop: Header=BB52_12 Depth=1
	s_mov_b32 s1, exec_lo
	v_cmpx_le_u32_e64 s19, v53
	s_xor_b32 s1, exec_lo, s1
; %bb.30:                               ;   in Loop: Header=BB52_12 Depth=1
	v_add_nc_u32_e32 v53, s29, v53
                                        ; implicit-def: $vgpr76
                                        ; implicit-def: $vgpr75
                                        ; implicit-def: $vgpr74
                                        ; implicit-def: $vgpr73
                                        ; implicit-def: $vgpr72
                                        ; implicit-def: $vgpr71
                                        ; implicit-def: $vgpr70
                                        ; implicit-def: $vgpr69
; %bb.31:                               ;   in Loop: Header=BB52_12 Depth=1
	s_and_not1_saveexec_b32 s36, s1
	s_cbranch_execz .LBB52_11
; %bb.32:                               ;   in Loop: Header=BB52_12 Depth=1
	v_cvt_i32_f32_e32 v5, v76
	v_cvt_i32_f32_e32 v6, v75
	;; [unrolled: 1-line block ×3, first 2 shown]
	v_xor_b32_e32 v8, 16, v68
	s_waitcnt lgkmcnt(3)
	v_cvt_i32_f32_e32 v15, v70
	v_cvt_f32_i32_dpp v5, v5 row_shr:8 row_mask:0xf bank_mask:0xf bound_ctrl:1
	v_cvt_f32_i32_dpp v6, v6 row_shr:8 row_mask:0xf bank_mask:0xf bound_ctrl:1
	;; [unrolled: 1-line block ×3, first 2 shown]
	v_cmp_gt_i32_e32 vcc_lo, 32, v8
	s_waitcnt lgkmcnt(0)
	v_cvt_i32_f32_e32 v9, v73
	v_dual_add_f32 v5, v76, v5 :: v_dual_add_f32 v6, v75, v6
	v_dual_add_f32 v7, v74, v7 :: v_dual_cndmask_b32 v8, v68, v8
	v_cvt_f32_i32_dpp v15, v15 row_shr:8 row_mask:0xf bank_mask:0xf bound_ctrl:1
	s_delay_alu instid0(VALU_DEP_3) | instskip(NEXT) | instid1(VALU_DEP_4)
	v_cvt_i32_f32_e32 v12, v5
	v_cvt_i32_f32_e32 v13, v6
	s_delay_alu instid0(VALU_DEP_4)
	v_cvt_i32_f32_e32 v14, v7
	v_cvt_f32_i32_dpp v9, v9 row_shr:8 row_mask:0xf bank_mask:0xf bound_ctrl:1
	v_cvt_i32_f32_e32 v11, v71
	v_cvt_f32_i32_dpp v12, v12 row_shr:4 row_mask:0xf bank_mask:0xf bound_ctrl:1
	v_cvt_f32_i32_dpp v13, v13 row_shr:4 row_mask:0xf bank_mask:0xf bound_ctrl:1
	;; [unrolled: 1-line block ×3, first 2 shown]
	s_waitcnt vmcnt(0)
	v_dual_add_f32 v8, v73, v9 :: v_dual_lshlrev_b32 v23, 2, v8
	s_delay_alu instid0(VALU_DEP_3) | instskip(SKIP_2) | instid1(VALU_DEP_4)
	v_dual_add_f32 v5, v5, v12 :: v_dual_add_f32 v6, v6, v13
	v_cvt_f32_i32_dpp v11, v11 row_shr:8 row_mask:0xf bank_mask:0xf bound_ctrl:1
	v_cvt_i32_f32_e32 v16, v69
	v_cvt_i32_f32_e32 v17, v8
	s_delay_alu instid0(VALU_DEP_4) | instskip(SKIP_3) | instid1(VALU_DEP_4)
	v_cvt_i32_f32_e32 v12, v5
	v_cvt_i32_f32_e32 v13, v6
	;; [unrolled: 1-line block ×3, first 2 shown]
	v_cvt_f32_i32_dpp v16, v16 row_shr:8 row_mask:0xf bank_mask:0xf bound_ctrl:1
	v_cvt_f32_i32_dpp v12, v12 row_shr:2 row_mask:0xf bank_mask:0xf bound_ctrl:1
	s_delay_alu instid0(VALU_DEP_4) | instskip(SKIP_2) | instid1(VALU_DEP_3)
	v_cvt_f32_i32_dpp v13, v13 row_shr:2 row_mask:0xf bank_mask:0xf bound_ctrl:1
	v_add_f32_e32 v7, v7, v14
	v_cvt_f32_i32_dpp v10, v10 row_shr:8 row_mask:0xf bank_mask:0xf bound_ctrl:1
	v_dual_add_f32 v5, v5, v12 :: v_dual_add_f32 v6, v6, v13
	s_delay_alu instid0(VALU_DEP_3) | instskip(NEXT) | instid1(VALU_DEP_2)
	v_cvt_i32_f32_e32 v14, v7
	v_cvt_i32_f32_e32 v12, v6
	s_delay_alu instid0(VALU_DEP_2) | instskip(NEXT) | instid1(VALU_DEP_2)
	v_cvt_f32_i32_dpp v14, v14 row_shr:2 row_mask:0xf bank_mask:0xf bound_ctrl:1
	v_cvt_f32_i32_dpp v12, v12 row_shr:1 row_mask:0xf bank_mask:0xf bound_ctrl:1
	s_delay_alu instid0(VALU_DEP_2) | instskip(NEXT) | instid1(VALU_DEP_2)
	v_dual_add_f32 v7, v7, v14 :: v_dual_add_f32 v14, v70, v15
	v_add_f32_e32 v18, v6, v12
	s_delay_alu instid0(VALU_DEP_2) | instskip(SKIP_2) | instid1(VALU_DEP_1)
	v_cvt_i32_f32_e32 v13, v7
	ds_bpermute_b32 v20, v23, v18
	v_cvt_f32_i32_dpp v13, v13 row_shr:1 row_mask:0xf bank_mask:0xf bound_ctrl:1
	v_add_f32_e32 v7, v7, v13
	v_cvt_f32_i32_dpp v13, v17 row_shr:4 row_mask:0xf bank_mask:0xf bound_ctrl:1
	s_delay_alu instid0(VALU_DEP_1) | instskip(NEXT) | instid1(VALU_DEP_1)
	v_dual_add_f32 v11, v71, v11 :: v_dual_add_f32 v8, v8, v13
	v_cvt_i32_f32_e32 v6, v11
	s_delay_alu instid0(VALU_DEP_1) | instskip(NEXT) | instid1(VALU_DEP_1)
	v_cvt_f32_i32_dpp v6, v6 row_shr:4 row_mask:0xf bank_mask:0xf bound_ctrl:1
	v_dual_add_f32 v15, v69, v16 :: v_dual_add_f32 v6, v11, v6
	s_delay_alu instid0(VALU_DEP_1) | instskip(SKIP_1) | instid1(VALU_DEP_3)
	v_cvt_i32_f32_e32 v12, v15
	v_cvt_i32_f32_e32 v11, v8
	;; [unrolled: 1-line block ×3, first 2 shown]
	s_delay_alu instid0(VALU_DEP_3) | instskip(SKIP_4) | instid1(VALU_DEP_3)
	v_cvt_f32_i32_dpp v12, v12 row_shr:4 row_mask:0xf bank_mask:0xf bound_ctrl:1
	v_add_f32_e32 v9, v72, v10
	v_cvt_i32_f32_e32 v10, v5
	v_cvt_f32_i32_dpp v11, v11 row_shr:2 row_mask:0xf bank_mask:0xf bound_ctrl:1
	v_cvt_f32_i32_dpp v13, v13 row_shr:2 row_mask:0xf bank_mask:0xf bound_ctrl:1
	v_cvt_f32_i32_dpp v10, v10 row_shr:1 row_mask:0xf bank_mask:0xf bound_ctrl:1
	s_delay_alu instid0(VALU_DEP_3) | instskip(NEXT) | instid1(VALU_DEP_2)
	v_add_f32_e32 v8, v8, v11
	v_dual_add_f32 v6, v6, v13 :: v_dual_add_f32 v21, v5, v10
	v_cvt_i32_f32_e32 v5, v9
	v_cvt_i32_f32_e32 v10, v14
	s_delay_alu instid0(VALU_DEP_3) | instskip(SKIP_4) | instid1(VALU_DEP_3)
	v_cvt_i32_f32_e32 v13, v6
	ds_bpermute_b32 v22, v23, v21
	v_cvt_f32_i32_dpp v5, v5 row_shr:4 row_mask:0xf bank_mask:0xf bound_ctrl:1
	v_cvt_f32_i32_dpp v10, v10 row_shr:4 row_mask:0xf bank_mask:0xf bound_ctrl:1
	;; [unrolled: 1-line block ×3, first 2 shown]
	v_add_f32_e32 v5, v9, v5
	s_delay_alu instid0(VALU_DEP_3) | instskip(NEXT) | instid1(VALU_DEP_1)
	v_dual_add_f32 v9, v14, v10 :: v_dual_add_f32 v10, v15, v12
	v_cvt_i32_f32_e32 v14, v9
	s_delay_alu instid0(VALU_DEP_2) | instskip(NEXT) | instid1(VALU_DEP_2)
	v_cvt_i32_f32_e32 v15, v10
	v_cvt_f32_i32_dpp v14, v14 row_shr:2 row_mask:0xf bank_mask:0xf bound_ctrl:1
	s_delay_alu instid0(VALU_DEP_2) | instskip(NEXT) | instid1(VALU_DEP_2)
	v_cvt_f32_i32_dpp v15, v15 row_shr:2 row_mask:0xf bank_mask:0xf bound_ctrl:1
	v_add_f32_e32 v9, v9, v14
	s_delay_alu instid0(VALU_DEP_2) | instskip(SKIP_1) | instid1(VALU_DEP_3)
	v_add_f32_e32 v11, v10, v15
	v_cvt_i32_f32_e32 v10, v8
	v_cvt_i32_f32_e32 v14, v9
	s_delay_alu instid0(VALU_DEP_3) | instskip(NEXT) | instid1(VALU_DEP_3)
	v_cvt_i32_f32_e32 v15, v11
	v_cvt_f32_i32_dpp v10, v10 row_shr:1 row_mask:0xf bank_mask:0xf bound_ctrl:1
	s_delay_alu instid0(VALU_DEP_3) | instskip(NEXT) | instid1(VALU_DEP_3)
	v_cvt_f32_i32_dpp v19, v14 row_shr:1 row_mask:0xf bank_mask:0xf bound_ctrl:1
	v_cvt_f32_i32_dpp v15, v15 row_shr:1 row_mask:0xf bank_mask:0xf bound_ctrl:1
	s_delay_alu instid0(VALU_DEP_1) | instskip(SKIP_1) | instid1(VALU_DEP_1)
	v_dual_add_f32 v17, v8, v10 :: v_dual_add_f32 v8, v11, v15
	v_cvt_i32_f32_e32 v12, v5
	v_cvt_f32_i32_dpp v12, v12 row_shr:2 row_mask:0xf bank_mask:0xf bound_ctrl:1
	s_delay_alu instid0(VALU_DEP_1) | instskip(NEXT) | instid1(VALU_DEP_1)
	v_add_f32_e32 v5, v5, v12
	v_cvt_i32_f32_e32 v12, v5
	s_delay_alu instid0(VALU_DEP_1) | instskip(NEXT) | instid1(VALU_DEP_1)
	v_cvt_f32_i32_dpp v12, v12 row_shr:1 row_mask:0xf bank_mask:0xf bound_ctrl:1
	v_add_f32_e32 v14, v5, v12
	v_add_f32_e32 v12, v6, v13
	v_add_f32_e32 v10, v9, v19
	ds_bpermute_b32 v16, v23, v7
	ds_bpermute_b32 v19, v23, v17
	;; [unrolled: 1-line block ×6, first 2 shown]
	s_and_saveexec_b32 s5, s0
	s_cbranch_execz .LBB52_44
; %bb.33:                               ;   in Loop: Header=BB52_12 Depth=1
	v_dual_mov_b32 v30, 0 :: v_dual_add_nc_u32 v5, 3, v53
	v_dual_mov_b32 v29, 0 :: v_dual_add_nc_u32 v6, 2, v53
	v_dual_mov_b32 v28, 0 :: v_dual_mov_b32 v27, 0
	v_dual_mov_b32 v26, 0 :: v_dual_mov_b32 v25, 0
	;; [unrolled: 1-line block ×3, first 2 shown]
	s_and_not1_b32 vcc_lo, exec_lo, s30
	s_cbranch_vccnz .LBB52_35
; %bb.34:                               ;   in Loop: Header=BB52_12 Depth=1
	v_mul_hi_u32 v23, v53, v67
	v_mul_hi_u32 v24, v6, v67
	v_add_nc_u32_e32 v25, 1, v53
	v_mul_hi_u32 v26, v5, v67
	s_delay_alu instid0(VALU_DEP_4) | instskip(NEXT) | instid1(VALU_DEP_4)
	v_mul_lo_u32 v23, v23, s8
	v_mul_lo_u32 v28, v24, s8
	v_mov_b32_e32 v24, v55
	v_mul_hi_u32 v27, v25, v67
	v_mul_lo_u32 v29, v26, s8
	v_sub_nc_u32_e32 v23, v53, v23
	v_sub_nc_u32_e32 v30, v6, v28
	s_delay_alu instid0(VALU_DEP_4) | instskip(NEXT) | instid1(VALU_DEP_4)
	v_mul_lo_u32 v27, v27, s8
	v_sub_nc_u32_e32 v29, v5, v29
	s_delay_alu instid0(VALU_DEP_4) | instskip(SKIP_1) | instid1(VALU_DEP_3)
	v_subrev_nc_u32_e32 v31, s8, v23
	v_cmp_le_u32_e32 vcc_lo, s8, v23
	v_subrev_nc_u32_e32 v32, s8, v29
	v_sub_nc_u32_e32 v25, v25, v27
	v_subrev_nc_u32_e32 v27, s8, v30
	v_cndmask_b32_e32 v23, v23, v31, vcc_lo
	v_cmp_le_u32_e32 vcc_lo, s8, v30
	v_mov_b32_e32 v26, v55
	v_subrev_nc_u32_e32 v31, s8, v25
	v_cndmask_b32_e32 v27, v30, v27, vcc_lo
	v_cmp_le_u32_e32 vcc_lo, s8, v29
	v_mov_b32_e32 v28, v55
	v_subrev_nc_u32_e32 v30, s8, v23
	v_cndmask_b32_e32 v29, v29, v32, vcc_lo
	v_cmp_le_u32_e32 vcc_lo, s8, v25
	s_delay_alu instid0(VALU_DEP_2)
	v_subrev_nc_u32_e32 v32, s8, v29
	v_cndmask_b32_e32 v31, v25, v31, vcc_lo
	v_cmp_le_u32_e32 vcc_lo, s8, v23
	v_subrev_nc_u32_e32 v25, s8, v27
	v_cndmask_b32_e32 v54, v23, v30, vcc_lo
	v_cmp_le_u32_e32 vcc_lo, s8, v27
	v_subrev_nc_u32_e32 v23, s8, v31
	s_delay_alu instid0(VALU_DEP_4)
	v_cndmask_b32_e32 v25, v27, v25, vcc_lo
	v_cmp_le_u32_e32 vcc_lo, s8, v29
	v_cndmask_b32_e32 v27, v29, v32, vcc_lo
	v_cmp_le_u32_e32 vcc_lo, s8, v31
	v_lshlrev_b64 v[29:30], 1, v[54:55]
	v_add_nc_u32_e32 v54, s33, v54
	s_delay_alu instid0(VALU_DEP_4) | instskip(SKIP_1) | instid1(VALU_DEP_4)
	v_lshlrev_b64 v[33:34], 1, v[27:28]
	v_cndmask_b32_e32 v23, v31, v23, vcc_lo
	v_add_co_u32 v28, vcc_lo, s14, v29
	s_delay_alu instid0(VALU_DEP_4) | instskip(NEXT) | instid1(VALU_DEP_3)
	v_lshlrev_b64 v[37:38], 1, v[54:55]
	v_lshlrev_b64 v[35:36], 1, v[23:24]
	v_add_nc_u32_e32 v54, s33, v23
	v_lshlrev_b64 v[31:32], 1, v[25:26]
	v_add_co_ci_u32_e32 v29, vcc_lo, s15, v30, vcc_lo
	s_delay_alu instid0(VALU_DEP_4) | instskip(SKIP_1) | instid1(VALU_DEP_4)
	v_add_co_u32 v35, vcc_lo, s14, v35
	v_add_co_ci_u32_e32 v36, vcc_lo, s15, v36, vcc_lo
	v_add_co_u32 v31, vcc_lo, s14, v31
	v_add_co_ci_u32_e32 v32, vcc_lo, s15, v32, vcc_lo
	;; [unrolled: 2-line block ×3, first 2 shown]
	v_lshlrev_b64 v[33:34], 1, v[54:55]
	v_add_nc_u32_e32 v54, s33, v25
	v_add_co_u32 v25, vcc_lo, s14, v37
	v_add_co_ci_u32_e32 v26, vcc_lo, s15, v38, vcc_lo
	s_delay_alu instid0(VALU_DEP_3) | instskip(SKIP_3) | instid1(VALU_DEP_3)
	v_lshlrev_b64 v[37:38], 1, v[54:55]
	v_add_nc_u32_e32 v54, s33, v27
	v_add_co_u32 v33, vcc_lo, s14, v33
	v_add_co_ci_u32_e32 v34, vcc_lo, s15, v34, vcc_lo
	v_lshlrev_b64 v[39:40], 1, v[54:55]
	v_add_co_u32 v37, vcc_lo, s14, v37
	v_add_co_ci_u32_e32 v38, vcc_lo, s15, v38, vcc_lo
	s_delay_alu instid0(VALU_DEP_3) | instskip(NEXT) | instid1(VALU_DEP_4)
	v_add_co_u32 v39, vcc_lo, s14, v39
	v_add_co_ci_u32_e32 v40, vcc_lo, s15, v40, vcc_lo
	s_clause 0x7
	global_load_u16 v30, v[28:29], off
	global_load_u16 v29, v[35:36], off
	;; [unrolled: 1-line block ×8, first 2 shown]
.LBB52_35:                              ;   in Loop: Header=BB52_12 Depth=1
	v_cmp_ne_u32_e32 vcc_lo, 0, v1
	s_and_saveexec_b32 s2, vcc_lo
	s_cbranch_execnz .LBB52_49
; %bb.36:                               ;   in Loop: Header=BB52_12 Depth=1
	s_or_b32 exec_lo, exec_lo, s2
	v_cmp_ne_u32_e64 s1, 0, v2
	s_delay_alu instid0(VALU_DEP_1)
	s_and_saveexec_b32 s3, s1
	s_cbranch_execnz .LBB52_50
.LBB52_37:                              ;   in Loop: Header=BB52_12 Depth=1
	s_or_b32 exec_lo, exec_lo, s3
	v_cmp_ne_u32_e64 s2, 0, v3
	s_delay_alu instid0(VALU_DEP_1)
	s_and_saveexec_b32 s4, s2
	s_cbranch_execnz .LBB52_51
.LBB52_38:                              ;   in Loop: Header=BB52_12 Depth=1
	s_or_b32 exec_lo, exec_lo, s4
	v_cmp_ne_u32_e64 s3, 0, v4
	s_delay_alu instid0(VALU_DEP_1)
	s_and_saveexec_b32 s37, s3
	s_cbranch_execnz .LBB52_52
.LBB52_39:                              ;   in Loop: Header=BB52_12 Depth=1
	s_or_b32 exec_lo, exec_lo, s37
	v_add_nc_u32_e32 v54, s19, v53
	s_and_saveexec_b32 s4, vcc_lo
	s_cbranch_execnz .LBB52_53
.LBB52_40:                              ;   in Loop: Header=BB52_12 Depth=1
	s_or_b32 exec_lo, exec_lo, s4
	s_and_saveexec_b32 s4, s1
	s_cbranch_execnz .LBB52_54
.LBB52_41:                              ;   in Loop: Header=BB52_12 Depth=1
	s_or_b32 exec_lo, exec_lo, s4
	s_and_saveexec_b32 s1, s2
	s_cbranch_execnz .LBB52_55
.LBB52_42:                              ;   in Loop: Header=BB52_12 Depth=1
	s_or_b32 exec_lo, exec_lo, s1
	s_delay_alu instid0(SALU_CYCLE_1)
	s_and_b32 exec_lo, exec_lo, s3
	s_cbranch_execz .LBB52_44
.LBB52_43:                              ;   in Loop: Header=BB52_12 Depth=1
	s_waitcnt lgkmcnt(0)
	v_dual_add_f32 v5, v8, v9 :: v_dual_add_nc_u32 v54, 3, v54
	s_waitcnt vmcnt(0)
	v_cvt_f32_f16_e32 v6, v23
	s_delay_alu instid0(VALU_DEP_1) | instskip(NEXT) | instid1(VALU_DEP_3)
	v_add_f32_e32 v7, v5, v6
	v_lshlrev_b64 v[5:6], 1, v[54:55]
	s_delay_alu instid0(VALU_DEP_2) | instskip(NEXT) | instid1(VALU_DEP_2)
	v_cvt_f16_f32_e32 v7, v7
	v_add_co_u32 v5, vcc_lo, s6, v5
	s_delay_alu instid0(VALU_DEP_3)
	v_add_co_ci_u32_e32 v6, vcc_lo, s7, v6, vcc_lo
	global_store_b16 v[5:6], v7, off
.LBB52_44:                              ;   in Loop: Header=BB52_12 Depth=1
	s_or_b32 exec_lo, exec_lo, s5
	v_add_nc_u32_e32 v53, s29, v53
	s_delay_alu instid0(VALU_DEP_1) | instskip(SKIP_1) | instid1(VALU_DEP_2)
	v_add_nc_u32_e32 v5, 4, v53
	v_cmp_gt_u32_e32 vcc_lo, s19, v53
	v_cmp_le_u32_e64 s1, s19, v5
	s_delay_alu instid0(VALU_DEP_1) | instskip(NEXT) | instid1(SALU_CYCLE_1)
	s_and_b32 s1, vcc_lo, s1
	s_and_saveexec_b32 s37, s1
	s_cbranch_execz .LBB52_10
; %bb.45:                               ;   in Loop: Header=BB52_12 Depth=1
	s_mov_b32 s38, exec_lo
	v_cmpx_ne_u32_e64 s9, v53
	s_cbranch_execz .LBB52_9
; %bb.46:                               ;   in Loop: Header=BB52_12 Depth=1
	v_subrev_nc_u32_e32 v5, s9, v53
	s_mov_b32 s39, 0
	s_mov_b64 s[4:5], 0
	s_delay_alu instid0(VALU_DEP_1)
	v_cmp_lt_u32_e32 vcc_lo, 1, v5
	v_cndmask_b32_e32 v5, 1, v5, vcc_lo
	.p2align	6
.LBB52_47:                              ;   Parent Loop BB52_12 Depth=1
                                        ; =>  This Inner Loop Header: Depth=2
	s_cmp_lg_u32 s4, 3
	s_cselect_b32 vcc_lo, -1, 0
	s_cmp_lg_u32 s4, 2
	v_cndmask_b32_e32 v4, 0, v4, vcc_lo
	s_cselect_b32 s1, -1, 0
	s_cmp_lg_u32 s4, 1
	v_cndmask_b32_e64 v3, 0, v3, s1
	s_cselect_b32 s2, -1, 0
	s_cmp_lg_u32 s4, 0
	v_cndmask_b32_e64 v2, 0, v2, s2
	s_cselect_b32 s3, -1, 0
	s_add_u32 s4, s4, 1
	v_cndmask_b32_e64 v1, 0, v1, s3
	v_cmp_eq_u32_e32 vcc_lo, s4, v5
	s_addc_u32 s5, s5, 0
	s_or_b32 s39, vcc_lo, s39
	s_delay_alu instid0(SALU_CYCLE_1)
	s_and_not1_b32 exec_lo, exec_lo, s39
	s_cbranch_execnz .LBB52_47
; %bb.48:                               ;   in Loop: Header=BB52_12 Depth=1
	s_or_b32 exec_lo, exec_lo, s39
	s_branch .LBB52_9
.LBB52_49:                              ;   in Loop: Header=BB52_12 Depth=1
	s_waitcnt lgkmcnt(6)
	v_dual_add_f32 v21, v21, v22 :: v_dual_mov_b32 v54, v55
	s_waitcnt vmcnt(7)
	v_cvt_f32_f16_e32 v22, v30
	s_delay_alu instid0(VALU_DEP_1) | instskip(NEXT) | instid1(VALU_DEP_3)
	v_add_f32_e32 v30, v21, v22
	v_lshlrev_b64 v[21:22], 1, v[53:54]
	s_delay_alu instid0(VALU_DEP_2) | instskip(NEXT) | instid1(VALU_DEP_2)
	v_cvt_f16_f32_e32 v30, v30
	v_add_co_u32 v21, s1, s6, v21
	s_delay_alu instid0(VALU_DEP_1) | instskip(SKIP_3) | instid1(VALU_DEP_1)
	v_add_co_ci_u32_e64 v22, s1, s7, v22, s1
	global_store_b16 v[21:22], v30, off
	s_or_b32 exec_lo, exec_lo, s2
	v_cmp_ne_u32_e64 s1, 0, v2
	s_and_saveexec_b32 s3, s1
	s_cbranch_execz .LBB52_37
.LBB52_50:                              ;   in Loop: Header=BB52_12 Depth=1
	s_waitcnt lgkmcnt(7)
	v_add_f32_e32 v18, v18, v20
	s_waitcnt vmcnt(6)
	v_cvt_f32_f16_e32 v20, v29
	v_mov_b32_e32 v54, v55
	s_delay_alu instid0(VALU_DEP_2) | instskip(NEXT) | instid1(VALU_DEP_2)
	v_add_f32_e32 v18, v18, v20
	v_lshlrev_b64 v[20:21], 1, v[53:54]
	s_delay_alu instid0(VALU_DEP_2) | instskip(NEXT) | instid1(VALU_DEP_2)
	v_cvt_f16_f32_e32 v18, v18
	v_add_co_u32 v20, s2, s31, v20
	s_delay_alu instid0(VALU_DEP_1) | instskip(SKIP_3) | instid1(VALU_DEP_1)
	v_add_co_ci_u32_e64 v21, s2, s34, v21, s2
	global_store_b16 v[20:21], v18, off
	s_or_b32 exec_lo, exec_lo, s3
	v_cmp_ne_u32_e64 s2, 0, v3
	s_and_saveexec_b32 s4, s2
	s_cbranch_execz .LBB52_38
.LBB52_51:                              ;   in Loop: Header=BB52_12 Depth=1
	s_waitcnt lgkmcnt(5)
	v_add_f32_e32 v16, v7, v16
	s_waitcnt vmcnt(5)
	v_cvt_f32_f16_e32 v18, v28
	s_delay_alu instid0(VALU_DEP_1) | instskip(NEXT) | instid1(VALU_DEP_1)
	v_dual_mov_b32 v7, v55 :: v_dual_add_f32 v16, v16, v18
	v_lshlrev_b64 v[6:7], 1, v[6:7]
	s_delay_alu instid0(VALU_DEP_2) | instskip(NEXT) | instid1(VALU_DEP_2)
	v_cvt_f16_f32_e32 v16, v16
	v_add_co_u32 v6, s3, s6, v6
	s_delay_alu instid0(VALU_DEP_1) | instskip(SKIP_3) | instid1(VALU_DEP_1)
	v_add_co_ci_u32_e64 v7, s3, s7, v7, s3
	global_store_b16 v[6:7], v16, off
	s_or_b32 exec_lo, exec_lo, s4
	v_cmp_ne_u32_e64 s3, 0, v4
	s_and_saveexec_b32 s37, s3
	s_cbranch_execz .LBB52_39
.LBB52_52:                              ;   in Loop: Header=BB52_12 Depth=1
	s_waitcnt lgkmcnt(4)
	v_dual_add_f32 v7, v17, v19 :: v_dual_mov_b32 v6, v55
	s_waitcnt vmcnt(4)
	v_cvt_f32_f16_e32 v16, v27
	s_delay_alu instid0(VALU_DEP_2) | instskip(NEXT) | instid1(VALU_DEP_2)
	v_lshlrev_b64 v[5:6], 1, v[5:6]
	v_add_f32_e32 v7, v7, v16
	s_delay_alu instid0(VALU_DEP_1) | instskip(NEXT) | instid1(VALU_DEP_3)
	v_cvt_f16_f32_e32 v7, v7
	v_add_co_u32 v5, s4, s6, v5
	s_delay_alu instid0(VALU_DEP_1)
	v_add_co_ci_u32_e64 v6, s4, s7, v6, s4
	global_store_b16 v[5:6], v7, off
	s_or_b32 exec_lo, exec_lo, s37
	v_add_nc_u32_e32 v54, s19, v53
	s_and_saveexec_b32 s4, vcc_lo
	s_cbranch_execz .LBB52_40
.LBB52_53:                              ;   in Loop: Header=BB52_12 Depth=1
	s_waitcnt lgkmcnt(3)
	v_add_f32_e32 v5, v14, v15
	s_waitcnt vmcnt(3)
	v_cvt_f32_f16_e32 v6, v26
	s_delay_alu instid0(VALU_DEP_1) | instskip(SKIP_1) | instid1(VALU_DEP_2)
	v_add_f32_e32 v7, v5, v6
	v_lshlrev_b64 v[5:6], 1, v[54:55]
	v_cvt_f16_f32_e32 v7, v7
	s_delay_alu instid0(VALU_DEP_2) | instskip(NEXT) | instid1(VALU_DEP_3)
	v_add_co_u32 v5, vcc_lo, s6, v5
	v_add_co_ci_u32_e32 v6, vcc_lo, s7, v6, vcc_lo
	global_store_b16 v[5:6], v7, off
	s_or_b32 exec_lo, exec_lo, s4
	s_and_saveexec_b32 s4, s1
	s_cbranch_execz .LBB52_41
.LBB52_54:                              ;   in Loop: Header=BB52_12 Depth=1
	s_waitcnt lgkmcnt(2)
	v_dual_add_f32 v7, v12, v13 :: v_dual_mov_b32 v6, v55
	v_add_nc_u32_e32 v5, 1, v54
	s_waitcnt vmcnt(2)
	v_cvt_f32_f16_e32 v12, v25
	s_delay_alu instid0(VALU_DEP_2) | instskip(NEXT) | instid1(VALU_DEP_2)
	v_lshlrev_b64 v[5:6], 1, v[5:6]
	v_add_f32_e32 v7, v7, v12
	s_delay_alu instid0(VALU_DEP_1) | instskip(NEXT) | instid1(VALU_DEP_3)
	v_cvt_f16_f32_e32 v7, v7
	v_add_co_u32 v5, vcc_lo, s6, v5
	s_delay_alu instid0(VALU_DEP_4)
	v_add_co_ci_u32_e32 v6, vcc_lo, s7, v6, vcc_lo
	global_store_b16 v[5:6], v7, off
	s_or_b32 exec_lo, exec_lo, s4
	s_and_saveexec_b32 s1, s2
	s_cbranch_execz .LBB52_42
.LBB52_55:                              ;   in Loop: Header=BB52_12 Depth=1
	s_waitcnt lgkmcnt(1)
	v_dual_add_f32 v7, v10, v11 :: v_dual_mov_b32 v6, v55
	v_add_nc_u32_e32 v5, 2, v54
	s_waitcnt vmcnt(1)
	v_cvt_f32_f16_e32 v10, v24
	s_delay_alu instid0(VALU_DEP_2) | instskip(NEXT) | instid1(VALU_DEP_2)
	v_lshlrev_b64 v[5:6], 1, v[5:6]
	v_add_f32_e32 v7, v7, v10
	s_delay_alu instid0(VALU_DEP_1) | instskip(NEXT) | instid1(VALU_DEP_3)
	v_cvt_f16_f32_e32 v7, v7
	v_add_co_u32 v5, vcc_lo, s6, v5
	s_delay_alu instid0(VALU_DEP_4) | instskip(SKIP_2) | instid1(SALU_CYCLE_1)
	v_add_co_ci_u32_e32 v6, vcc_lo, s7, v6, vcc_lo
	global_store_b16 v[5:6], v7, off
	s_or_b32 exec_lo, exec_lo, s1
	s_and_b32 exec_lo, exec_lo, s3
	s_cbranch_execnz .LBB52_43
	s_branch .LBB52_44
.LBB52_56:
	s_nop 0
	s_sendmsg sendmsg(MSG_DEALLOC_VGPRS)
	s_endpgm
	.section	.rodata,"a",@progbits
	.p2align	6, 0x0
	.amdhsa_kernel _Z16wvSplitK_hf_big_I6__halfLi32ELi4ELi16ELi8ELi2ELi2EEviiiiiiPKT_S3_S3_PS1_ii
		.amdhsa_group_segment_fixed_size 65536
		.amdhsa_private_segment_fixed_size 0
		.amdhsa_kernarg_size 64
		.amdhsa_user_sgpr_count 15
		.amdhsa_user_sgpr_dispatch_ptr 0
		.amdhsa_user_sgpr_queue_ptr 0
		.amdhsa_user_sgpr_kernarg_segment_ptr 1
		.amdhsa_user_sgpr_dispatch_id 0
		.amdhsa_user_sgpr_private_segment_size 0
		.amdhsa_wavefront_size32 1
		.amdhsa_uses_dynamic_stack 0
		.amdhsa_enable_private_segment 0
		.amdhsa_system_sgpr_workgroup_id_x 1
		.amdhsa_system_sgpr_workgroup_id_y 0
		.amdhsa_system_sgpr_workgroup_id_z 0
		.amdhsa_system_sgpr_workgroup_info 0
		.amdhsa_system_vgpr_workitem_id 1
		.amdhsa_next_free_vgpr 79
		.amdhsa_next_free_sgpr 40
		.amdhsa_reserve_vcc 1
		.amdhsa_float_round_mode_32 0
		.amdhsa_float_round_mode_16_64 0
		.amdhsa_float_denorm_mode_32 3
		.amdhsa_float_denorm_mode_16_64 3
		.amdhsa_dx10_clamp 1
		.amdhsa_ieee_mode 1
		.amdhsa_fp16_overflow 0
		.amdhsa_workgroup_processor_mode 1
		.amdhsa_memory_ordered 1
		.amdhsa_forward_progress 0
		.amdhsa_shared_vgpr_count 0
		.amdhsa_exception_fp_ieee_invalid_op 0
		.amdhsa_exception_fp_denorm_src 0
		.amdhsa_exception_fp_ieee_div_zero 0
		.amdhsa_exception_fp_ieee_overflow 0
		.amdhsa_exception_fp_ieee_underflow 0
		.amdhsa_exception_fp_ieee_inexact 0
		.amdhsa_exception_int_div_zero 0
	.end_amdhsa_kernel
	.section	.text._Z16wvSplitK_hf_big_I6__halfLi32ELi4ELi16ELi8ELi2ELi2EEviiiiiiPKT_S3_S3_PS1_ii,"axG",@progbits,_Z16wvSplitK_hf_big_I6__halfLi32ELi4ELi16ELi8ELi2ELi2EEviiiiiiPKT_S3_S3_PS1_ii,comdat
.Lfunc_end52:
	.size	_Z16wvSplitK_hf_big_I6__halfLi32ELi4ELi16ELi8ELi2ELi2EEviiiiiiPKT_S3_S3_PS1_ii, .Lfunc_end52-_Z16wvSplitK_hf_big_I6__halfLi32ELi4ELi16ELi8ELi2ELi2EEviiiiiiPKT_S3_S3_PS1_ii
                                        ; -- End function
	.section	.AMDGPU.csdata,"",@progbits
; Kernel info:
; codeLenInByte = 5340
; NumSgprs: 42
; NumVgprs: 79
; ScratchSize: 0
; MemoryBound: 0
; FloatMode: 240
; IeeeMode: 1
; LDSByteSize: 65536 bytes/workgroup (compile time only)
; SGPRBlocks: 5
; VGPRBlocks: 9
; NumSGPRsForWavesPerEU: 42
; NumVGPRsForWavesPerEU: 79
; Occupancy: 8
; WaveLimiterHint : 0
; COMPUTE_PGM_RSRC2:SCRATCH_EN: 0
; COMPUTE_PGM_RSRC2:USER_SGPR: 15
; COMPUTE_PGM_RSRC2:TRAP_HANDLER: 0
; COMPUTE_PGM_RSRC2:TGID_X_EN: 1
; COMPUTE_PGM_RSRC2:TGID_Y_EN: 0
; COMPUTE_PGM_RSRC2:TGID_Z_EN: 0
; COMPUTE_PGM_RSRC2:TIDIG_COMP_CNT: 1
	.section	.text._Z16wvSplitK_hf_sml_I6__halfLi64ELi1ELi16ELi8ELi4ELi2EEviiiiiiPKT_S3_S3_PS1_ii,"axG",@progbits,_Z16wvSplitK_hf_sml_I6__halfLi64ELi1ELi16ELi8ELi4ELi2EEviiiiiiPKT_S3_S3_PS1_ii,comdat
	.protected	_Z16wvSplitK_hf_sml_I6__halfLi64ELi1ELi16ELi8ELi4ELi2EEviiiiiiPKT_S3_S3_PS1_ii ; -- Begin function _Z16wvSplitK_hf_sml_I6__halfLi64ELi1ELi16ELi8ELi4ELi2EEviiiiiiPKT_S3_S3_PS1_ii
	.globl	_Z16wvSplitK_hf_sml_I6__halfLi64ELi1ELi16ELi8ELi4ELi2EEviiiiiiPKT_S3_S3_PS1_ii
	.p2align	8
	.type	_Z16wvSplitK_hf_sml_I6__halfLi64ELi1ELi16ELi8ELi4ELi2EEviiiiiiPKT_S3_S3_PS1_ii,@function
_Z16wvSplitK_hf_sml_I6__halfLi64ELi1ELi16ELi8ELi4ELi2EEviiiiiiPKT_S3_S3_PS1_ii: ; @_Z16wvSplitK_hf_sml_I6__halfLi64ELi1ELi16ELi8ELi4ELi2EEviiiiiiPKT_S3_S3_PS1_ii
; %bb.0:
	s_clause 0x2
	s_load_b128 s[4:7], s[0:1], 0x0
	s_load_b64 s[8:9], s[0:1], 0x10
	s_load_b64 s[10:11], s[0:1], 0x28
	v_and_b32_e32 v3, 0x3ff, v0
	v_bfe_u32 v0, v0, 10, 10
	s_mov_b32 s12, exec_lo
	s_delay_alu instid0(VALU_DEP_2) | instskip(NEXT) | instid1(VALU_DEP_1)
	v_lshlrev_b32_e32 v52, 3, v3
	v_lshl_add_u32 v4, v0, 9, v52
	s_waitcnt lgkmcnt(0)
	s_lshl_b32 s6, s6, 1
	s_delay_alu instid0(SALU_CYCLE_1)
	s_min_u32 s3, s6, 0x8000
	s_delay_alu instid0(VALU_DEP_1) | instid1(SALU_CYCLE_1)
	v_cmpx_gt_u32_e64 s3, v4
	s_cbranch_execz .LBB53_3
; %bb.1:
	s_load_b64 s[16:17], s[0:1], 0x20
	v_lshlrev_b32_e32 v5, 10, v0
	v_lshlrev_b32_e32 v6, 4, v3
	s_mov_b32 s13, 0
	s_delay_alu instid0(VALU_DEP_1) | instskip(NEXT) | instid1(VALU_DEP_1)
	v_add_co_u32 v1, s2, v5, v6
	v_add_co_ci_u32_e64 v2, null, 0, 0, s2
	v_add_nc_u32_e32 v5, v5, v6
	s_waitcnt lgkmcnt(0)
	s_delay_alu instid0(VALU_DEP_3) | instskip(NEXT) | instid1(VALU_DEP_3)
	v_add_co_u32 v1, vcc_lo, s16, v1
	v_add_co_ci_u32_e32 v2, vcc_lo, s17, v2, vcc_lo
	.p2align	6
.LBB53_2:                               ; =>This Inner Loop Header: Depth=1
	global_load_b128 v[6:9], v[1:2], off
	v_add_nc_u32_e32 v4, 0x2000, v4
	v_add_co_u32 v1, vcc_lo, 0x4000, v1
	v_add_co_ci_u32_e32 v2, vcc_lo, 0, v2, vcc_lo
	s_delay_alu instid0(VALU_DEP_3) | instskip(NEXT) | instid1(VALU_DEP_1)
	v_cmp_le_u32_e64 s2, s3, v4
	s_or_b32 s13, s2, s13
	s_waitcnt vmcnt(0)
	ds_store_b128 v5, v[6:9]
	v_add_nc_u32_e32 v5, 0x4000, v5
	s_and_not1_b32 exec_lo, exec_lo, s13
	s_cbranch_execnz .LBB53_2
.LBB53_3:
	s_or_b32 exec_lo, exec_lo, s12
	s_load_b64 s[16:17], s[0:1], 0x38
	s_waitcnt lgkmcnt(0)
	s_barrier
	buffer_gl0_inv
	s_mov_b32 s2, exec_lo
	v_cmpx_gt_u32_e64 s16, v0
	s_cbranch_execz .LBB53_24
; %bb.4:
	v_mad_u64_u32 v[48:49], null, s15, s16, v[0:1]
	s_delay_alu instid0(VALU_DEP_1)
	v_cmp_gt_u32_e32 vcc_lo, s7, v48
	s_and_b32 exec_lo, exec_lo, vcc_lo
	s_cbranch_execz .LBB53_24
; %bb.5:
	v_cvt_f32_u32_e32 v0, s8
	s_cmp_lg_u32 s4, 0
	v_lshlrev_b32_e32 v53, 4, v3
	s_cselect_b32 s14, -1, 0
	s_add_i32 s15, s4, -8
	v_rcp_iflag_f32_e32 v0, v0
	s_add_i32 s18, s7, -1
	s_cmp_lg_u64 s[10:11], 0
	v_mbcnt_lo_u32_b32 v55, -1, 0
	s_cselect_b32 s19, -1, 0
	s_sub_i32 s2, 0, s8
	s_abs_i32 s9, s9
	v_mov_b32_e32 v51, 0
	s_sub_i32 s20, 1, s9
	s_cmp_lt_u32 s9, 2
	s_waitcnt_depctr 0xfff
	v_mul_f32_e32 v0, 0x4f7ffffe, v0
	s_cselect_b32 s20, s20, 1
	s_delay_alu instid0(SALU_CYCLE_1) | instskip(SKIP_1) | instid1(VALU_DEP_1)
	s_sub_i32 s21, s20, s9
	s_cmp_ge_u32 s20, s9
	v_cvt_u32_f32_e32 v0, v0
	s_cselect_b32 s20, s21, s20
	s_mul_i32 s9, s17, s16
	s_mul_i32 s16, s20, s8
	s_delay_alu instid0(VALU_DEP_1)
	v_mul_lo_u32 v1, s2, v0
	s_clause 0x1
	s_load_b64 s[2:3], s[0:1], 0x18
	s_load_b64 s[12:13], s[0:1], 0x30
	v_cmp_eq_u32_e64 s0, 63, v3
	s_mov_b32 s1, 0
	s_delay_alu instid0(VALU_DEP_2) | instskip(NEXT) | instid1(VALU_DEP_1)
	v_mul_hi_u32 v1, v0, v1
	v_add_nc_u32_e32 v54, v0, v1
	s_branch .LBB53_8
.LBB53_6:                               ;   in Loop: Header=BB53_8 Depth=1
	s_waitcnt lgkmcnt(0)
	v_add_f32_e32 v2, v2, v3
	s_waitcnt vmcnt(1)
	v_cvt_f32_f16_e32 v3, v5
	v_dual_add_f32 v5, v0, v1 :: v_dual_add_nc_u32 v50, s7, v48
	v_lshlrev_b64 v[0:1], 1, v[48:49]
	s_waitcnt vmcnt(0)
	v_cvt_f32_f16_e32 v4, v4
	v_add_f32_e32 v6, v2, v3
	v_lshlrev_b64 v[2:3], 1, v[50:51]
	s_delay_alu instid0(VALU_DEP_3) | instskip(SKIP_2) | instid1(VALU_DEP_4)
	v_add_f32_e32 v4, v5, v4
	v_add_co_u32 v0, vcc_lo, s12, v0
	v_add_co_ci_u32_e32 v1, vcc_lo, s13, v1, vcc_lo
	v_add_co_u32 v2, vcc_lo, s12, v2
	v_cvt_f16_f32_e32 v5, v6
	v_cvt_f16_f32_e32 v4, v4
	v_add_co_ci_u32_e32 v3, vcc_lo, s13, v3, vcc_lo
	s_clause 0x1
	global_store_b16 v[0:1], v5, off
	global_store_b16 v[2:3], v4, off
.LBB53_7:                               ;   in Loop: Header=BB53_8 Depth=1
	s_or_b32 exec_lo, exec_lo, s17
	v_add_nc_u32_e32 v48, s9, v48
	s_delay_alu instid0(VALU_DEP_1) | instskip(SKIP_1) | instid1(SALU_CYCLE_1)
	v_cmp_le_u32_e32 vcc_lo, s7, v48
	s_or_b32 s1, vcc_lo, s1
	s_and_not1_b32 exec_lo, exec_lo, s1
	s_cbranch_execz .LBB53_24
.LBB53_8:                               ; =>This Loop Header: Depth=1
                                        ;     Child Loop BB53_14 Depth 2
	v_mov_b32_e32 v56, v51
	v_mov_b32_e32 v49, v51
	s_and_not1_b32 vcc_lo, exec_lo, s14
	s_cbranch_vccnz .LBB53_19
; %bb.9:                                ;   in Loop: Header=BB53_8 Depth=1
	v_min_u32_e32 v0, s18, v48
	v_dual_mov_b32 v49, 0 :: v_dual_mov_b32 v56, 0
	v_mov_b32_e32 v57, v53
	s_mov_b32 s17, 0
	s_delay_alu instid0(VALU_DEP_3) | instskip(SKIP_1) | instid1(VALU_DEP_1)
	v_mul_lo_u32 v50, v0, s5
	s_waitcnt lgkmcnt(0)
	v_lshlrev_b64 v[0:1], 1, v[50:51]
	s_waitcnt lgkmcnt(0)
	s_delay_alu instid0(VALU_DEP_1) | instskip(NEXT) | instid1(VALU_DEP_2)
	v_add_co_u32 v58, vcc_lo, s2, v0
	v_add_co_ci_u32_e32 v59, vcc_lo, s3, v1, vcc_lo
	s_branch .LBB53_14
.LBB53_10:                              ;   in Loop: Header=BB53_14 Depth=2
	s_or_b32 exec_lo, exec_lo, s23
.LBB53_11:                              ;   in Loop: Header=BB53_14 Depth=2
	s_delay_alu instid0(SALU_CYCLE_1)
	s_or_b32 exec_lo, exec_lo, s22
.LBB53_12:                              ;   in Loop: Header=BB53_14 Depth=2
	s_delay_alu instid0(SALU_CYCLE_1)
	s_or_b32 exec_lo, exec_lo, s21
.LBB53_13:                              ;   in Loop: Header=BB53_14 Depth=2
	s_delay_alu instid0(SALU_CYCLE_1)
	s_or_b32 exec_lo, exec_lo, s20
	s_waitcnt vmcnt(3) lgkmcnt(1)
	;;#ASMSTART
	v_dot2_f32_f16 v49, v40, v16, v49
	;;#ASMEND
	s_waitcnt lgkmcnt(0)
	;;#ASMSTART
	v_dot2_f32_f16 v56, v44, v16, v56
	;;#ASMEND
	;;#ASMSTART
	v_dot2_f32_f16 v49, v41, v17, v49
	;;#ASMEND
	;; [unrolled: 3-line block ×7, first 2 shown]
	s_waitcnt vmcnt(2)
	;;#ASMSTART
	v_dot2_f32_f16 v49, v36, v12, v49
	;;#ASMEND
	;;#ASMSTART
	v_dot2_f32_f16 v56, v28, v12, v56
	;;#ASMEND
	;; [unrolled: 3-line block ×8, first 2 shown]
	s_waitcnt vmcnt(1)
	;;#ASMSTART
	v_dot2_f32_f16 v49, v32, v4, v49
	;;#ASMEND
	;;#ASMSTART
	v_dot2_f32_f16 v56, v24, v4, v56
	;;#ASMEND
	;; [unrolled: 3-line block ×6, first 2 shown]
	v_add_nc_u32_e32 v57, 0x1000, v57
	;;#ASMSTART
	v_dot2_f32_f16 v49, v35, v7, v49
	;;#ASMEND
	;;#ASMSTART
	v_dot2_f32_f16 v56, v27, v7, v56
	;;#ASMEND
	s_addk_i32 s17, 0x800
	s_waitcnt vmcnt(0)
	;;#ASMSTART
	v_dot2_f32_f16 v49, v20, v0, v49
	;;#ASMEND
	;;#ASMSTART
	v_dot2_f32_f16 v56, v8, v0, v56
	;;#ASMEND
	;;#ASMSTART
	v_dot2_f32_f16 v49, v21, v1, v49
	;;#ASMEND
	;;#ASMSTART
	v_dot2_f32_f16 v56, v9, v1, v56
	;;#ASMEND
	s_cmp_ge_u32 s17, s4
	;;#ASMSTART
	v_dot2_f32_f16 v49, v22, v2, v49
	;;#ASMEND
	;;#ASMSTART
	v_dot2_f32_f16 v56, v10, v2, v56
	;;#ASMEND
	;; [unrolled: 3-line block ×4, first 2 shown]
	s_cbranch_scc1 .LBB53_19
.LBB53_14:                              ;   Parent Loop BB53_8 Depth=1
                                        ; =>  This Inner Loop Header: Depth=2
	v_dual_mov_b32 v43, 0 :: v_dual_add_nc_u32 v10, s17, v52
	v_dual_mov_b32 v36, 0 :: v_dual_mov_b32 v33, 0
	v_dual_mov_b32 v38, 0 :: v_dual_mov_b32 v35, 0
	s_delay_alu instid0(VALU_DEP_3) | instskip(SKIP_2) | instid1(VALU_DEP_3)
	v_min_u32_e32 v50, s15, v10
	v_dual_mov_b32 v37, 0 :: v_dual_add_nc_u32 v62, 0x200, v10
	v_dual_mov_b32 v42, 0 :: v_dual_add_nc_u32 v61, 0x400, v10
	v_lshlrev_b64 v[0:1], 1, v[50:51]
	s_delay_alu instid0(VALU_DEP_3) | instskip(SKIP_2) | instid1(VALU_DEP_3)
	v_min_u32_e32 v50, s15, v62
	v_dual_mov_b32 v39, 0 :: v_dual_add_nc_u32 v60, 0x600, v10
	v_dual_mov_b32 v32, 0 :: v_dual_mov_b32 v21, 0
	v_lshlrev_b64 v[2:3], 1, v[50:51]
	v_min_u32_e32 v50, s15, v61
	v_add_co_u32 v0, vcc_lo, v58, v0
	v_add_co_ci_u32_e32 v1, vcc_lo, v59, v1, vcc_lo
	s_delay_alu instid0(VALU_DEP_3) | instskip(SKIP_3) | instid1(VALU_DEP_3)
	v_lshlrev_b64 v[4:5], 1, v[50:51]
	v_min_u32_e32 v50, s15, v60
	v_add_co_u32 v2, vcc_lo, v58, v2
	v_add_co_ci_u32_e32 v3, vcc_lo, v59, v3, vcc_lo
	v_lshlrev_b64 v[6:7], 1, v[50:51]
	v_add_co_u32 v4, vcc_lo, v58, v4
	v_add_co_ci_u32_e32 v5, vcc_lo, v59, v5, vcc_lo
	v_dual_mov_b32 v34, 0 :: v_dual_mov_b32 v23, 0
	s_delay_alu instid0(VALU_DEP_4)
	v_add_co_u32 v8, vcc_lo, v58, v6
	v_add_co_ci_u32_e32 v9, vcc_lo, v59, v7, vcc_lo
	s_clause 0x3
	global_load_b128 v[16:19], v[0:1], off slc dlc
	global_load_b128 v[12:15], v[2:3], off slc dlc
	;; [unrolled: 1-line block ×4, first 2 shown]
	v_cmp_gt_u32_e32 vcc_lo, s4, v10
	v_dual_mov_b32 v20, 0 :: v_dual_mov_b32 v45, 0
	v_dual_mov_b32 v22, 0 :: v_dual_mov_b32 v47, 0
	v_dual_mov_b32 v44, 0 :: v_dual_mov_b32 v29, 0
	v_dual_mov_b32 v46, 0 :: v_dual_mov_b32 v31, 0
	v_dual_mov_b32 v28, 0 :: v_dual_mov_b32 v25, 0
	v_dual_mov_b32 v30, 0 :: v_dual_mov_b32 v27, 0
	v_dual_mov_b32 v24, 0 :: v_dual_mov_b32 v9, 0
	v_dual_mov_b32 v26, 0 :: v_dual_mov_b32 v11, 0
	v_dual_mov_b32 v8, 0 :: v_dual_mov_b32 v41, 0
	v_mov_b32_e32 v10, 0
	v_mov_b32_e32 v40, 0
	s_and_saveexec_b32 s20, vcc_lo
	s_cbranch_execz .LBB53_13
; %bb.15:                               ;   in Loop: Header=BB53_14 Depth=2
	v_dual_mov_b32 v11, 0 :: v_dual_add_nc_u32 v50, s6, v57
	v_cmp_gt_u32_e32 vcc_lo, s4, v62
	v_dual_mov_b32 v10, 0 :: v_dual_mov_b32 v9, 0
	ds_load_b128 v[40:43], v57
	ds_load_b128 v[44:47], v50
	v_dual_mov_b32 v8, 0 :: v_dual_mov_b32 v27, 0
	v_dual_mov_b32 v26, 0 :: v_dual_mov_b32 v25, 0
	;; [unrolled: 1-line block ×10, first 2 shown]
	v_mov_b32_e32 v36, 0
	s_and_saveexec_b32 s21, vcc_lo
	s_cbranch_execz .LBB53_12
; %bb.16:                               ;   in Loop: Header=BB53_14 Depth=2
	ds_load_b128 v[36:39], v57 offset:1024
	ds_load_b128 v[28:31], v50 offset:1024
	v_dual_mov_b32 v11, 0 :: v_dual_mov_b32 v10, 0
	v_dual_mov_b32 v9, 0 :: v_dual_mov_b32 v8, 0
	;; [unrolled: 1-line block ×8, first 2 shown]
	s_mov_b32 s22, exec_lo
	v_cmpx_gt_u32_e64 s4, v61
	s_cbranch_execz .LBB53_11
; %bb.17:                               ;   in Loop: Header=BB53_14 Depth=2
	ds_load_b128 v[32:35], v57 offset:2048
	ds_load_b128 v[24:27], v50 offset:2048
	v_dual_mov_b32 v11, 0 :: v_dual_mov_b32 v10, 0
	v_dual_mov_b32 v9, 0 :: v_dual_mov_b32 v8, 0
	;; [unrolled: 1-line block ×4, first 2 shown]
	s_mov_b32 s23, exec_lo
	v_cmpx_gt_u32_e64 s4, v60
	s_cbranch_execz .LBB53_10
; %bb.18:                               ;   in Loop: Header=BB53_14 Depth=2
	ds_load_b128 v[20:23], v57 offset:3072
	ds_load_b128 v[8:11], v50 offset:3072
	s_branch .LBB53_10
.LBB53_19:                              ;   in Loop: Header=BB53_8 Depth=1
	; sched_barrier mask(0x00000000)
	s_delay_alu instid0(VALU_DEP_1) | instskip(SKIP_2) | instid1(VALU_DEP_2)
	v_cvt_i32_f32_e32 v0, v49
	s_waitcnt lgkmcnt(0)
	v_cvt_i32_f32_e32 v1, v56
	v_cvt_f32_i32_dpp v0, v0 row_shr:8 row_mask:0xf bank_mask:0xf bound_ctrl:1
	s_delay_alu instid0(VALU_DEP_2) | instskip(NEXT) | instid1(VALU_DEP_1)
	v_cvt_f32_i32_dpp v1, v1 row_shr:8 row_mask:0xf bank_mask:0xf bound_ctrl:1
	v_dual_add_f32 v0, v49, v0 :: v_dual_add_f32 v1, v56, v1
	s_delay_alu instid0(VALU_DEP_1) | instskip(NEXT) | instid1(VALU_DEP_2)
	v_cvt_i32_f32_e32 v2, v0
	v_cvt_i32_f32_e32 v3, v1
	s_delay_alu instid0(VALU_DEP_2) | instskip(NEXT) | instid1(VALU_DEP_2)
	v_cvt_f32_i32_dpp v2, v2 row_shr:4 row_mask:0xf bank_mask:0xf bound_ctrl:1
	v_cvt_f32_i32_dpp v3, v3 row_shr:4 row_mask:0xf bank_mask:0xf bound_ctrl:1
	s_delay_alu instid0(VALU_DEP_1) | instskip(NEXT) | instid1(VALU_DEP_1)
	v_dual_add_f32 v0, v0, v2 :: v_dual_add_f32 v1, v1, v3
	v_cvt_i32_f32_e32 v2, v0
	s_delay_alu instid0(VALU_DEP_2) | instskip(NEXT) | instid1(VALU_DEP_2)
	v_cvt_i32_f32_e32 v3, v1
	v_cvt_f32_i32_dpp v2, v2 row_shr:2 row_mask:0xf bank_mask:0xf bound_ctrl:1
	s_delay_alu instid0(VALU_DEP_2) | instskip(NEXT) | instid1(VALU_DEP_1)
	v_cvt_f32_i32_dpp v3, v3 row_shr:2 row_mask:0xf bank_mask:0xf bound_ctrl:1
	v_dual_add_f32 v0, v0, v2 :: v_dual_add_f32 v1, v1, v3
	v_xor_b32_e32 v2, 16, v55
	s_delay_alu instid0(VALU_DEP_2) | instskip(NEXT) | instid1(VALU_DEP_3)
	v_cvt_i32_f32_e32 v3, v0
	v_cvt_i32_f32_e32 v4, v1
	s_delay_alu instid0(VALU_DEP_3) | instskip(NEXT) | instid1(VALU_DEP_3)
	v_cmp_gt_i32_e32 vcc_lo, 32, v2
	v_cvt_f32_i32_dpp v3, v3 row_shr:1 row_mask:0xf bank_mask:0xf bound_ctrl:1
	s_delay_alu instid0(VALU_DEP_3) | instskip(SKIP_1) | instid1(VALU_DEP_1)
	v_cvt_f32_i32_dpp v4, v4 row_shr:1 row_mask:0xf bank_mask:0xf bound_ctrl:1
	v_cndmask_b32_e32 v2, v55, v2, vcc_lo
	v_dual_add_f32 v2, v0, v3 :: v_dual_lshlrev_b32 v5, 2, v2
	s_delay_alu instid0(VALU_DEP_3)
	v_add_f32_e32 v0, v1, v4
	ds_bpermute_b32 v3, v5, v2
	ds_bpermute_b32 v1, v5, v0
	s_and_saveexec_b32 s17, s0
	s_cbranch_execz .LBB53_7
; %bb.20:                               ;   in Loop: Header=BB53_8 Depth=1
	s_and_b32 vcc_lo, exec_lo, s19
	s_cbranch_vccz .LBB53_22
; %bb.21:                               ;   in Loop: Header=BB53_8 Depth=1
	v_mul_hi_u32 v4, v48, v54
	v_mov_b32_e32 v49, v51
	s_delay_alu instid0(VALU_DEP_2) | instskip(NEXT) | instid1(VALU_DEP_1)
	v_mul_lo_u32 v4, v4, s8
	v_sub_nc_u32_e32 v4, v48, v4
	s_delay_alu instid0(VALU_DEP_1) | instskip(SKIP_1) | instid1(VALU_DEP_2)
	v_subrev_nc_u32_e32 v5, s8, v4
	v_cmp_le_u32_e32 vcc_lo, s8, v4
	v_cndmask_b32_e32 v4, v4, v5, vcc_lo
	s_delay_alu instid0(VALU_DEP_1) | instskip(SKIP_1) | instid1(VALU_DEP_2)
	v_subrev_nc_u32_e32 v5, s8, v4
	v_cmp_le_u32_e32 vcc_lo, s8, v4
	v_cndmask_b32_e32 v50, v4, v5, vcc_lo
	s_delay_alu instid0(VALU_DEP_1) | instskip(SKIP_1) | instid1(VALU_DEP_1)
	v_lshlrev_b64 v[4:5], 1, v[50:51]
	v_add_nc_u32_e32 v50, s16, v50
	v_lshlrev_b64 v[6:7], 1, v[50:51]
	s_delay_alu instid0(VALU_DEP_3) | instskip(NEXT) | instid1(VALU_DEP_4)
	v_add_co_u32 v4, vcc_lo, s10, v4
	v_add_co_ci_u32_e32 v5, vcc_lo, s11, v5, vcc_lo
	s_delay_alu instid0(VALU_DEP_3) | instskip(NEXT) | instid1(VALU_DEP_4)
	v_add_co_u32 v6, vcc_lo, s10, v6
	v_add_co_ci_u32_e32 v7, vcc_lo, s11, v7, vcc_lo
	s_clause 0x1
	global_load_u16 v5, v[4:5], off
	global_load_u16 v4, v[6:7], off
	s_cbranch_execnz .LBB53_6
	s_branch .LBB53_23
.LBB53_22:                              ;   in Loop: Header=BB53_8 Depth=1
                                        ; implicit-def: $vgpr5
                                        ; implicit-def: $vgpr4
.LBB53_23:                              ;   in Loop: Header=BB53_8 Depth=1
	s_waitcnt vmcnt(0)
	v_dual_mov_b32 v49, v51 :: v_dual_mov_b32 v4, 0
	v_mov_b32_e32 v5, 0
	s_branch .LBB53_6
.LBB53_24:
	s_nop 0
	s_sendmsg sendmsg(MSG_DEALLOC_VGPRS)
	s_endpgm
	.section	.rodata,"a",@progbits
	.p2align	6, 0x0
	.amdhsa_kernel _Z16wvSplitK_hf_sml_I6__halfLi64ELi1ELi16ELi8ELi4ELi2EEviiiiiiPKT_S3_S3_PS1_ii
		.amdhsa_group_segment_fixed_size 65536
		.amdhsa_private_segment_fixed_size 0
		.amdhsa_kernarg_size 64
		.amdhsa_user_sgpr_count 15
		.amdhsa_user_sgpr_dispatch_ptr 0
		.amdhsa_user_sgpr_queue_ptr 0
		.amdhsa_user_sgpr_kernarg_segment_ptr 1
		.amdhsa_user_sgpr_dispatch_id 0
		.amdhsa_user_sgpr_private_segment_size 0
		.amdhsa_wavefront_size32 1
		.amdhsa_uses_dynamic_stack 0
		.amdhsa_enable_private_segment 0
		.amdhsa_system_sgpr_workgroup_id_x 1
		.amdhsa_system_sgpr_workgroup_id_y 0
		.amdhsa_system_sgpr_workgroup_id_z 0
		.amdhsa_system_sgpr_workgroup_info 0
		.amdhsa_system_vgpr_workitem_id 1
		.amdhsa_next_free_vgpr 63
		.amdhsa_next_free_sgpr 24
		.amdhsa_reserve_vcc 1
		.amdhsa_float_round_mode_32 0
		.amdhsa_float_round_mode_16_64 0
		.amdhsa_float_denorm_mode_32 3
		.amdhsa_float_denorm_mode_16_64 3
		.amdhsa_dx10_clamp 1
		.amdhsa_ieee_mode 1
		.amdhsa_fp16_overflow 0
		.amdhsa_workgroup_processor_mode 1
		.amdhsa_memory_ordered 1
		.amdhsa_forward_progress 0
		.amdhsa_shared_vgpr_count 0
		.amdhsa_exception_fp_ieee_invalid_op 0
		.amdhsa_exception_fp_denorm_src 0
		.amdhsa_exception_fp_ieee_div_zero 0
		.amdhsa_exception_fp_ieee_overflow 0
		.amdhsa_exception_fp_ieee_underflow 0
		.amdhsa_exception_fp_ieee_inexact 0
		.amdhsa_exception_int_div_zero 0
	.end_amdhsa_kernel
	.section	.text._Z16wvSplitK_hf_sml_I6__halfLi64ELi1ELi16ELi8ELi4ELi2EEviiiiiiPKT_S3_S3_PS1_ii,"axG",@progbits,_Z16wvSplitK_hf_sml_I6__halfLi64ELi1ELi16ELi8ELi4ELi2EEviiiiiiPKT_S3_S3_PS1_ii,comdat
.Lfunc_end53:
	.size	_Z16wvSplitK_hf_sml_I6__halfLi64ELi1ELi16ELi8ELi4ELi2EEviiiiiiPKT_S3_S3_PS1_ii, .Lfunc_end53-_Z16wvSplitK_hf_sml_I6__halfLi64ELi1ELi16ELi8ELi4ELi2EEviiiiiiPKT_S3_S3_PS1_ii
                                        ; -- End function
	.section	.AMDGPU.csdata,"",@progbits
; Kernel info:
; codeLenInByte = 2436
; NumSgprs: 26
; NumVgprs: 63
; ScratchSize: 0
; MemoryBound: 0
; FloatMode: 240
; IeeeMode: 1
; LDSByteSize: 65536 bytes/workgroup (compile time only)
; SGPRBlocks: 3
; VGPRBlocks: 7
; NumSGPRsForWavesPerEU: 26
; NumVGPRsForWavesPerEU: 63
; Occupancy: 16
; WaveLimiterHint : 0
; COMPUTE_PGM_RSRC2:SCRATCH_EN: 0
; COMPUTE_PGM_RSRC2:USER_SGPR: 15
; COMPUTE_PGM_RSRC2:TRAP_HANDLER: 0
; COMPUTE_PGM_RSRC2:TGID_X_EN: 1
; COMPUTE_PGM_RSRC2:TGID_Y_EN: 0
; COMPUTE_PGM_RSRC2:TGID_Z_EN: 0
; COMPUTE_PGM_RSRC2:TIDIG_COMP_CNT: 1
	.section	.text._Z12wvSplitK_hf_I6__halfLi64ELi1ELi16ELi8ELi4ELi2EEviiiiiiPKT_S3_S3_PS1_ii,"axG",@progbits,_Z12wvSplitK_hf_I6__halfLi64ELi1ELi16ELi8ELi4ELi2EEviiiiiiPKT_S3_S3_PS1_ii,comdat
	.protected	_Z12wvSplitK_hf_I6__halfLi64ELi1ELi16ELi8ELi4ELi2EEviiiiiiPKT_S3_S3_PS1_ii ; -- Begin function _Z12wvSplitK_hf_I6__halfLi64ELi1ELi16ELi8ELi4ELi2EEviiiiiiPKT_S3_S3_PS1_ii
	.globl	_Z12wvSplitK_hf_I6__halfLi64ELi1ELi16ELi8ELi4ELi2EEviiiiiiPKT_S3_S3_PS1_ii
	.p2align	8
	.type	_Z12wvSplitK_hf_I6__halfLi64ELi1ELi16ELi8ELi4ELi2EEviiiiiiPKT_S3_S3_PS1_ii,@function
_Z12wvSplitK_hf_I6__halfLi64ELi1ELi16ELi8ELi4ELi2EEviiiiiiPKT_S3_S3_PS1_ii: ; @_Z12wvSplitK_hf_I6__halfLi64ELi1ELi16ELi8ELi4ELi2EEviiiiiiPKT_S3_S3_PS1_ii
; %bb.0:
	s_clause 0x1
	s_load_b64 s[18:19], s[0:1], 0x38
	s_load_b128 s[4:7], s[0:1], 0x0
	v_bfe_u32 v1, v0, 10, 10
	s_clause 0x1
	s_load_b64 s[8:9], s[0:1], 0x20
	s_load_b64 s[10:11], s[0:1], 0x10
	v_mov_b32_e32 v56, 1
	s_waitcnt lgkmcnt(0)
	v_mad_u64_u32 v[48:49], null, s15, s18, v[1:2]
	s_delay_alu instid0(VALU_DEP_1) | instskip(SKIP_1) | instid1(VALU_DEP_2)
	v_add_nc_u32_e32 v2, 1, v48
	v_cmp_gt_u32_e32 vcc_lo, s7, v48
	v_cmp_le_u32_e64 s2, s7, v2
	s_delay_alu instid0(VALU_DEP_1) | instskip(NEXT) | instid1(SALU_CYCLE_1)
	s_and_b32 s3, vcc_lo, s2
	s_and_saveexec_b32 s2, s3
; %bb.1:
	v_subrev_nc_u32_e32 v2, s7, v48
	s_add_i32 s3, s7, -1
	s_delay_alu instid0(SALU_CYCLE_1) | instskip(NEXT) | instid1(VALU_DEP_2)
	v_mov_b32_e32 v48, s3
	v_cmp_eq_u32_e32 vcc_lo, -1, v2
	v_cndmask_b32_e64 v56, 0, 1, vcc_lo
; %bb.2:
	s_or_b32 exec_lo, exec_lo, s2
	s_load_b64 s[12:13], s[0:1], 0x28
	v_and_b32_e32 v0, 0x3ff, v0
	s_lshl_b32 s3, s6, 1
	s_mov_b32 s15, exec_lo
	s_min_u32 s14, s3, 0x8000
	s_delay_alu instid0(VALU_DEP_1) | instskip(NEXT) | instid1(VALU_DEP_1)
	v_lshlrev_b32_e32 v57, 3, v0
	v_lshl_add_u32 v4, v1, 9, v57
	s_delay_alu instid0(VALU_DEP_1)
	v_cmpx_gt_u32_e64 s14, v4
	s_cbranch_execz .LBB54_5
; %bb.3:
	v_lshlrev_b32_e32 v5, 10, v1
	v_lshlrev_b32_e32 v6, 4, v0
	s_mov_b32 s16, 0
	s_delay_alu instid0(VALU_DEP_1) | instskip(NEXT) | instid1(VALU_DEP_1)
	v_add_co_u32 v2, s2, v5, v6
	v_add_co_ci_u32_e64 v3, null, 0, 0, s2
	v_add_nc_u32_e32 v5, v5, v6
	s_delay_alu instid0(VALU_DEP_3) | instskip(NEXT) | instid1(VALU_DEP_3)
	v_add_co_u32 v2, vcc_lo, s8, v2
	v_add_co_ci_u32_e32 v3, vcc_lo, s9, v3, vcc_lo
	.p2align	6
.LBB54_4:                               ; =>This Inner Loop Header: Depth=1
	global_load_b128 v[6:9], v[2:3], off
	v_add_nc_u32_e32 v4, 0x2000, v4
	v_add_co_u32 v2, vcc_lo, 0x4000, v2
	v_add_co_ci_u32_e32 v3, vcc_lo, 0, v3, vcc_lo
	s_delay_alu instid0(VALU_DEP_3) | instskip(NEXT) | instid1(VALU_DEP_1)
	v_cmp_le_u32_e64 s2, s14, v4
	s_or_b32 s16, s2, s16
	s_waitcnt vmcnt(0)
	ds_store_b128 v5, v[6:9]
	v_add_nc_u32_e32 v5, 0x4000, v5
	s_and_not1_b32 exec_lo, exec_lo, s16
	s_cbranch_execnz .LBB54_4
.LBB54_5:
	s_or_b32 exec_lo, exec_lo, s15
	v_cmp_gt_u32_e32 vcc_lo, s18, v1
	v_cmp_gt_u32_e64 s2, s7, v48
	s_waitcnt lgkmcnt(0)
	s_barrier
	buffer_gl0_inv
	s_and_b32 s2, vcc_lo, s2
	s_delay_alu instid0(SALU_CYCLE_1)
	s_and_saveexec_b32 s14, s2
	s_cbranch_execz .LBB54_56
; %bb.6:
	v_cvt_f32_u32_e32 v1, s10
	s_cmp_lg_u32 s4, 0
	s_clause 0x1
	s_load_b64 s[14:15], s[0:1], 0x18
	s_load_b64 s[16:17], s[0:1], 0x30
	s_cselect_b32 s20, -1, 0
	s_add_i32 s21, s4, -8
	v_rcp_iflag_f32_e32 v1, v1
	s_add_i32 s22, s7, -1
	s_cmp_lg_u64 s[12:13], 0
	s_mul_i32 s18, s19, s18
	s_cselect_b32 s23, -1, 0
	s_sub_i32 s2, 0, s10
	s_sub_i32 s1, s18, s7
	v_cmp_eq_u32_e64 s0, 63, v0
	v_add_nc_u32_e32 v59, s6, v57
	v_mbcnt_lo_u32_b32 v61, -1, 0
	s_waitcnt_depctr 0xfff
	v_dual_mul_f32 v1, 0x4f7ffffe, v1 :: v_dual_lshlrev_b32 v58, 4, v0
	s_delay_alu instid0(VALU_DEP_1) | instskip(NEXT) | instid1(VALU_DEP_1)
	v_cvt_u32_f32_e32 v1, v1
	v_mul_lo_u32 v2, s2, v1
	s_abs_i32 s2, s11
	s_add_i32 s11, s1, 2
	s_sub_i32 s1, 1, s2
	s_cmp_lt_u32 s2, 2
	s_cselect_b32 s1, s1, 1
	s_delay_alu instid0(SALU_CYCLE_1) | instskip(NEXT) | instid1(VALU_DEP_1)
	s_sub_i32 s6, s1, s2
	v_mul_hi_u32 v0, v1, v2
	s_cmp_ge_u32 s1, s2
	v_mov_b32_e32 v51, 0
	s_cselect_b32 s19, s6, s1
	s_mov_b32 s6, 0
	s_mul_i32 s19, s19, s10
	s_delay_alu instid0(VALU_DEP_2)
	v_add_nc_u32_e32 v60, v1, v0
	s_branch .LBB54_8
.LBB54_7:                               ;   in Loop: Header=BB54_8 Depth=1
	s_or_b32 exec_lo, exec_lo, s1
	v_add_nc_u32_e32 v0, s18, v48
	s_waitcnt lgkmcnt(0)
	s_delay_alu instid0(VALU_DEP_1) | instskip(SKIP_1) | instid1(VALU_DEP_2)
	v_add_nc_u32_e32 v1, 1, v0
	v_cmp_le_u32_e32 vcc_lo, s7, v0
	v_cmp_gt_u32_e64 s1, s7, v1
	v_add_nc_u32_e32 v1, s11, v48
	s_delay_alu instid0(VALU_DEP_2) | instskip(NEXT) | instid1(VALU_DEP_1)
	s_or_b32 vcc_lo, vcc_lo, s1
	v_cmp_eq_u32_e64 s1, 1, v1
	v_cndmask_b32_e32 v48, s22, v0, vcc_lo
	s_delay_alu instid0(VALU_DEP_2) | instskip(NEXT) | instid1(VALU_DEP_1)
	s_or_b32 vcc_lo, vcc_lo, s1
	v_cmp_le_u32_e64 s2, s7, v48
	v_cndmask_b32_e32 v56, 0, v56, vcc_lo
	s_delay_alu instid0(VALU_DEP_2) | instskip(NEXT) | instid1(SALU_CYCLE_1)
	s_or_b32 s6, s2, s6
	s_and_not1_b32 exec_lo, exec_lo, s6
	s_cbranch_execz .LBB54_56
.LBB54_8:                               ; =>This Loop Header: Depth=1
                                        ;     Child Loop BB54_15 Depth 2
	v_mov_b32_e32 v63, v51
	v_mov_b32_e32 v62, v51
	s_and_not1_b32 vcc_lo, exec_lo, s20
	s_cbranch_vccnz .LBB54_51
; %bb.9:                                ;   in Loop: Header=BB54_8 Depth=1
	v_min_u32_e32 v0, s22, v48
	v_dual_mov_b32 v62, 0 :: v_dual_mov_b32 v63, 0
	v_mov_b32_e32 v64, v58
	s_mov_b32 s1, 0
	s_delay_alu instid0(VALU_DEP_3) | instskip(NEXT) | instid1(VALU_DEP_1)
	v_mul_lo_u32 v50, v0, s5
	v_lshlrev_b64 v[0:1], 1, v[50:51]
	s_waitcnt lgkmcnt(0)
	s_delay_alu instid0(VALU_DEP_1) | instskip(NEXT) | instid1(VALU_DEP_2)
	v_add_co_u32 v65, vcc_lo, s14, v0
	v_add_co_ci_u32_e32 v66, vcc_lo, s15, v1, vcc_lo
	s_branch .LBB54_15
.LBB54_10:                              ;   in Loop: Header=BB54_15 Depth=2
	s_or_b32 exec_lo, exec_lo, s27
.LBB54_11:                              ;   in Loop: Header=BB54_15 Depth=2
	s_delay_alu instid0(SALU_CYCLE_1)
	s_or_b32 exec_lo, exec_lo, s26
.LBB54_12:                              ;   in Loop: Header=BB54_15 Depth=2
	s_delay_alu instid0(SALU_CYCLE_1)
	s_or_b32 exec_lo, exec_lo, s25
.LBB54_13:                              ;   in Loop: Header=BB54_15 Depth=2
	s_delay_alu instid0(SALU_CYCLE_1)
	s_or_b32 exec_lo, exec_lo, s24
.LBB54_14:                              ;   in Loop: Header=BB54_15 Depth=2
	s_delay_alu instid0(SALU_CYCLE_1)
	s_or_b32 exec_lo, exec_lo, s2
	s_waitcnt vmcnt(0) lgkmcnt(0)
	;;#ASMSTART
	v_dot2_f32_f16 v62, v16, v12, v62
	;;#ASMEND
	;;#ASMSTART
	v_dot2_f32_f16 v63, v20, v12, v63
	;;#ASMEND
	;; [unrolled: 3-line block ×22, first 2 shown]
	v_add_nc_u32_e32 v64, 0x1000, v64
	;;#ASMSTART
	v_dot2_f32_f16 v62, v39, v7, v62
	;;#ASMEND
	;;#ASMSTART
	v_dot2_f32_f16 v63, v35, v7, v63
	;;#ASMEND
	s_addk_i32 s1, 0x800
	;;#ASMSTART
	v_dot2_f32_f16 v62, v44, v0, v62
	;;#ASMEND
	;;#ASMSTART
	v_dot2_f32_f16 v63, v40, v0, v63
	;;#ASMEND
	;; [unrolled: 3-line block ×4, first 2 shown]
	s_cmp_ge_u32 s1, s4
	;;#ASMSTART
	v_dot2_f32_f16 v62, v46, v2, v62
	;;#ASMEND
	;;#ASMSTART
	v_dot2_f32_f16 v63, v42, v2, v63
	;;#ASMEND
	;; [unrolled: 3-line block ×4, first 2 shown]
	s_cbranch_scc1 .LBB54_51
.LBB54_15:                              ;   Parent Loop BB54_8 Depth=1
                                        ; =>  This Inner Loop Header: Depth=2
	v_add_nc_u32_e32 v49, s1, v57
	v_dual_mov_b32 v41, 0 :: v_dual_mov_b32 v40, 0
	v_dual_mov_b32 v35, 0 :: v_dual_mov_b32 v34, 0
	s_delay_alu instid0(VALU_DEP_3) | instskip(SKIP_3) | instid1(VALU_DEP_4)
	v_min_u32_e32 v50, s21, v49
	v_add_nc_u32_e32 v54, 0x200, v49
	v_dual_mov_b32 v42, 0 :: v_dual_add_nc_u32 v53, 0x400, v49
	v_dual_mov_b32 v43, 0 :: v_dual_add_nc_u32 v52, 0x600, v49
	v_lshlrev_b64 v[0:1], 1, v[50:51]
	s_delay_alu instid0(VALU_DEP_4) | instskip(SKIP_2) | instid1(VALU_DEP_3)
	v_min_u32_e32 v50, s21, v54
	v_dual_mov_b32 v33, 0 :: v_dual_mov_b32 v32, 0
	v_dual_mov_b32 v27, 0 :: v_dual_mov_b32 v26, 0
	v_lshlrev_b64 v[2:3], 1, v[50:51]
	v_min_u32_e32 v50, s21, v53
	v_add_co_u32 v0, vcc_lo, v65, v0
	v_add_co_ci_u32_e32 v1, vcc_lo, v66, v1, vcc_lo
	s_waitcnt vmcnt(0)
	s_delay_alu instid0(VALU_DEP_3) | instskip(SKIP_3) | instid1(VALU_DEP_3)
	v_lshlrev_b64 v[4:5], 1, v[50:51]
	v_min_u32_e32 v50, s21, v52
	v_add_co_u32 v2, vcc_lo, v65, v2
	v_add_co_ci_u32_e32 v3, vcc_lo, v66, v3, vcc_lo
	v_lshlrev_b64 v[6:7], 1, v[50:51]
	v_add_co_u32 v4, vcc_lo, v65, v4
	v_add_co_ci_u32_e32 v5, vcc_lo, v66, v5, vcc_lo
	v_dual_mov_b32 v25, 0 :: v_dual_mov_b32 v24, 0
	s_delay_alu instid0(VALU_DEP_4)
	v_add_co_u32 v16, vcc_lo, v65, v6
	v_add_co_ci_u32_e32 v17, vcc_lo, v66, v7, vcc_lo
	s_clause 0x3
	global_load_b128 v[12:15], v[0:1], off slc dlc
	global_load_b128 v[8:11], v[2:3], off slc dlc
	global_load_b128 v[4:7], v[4:5], off slc dlc
	global_load_b128 v[0:3], v[16:17], off slc dlc
	v_mov_b32_e32 v16, 0
	v_cmp_gt_u32_e32 vcc_lo, s4, v49
	v_mov_b32_e32 v17, 0
	v_dual_mov_b32 v23, 0 :: v_dual_mov_b32 v22, 0
	v_dual_mov_b32 v21, 0 :: v_dual_mov_b32 v20, 0
	;; [unrolled: 1-line block ×9, first 2 shown]
	s_and_saveexec_b32 s2, vcc_lo
	s_cbranch_execz .LBB54_14
; %bb.16:                               ;   in Loop: Header=BB54_15 Depth=2
	s_mov_b32 s24, exec_lo
                                        ; implicit-def: $vgpr16
	v_cmpx_lt_u32_e32 0x7fff, v49
	s_xor_b32 s24, exec_lo, s24
	s_cbranch_execz .LBB54_18
; %bb.17:                               ;   in Loop: Header=BB54_15 Depth=2
	v_mov_b32_e32 v50, v51
	s_delay_alu instid0(VALU_DEP_1) | instskip(NEXT) | instid1(VALU_DEP_1)
	v_lshlrev_b64 v[16:17], 1, v[49:50]
	v_add_co_u32 v16, vcc_lo, s8, v16
	s_delay_alu instid0(VALU_DEP_2)
	v_add_co_ci_u32_e32 v17, vcc_lo, s9, v17, vcc_lo
	global_load_b128 v[16:19], v[16:17], off
.LBB54_18:                              ;   in Loop: Header=BB54_15 Depth=2
	s_and_not1_saveexec_b32 s24, s24
	s_cbranch_execz .LBB54_20
; %bb.19:                               ;   in Loop: Header=BB54_15 Depth=2
	s_waitcnt vmcnt(0)
	ds_load_b128 v[16:19], v64
.LBB54_20:                              ;   in Loop: Header=BB54_15 Depth=2
	s_or_b32 exec_lo, exec_lo, s24
	v_add_nc_u32_e32 v50, s1, v59
	s_mov_b32 s24, exec_lo
                                        ; implicit-def: $vgpr23
	s_delay_alu instid0(VALU_DEP_1)
	v_cmpx_lt_u32_e32 0x7fff, v50
	s_xor_b32 s24, exec_lo, s24
	s_cbranch_execz .LBB54_22
; %bb.21:                               ;   in Loop: Header=BB54_15 Depth=2
	v_lshlrev_b64 v[20:21], 1, v[50:51]
	s_delay_alu instid0(VALU_DEP_1) | instskip(NEXT) | instid1(VALU_DEP_2)
	v_add_co_u32 v20, vcc_lo, s8, v20
	v_add_co_ci_u32_e32 v21, vcc_lo, s9, v21, vcc_lo
	global_load_b128 v[20:23], v[20:21], off
.LBB54_22:                              ;   in Loop: Header=BB54_15 Depth=2
	s_and_not1_saveexec_b32 s24, s24
	s_cbranch_execz .LBB54_24
; %bb.23:                               ;   in Loop: Header=BB54_15 Depth=2
	s_waitcnt vmcnt(0)
	v_add_nc_u32_e32 v20, s3, v64
	ds_load_b128 v[20:23], v20
.LBB54_24:                              ;   in Loop: Header=BB54_15 Depth=2
	s_or_b32 exec_lo, exec_lo, s24
	v_cmp_gt_u32_e32 vcc_lo, s4, v54
	v_dual_mov_b32 v43, 0 :: v_dual_mov_b32 v42, 0
	v_dual_mov_b32 v41, 0 :: v_dual_mov_b32 v40, 0
	;; [unrolled: 1-line block ×12, first 2 shown]
	s_and_saveexec_b32 s24, vcc_lo
	s_cbranch_execz .LBB54_13
; %bb.25:                               ;   in Loop: Header=BB54_15 Depth=2
	s_mov_b32 s25, exec_lo
                                        ; implicit-def: $vgpr31
	v_cmpx_lt_u32_e32 0x7fff, v54
	s_xor_b32 s25, exec_lo, s25
	s_cbranch_execz .LBB54_27
; %bb.26:                               ;   in Loop: Header=BB54_15 Depth=2
	v_mov_b32_e32 v55, v51
	s_delay_alu instid0(VALU_DEP_1) | instskip(NEXT) | instid1(VALU_DEP_1)
	v_lshlrev_b64 v[24:25], 1, v[54:55]
	v_add_co_u32 v24, vcc_lo, s8, v24
	s_delay_alu instid0(VALU_DEP_2)
	v_add_co_ci_u32_e32 v25, vcc_lo, s9, v25, vcc_lo
	global_load_b128 v[28:31], v[24:25], off
.LBB54_27:                              ;   in Loop: Header=BB54_15 Depth=2
	s_and_not1_saveexec_b32 s25, s25
	s_cbranch_execz .LBB54_29
; %bb.28:                               ;   in Loop: Header=BB54_15 Depth=2
	s_waitcnt vmcnt(0)
	ds_load_b128 v[28:31], v64 offset:1024
.LBB54_29:                              ;   in Loop: Header=BB54_15 Depth=2
	s_or_b32 exec_lo, exec_lo, s25
	v_add_nc_u32_e32 v24, 0x200, v50
	s_mov_b32 s25, exec_lo
                                        ; implicit-def: $vgpr27
	s_delay_alu instid0(VALU_DEP_1)
	v_cmpx_lt_u32_e32 0x7fff, v24
	s_xor_b32 s25, exec_lo, s25
	s_cbranch_execz .LBB54_31
; %bb.30:                               ;   in Loop: Header=BB54_15 Depth=2
	v_mov_b32_e32 v25, v51
	s_delay_alu instid0(VALU_DEP_1) | instskip(NEXT) | instid1(VALU_DEP_1)
	v_lshlrev_b64 v[24:25], 1, v[24:25]
	v_add_co_u32 v24, vcc_lo, s8, v24
	s_delay_alu instid0(VALU_DEP_2)
	v_add_co_ci_u32_e32 v25, vcc_lo, s9, v25, vcc_lo
	global_load_b128 v[24:27], v[24:25], off
.LBB54_31:                              ;   in Loop: Header=BB54_15 Depth=2
	s_and_not1_saveexec_b32 s25, s25
	s_cbranch_execz .LBB54_33
; %bb.32:                               ;   in Loop: Header=BB54_15 Depth=2
	s_waitcnt vmcnt(0)
	v_add_nc_u32_e32 v24, s3, v64
	ds_load_b128 v[24:27], v24 offset:1024
.LBB54_33:                              ;   in Loop: Header=BB54_15 Depth=2
	s_or_b32 exec_lo, exec_lo, s25
	v_dual_mov_b32 v43, 0 :: v_dual_mov_b32 v42, 0
	v_dual_mov_b32 v41, 0 :: v_dual_mov_b32 v40, 0
	;; [unrolled: 1-line block ×8, first 2 shown]
	s_mov_b32 s25, exec_lo
	v_cmpx_gt_u32_e64 s4, v53
	s_cbranch_execz .LBB54_12
; %bb.34:                               ;   in Loop: Header=BB54_15 Depth=2
	s_mov_b32 s26, exec_lo
                                        ; implicit-def: $vgpr39
	v_cmpx_lt_u32_e32 0x7fff, v53
	s_xor_b32 s26, exec_lo, s26
	s_cbranch_execz .LBB54_36
; %bb.35:                               ;   in Loop: Header=BB54_15 Depth=2
	v_mov_b32_e32 v54, v51
	s_delay_alu instid0(VALU_DEP_1) | instskip(NEXT) | instid1(VALU_DEP_1)
	v_lshlrev_b64 v[32:33], 1, v[53:54]
	v_add_co_u32 v32, vcc_lo, s8, v32
	s_delay_alu instid0(VALU_DEP_2)
	v_add_co_ci_u32_e32 v33, vcc_lo, s9, v33, vcc_lo
	global_load_b128 v[36:39], v[32:33], off
.LBB54_36:                              ;   in Loop: Header=BB54_15 Depth=2
	s_and_not1_saveexec_b32 s26, s26
	s_cbranch_execz .LBB54_38
; %bb.37:                               ;   in Loop: Header=BB54_15 Depth=2
	s_waitcnt vmcnt(0)
	ds_load_b128 v[36:39], v64 offset:2048
.LBB54_38:                              ;   in Loop: Header=BB54_15 Depth=2
	s_or_b32 exec_lo, exec_lo, s26
	v_add_nc_u32_e32 v32, 0x400, v50
	s_mov_b32 s26, exec_lo
                                        ; implicit-def: $vgpr35
	s_delay_alu instid0(VALU_DEP_1)
	v_cmpx_lt_u32_e32 0x7fff, v32
	s_xor_b32 s26, exec_lo, s26
	s_cbranch_execz .LBB54_40
; %bb.39:                               ;   in Loop: Header=BB54_15 Depth=2
	v_mov_b32_e32 v33, v51
	s_delay_alu instid0(VALU_DEP_1) | instskip(NEXT) | instid1(VALU_DEP_1)
	v_lshlrev_b64 v[32:33], 1, v[32:33]
	v_add_co_u32 v32, vcc_lo, s8, v32
	s_delay_alu instid0(VALU_DEP_2)
	v_add_co_ci_u32_e32 v33, vcc_lo, s9, v33, vcc_lo
	global_load_b128 v[32:35], v[32:33], off
.LBB54_40:                              ;   in Loop: Header=BB54_15 Depth=2
	s_and_not1_saveexec_b32 s26, s26
	s_cbranch_execz .LBB54_42
; %bb.41:                               ;   in Loop: Header=BB54_15 Depth=2
	s_waitcnt vmcnt(0)
	v_add_nc_u32_e32 v32, s3, v64
	ds_load_b128 v[32:35], v32 offset:2048
.LBB54_42:                              ;   in Loop: Header=BB54_15 Depth=2
	s_or_b32 exec_lo, exec_lo, s26
	v_dual_mov_b32 v43, 0 :: v_dual_mov_b32 v42, 0
	v_dual_mov_b32 v41, 0 :: v_dual_mov_b32 v40, 0
	;; [unrolled: 1-line block ×4, first 2 shown]
	s_mov_b32 s26, exec_lo
	v_cmpx_gt_u32_e64 s4, v52
	s_cbranch_execz .LBB54_11
; %bb.43:                               ;   in Loop: Header=BB54_15 Depth=2
	s_mov_b32 s27, exec_lo
                                        ; implicit-def: $vgpr47
	v_cmpx_lt_u32_e32 0x7fff, v52
	s_xor_b32 s27, exec_lo, s27
	s_cbranch_execz .LBB54_45
; %bb.44:                               ;   in Loop: Header=BB54_15 Depth=2
	v_mov_b32_e32 v53, v51
	s_delay_alu instid0(VALU_DEP_1) | instskip(NEXT) | instid1(VALU_DEP_1)
	v_lshlrev_b64 v[40:41], 1, v[52:53]
	v_add_co_u32 v40, vcc_lo, s8, v40
	s_delay_alu instid0(VALU_DEP_2)
	v_add_co_ci_u32_e32 v41, vcc_lo, s9, v41, vcc_lo
	global_load_b128 v[44:47], v[40:41], off
.LBB54_45:                              ;   in Loop: Header=BB54_15 Depth=2
	s_and_not1_saveexec_b32 s27, s27
	s_cbranch_execz .LBB54_47
; %bb.46:                               ;   in Loop: Header=BB54_15 Depth=2
	s_waitcnt vmcnt(0)
	ds_load_b128 v[44:47], v64 offset:3072
.LBB54_47:                              ;   in Loop: Header=BB54_15 Depth=2
	s_or_b32 exec_lo, exec_lo, s27
	v_add_nc_u32_e32 v50, 0x600, v50
	s_mov_b32 s27, exec_lo
                                        ; implicit-def: $vgpr43
	s_delay_alu instid0(VALU_DEP_1)
	v_cmpx_lt_u32_e32 0x7fff, v50
	s_xor_b32 s27, exec_lo, s27
	s_cbranch_execz .LBB54_49
; %bb.48:                               ;   in Loop: Header=BB54_15 Depth=2
	v_lshlrev_b64 v[40:41], 1, v[50:51]
	s_delay_alu instid0(VALU_DEP_1) | instskip(NEXT) | instid1(VALU_DEP_2)
	v_add_co_u32 v40, vcc_lo, s8, v40
	v_add_co_ci_u32_e32 v41, vcc_lo, s9, v41, vcc_lo
	global_load_b128 v[40:43], v[40:41], off
.LBB54_49:                              ;   in Loop: Header=BB54_15 Depth=2
	s_and_not1_saveexec_b32 s27, s27
	s_cbranch_execz .LBB54_10
; %bb.50:                               ;   in Loop: Header=BB54_15 Depth=2
	s_waitcnt vmcnt(0)
	v_add_nc_u32_e32 v40, s3, v64
	ds_load_b128 v[40:43], v40 offset:3072
	s_branch .LBB54_10
.LBB54_51:                              ;   in Loop: Header=BB54_8 Depth=1
	s_delay_alu instid0(VALU_DEP_1) | instskip(SKIP_1) | instid1(VALU_DEP_2)
	v_cvt_i32_f32_e32 v0, v62
	v_cvt_i32_f32_e32 v1, v63
	v_cvt_f32_i32_dpp v0, v0 row_shr:8 row_mask:0xf bank_mask:0xf bound_ctrl:1
	s_delay_alu instid0(VALU_DEP_2) | instskip(NEXT) | instid1(VALU_DEP_1)
	v_cvt_f32_i32_dpp v1, v1 row_shr:8 row_mask:0xf bank_mask:0xf bound_ctrl:1
	v_dual_add_f32 v0, v62, v0 :: v_dual_add_f32 v1, v63, v1
	s_delay_alu instid0(VALU_DEP_1) | instskip(NEXT) | instid1(VALU_DEP_2)
	v_cvt_i32_f32_e32 v2, v0
	v_cvt_i32_f32_e32 v3, v1
	s_delay_alu instid0(VALU_DEP_2) | instskip(NEXT) | instid1(VALU_DEP_2)
	v_cvt_f32_i32_dpp v2, v2 row_shr:4 row_mask:0xf bank_mask:0xf bound_ctrl:1
	v_cvt_f32_i32_dpp v3, v3 row_shr:4 row_mask:0xf bank_mask:0xf bound_ctrl:1
	s_delay_alu instid0(VALU_DEP_1) | instskip(NEXT) | instid1(VALU_DEP_1)
	v_dual_add_f32 v0, v0, v2 :: v_dual_add_f32 v1, v1, v3
	v_cvt_i32_f32_e32 v2, v0
	s_delay_alu instid0(VALU_DEP_2) | instskip(NEXT) | instid1(VALU_DEP_2)
	v_cvt_i32_f32_e32 v3, v1
	v_cvt_f32_i32_dpp v2, v2 row_shr:2 row_mask:0xf bank_mask:0xf bound_ctrl:1
	s_delay_alu instid0(VALU_DEP_2) | instskip(NEXT) | instid1(VALU_DEP_1)
	v_cvt_f32_i32_dpp v3, v3 row_shr:2 row_mask:0xf bank_mask:0xf bound_ctrl:1
	v_dual_add_f32 v0, v0, v2 :: v_dual_add_f32 v1, v1, v3
	v_xor_b32_e32 v2, 16, v61
	s_delay_alu instid0(VALU_DEP_2) | instskip(SKIP_1) | instid1(VALU_DEP_3)
	v_cvt_i32_f32_e32 v3, v0
	s_waitcnt vmcnt(0)
	v_cvt_i32_f32_e32 v4, v1
	s_delay_alu instid0(VALU_DEP_3) | instskip(NEXT) | instid1(VALU_DEP_3)
	v_cmp_gt_i32_e32 vcc_lo, 32, v2
	v_cvt_f32_i32_dpp v3, v3 row_shr:1 row_mask:0xf bank_mask:0xf bound_ctrl:1
	s_delay_alu instid0(VALU_DEP_3) | instskip(SKIP_1) | instid1(VALU_DEP_1)
	v_cvt_f32_i32_dpp v4, v4 row_shr:1 row_mask:0xf bank_mask:0xf bound_ctrl:1
	v_cndmask_b32_e32 v2, v61, v2, vcc_lo
	v_dual_add_f32 v2, v0, v3 :: v_dual_lshlrev_b32 v5, 2, v2
	s_delay_alu instid0(VALU_DEP_3)
	v_add_f32_e32 v0, v1, v4
	ds_bpermute_b32 v3, v5, v2
	ds_bpermute_b32 v1, v5, v0
	s_and_saveexec_b32 s1, s0
	s_cbranch_execz .LBB54_7
; %bb.52:                               ;   in Loop: Header=BB54_8 Depth=1
	v_dual_mov_b32 v4, 0 :: v_dual_mov_b32 v5, 0
	s_and_not1_b32 vcc_lo, exec_lo, s23
	s_cbranch_vccnz .LBB54_54
; %bb.53:                               ;   in Loop: Header=BB54_8 Depth=1
	v_mul_hi_u32 v4, v48, v60
	s_delay_alu instid0(VALU_DEP_1) | instskip(NEXT) | instid1(VALU_DEP_1)
	v_mul_lo_u32 v4, v4, s10
	v_sub_nc_u32_e32 v4, v48, v4
	s_delay_alu instid0(VALU_DEP_1) | instskip(SKIP_1) | instid1(VALU_DEP_2)
	v_subrev_nc_u32_e32 v5, s10, v4
	v_cmp_le_u32_e32 vcc_lo, s10, v4
	v_cndmask_b32_e32 v4, v4, v5, vcc_lo
	s_delay_alu instid0(VALU_DEP_1) | instskip(SKIP_1) | instid1(VALU_DEP_2)
	v_subrev_nc_u32_e32 v5, s10, v4
	v_cmp_le_u32_e32 vcc_lo, s10, v4
	v_cndmask_b32_e32 v50, v4, v5, vcc_lo
	s_delay_alu instid0(VALU_DEP_1) | instskip(SKIP_1) | instid1(VALU_DEP_1)
	v_lshlrev_b64 v[4:5], 1, v[50:51]
	v_add_nc_u32_e32 v50, s19, v50
	v_lshlrev_b64 v[6:7], 1, v[50:51]
	s_delay_alu instid0(VALU_DEP_3) | instskip(NEXT) | instid1(VALU_DEP_4)
	v_add_co_u32 v4, vcc_lo, s12, v4
	v_add_co_ci_u32_e32 v5, vcc_lo, s13, v5, vcc_lo
	s_delay_alu instid0(VALU_DEP_3) | instskip(NEXT) | instid1(VALU_DEP_4)
	v_add_co_u32 v6, vcc_lo, s12, v6
	v_add_co_ci_u32_e32 v7, vcc_lo, s13, v7, vcc_lo
	s_clause 0x1
	global_load_u16 v5, v[4:5], off
	global_load_u16 v4, v[6:7], off
.LBB54_54:                              ;   in Loop: Header=BB54_8 Depth=1
	v_cmp_ne_u32_e32 vcc_lo, 0, v56
	s_and_b32 exec_lo, exec_lo, vcc_lo
	s_cbranch_execz .LBB54_7
; %bb.55:                               ;   in Loop: Header=BB54_8 Depth=1
	s_waitcnt lgkmcnt(0)
	v_dual_add_f32 v2, v2, v3 :: v_dual_mov_b32 v49, v51
	s_waitcnt vmcnt(1)
	v_cvt_f32_f16_e32 v3, v5
	v_dual_add_f32 v5, v0, v1 :: v_dual_add_nc_u32 v50, s7, v48
	s_waitcnt vmcnt(0)
	v_cvt_f32_f16_e32 v4, v4
	v_lshlrev_b64 v[0:1], 1, v[48:49]
	v_add_f32_e32 v6, v2, v3
	v_lshlrev_b64 v[2:3], 1, v[50:51]
	s_delay_alu instid0(VALU_DEP_4) | instskip(NEXT) | instid1(VALU_DEP_4)
	v_add_f32_e32 v4, v5, v4
	v_add_co_u32 v0, vcc_lo, s16, v0
	v_add_co_ci_u32_e32 v1, vcc_lo, s17, v1, vcc_lo
	s_delay_alu instid0(VALU_DEP_4)
	v_add_co_u32 v2, vcc_lo, s16, v2
	v_cvt_f16_f32_e32 v5, v6
	v_cvt_f16_f32_e32 v4, v4
	v_add_co_ci_u32_e32 v3, vcc_lo, s17, v3, vcc_lo
	s_clause 0x1
	global_store_b16 v[0:1], v5, off
	global_store_b16 v[2:3], v4, off
	s_branch .LBB54_7
.LBB54_56:
	s_nop 0
	s_sendmsg sendmsg(MSG_DEALLOC_VGPRS)
	s_endpgm
	.section	.rodata,"a",@progbits
	.p2align	6, 0x0
	.amdhsa_kernel _Z12wvSplitK_hf_I6__halfLi64ELi1ELi16ELi8ELi4ELi2EEviiiiiiPKT_S3_S3_PS1_ii
		.amdhsa_group_segment_fixed_size 65536
		.amdhsa_private_segment_fixed_size 0
		.amdhsa_kernarg_size 64
		.amdhsa_user_sgpr_count 15
		.amdhsa_user_sgpr_dispatch_ptr 0
		.amdhsa_user_sgpr_queue_ptr 0
		.amdhsa_user_sgpr_kernarg_segment_ptr 1
		.amdhsa_user_sgpr_dispatch_id 0
		.amdhsa_user_sgpr_private_segment_size 0
		.amdhsa_wavefront_size32 1
		.amdhsa_uses_dynamic_stack 0
		.amdhsa_enable_private_segment 0
		.amdhsa_system_sgpr_workgroup_id_x 1
		.amdhsa_system_sgpr_workgroup_id_y 0
		.amdhsa_system_sgpr_workgroup_id_z 0
		.amdhsa_system_sgpr_workgroup_info 0
		.amdhsa_system_vgpr_workitem_id 1
		.amdhsa_next_free_vgpr 67
		.amdhsa_next_free_sgpr 28
		.amdhsa_reserve_vcc 1
		.amdhsa_float_round_mode_32 0
		.amdhsa_float_round_mode_16_64 0
		.amdhsa_float_denorm_mode_32 3
		.amdhsa_float_denorm_mode_16_64 3
		.amdhsa_dx10_clamp 1
		.amdhsa_ieee_mode 1
		.amdhsa_fp16_overflow 0
		.amdhsa_workgroup_processor_mode 1
		.amdhsa_memory_ordered 1
		.amdhsa_forward_progress 0
		.amdhsa_shared_vgpr_count 0
		.amdhsa_exception_fp_ieee_invalid_op 0
		.amdhsa_exception_fp_denorm_src 0
		.amdhsa_exception_fp_ieee_div_zero 0
		.amdhsa_exception_fp_ieee_overflow 0
		.amdhsa_exception_fp_ieee_underflow 0
		.amdhsa_exception_fp_ieee_inexact 0
		.amdhsa_exception_int_div_zero 0
	.end_amdhsa_kernel
	.section	.text._Z12wvSplitK_hf_I6__halfLi64ELi1ELi16ELi8ELi4ELi2EEviiiiiiPKT_S3_S3_PS1_ii,"axG",@progbits,_Z12wvSplitK_hf_I6__halfLi64ELi1ELi16ELi8ELi4ELi2EEviiiiiiPKT_S3_S3_PS1_ii,comdat
.Lfunc_end54:
	.size	_Z12wvSplitK_hf_I6__halfLi64ELi1ELi16ELi8ELi4ELi2EEviiiiiiPKT_S3_S3_PS1_ii, .Lfunc_end54-_Z12wvSplitK_hf_I6__halfLi64ELi1ELi16ELi8ELi4ELi2EEviiiiiiPKT_S3_S3_PS1_ii
                                        ; -- End function
	.section	.AMDGPU.csdata,"",@progbits
; Kernel info:
; codeLenInByte = 3208
; NumSgprs: 30
; NumVgprs: 67
; ScratchSize: 0
; MemoryBound: 0
; FloatMode: 240
; IeeeMode: 1
; LDSByteSize: 65536 bytes/workgroup (compile time only)
; SGPRBlocks: 3
; VGPRBlocks: 8
; NumSGPRsForWavesPerEU: 30
; NumVGPRsForWavesPerEU: 67
; Occupancy: 16
; WaveLimiterHint : 0
; COMPUTE_PGM_RSRC2:SCRATCH_EN: 0
; COMPUTE_PGM_RSRC2:USER_SGPR: 15
; COMPUTE_PGM_RSRC2:TRAP_HANDLER: 0
; COMPUTE_PGM_RSRC2:TGID_X_EN: 1
; COMPUTE_PGM_RSRC2:TGID_Y_EN: 0
; COMPUTE_PGM_RSRC2:TGID_Z_EN: 0
; COMPUTE_PGM_RSRC2:TIDIG_COMP_CNT: 1
	.section	.text._Z16wvSplitK_hf_big_I6__halfLi64ELi1ELi16ELi8ELi4ELi2EEviiiiiiPKT_S3_S3_PS1_ii,"axG",@progbits,_Z16wvSplitK_hf_big_I6__halfLi64ELi1ELi16ELi8ELi4ELi2EEviiiiiiPKT_S3_S3_PS1_ii,comdat
	.protected	_Z16wvSplitK_hf_big_I6__halfLi64ELi1ELi16ELi8ELi4ELi2EEviiiiiiPKT_S3_S3_PS1_ii ; -- Begin function _Z16wvSplitK_hf_big_I6__halfLi64ELi1ELi16ELi8ELi4ELi2EEviiiiiiPKT_S3_S3_PS1_ii
	.globl	_Z16wvSplitK_hf_big_I6__halfLi64ELi1ELi16ELi8ELi4ELi2EEviiiiiiPKT_S3_S3_PS1_ii
	.p2align	8
	.type	_Z16wvSplitK_hf_big_I6__halfLi64ELi1ELi16ELi8ELi4ELi2EEviiiiiiPKT_S3_S3_PS1_ii,@function
_Z16wvSplitK_hf_big_I6__halfLi64ELi1ELi16ELi8ELi4ELi2EEviiiiiiPKT_S3_S3_PS1_ii: ; @_Z16wvSplitK_hf_big_I6__halfLi64ELi1ELi16ELi8ELi4ELi2EEviiiiiiPKT_S3_S3_PS1_ii
; %bb.0:
	s_load_b64 s[20:21], s[0:1], 0x38
	v_bfe_u32 v1, v0, 10, 10
	s_mov_b32 s2, exec_lo
	s_waitcnt lgkmcnt(0)
	s_delay_alu instid0(VALU_DEP_1)
	v_cmpx_gt_u32_e64 s20, v1
	s_cbranch_execz .LBB55_38
; %bb.1:
	s_load_b128 s[16:19], s[0:1], 0x0
	v_mad_u64_u32 v[48:49], null, s15, s20, v[1:2]
	v_mov_b32_e32 v52, 1
	s_delay_alu instid0(VALU_DEP_2) | instskip(SKIP_2) | instid1(VALU_DEP_2)
	v_add_nc_u32_e32 v2, 1, v48
	s_waitcnt lgkmcnt(0)
	v_cmp_gt_u32_e32 vcc_lo, s19, v48
	v_cmp_le_u32_e64 s2, s19, v2
	s_delay_alu instid0(VALU_DEP_1) | instskip(NEXT) | instid1(SALU_CYCLE_1)
	s_and_b32 s3, vcc_lo, s2
	s_and_saveexec_b32 s2, s3
; %bb.2:
	v_subrev_nc_u32_e32 v2, s19, v48
	s_add_i32 s3, s19, -1
	s_delay_alu instid0(SALU_CYCLE_1) | instskip(NEXT) | instid1(VALU_DEP_2)
	v_mov_b32_e32 v48, s3
	v_cmp_eq_u32_e32 vcc_lo, -1, v2
	v_cndmask_b32_e64 v52, 0, 1, vcc_lo
; %bb.3:
	s_or_b32 exec_lo, exec_lo, s2
	s_abs_i32 s2, s20
	s_abs_i32 s5, s19
	v_cvt_f32_u32_e32 v2, s2
	s_sub_i32 s4, 0, s2
	s_mov_b32 s14, 0
	s_delay_alu instid0(VALU_DEP_1) | instskip(SKIP_2) | instid1(VALU_DEP_1)
	v_rcp_iflag_f32_e32 v2, v2
	s_waitcnt_depctr 0xfff
	v_mul_f32_e32 v2, 0x4f7ffffe, v2
	v_cvt_u32_f32_e32 v2, v2
	s_delay_alu instid0(VALU_DEP_1) | instskip(NEXT) | instid1(VALU_DEP_1)
	v_readfirstlane_b32 s3, v2
	s_mul_i32 s4, s4, s3
	s_delay_alu instid0(SALU_CYCLE_1) | instskip(NEXT) | instid1(SALU_CYCLE_1)
	s_mul_hi_u32 s4, s3, s4
	s_add_i32 s3, s3, s4
	s_ashr_i32 s4, s19, 31
	s_mul_hi_u32 s3, s5, s3
	s_delay_alu instid0(SALU_CYCLE_1) | instskip(NEXT) | instid1(SALU_CYCLE_1)
	s_mul_i32 s3, s3, s2
	s_sub_i32 s3, s5, s3
	s_delay_alu instid0(SALU_CYCLE_1) | instskip(SKIP_2) | instid1(SALU_CYCLE_1)
	s_sub_i32 s5, s3, s2
	s_cmp_ge_u32 s3, s2
	s_cselect_b32 s3, s5, s3
	s_sub_i32 s5, s3, s2
	s_cmp_ge_u32 s3, s2
	s_cselect_b32 s2, s5, s3
	s_add_i32 s3, s20, s19
	s_xor_b32 s2, s2, s4
	s_delay_alu instid0(SALU_CYCLE_1) | instskip(NEXT) | instid1(SALU_CYCLE_1)
	s_sub_i32 s2, s2, s4
	s_sub_i32 s3, s3, s2
	s_cmp_eq_u32 s2, 0
	s_cselect_b32 s3, s19, s3
	s_delay_alu instid0(SALU_CYCLE_1)
	v_cmp_gt_u32_e32 vcc_lo, s3, v48
	s_and_b32 exec_lo, exec_lo, vcc_lo
	s_cbranch_execz .LBB55_38
; %bb.4:
	s_load_b256 s[4:11], s[0:1], 0x10
	s_min_u32 s15, s18, 0x4000
	v_dual_mov_b32 v51, 0 :: v_dual_and_b32 v0, 0x3ff, v0
	s_cmp_lg_u32 s16, 0
	s_load_b64 s[12:13], s[0:1], 0x30
	s_cselect_b32 s22, -1, 0
	s_cmp_lg_u32 s18, 0
	s_mul_i32 s21, s21, s20
	s_cselect_b32 s23, -1, 0
	s_lshl_b32 s24, s20, 9
	s_add_i32 s25, s16, -8
	s_add_i32 s26, s19, -1
	v_cmp_eq_u32_e64 s0, 63, v0
	v_mbcnt_lo_u32_b32 v58, -1, 0
	v_lshlrev_b32_e32 v53, 3, v0
	v_lshlrev_b32_e32 v0, 4, v0
	s_waitcnt lgkmcnt(0)
	v_cvt_f32_u32_e32 v2, s4
	s_cmp_lg_u64 s[10:11], 0
	v_lshl_add_u32 v54, v1, 9, v53
	s_cselect_b32 s27, -1, 0
	s_sub_i32 s1, 0, s4
	v_rcp_iflag_f32_e32 v2, v2
	s_abs_i32 s2, s5
	v_lshl_add_u32 v55, v1, 10, v0
	v_add_nc_u32_e32 v56, s18, v54
	s_waitcnt_depctr 0xfff
	v_mul_f32_e32 v2, 0x4f7ffffe, v2
	s_delay_alu instid0(VALU_DEP_1) | instskip(NEXT) | instid1(VALU_DEP_1)
	v_cvt_u32_f32_e32 v2, v2
	v_mul_lo_u32 v3, s1, v2
	s_sub_i32 s1, s21, s19
	s_delay_alu instid0(SALU_CYCLE_1) | instskip(SKIP_3) | instid1(VALU_DEP_1)
	s_add_i32 s5, s1, 2
	s_sub_i32 s1, 1, s2
	s_cmp_lt_u32 s2, 2
	s_cselect_b32 s1, s1, 1
	v_mul_hi_u32 v3, v2, v3
	s_sub_i32 s28, s1, s2
	s_cmp_ge_u32 s1, s2
	s_cselect_b32 s28, s28, s1
	s_lshl_b32 s29, s15, 1
	s_mul_i32 s28, s28, s4
	s_lshl_b32 s20, s20, 10
	s_delay_alu instid0(VALU_DEP_1)
	v_add_nc_u32_e32 v57, v2, v3
	s_branch .LBB55_7
.LBB55_5:                               ;   in Loop: Header=BB55_7 Depth=1
	s_or_b32 exec_lo, exec_lo, s1
.LBB55_6:                               ;   in Loop: Header=BB55_7 Depth=1
	s_delay_alu instid0(SALU_CYCLE_1) | instskip(NEXT) | instid1(VALU_DEP_1)
	s_or_b32 exec_lo, exec_lo, s2
	v_cmp_le_u32_e32 vcc_lo, s3, v0
	v_mov_b32_e32 v48, v0
	s_or_b32 s14, vcc_lo, s14
	s_delay_alu instid0(SALU_CYCLE_1)
	s_and_not1_b32 exec_lo, exec_lo, s14
	s_cbranch_execz .LBB55_38
.LBB55_7:                               ; =>This Loop Header: Depth=1
                                        ;     Child Loop BB55_14 Depth 2
                                        ;       Child Loop BB55_19 Depth 3
	v_mov_b32_e32 v59, v51
	v_mov_b32_e32 v49, v51
	s_and_not1_b32 vcc_lo, exec_lo, s22
	s_mov_b32 s30, 0
	s_cbranch_vccnz .LBB55_28
; %bb.8:                                ;   in Loop: Header=BB55_7 Depth=1
	v_min_u32_e32 v0, s26, v48
	v_cmp_gt_u32_e64 s1, s19, v48
	v_mov_b32_e32 v49, 0
	v_mov_b32_e32 v59, 0
	s_mov_b32 s31, 0
	v_mul_lo_u32 v50, v0, s17
	s_delay_alu instid0(VALU_DEP_1) | instskip(NEXT) | instid1(VALU_DEP_1)
	v_lshlrev_b64 v[0:1], 1, v[50:51]
	v_add_co_u32 v60, vcc_lo, s6, v0
	s_delay_alu instid0(VALU_DEP_2)
	v_add_co_ci_u32_e32 v61, vcc_lo, s7, v1, vcc_lo
	s_branch .LBB55_14
.LBB55_9:                               ;   in Loop: Header=BB55_14 Depth=2
	s_or_b32 exec_lo, exec_lo, s36
.LBB55_10:                              ;   in Loop: Header=BB55_14 Depth=2
	s_delay_alu instid0(SALU_CYCLE_1)
	s_or_b32 exec_lo, exec_lo, s35
.LBB55_11:                              ;   in Loop: Header=BB55_14 Depth=2
	s_delay_alu instid0(SALU_CYCLE_1)
	s_or_b32 exec_lo, exec_lo, s34
.LBB55_12:                              ;   in Loop: Header=BB55_14 Depth=2
	s_delay_alu instid0(SALU_CYCLE_1)
	s_or_b32 exec_lo, exec_lo, s33
	s_waitcnt vmcnt(3) lgkmcnt(1)
	;;#ASMSTART
	v_dot2_f32_f16 v49, v44, v24, v49
	;;#ASMEND
	s_waitcnt lgkmcnt(0)
	;;#ASMSTART
	v_dot2_f32_f16 v59, v40, v24, v59
	;;#ASMEND
	;;#ASMSTART
	v_dot2_f32_f16 v49, v45, v25, v49
	;;#ASMEND
	;;#ASMSTART
	v_dot2_f32_f16 v59, v41, v25, v59
	;;#ASMEND
	;;#ASMSTART
	v_dot2_f32_f16 v49, v46, v26, v49
	;;#ASMEND
	;;#ASMSTART
	v_dot2_f32_f16 v59, v42, v26, v59
	;;#ASMEND
	;;#ASMSTART
	v_dot2_f32_f16 v49, v47, v27, v49
	;;#ASMEND
	;;#ASMSTART
	v_dot2_f32_f16 v59, v43, v27, v59
	;;#ASMEND
	s_waitcnt vmcnt(2)
	;;#ASMSTART
	v_dot2_f32_f16 v49, v36, v12, v49
	;;#ASMEND
	;;#ASMSTART
	v_dot2_f32_f16 v59, v32, v12, v59
	;;#ASMEND
	;;#ASMSTART
	v_dot2_f32_f16 v49, v37, v13, v49
	;;#ASMEND
	;;#ASMSTART
	v_dot2_f32_f16 v59, v33, v13, v59
	;;#ASMEND
	;;#ASMSTART
	v_dot2_f32_f16 v49, v38, v14, v49
	;;#ASMEND
	;;#ASMSTART
	v_dot2_f32_f16 v59, v34, v14, v59
	;;#ASMEND
	;;#ASMSTART
	v_dot2_f32_f16 v49, v39, v15, v49
	;;#ASMEND
	;;#ASMSTART
	v_dot2_f32_f16 v59, v35, v15, v59
	;;#ASMEND
	s_waitcnt vmcnt(1)
	;;#ASMSTART
	v_dot2_f32_f16 v49, v28, v4, v49
	;;#ASMEND
	;; [unrolled: 25-line block ×3, first 2 shown]
	;;#ASMSTART
	v_dot2_f32_f16 v59, v8, v0, v59
	;;#ASMEND
	;;#ASMSTART
	v_dot2_f32_f16 v49, v17, v1, v49
	;;#ASMEND
	;; [unrolled: 3-line block ×7, first 2 shown]
.LBB55_13:                              ;   in Loop: Header=BB55_14 Depth=2
	s_or_b32 exec_lo, exec_lo, s2
	s_addk_i32 s31, 0x800
	s_delay_alu instid0(SALU_CYCLE_1)
	s_cmp_ge_u32 s31, s16
	s_cbranch_scc1 .LBB55_28
.LBB55_14:                              ;   Parent Loop BB55_7 Depth=1
                                        ; =>  This Loop Header: Depth=2
                                        ;       Child Loop BB55_19 Depth 3
	s_cmp_eq_u32 s31, 0
	s_cselect_b32 s33, -1, 0
	s_add_i32 s2, s30, s15
	s_delay_alu instid0(SALU_CYCLE_1) | instskip(SKIP_1) | instid1(SALU_CYCLE_1)
	s_cmp_eq_u32 s31, s2
	s_cselect_b32 s34, -1, 0
	s_or_b32 s34, s33, s34
	s_delay_alu instid0(SALU_CYCLE_1)
	s_and_not1_b32 vcc_lo, exec_lo, s34
	s_cbranch_vccz .LBB55_16
; %bb.15:                               ;   in Loop: Header=BB55_14 Depth=2
	s_and_saveexec_b32 s2, s1
	s_cbranch_execz .LBB55_13
	s_branch .LBB55_23
.LBB55_16:                              ;   in Loop: Header=BB55_14 Depth=2
	s_and_b32 s33, s33, exec_lo
	s_cselect_b32 s30, s30, s2
	s_and_not1_b32 vcc_lo, exec_lo, s23
	s_waitcnt vmcnt(0)
	s_waitcnt_vscnt null, 0x0
	s_barrier
	buffer_gl0_inv
	s_cbranch_vccnz .LBB55_22
; %bb.17:                               ;   in Loop: Header=BB55_14 Depth=2
	v_add_nc_u32_e32 v0, s30, v56
	v_dual_mov_b32 v2, v55 :: v_dual_add_nc_u32 v1, s30, v54
	s_mov_b32 s33, 0
	s_mov_b32 s34, 0
                                        ; implicit-def: $sgpr35
	s_set_inst_prefetch_distance 0x1
	s_branch .LBB55_19
	.p2align	6
.LBB55_18:                              ;   in Loop: Header=BB55_19 Depth=3
	s_or_b32 exec_lo, exec_lo, s2
	s_delay_alu instid0(SALU_CYCLE_1) | instskip(NEXT) | instid1(SALU_CYCLE_1)
	s_and_b32 s2, exec_lo, s35
	s_or_b32 s33, s2, s33
	s_delay_alu instid0(SALU_CYCLE_1)
	s_and_not1_b32 exec_lo, exec_lo, s33
	s_cbranch_execz .LBB55_21
.LBB55_19:                              ;   Parent Loop BB55_7 Depth=1
                                        ;     Parent Loop BB55_14 Depth=2
                                        ; =>    This Inner Loop Header: Depth=3
	v_add_nc_u32_e32 v50, s34, v1
	v_add_nc_u32_e32 v3, s34, v54
	s_or_b32 s35, s35, exec_lo
	s_delay_alu instid0(VALU_DEP_2) | instskip(NEXT) | instid1(VALU_DEP_2)
	v_cmp_gt_u32_e32 vcc_lo, s18, v50
	v_cmp_gt_u32_e64 s2, s15, v3
	s_delay_alu instid0(VALU_DEP_1) | instskip(NEXT) | instid1(SALU_CYCLE_1)
	s_and_b32 s36, s2, vcc_lo
	s_and_saveexec_b32 s2, s36
	s_cbranch_execz .LBB55_18
; %bb.20:                               ;   in Loop: Header=BB55_19 Depth=3
	v_lshlrev_b64 v[3:4], 1, v[50:51]
	v_add_nc_u32_e32 v50, s34, v0
	s_add_i32 s34, s34, s24
	v_add_nc_u32_e32 v11, s29, v2
	s_cmp_ge_u32 s34, s15
	s_delay_alu instid0(VALU_DEP_2) | instskip(SKIP_3) | instid1(VALU_DEP_3)
	v_lshlrev_b64 v[7:8], 1, v[50:51]
	v_add_co_u32 v3, vcc_lo, s8, v3
	v_add_co_ci_u32_e32 v4, vcc_lo, s9, v4, vcc_lo
	s_cselect_b32 s36, -1, 0
	v_add_co_u32 v7, vcc_lo, s8, v7
	global_load_b128 v[3:6], v[3:4], off
	v_add_co_ci_u32_e32 v8, vcc_lo, s9, v8, vcc_lo
	s_and_not1_b32 s35, s35, exec_lo
	s_and_b32 s36, s36, exec_lo
	global_load_b128 v[7:10], v[7:8], off
	s_or_b32 s35, s35, s36
	s_waitcnt vmcnt(1)
	ds_store_b128 v2, v[3:6]
	v_add_nc_u32_e32 v2, s20, v2
	s_waitcnt vmcnt(0)
	ds_store_2addr_b64 v11, v[7:8], v[9:10] offset1:1
	s_branch .LBB55_18
.LBB55_21:                              ;   in Loop: Header=BB55_14 Depth=2
	s_set_inst_prefetch_distance 0x2
	s_or_b32 exec_lo, exec_lo, s33
.LBB55_22:                              ;   in Loop: Header=BB55_14 Depth=2
	s_waitcnt lgkmcnt(0)
	s_barrier
	buffer_gl0_inv
	s_and_saveexec_b32 s2, s1
	s_cbranch_execz .LBB55_13
.LBB55_23:                              ;   in Loop: Header=BB55_14 Depth=2
	v_dual_mov_b32 v47, 0 :: v_dual_add_nc_u32 v64, s31, v53
	v_dual_mov_b32 v38, 0 :: v_dual_mov_b32 v39, 0
	v_dual_mov_b32 v28, 0 :: v_dual_mov_b32 v29, 0
	s_delay_alu instid0(VALU_DEP_3) | instskip(SKIP_2) | instid1(VALU_DEP_3)
	v_min_u32_e32 v50, s25, v64
	v_dual_mov_b32 v46, 0 :: v_dual_add_nc_u32 v65, 0x200, v64
	v_dual_mov_b32 v36, 0 :: v_dual_add_nc_u32 v63, 0x400, v64
	v_lshlrev_b64 v[0:1], 1, v[50:51]
	s_delay_alu instid0(VALU_DEP_3) | instskip(SKIP_2) | instid1(VALU_DEP_3)
	v_min_u32_e32 v50, s25, v65
	v_dual_mov_b32 v37, 0 :: v_dual_add_nc_u32 v62, 0x600, v64
	v_dual_mov_b32 v30, 0 :: v_dual_mov_b32 v31, 0
	v_lshlrev_b64 v[2:3], 1, v[50:51]
	v_min_u32_e32 v50, s25, v63
	v_add_co_u32 v0, vcc_lo, v60, v0
	v_add_co_ci_u32_e32 v1, vcc_lo, v61, v1, vcc_lo
	s_waitcnt vmcnt(0)
	s_delay_alu instid0(VALU_DEP_3) | instskip(SKIP_3) | instid1(VALU_DEP_3)
	v_lshlrev_b64 v[4:5], 1, v[50:51]
	v_min_u32_e32 v50, s25, v62
	v_add_co_u32 v2, vcc_lo, v60, v2
	v_add_co_ci_u32_e32 v3, vcc_lo, v61, v3, vcc_lo
	v_lshlrev_b64 v[6:7], 1, v[50:51]
	v_add_co_u32 v4, vcc_lo, v60, v4
	v_add_co_ci_u32_e32 v5, vcc_lo, v61, v5, vcc_lo
	v_dual_mov_b32 v16, 0 :: v_dual_mov_b32 v17, 0
	s_delay_alu instid0(VALU_DEP_4)
	v_add_co_u32 v8, vcc_lo, v60, v6
	v_add_co_ci_u32_e32 v9, vcc_lo, v61, v7, vcc_lo
	s_clause 0x3
	global_load_b128 v[24:27], v[0:1], off slc dlc
	global_load_b128 v[12:15], v[2:3], off slc dlc
	global_load_b128 v[4:7], v[4:5], off slc dlc
	global_load_b128 v[0:3], v[8:9], off slc dlc
	v_cmp_gt_u32_e32 vcc_lo, s16, v64
	v_dual_mov_b32 v18, 0 :: v_dual_mov_b32 v19, 0
	v_dual_mov_b32 v40, 0 :: v_dual_mov_b32 v41, 0
	;; [unrolled: 1-line block ×10, first 2 shown]
	s_and_saveexec_b32 s33, vcc_lo
	s_cbranch_execz .LBB55_12
; %bb.24:                               ;   in Loop: Header=BB55_14 Depth=2
	v_subrev_nc_u32_e32 v8, s30, v64
	v_mov_b32_e32 v11, 0
	v_cmp_gt_u32_e32 vcc_lo, s16, v65
	v_dual_mov_b32 v10, 0 :: v_dual_mov_b32 v9, 0
	s_delay_alu instid0(VALU_DEP_4) | instskip(SKIP_2) | instid1(VALU_DEP_3)
	v_lshlrev_b32_e32 v50, 1, v8
	v_dual_mov_b32 v8, 0 :: v_dual_mov_b32 v23, 0
	v_dual_mov_b32 v22, 0 :: v_dual_mov_b32 v21, 0
	v_lshl_add_u32 v64, s15, 1, v50
	v_dual_mov_b32 v20, 0 :: v_dual_mov_b32 v35, 0
	v_dual_mov_b32 v34, 0 :: v_dual_mov_b32 v33, 0
	ds_load_b128 v[44:47], v50
	ds_load_b128 v[40:43], v64
	v_dual_mov_b32 v32, 0 :: v_dual_mov_b32 v19, 0
	v_dual_mov_b32 v18, 0 :: v_dual_mov_b32 v17, 0
	;; [unrolled: 1-line block ×6, first 2 shown]
	v_mov_b32_e32 v36, 0
	s_and_saveexec_b32 s34, vcc_lo
	s_cbranch_execz .LBB55_11
; %bb.25:                               ;   in Loop: Header=BB55_14 Depth=2
	ds_load_b128 v[36:39], v50 offset:1024
	ds_load_b128 v[32:35], v64 offset:1024
	v_dual_mov_b32 v11, 0 :: v_dual_mov_b32 v10, 0
	v_dual_mov_b32 v9, 0 :: v_dual_mov_b32 v8, 0
	;; [unrolled: 1-line block ×8, first 2 shown]
	s_mov_b32 s35, exec_lo
	v_cmpx_gt_u32_e64 s16, v63
	s_cbranch_execz .LBB55_10
; %bb.26:                               ;   in Loop: Header=BB55_14 Depth=2
	ds_load_b128 v[28:31], v50 offset:2048
	ds_load_b128 v[20:23], v64 offset:2048
	v_dual_mov_b32 v11, 0 :: v_dual_mov_b32 v10, 0
	v_dual_mov_b32 v9, 0 :: v_dual_mov_b32 v8, 0
	;; [unrolled: 1-line block ×4, first 2 shown]
	s_mov_b32 s36, exec_lo
	v_cmpx_gt_u32_e64 s16, v62
	s_cbranch_execz .LBB55_9
; %bb.27:                               ;   in Loop: Header=BB55_14 Depth=2
	ds_load_b128 v[16:19], v50 offset:3072
	ds_load_b128 v[8:11], v64 offset:3072
	s_branch .LBB55_9
.LBB55_28:                              ;   in Loop: Header=BB55_7 Depth=1
	s_mov_b32 s1, exec_lo
                                        ; implicit-def: $vgpr0
	v_cmpx_le_u32_e64 s19, v48
	s_xor_b32 s1, exec_lo, s1
; %bb.29:                               ;   in Loop: Header=BB55_7 Depth=1
	v_add_nc_u32_e32 v0, s21, v48
                                        ; implicit-def: $vgpr48
                                        ; implicit-def: $vgpr49
                                        ; implicit-def: $vgpr59
; %bb.30:                               ;   in Loop: Header=BB55_7 Depth=1
	s_and_not1_saveexec_b32 s2, s1
	s_cbranch_execz .LBB55_6
; %bb.31:                               ;   in Loop: Header=BB55_7 Depth=1
	v_cvt_i32_f32_e32 v0, v49
	v_cvt_i32_f32_e32 v1, v59
	s_delay_alu instid0(VALU_DEP_2) | instskip(NEXT) | instid1(VALU_DEP_2)
	v_cvt_f32_i32_dpp v0, v0 row_shr:8 row_mask:0xf bank_mask:0xf bound_ctrl:1
	v_cvt_f32_i32_dpp v1, v1 row_shr:8 row_mask:0xf bank_mask:0xf bound_ctrl:1
	s_delay_alu instid0(VALU_DEP_1) | instskip(NEXT) | instid1(VALU_DEP_1)
	v_dual_add_f32 v0, v49, v0 :: v_dual_add_f32 v1, v59, v1
	v_cvt_i32_f32_e32 v2, v0
	s_delay_alu instid0(VALU_DEP_2) | instskip(NEXT) | instid1(VALU_DEP_2)
	v_cvt_i32_f32_e32 v3, v1
	v_cvt_f32_i32_dpp v2, v2 row_shr:4 row_mask:0xf bank_mask:0xf bound_ctrl:1
	s_delay_alu instid0(VALU_DEP_2) | instskip(NEXT) | instid1(VALU_DEP_1)
	v_cvt_f32_i32_dpp v3, v3 row_shr:4 row_mask:0xf bank_mask:0xf bound_ctrl:1
	v_dual_add_f32 v0, v0, v2 :: v_dual_add_f32 v1, v1, v3
	s_delay_alu instid0(VALU_DEP_1) | instskip(NEXT) | instid1(VALU_DEP_2)
	v_cvt_i32_f32_e32 v2, v0
	v_cvt_i32_f32_e32 v3, v1
	s_delay_alu instid0(VALU_DEP_2) | instskip(NEXT) | instid1(VALU_DEP_2)
	v_cvt_f32_i32_dpp v2, v2 row_shr:2 row_mask:0xf bank_mask:0xf bound_ctrl:1
	v_cvt_f32_i32_dpp v3, v3 row_shr:2 row_mask:0xf bank_mask:0xf bound_ctrl:1
	s_delay_alu instid0(VALU_DEP_1) | instskip(SKIP_1) | instid1(VALU_DEP_2)
	v_dual_add_f32 v0, v0, v2 :: v_dual_add_f32 v1, v1, v3
	v_xor_b32_e32 v2, 16, v58
	v_cvt_i32_f32_e32 v3, v0
	s_waitcnt vmcnt(0)
	s_delay_alu instid0(VALU_DEP_3) | instskip(NEXT) | instid1(VALU_DEP_3)
	v_cvt_i32_f32_e32 v4, v1
	v_cmp_gt_i32_e32 vcc_lo, 32, v2
	s_delay_alu instid0(VALU_DEP_3) | instskip(NEXT) | instid1(VALU_DEP_3)
	v_cvt_f32_i32_dpp v3, v3 row_shr:1 row_mask:0xf bank_mask:0xf bound_ctrl:1
	v_cvt_f32_i32_dpp v4, v4 row_shr:1 row_mask:0xf bank_mask:0xf bound_ctrl:1
	v_cndmask_b32_e32 v2, v58, v2, vcc_lo
	s_delay_alu instid0(VALU_DEP_1) | instskip(NEXT) | instid1(VALU_DEP_3)
	v_dual_add_f32 v2, v0, v3 :: v_dual_lshlrev_b32 v5, 2, v2
	v_add_f32_e32 v0, v1, v4
	ds_bpermute_b32 v3, v5, v2
	ds_bpermute_b32 v1, v5, v0
	s_and_saveexec_b32 s1, s0
	s_cbranch_execz .LBB55_36
; %bb.32:                               ;   in Loop: Header=BB55_7 Depth=1
	v_dual_mov_b32 v4, 0 :: v_dual_mov_b32 v5, 0
	s_and_not1_b32 vcc_lo, exec_lo, s27
	s_cbranch_vccnz .LBB55_34
; %bb.33:                               ;   in Loop: Header=BB55_7 Depth=1
	v_mul_hi_u32 v4, v48, v57
	s_delay_alu instid0(VALU_DEP_1) | instskip(NEXT) | instid1(VALU_DEP_1)
	v_mul_lo_u32 v4, v4, s4
	v_sub_nc_u32_e32 v4, v48, v4
	s_delay_alu instid0(VALU_DEP_1) | instskip(SKIP_1) | instid1(VALU_DEP_2)
	v_subrev_nc_u32_e32 v5, s4, v4
	v_cmp_le_u32_e32 vcc_lo, s4, v4
	v_cndmask_b32_e32 v4, v4, v5, vcc_lo
	s_delay_alu instid0(VALU_DEP_1) | instskip(SKIP_1) | instid1(VALU_DEP_2)
	v_subrev_nc_u32_e32 v5, s4, v4
	v_cmp_le_u32_e32 vcc_lo, s4, v4
	v_cndmask_b32_e32 v50, v4, v5, vcc_lo
	s_delay_alu instid0(VALU_DEP_1) | instskip(SKIP_1) | instid1(VALU_DEP_1)
	v_lshlrev_b64 v[4:5], 1, v[50:51]
	v_add_nc_u32_e32 v50, s28, v50
	v_lshlrev_b64 v[6:7], 1, v[50:51]
	s_delay_alu instid0(VALU_DEP_3) | instskip(NEXT) | instid1(VALU_DEP_4)
	v_add_co_u32 v4, vcc_lo, s10, v4
	v_add_co_ci_u32_e32 v5, vcc_lo, s11, v5, vcc_lo
	s_delay_alu instid0(VALU_DEP_3) | instskip(NEXT) | instid1(VALU_DEP_4)
	v_add_co_u32 v6, vcc_lo, s10, v6
	v_add_co_ci_u32_e32 v7, vcc_lo, s11, v7, vcc_lo
	s_clause 0x1
	global_load_u16 v5, v[4:5], off
	global_load_u16 v4, v[6:7], off
.LBB55_34:                              ;   in Loop: Header=BB55_7 Depth=1
	v_cmp_ne_u32_e32 vcc_lo, 0, v52
	s_and_b32 exec_lo, exec_lo, vcc_lo
	s_cbranch_execz .LBB55_36
; %bb.35:                               ;   in Loop: Header=BB55_7 Depth=1
	s_waitcnt lgkmcnt(1)
	v_dual_add_f32 v2, v2, v3 :: v_dual_mov_b32 v49, v51
	s_waitcnt vmcnt(1)
	v_cvt_f32_f16_e32 v3, v5
	s_waitcnt lgkmcnt(0)
	v_dual_add_f32 v5, v0, v1 :: v_dual_add_nc_u32 v50, s19, v48
	s_waitcnt vmcnt(0)
	v_cvt_f32_f16_e32 v4, v4
	v_lshlrev_b64 v[0:1], 1, v[48:49]
	v_add_f32_e32 v6, v2, v3
	v_lshlrev_b64 v[2:3], 1, v[50:51]
	s_delay_alu instid0(VALU_DEP_4) | instskip(NEXT) | instid1(VALU_DEP_4)
	v_add_f32_e32 v4, v5, v4
	v_add_co_u32 v0, vcc_lo, s12, v0
	v_add_co_ci_u32_e32 v1, vcc_lo, s13, v1, vcc_lo
	s_delay_alu instid0(VALU_DEP_4)
	v_add_co_u32 v2, vcc_lo, s12, v2
	v_cvt_f16_f32_e32 v5, v6
	v_cvt_f16_f32_e32 v4, v4
	v_add_co_ci_u32_e32 v3, vcc_lo, s13, v3, vcc_lo
	s_clause 0x1
	global_store_b16 v[0:1], v5, off
	global_store_b16 v[2:3], v4, off
.LBB55_36:                              ;   in Loop: Header=BB55_7 Depth=1
	s_or_b32 exec_lo, exec_lo, s1
	v_add_nc_u32_e32 v0, s21, v48
	s_waitcnt lgkmcnt(0)
	s_delay_alu instid0(VALU_DEP_1) | instskip(SKIP_1) | instid1(VALU_DEP_2)
	v_add_nc_u32_e32 v1, 1, v0
	v_cmp_gt_u32_e32 vcc_lo, s19, v0
	v_cmp_le_u32_e64 s1, s19, v1
	s_delay_alu instid0(VALU_DEP_1) | instskip(NEXT) | instid1(SALU_CYCLE_1)
	s_and_b32 s30, vcc_lo, s1
	s_and_saveexec_b32 s1, s30
	s_cbranch_execz .LBB55_5
; %bb.37:                               ;   in Loop: Header=BB55_7 Depth=1
	v_add_nc_u32_e32 v0, s5, v48
	s_delay_alu instid0(VALU_DEP_1)
	v_cmp_eq_u32_e32 vcc_lo, 1, v0
	v_mov_b32_e32 v0, s26
	v_cndmask_b32_e32 v52, 0, v52, vcc_lo
	s_branch .LBB55_5
.LBB55_38:
	s_nop 0
	s_sendmsg sendmsg(MSG_DEALLOC_VGPRS)
	s_endpgm
	.section	.rodata,"a",@progbits
	.p2align	6, 0x0
	.amdhsa_kernel _Z16wvSplitK_hf_big_I6__halfLi64ELi1ELi16ELi8ELi4ELi2EEviiiiiiPKT_S3_S3_PS1_ii
		.amdhsa_group_segment_fixed_size 65536
		.amdhsa_private_segment_fixed_size 0
		.amdhsa_kernarg_size 64
		.amdhsa_user_sgpr_count 15
		.amdhsa_user_sgpr_dispatch_ptr 0
		.amdhsa_user_sgpr_queue_ptr 0
		.amdhsa_user_sgpr_kernarg_segment_ptr 1
		.amdhsa_user_sgpr_dispatch_id 0
		.amdhsa_user_sgpr_private_segment_size 0
		.amdhsa_wavefront_size32 1
		.amdhsa_uses_dynamic_stack 0
		.amdhsa_enable_private_segment 0
		.amdhsa_system_sgpr_workgroup_id_x 1
		.amdhsa_system_sgpr_workgroup_id_y 0
		.amdhsa_system_sgpr_workgroup_id_z 0
		.amdhsa_system_sgpr_workgroup_info 0
		.amdhsa_system_vgpr_workitem_id 1
		.amdhsa_next_free_vgpr 66
		.amdhsa_next_free_sgpr 37
		.amdhsa_reserve_vcc 1
		.amdhsa_float_round_mode_32 0
		.amdhsa_float_round_mode_16_64 0
		.amdhsa_float_denorm_mode_32 3
		.amdhsa_float_denorm_mode_16_64 3
		.amdhsa_dx10_clamp 1
		.amdhsa_ieee_mode 1
		.amdhsa_fp16_overflow 0
		.amdhsa_workgroup_processor_mode 1
		.amdhsa_memory_ordered 1
		.amdhsa_forward_progress 0
		.amdhsa_shared_vgpr_count 0
		.amdhsa_exception_fp_ieee_invalid_op 0
		.amdhsa_exception_fp_denorm_src 0
		.amdhsa_exception_fp_ieee_div_zero 0
		.amdhsa_exception_fp_ieee_overflow 0
		.amdhsa_exception_fp_ieee_underflow 0
		.amdhsa_exception_fp_ieee_inexact 0
		.amdhsa_exception_int_div_zero 0
	.end_amdhsa_kernel
	.section	.text._Z16wvSplitK_hf_big_I6__halfLi64ELi1ELi16ELi8ELi4ELi2EEviiiiiiPKT_S3_S3_PS1_ii,"axG",@progbits,_Z16wvSplitK_hf_big_I6__halfLi64ELi1ELi16ELi8ELi4ELi2EEviiiiiiPKT_S3_S3_PS1_ii,comdat
.Lfunc_end55:
	.size	_Z16wvSplitK_hf_big_I6__halfLi64ELi1ELi16ELi8ELi4ELi2EEviiiiiiPKT_S3_S3_PS1_ii, .Lfunc_end55-_Z16wvSplitK_hf_big_I6__halfLi64ELi1ELi16ELi8ELi4ELi2EEviiiiiiPKT_S3_S3_PS1_ii
                                        ; -- End function
	.section	.AMDGPU.csdata,"",@progbits
; Kernel info:
; codeLenInByte = 2948
; NumSgprs: 39
; NumVgprs: 66
; ScratchSize: 0
; MemoryBound: 0
; FloatMode: 240
; IeeeMode: 1
; LDSByteSize: 65536 bytes/workgroup (compile time only)
; SGPRBlocks: 4
; VGPRBlocks: 8
; NumSGPRsForWavesPerEU: 39
; NumVGPRsForWavesPerEU: 66
; Occupancy: 16
; WaveLimiterHint : 0
; COMPUTE_PGM_RSRC2:SCRATCH_EN: 0
; COMPUTE_PGM_RSRC2:USER_SGPR: 15
; COMPUTE_PGM_RSRC2:TRAP_HANDLER: 0
; COMPUTE_PGM_RSRC2:TGID_X_EN: 1
; COMPUTE_PGM_RSRC2:TGID_Y_EN: 0
; COMPUTE_PGM_RSRC2:TGID_Z_EN: 0
; COMPUTE_PGM_RSRC2:TIDIG_COMP_CNT: 1
	.section	.text._Z16wvSplitK_hf_sml_I6__halfLi64ELi2ELi16ELi8ELi2ELi2EEviiiiiiPKT_S3_S3_PS1_ii,"axG",@progbits,_Z16wvSplitK_hf_sml_I6__halfLi64ELi2ELi16ELi8ELi2ELi2EEviiiiiiPKT_S3_S3_PS1_ii,comdat
	.protected	_Z16wvSplitK_hf_sml_I6__halfLi64ELi2ELi16ELi8ELi2ELi2EEviiiiiiPKT_S3_S3_PS1_ii ; -- Begin function _Z16wvSplitK_hf_sml_I6__halfLi64ELi2ELi16ELi8ELi2ELi2EEviiiiiiPKT_S3_S3_PS1_ii
	.globl	_Z16wvSplitK_hf_sml_I6__halfLi64ELi2ELi16ELi8ELi2ELi2EEviiiiiiPKT_S3_S3_PS1_ii
	.p2align	8
	.type	_Z16wvSplitK_hf_sml_I6__halfLi64ELi2ELi16ELi8ELi2ELi2EEviiiiiiPKT_S3_S3_PS1_ii,@function
_Z16wvSplitK_hf_sml_I6__halfLi64ELi2ELi16ELi8ELi2ELi2EEviiiiiiPKT_S3_S3_PS1_ii: ; @_Z16wvSplitK_hf_sml_I6__halfLi64ELi2ELi16ELi8ELi2ELi2EEviiiiiiPKT_S3_S3_PS1_ii
; %bb.0:
	s_clause 0x2
	s_load_b128 s[4:7], s[0:1], 0x0
	s_load_b64 s[8:9], s[0:1], 0x10
	s_load_b64 s[10:11], s[0:1], 0x28
	v_and_b32_e32 v2, 0x3ff, v0
	v_bfe_u32 v3, v0, 10, 10
	s_mov_b32 s12, exec_lo
	s_delay_alu instid0(VALU_DEP_2) | instskip(NEXT) | instid1(VALU_DEP_1)
	v_lshlrev_b32_e32 v40, 3, v2
	v_lshl_add_u32 v4, v3, 9, v40
	s_waitcnt lgkmcnt(0)
	s_lshl_b32 s6, s6, 1
	s_delay_alu instid0(SALU_CYCLE_1)
	s_min_u32 s3, s6, 0x8000
	s_delay_alu instid0(VALU_DEP_1) | instid1(SALU_CYCLE_1)
	v_cmpx_gt_u32_e64 s3, v4
	s_cbranch_execz .LBB56_3
; %bb.1:
	s_load_b64 s[16:17], s[0:1], 0x20
	v_lshlrev_b32_e32 v5, 10, v3
	v_lshlrev_b32_e32 v6, 4, v2
	s_mov_b32 s13, 0
	s_delay_alu instid0(VALU_DEP_1) | instskip(NEXT) | instid1(VALU_DEP_1)
	v_add_co_u32 v0, s2, v5, v6
	v_add_co_ci_u32_e64 v1, null, 0, 0, s2
	v_add_nc_u32_e32 v5, v5, v6
	s_waitcnt lgkmcnt(0)
	s_delay_alu instid0(VALU_DEP_3) | instskip(NEXT) | instid1(VALU_DEP_3)
	v_add_co_u32 v0, vcc_lo, s16, v0
	v_add_co_ci_u32_e32 v1, vcc_lo, s17, v1, vcc_lo
	.p2align	6
.LBB56_2:                               ; =>This Inner Loop Header: Depth=1
	global_load_b128 v[6:9], v[0:1], off
	v_add_nc_u32_e32 v4, 0x2000, v4
	v_add_co_u32 v0, vcc_lo, 0x4000, v0
	v_add_co_ci_u32_e32 v1, vcc_lo, 0, v1, vcc_lo
	s_delay_alu instid0(VALU_DEP_3) | instskip(NEXT) | instid1(VALU_DEP_1)
	v_cmp_le_u32_e64 s2, s3, v4
	s_or_b32 s13, s2, s13
	s_waitcnt vmcnt(0)
	ds_store_b128 v5, v[6:9]
	v_add_nc_u32_e32 v5, 0x4000, v5
	s_and_not1_b32 exec_lo, exec_lo, s13
	s_cbranch_execnz .LBB56_2
.LBB56_3:
	s_or_b32 exec_lo, exec_lo, s12
	s_load_b64 s[16:17], s[0:1], 0x38
	s_waitcnt lgkmcnt(0)
	s_barrier
	buffer_gl0_inv
	s_mov_b32 s2, exec_lo
	v_cmpx_gt_u32_e64 s16, v3
	s_cbranch_execz .LBB56_20
; %bb.4:
	s_mul_i32 s15, s15, s16
	s_delay_alu instid0(SALU_CYCLE_1) | instskip(NEXT) | instid1(VALU_DEP_1)
	v_add_lshl_u32 v32, s15, v3, 1
	v_cmp_gt_u32_e32 vcc_lo, s7, v32
	s_and_b32 exec_lo, exec_lo, vcc_lo
	s_cbranch_execz .LBB56_20
; %bb.5:
	v_cvt_f32_u32_e32 v0, s8
	s_cmp_lg_u32 s4, 0
	v_lshlrev_b32_e32 v41, 4, v2
	s_cselect_b32 s14, -1, 0
	s_add_i32 s15, s4, -8
	v_rcp_iflag_f32_e32 v0, v0
	s_add_i32 s18, s7, -1
	s_cmp_lg_u64 s[10:11], 0
	v_mbcnt_lo_u32_b32 v43, -1, 0
	s_cselect_b32 s19, -1, 0
	s_sub_i32 s2, 0, s8
	s_abs_i32 s9, s9
	s_waitcnt_depctr 0xfff
	v_dual_mov_b32 v35, 0 :: v_dual_mul_f32 v0, 0x4f7ffffe, v0
	s_delay_alu instid0(VALU_DEP_1) | instskip(NEXT) | instid1(VALU_DEP_1)
	v_cvt_u32_f32_e32 v0, v0
	v_mul_lo_u32 v1, s2, v0
	s_clause 0x1
	s_load_b64 s[2:3], s[0:1], 0x18
	s_load_b64 s[12:13], s[0:1], 0x30
	s_mul_i32 s1, s16, s17
	s_sub_i32 s16, 1, s9
	s_lshl_b32 s1, s1, 1
	s_cmp_lt_u32 s9, 2
	v_cmp_eq_u32_e64 s0, 63, v2
	s_cselect_b32 s16, s16, 1
	v_mul_hi_u32 v1, v0, v1
	s_sub_i32 s17, s16, s9
	s_cmp_ge_u32 s16, s9
	s_mov_b32 s9, 0
	s_cselect_b32 s16, s17, s16
	s_delay_alu instid0(SALU_CYCLE_1) | instskip(NEXT) | instid1(VALU_DEP_1)
	s_mul_i32 s16, s16, s8
	v_add_nc_u32_e32 v42, v0, v1
	s_branch .LBB56_8
.LBB56_6:                               ;   in Loop: Header=BB56_8 Depth=1
	s_waitcnt lgkmcnt(0)
	v_add_f32_e32 v6, v6, v7
	s_waitcnt vmcnt(3)
	v_cvt_f32_f16_e32 v7, v11
	v_dual_add_f32 v4, v4, v5 :: v_dual_add_f32 v3, v1, v3
	s_waitcnt vmcnt(2)
	v_cvt_f32_f16_e32 v5, v10
	s_delay_alu instid0(VALU_DEP_3)
	v_dual_add_f32 v1, v6, v7 :: v_dual_add_nc_u32 v34, s7, v32
	v_add_f32_e32 v6, v0, v2
	s_waitcnt vmcnt(0)
	v_cvt_f32_f16_e32 v8, v8
	v_add_f32_e32 v2, v4, v5
	v_cvt_f32_f16_e32 v4, v9
	v_cvt_f16_f32_e32 v5, v1
	v_lshlrev_b64 v[0:1], 1, v[32:33]
	v_add_f32_e32 v6, v6, v8
	v_cvt_f16_f32_e32 v7, v2
	v_add_f32_e32 v4, v3, v4
	v_lshlrev_b64 v[2:3], 1, v[34:35]
	v_add_nc_u32_e32 v34, 1, v34
	v_add_co_u32 v0, vcc_lo, s12, v0
	v_pack_b32_f16 v7, v5, v7
	v_cvt_f16_f32_e32 v9, v4
	s_delay_alu instid0(VALU_DEP_4) | instskip(SKIP_3) | instid1(VALU_DEP_4)
	v_lshlrev_b64 v[4:5], 1, v[34:35]
	v_add_co_ci_u32_e32 v1, vcc_lo, s13, v1, vcc_lo
	v_add_co_u32 v2, vcc_lo, s12, v2
	v_add_co_ci_u32_e32 v3, vcc_lo, s13, v3, vcc_lo
	v_add_co_u32 v4, vcc_lo, s12, v4
	v_cvt_f16_f32_e32 v6, v6
	v_add_co_ci_u32_e32 v5, vcc_lo, s13, v5, vcc_lo
	s_clause 0x2
	global_store_b32 v[0:1], v7, off
	global_store_b16 v[2:3], v9, off
	global_store_b16 v[4:5], v6, off
.LBB56_7:                               ;   in Loop: Header=BB56_8 Depth=1
	s_or_b32 exec_lo, exec_lo, s17
	v_add_nc_u32_e32 v32, s1, v32
	s_delay_alu instid0(VALU_DEP_1) | instskip(SKIP_1) | instid1(SALU_CYCLE_1)
	v_cmp_le_u32_e32 vcc_lo, s7, v32
	s_or_b32 s9, vcc_lo, s9
	s_and_not1_b32 exec_lo, exec_lo, s9
	s_cbranch_execz .LBB56_20
.LBB56_8:                               ; =>This Loop Header: Depth=1
                                        ;     Child Loop BB56_12 Depth 2
	v_mov_b32_e32 v46, v35
	v_mov_b32_e32 v45, v35
	;; [unrolled: 1-line block ×4, first 2 shown]
	s_and_not1_b32 vcc_lo, exec_lo, s14
	s_cbranch_vccnz .LBB56_15
; %bb.9:                                ;   in Loop: Header=BB56_8 Depth=1
	v_or_b32_e32 v0, 1, v32
	v_min_u32_e32 v1, s18, v32
	v_dual_mov_b32 v33, 0 :: v_dual_mov_b32 v46, 0
	v_mov_b32_e32 v47, v41
	s_delay_alu instid0(VALU_DEP_4) | instskip(NEXT) | instid1(VALU_DEP_4)
	v_min_u32_e32 v0, s18, v0
	v_mul_lo_u32 v34, v1, s5
	v_dual_mov_b32 v1, v35 :: v_dual_mov_b32 v44, 0
	v_mov_b32_e32 v45, 0
	s_delay_alu instid0(VALU_DEP_4) | instskip(SKIP_1) | instid1(VALU_DEP_4)
	v_mul_lo_u32 v0, v0, s5
	s_mov_b32 s17, 0
	v_lshlrev_b64 v[36:37], 1, v[34:35]
	s_delay_alu instid0(VALU_DEP_2)
	v_lshlrev_b64 v[38:39], 1, v[0:1]
	s_branch .LBB56_12
.LBB56_10:                              ;   in Loop: Header=BB56_12 Depth=2
	s_or_b32 exec_lo, exec_lo, s21
.LBB56_11:                              ;   in Loop: Header=BB56_12 Depth=2
	s_delay_alu instid0(SALU_CYCLE_1)
	s_or_b32 exec_lo, exec_lo, s20
	s_waitcnt vmcnt(3) lgkmcnt(1)
	;;#ASMSTART
	v_dot2_f32_f16 v46, v28, v20, v46
	;;#ASMEND
	s_waitcnt vmcnt(2)
	;;#ASMSTART
	v_dot2_f32_f16 v45, v28, v16, v45
	;;#ASMEND
	s_waitcnt lgkmcnt(0)
	;;#ASMSTART
	v_dot2_f32_f16 v44, v24, v20, v44
	;;#ASMEND
	;;#ASMSTART
	v_dot2_f32_f16 v33, v24, v16, v33
	;;#ASMEND
	;;#ASMSTART
	v_dot2_f32_f16 v46, v29, v21, v46
	;;#ASMEND
	;;#ASMSTART
	v_dot2_f32_f16 v45, v29, v17, v45
	;;#ASMEND
	;;#ASMSTART
	v_dot2_f32_f16 v44, v25, v21, v44
	;;#ASMEND
	;;#ASMSTART
	v_dot2_f32_f16 v33, v25, v17, v33
	;;#ASMEND
	;;#ASMSTART
	v_dot2_f32_f16 v46, v30, v22, v46
	;;#ASMEND
	;;#ASMSTART
	v_dot2_f32_f16 v45, v30, v18, v45
	;;#ASMEND
	;;#ASMSTART
	v_dot2_f32_f16 v44, v26, v22, v44
	;;#ASMEND
	;;#ASMSTART
	v_dot2_f32_f16 v33, v26, v18, v33
	;;#ASMEND
	v_add_nc_u32_e32 v47, 0x800, v47
	;;#ASMSTART
	v_dot2_f32_f16 v46, v31, v23, v46
	;;#ASMEND
	;;#ASMSTART
	v_dot2_f32_f16 v45, v31, v19, v45
	;;#ASMEND
	;; [unrolled: 3-line block ×4, first 2 shown]
	s_addk_i32 s17, 0x400
	s_waitcnt vmcnt(1)
	;;#ASMSTART
	v_dot2_f32_f16 v46, v12, v4, v46
	;;#ASMEND
	s_waitcnt vmcnt(0)
	;;#ASMSTART
	v_dot2_f32_f16 v45, v12, v0, v45
	;;#ASMEND
	;;#ASMSTART
	v_dot2_f32_f16 v44, v8, v4, v44
	;;#ASMEND
	;; [unrolled: 3-line block ×7, first 2 shown]
	s_cmp_ge_u32 s17, s4
	;;#ASMSTART
	v_dot2_f32_f16 v46, v14, v6, v46
	;;#ASMEND
	;;#ASMSTART
	v_dot2_f32_f16 v45, v14, v2, v45
	;;#ASMEND
	;; [unrolled: 3-line block ×8, first 2 shown]
	s_cbranch_scc1 .LBB56_15
.LBB56_12:                              ;   Parent Loop BB56_8 Depth=1
                                        ; =>  This Inner Loop Header: Depth=2
	v_dual_mov_b32 v29, 0 :: v_dual_add_nc_u32 v10, s17, v40
	v_dual_mov_b32 v28, 0 :: v_dual_mov_b32 v13, 0
	v_dual_mov_b32 v30, 0 :: v_dual_mov_b32 v15, 0
	s_delay_alu instid0(VALU_DEP_3) | instskip(SKIP_2) | instid1(VALU_DEP_3)
	v_min_u32_e32 v34, s15, v10
	v_dual_mov_b32 v31, 0 :: v_dual_add_nc_u32 v48, 0x200, v10
	v_dual_mov_b32 v12, 0 :: v_dual_mov_b32 v25, 0
	v_lshlrev_b64 v[0:1], 1, v[34:35]
	s_delay_alu instid0(VALU_DEP_3)
	v_min_u32_e32 v34, s15, v48
	v_dual_mov_b32 v14, 0 :: v_dual_mov_b32 v27, 0
	v_mov_b32_e32 v24, 0
	v_dual_mov_b32 v26, 0 :: v_dual_mov_b32 v11, 0
	s_waitcnt lgkmcnt(0)
	v_add_co_u32 v4, vcc_lo, s2, v0
	v_add_co_ci_u32_e32 v5, vcc_lo, s3, v1, vcc_lo
	v_lshlrev_b64 v[0:1], 1, v[34:35]
	s_delay_alu instid0(VALU_DEP_3) | instskip(NEXT) | instid1(VALU_DEP_3)
	v_add_co_u32 v2, vcc_lo, v4, v36
	v_add_co_ci_u32_e32 v3, vcc_lo, v5, v37, vcc_lo
	s_delay_alu instid0(VALU_DEP_3) | instskip(NEXT) | instid1(VALU_DEP_4)
	v_add_co_u32 v6, vcc_lo, s2, v0
	v_add_co_ci_u32_e32 v7, vcc_lo, s3, v1, vcc_lo
	v_add_co_u32 v0, vcc_lo, v4, v38
	v_add_co_ci_u32_e32 v1, vcc_lo, v5, v39, vcc_lo
	s_delay_alu instid0(VALU_DEP_4) | instskip(NEXT) | instid1(VALU_DEP_4)
	v_add_co_u32 v4, vcc_lo, v6, v36
	v_add_co_ci_u32_e32 v5, vcc_lo, v7, v37, vcc_lo
	v_add_co_u32 v8, vcc_lo, v6, v38
	v_add_co_ci_u32_e32 v9, vcc_lo, v7, v39, vcc_lo
	s_clause 0x3
	global_load_b128 v[20:23], v[2:3], off slc dlc
	global_load_b128 v[16:19], v[0:1], off slc dlc
	;; [unrolled: 1-line block ×4, first 2 shown]
	v_cmp_gt_u32_e32 vcc_lo, s4, v10
	v_dual_mov_b32 v8, 0 :: v_dual_mov_b32 v9, 0
	v_mov_b32_e32 v10, 0
	s_and_saveexec_b32 s20, vcc_lo
	s_cbranch_execz .LBB56_11
; %bb.13:                               ;   in Loop: Header=BB56_12 Depth=2
	v_dual_mov_b32 v11, 0 :: v_dual_add_nc_u32 v34, s6, v47
	v_dual_mov_b32 v10, 0 :: v_dual_mov_b32 v9, 0
	ds_load_b128 v[28:31], v47
	ds_load_b128 v[24:27], v34
	v_dual_mov_b32 v8, 0 :: v_dual_mov_b32 v15, 0
	v_dual_mov_b32 v14, 0 :: v_dual_mov_b32 v13, 0
	v_mov_b32_e32 v12, 0
	s_mov_b32 s21, exec_lo
	v_cmpx_gt_u32_e64 s4, v48
	s_cbranch_execz .LBB56_10
; %bb.14:                               ;   in Loop: Header=BB56_12 Depth=2
	ds_load_b128 v[12:15], v47 offset:1024
	ds_load_b128 v[8:11], v34 offset:1024
	s_branch .LBB56_10
.LBB56_15:                              ;   in Loop: Header=BB56_8 Depth=1
	; sched_barrier mask(0x00000000)
	v_cvt_i32_f32_e32 v0, v46
	v_cvt_i32_f32_e32 v1, v45
	s_waitcnt lgkmcnt(0)
	v_cvt_i32_f32_e32 v2, v44
	v_cvt_i32_f32_e32 v3, v33
	v_cvt_f32_i32_dpp v0, v0 row_shr:8 row_mask:0xf bank_mask:0xf bound_ctrl:1
	v_cvt_f32_i32_dpp v1, v1 row_shr:8 row_mask:0xf bank_mask:0xf bound_ctrl:1
	s_delay_alu instid0(VALU_DEP_4) | instskip(NEXT) | instid1(VALU_DEP_4)
	v_cvt_f32_i32_dpp v2, v2 row_shr:8 row_mask:0xf bank_mask:0xf bound_ctrl:1
	v_cvt_f32_i32_dpp v3, v3 row_shr:8 row_mask:0xf bank_mask:0xf bound_ctrl:1
	s_delay_alu instid0(VALU_DEP_3) | instskip(NEXT) | instid1(VALU_DEP_2)
	v_dual_add_f32 v0, v46, v0 :: v_dual_add_f32 v1, v45, v1
	v_dual_add_f32 v2, v44, v2 :: v_dual_add_f32 v3, v33, v3
	s_delay_alu instid0(VALU_DEP_2) | instskip(NEXT) | instid1(VALU_DEP_3)
	v_cvt_i32_f32_e32 v4, v0
	v_cvt_i32_f32_e32 v5, v1
	s_delay_alu instid0(VALU_DEP_3) | instskip(NEXT) | instid1(VALU_DEP_4)
	v_cvt_i32_f32_e32 v6, v2
	v_cvt_i32_f32_e32 v7, v3
	s_delay_alu instid0(VALU_DEP_4) | instskip(NEXT) | instid1(VALU_DEP_4)
	v_cvt_f32_i32_dpp v4, v4 row_shr:4 row_mask:0xf bank_mask:0xf bound_ctrl:1
	v_cvt_f32_i32_dpp v5, v5 row_shr:4 row_mask:0xf bank_mask:0xf bound_ctrl:1
	s_delay_alu instid0(VALU_DEP_4) | instskip(NEXT) | instid1(VALU_DEP_4)
	v_cvt_f32_i32_dpp v6, v6 row_shr:4 row_mask:0xf bank_mask:0xf bound_ctrl:1
	v_cvt_f32_i32_dpp v7, v7 row_shr:4 row_mask:0xf bank_mask:0xf bound_ctrl:1
	s_delay_alu instid0(VALU_DEP_3) | instskip(NEXT) | instid1(VALU_DEP_2)
	v_dual_add_f32 v0, v0, v4 :: v_dual_add_f32 v1, v1, v5
	v_dual_add_f32 v2, v2, v6 :: v_dual_add_f32 v3, v3, v7
	s_delay_alu instid0(VALU_DEP_2) | instskip(NEXT) | instid1(VALU_DEP_3)
	v_cvt_i32_f32_e32 v4, v0
	v_cvt_i32_f32_e32 v5, v1
	s_delay_alu instid0(VALU_DEP_3) | instskip(NEXT) | instid1(VALU_DEP_4)
	v_cvt_i32_f32_e32 v6, v2
	v_cvt_i32_f32_e32 v7, v3
	s_delay_alu instid0(VALU_DEP_4) | instskip(NEXT) | instid1(VALU_DEP_4)
	v_cvt_f32_i32_dpp v4, v4 row_shr:2 row_mask:0xf bank_mask:0xf bound_ctrl:1
	v_cvt_f32_i32_dpp v5, v5 row_shr:2 row_mask:0xf bank_mask:0xf bound_ctrl:1
	s_delay_alu instid0(VALU_DEP_4) | instskip(NEXT) | instid1(VALU_DEP_4)
	v_cvt_f32_i32_dpp v6, v6 row_shr:2 row_mask:0xf bank_mask:0xf bound_ctrl:1
	v_cvt_f32_i32_dpp v7, v7 row_shr:2 row_mask:0xf bank_mask:0xf bound_ctrl:1
	s_delay_alu instid0(VALU_DEP_3) | instskip(NEXT) | instid1(VALU_DEP_2)
	v_dual_add_f32 v0, v0, v4 :: v_dual_add_f32 v1, v1, v5
	v_dual_add_f32 v2, v2, v6 :: v_dual_add_f32 v3, v3, v7
	v_xor_b32_e32 v4, 16, v43
	s_delay_alu instid0(VALU_DEP_3) | instskip(NEXT) | instid1(VALU_DEP_4)
	v_cvt_i32_f32_e32 v5, v0
	v_cvt_i32_f32_e32 v6, v1
	s_delay_alu instid0(VALU_DEP_4)
	v_cvt_i32_f32_e32 v7, v2
	v_cvt_i32_f32_e32 v8, v3
	v_cmp_gt_i32_e32 vcc_lo, 32, v4
	v_cvt_f32_i32_dpp v5, v5 row_shr:1 row_mask:0xf bank_mask:0xf bound_ctrl:1
	v_cvt_f32_i32_dpp v9, v6 row_shr:1 row_mask:0xf bank_mask:0xf bound_ctrl:1
	;; [unrolled: 1-line block ×4, first 2 shown]
	v_cndmask_b32_e32 v4, v43, v4, vcc_lo
	v_add_f32_e32 v6, v0, v5
	s_delay_alu instid0(VALU_DEP_3) | instskip(NEXT) | instid1(VALU_DEP_3)
	v_add_f32_e32 v0, v3, v8
	v_lshlrev_b32_e32 v10, 2, v4
	v_dual_add_f32 v4, v1, v9 :: v_dual_add_f32 v1, v2, v7
	ds_bpermute_b32 v7, v10, v6
	ds_bpermute_b32 v5, v10, v4
	;; [unrolled: 1-line block ×4, first 2 shown]
	s_and_saveexec_b32 s17, s0
	s_cbranch_execz .LBB56_7
; %bb.16:                               ;   in Loop: Header=BB56_8 Depth=1
	s_and_b32 vcc_lo, exec_lo, s19
	s_cbranch_vccz .LBB56_18
; %bb.17:                               ;   in Loop: Header=BB56_8 Depth=1
	v_mul_hi_u32 v8, v32, v42
	v_or_b32_e32 v9, 1, v32
	v_mov_b32_e32 v33, v35
	s_delay_alu instid0(VALU_DEP_2) | instskip(NEXT) | instid1(VALU_DEP_4)
	v_mul_hi_u32 v10, v9, v42
	v_mul_lo_u32 v8, v8, s8
	s_delay_alu instid0(VALU_DEP_2) | instskip(NEXT) | instid1(VALU_DEP_2)
	v_mul_lo_u32 v10, v10, s8
	v_sub_nc_u32_e32 v8, v32, v8
	s_delay_alu instid0(VALU_DEP_1) | instskip(NEXT) | instid1(VALU_DEP_3)
	v_subrev_nc_u32_e32 v11, s8, v8
	v_sub_nc_u32_e32 v9, v9, v10
	v_cmp_le_u32_e32 vcc_lo, s8, v8
	s_delay_alu instid0(VALU_DEP_2) | instskip(NEXT) | instid1(VALU_DEP_4)
	v_subrev_nc_u32_e32 v10, s8, v9
	v_cndmask_b32_e32 v8, v8, v11, vcc_lo
	v_cmp_le_u32_e32 vcc_lo, s8, v9
	s_delay_alu instid0(VALU_DEP_3) | instskip(NEXT) | instid1(VALU_DEP_3)
	v_dual_cndmask_b32 v12, v9, v10 :: v_dual_mov_b32 v9, v35
	v_subrev_nc_u32_e32 v11, s8, v8
	v_cmp_le_u32_e32 vcc_lo, s8, v8
	s_delay_alu instid0(VALU_DEP_2) | instskip(NEXT) | instid1(VALU_DEP_4)
	v_cndmask_b32_e32 v34, v8, v11, vcc_lo
	v_subrev_nc_u32_e32 v8, s8, v12
	v_cmp_le_u32_e32 vcc_lo, s8, v12
	s_delay_alu instid0(VALU_DEP_3) | instskip(SKIP_1) | instid1(VALU_DEP_4)
	v_lshlrev_b64 v[10:11], 1, v[34:35]
	v_add_nc_u32_e32 v34, s16, v34
	v_cndmask_b32_e32 v8, v12, v8, vcc_lo
	s_delay_alu instid0(VALU_DEP_2) | instskip(NEXT) | instid1(VALU_DEP_2)
	v_lshlrev_b64 v[14:15], 1, v[34:35]
	v_lshlrev_b64 v[12:13], 1, v[8:9]
	v_add_nc_u32_e32 v34, s16, v8
	v_add_co_u32 v8, vcc_lo, s10, v10
	v_add_co_ci_u32_e32 v9, vcc_lo, s11, v11, vcc_lo
	s_delay_alu instid0(VALU_DEP_3)
	v_lshlrev_b64 v[10:11], 1, v[34:35]
	v_add_co_u32 v12, vcc_lo, s10, v12
	v_add_co_ci_u32_e32 v13, vcc_lo, s11, v13, vcc_lo
	v_add_co_u32 v14, vcc_lo, s10, v14
	v_add_co_ci_u32_e32 v15, vcc_lo, s11, v15, vcc_lo
	;; [unrolled: 2-line block ×3, first 2 shown]
	s_clause 0x3
	global_load_u16 v11, v[8:9], off
	global_load_u16 v10, v[12:13], off
	;; [unrolled: 1-line block ×4, first 2 shown]
	s_cbranch_execnz .LBB56_6
	s_branch .LBB56_19
.LBB56_18:                              ;   in Loop: Header=BB56_8 Depth=1
                                        ; implicit-def: $vgpr11
                                        ; implicit-def: $vgpr10
                                        ; implicit-def: $vgpr9
                                        ; implicit-def: $vgpr8
.LBB56_19:                              ;   in Loop: Header=BB56_8 Depth=1
	s_waitcnt vmcnt(0)
	v_dual_mov_b32 v33, v35 :: v_dual_mov_b32 v8, 0
	v_dual_mov_b32 v9, 0 :: v_dual_mov_b32 v10, 0
	v_mov_b32_e32 v11, 0
	s_branch .LBB56_6
.LBB56_20:
	s_nop 0
	s_sendmsg sendmsg(MSG_DEALLOC_VGPRS)
	s_endpgm
	.section	.rodata,"a",@progbits
	.p2align	6, 0x0
	.amdhsa_kernel _Z16wvSplitK_hf_sml_I6__halfLi64ELi2ELi16ELi8ELi2ELi2EEviiiiiiPKT_S3_S3_PS1_ii
		.amdhsa_group_segment_fixed_size 65536
		.amdhsa_private_segment_fixed_size 0
		.amdhsa_kernarg_size 64
		.amdhsa_user_sgpr_count 15
		.amdhsa_user_sgpr_dispatch_ptr 0
		.amdhsa_user_sgpr_queue_ptr 0
		.amdhsa_user_sgpr_kernarg_segment_ptr 1
		.amdhsa_user_sgpr_dispatch_id 0
		.amdhsa_user_sgpr_private_segment_size 0
		.amdhsa_wavefront_size32 1
		.amdhsa_uses_dynamic_stack 0
		.amdhsa_enable_private_segment 0
		.amdhsa_system_sgpr_workgroup_id_x 1
		.amdhsa_system_sgpr_workgroup_id_y 0
		.amdhsa_system_sgpr_workgroup_id_z 0
		.amdhsa_system_sgpr_workgroup_info 0
		.amdhsa_system_vgpr_workitem_id 1
		.amdhsa_next_free_vgpr 49
		.amdhsa_next_free_sgpr 22
		.amdhsa_reserve_vcc 1
		.amdhsa_float_round_mode_32 0
		.amdhsa_float_round_mode_16_64 0
		.amdhsa_float_denorm_mode_32 3
		.amdhsa_float_denorm_mode_16_64 3
		.amdhsa_dx10_clamp 1
		.amdhsa_ieee_mode 1
		.amdhsa_fp16_overflow 0
		.amdhsa_workgroup_processor_mode 1
		.amdhsa_memory_ordered 1
		.amdhsa_forward_progress 0
		.amdhsa_shared_vgpr_count 0
		.amdhsa_exception_fp_ieee_invalid_op 0
		.amdhsa_exception_fp_denorm_src 0
		.amdhsa_exception_fp_ieee_div_zero 0
		.amdhsa_exception_fp_ieee_overflow 0
		.amdhsa_exception_fp_ieee_underflow 0
		.amdhsa_exception_fp_ieee_inexact 0
		.amdhsa_exception_int_div_zero 0
	.end_amdhsa_kernel
	.section	.text._Z16wvSplitK_hf_sml_I6__halfLi64ELi2ELi16ELi8ELi2ELi2EEviiiiiiPKT_S3_S3_PS1_ii,"axG",@progbits,_Z16wvSplitK_hf_sml_I6__halfLi64ELi2ELi16ELi8ELi2ELi2EEviiiiiiPKT_S3_S3_PS1_ii,comdat
.Lfunc_end56:
	.size	_Z16wvSplitK_hf_sml_I6__halfLi64ELi2ELi16ELi8ELi2ELi2EEviiiiiiPKT_S3_S3_PS1_ii, .Lfunc_end56-_Z16wvSplitK_hf_sml_I6__halfLi64ELi2ELi16ELi8ELi2ELi2EEviiiiiiPKT_S3_S3_PS1_ii
                                        ; -- End function
	.section	.AMDGPU.csdata,"",@progbits
; Kernel info:
; codeLenInByte = 2532
; NumSgprs: 24
; NumVgprs: 49
; ScratchSize: 0
; MemoryBound: 0
; FloatMode: 240
; IeeeMode: 1
; LDSByteSize: 65536 bytes/workgroup (compile time only)
; SGPRBlocks: 2
; VGPRBlocks: 6
; NumSGPRsForWavesPerEU: 24
; NumVGPRsForWavesPerEU: 49
; Occupancy: 16
; WaveLimiterHint : 0
; COMPUTE_PGM_RSRC2:SCRATCH_EN: 0
; COMPUTE_PGM_RSRC2:USER_SGPR: 15
; COMPUTE_PGM_RSRC2:TRAP_HANDLER: 0
; COMPUTE_PGM_RSRC2:TGID_X_EN: 1
; COMPUTE_PGM_RSRC2:TGID_Y_EN: 0
; COMPUTE_PGM_RSRC2:TGID_Z_EN: 0
; COMPUTE_PGM_RSRC2:TIDIG_COMP_CNT: 1
	.section	.text._Z12wvSplitK_hf_I6__halfLi64ELi2ELi16ELi8ELi2ELi2EEviiiiiiPKT_S3_S3_PS1_ii,"axG",@progbits,_Z12wvSplitK_hf_I6__halfLi64ELi2ELi16ELi8ELi2ELi2EEviiiiiiPKT_S3_S3_PS1_ii,comdat
	.protected	_Z12wvSplitK_hf_I6__halfLi64ELi2ELi16ELi8ELi2ELi2EEviiiiiiPKT_S3_S3_PS1_ii ; -- Begin function _Z12wvSplitK_hf_I6__halfLi64ELi2ELi16ELi8ELi2ELi2EEviiiiiiPKT_S3_S3_PS1_ii
	.globl	_Z12wvSplitK_hf_I6__halfLi64ELi2ELi16ELi8ELi2ELi2EEviiiiiiPKT_S3_S3_PS1_ii
	.p2align	8
	.type	_Z12wvSplitK_hf_I6__halfLi64ELi2ELi16ELi8ELi2ELi2EEviiiiiiPKT_S3_S3_PS1_ii,@function
_Z12wvSplitK_hf_I6__halfLi64ELi2ELi16ELi8ELi2ELi2EEviiiiiiPKT_S3_S3_PS1_ii: ; @_Z12wvSplitK_hf_I6__halfLi64ELi2ELi16ELi8ELi2ELi2EEviiiiiiPKT_S3_S3_PS1_ii
; %bb.0:
	s_clause 0x1
	s_load_b64 s[18:19], s[0:1], 0x38
	s_load_b128 s[4:7], s[0:1], 0x0
	v_bfe_u32 v2, v0, 10, 10
	s_clause 0x1
	s_load_b64 s[8:9], s[0:1], 0x20
	s_load_b64 s[10:11], s[0:1], 0x10
	s_mov_b32 s12, 1
	s_delay_alu instid0(SALU_CYCLE_1) | instskip(NEXT) | instid1(SALU_CYCLE_1)
	s_mov_b32 s13, s12
	v_dual_mov_b32 v33, s13 :: v_dual_mov_b32 v32, s12
	s_waitcnt lgkmcnt(0)
	s_mul_i32 s15, s15, s18
	s_delay_alu instid0(SALU_CYCLE_1) | instskip(NEXT) | instid1(VALU_DEP_1)
	v_add_lshl_u32 v34, s15, v2, 1
	v_add_nc_u32_e32 v1, 2, v34
	v_cmp_gt_u32_e32 vcc_lo, s7, v34
	s_delay_alu instid0(VALU_DEP_2) | instskip(NEXT) | instid1(VALU_DEP_1)
	v_cmp_le_u32_e64 s2, s7, v1
	s_and_b32 s2, vcc_lo, s2
	s_delay_alu instid0(SALU_CYCLE_1)
	s_and_saveexec_b32 s14, s2
	s_cbranch_execz .LBB57_6
; %bb.1:
	v_dual_mov_b32 v33, s13 :: v_dual_mov_b32 v32, s12
	s_add_i32 s15, s7, -2
	s_mov_b32 s16, exec_lo
	v_cmpx_ne_u32_e64 s15, v34
	s_cbranch_execz .LBB57_5
; %bb.2:
	v_subrev_nc_u32_e32 v1, s15, v34
	s_mov_b32 s2, 1
	s_mov_b32 s17, 0
	s_mov_b64 s[12:13], 0
	s_mov_b32 s3, s2
	v_cmp_lt_u32_e32 vcc_lo, 1, v1
	v_cndmask_b32_e32 v1, 1, v1, vcc_lo
.LBB57_3:                               ; =>This Inner Loop Header: Depth=1
	s_cmp_lg_u32 s12, 1
	s_cselect_b32 s3, s3, 0
	s_cmp_lg_u32 s12, 0
	s_cselect_b32 s2, s2, 0
	s_add_u32 s12, s12, 1
	v_dual_mov_b32 v33, s3 :: v_dual_mov_b32 v32, s2
	v_cmp_eq_u32_e32 vcc_lo, s12, v1
	s_addc_u32 s13, s13, 0
	s_or_b32 s17, vcc_lo, s17
	s_delay_alu instid0(SALU_CYCLE_1)
	s_and_not1_b32 exec_lo, exec_lo, s17
	s_cbranch_execnz .LBB57_3
; %bb.4:
	s_or_b32 exec_lo, exec_lo, s17
	v_mov_b32_e32 v34, s15
.LBB57_5:
	s_or_b32 exec_lo, exec_lo, s16
.LBB57_6:
	s_delay_alu instid0(SALU_CYCLE_1)
	s_or_b32 exec_lo, exec_lo, s14
	s_load_b64 s[12:13], s[0:1], 0x28
	v_and_b32_e32 v3, 0x3ff, v0
	s_lshl_b32 s2, s6, 1
	s_mov_b32 s14, exec_lo
	s_min_u32 s3, s2, 0x8000
	s_delay_alu instid0(VALU_DEP_1) | instskip(NEXT) | instid1(VALU_DEP_1)
	v_lshlrev_b32_e32 v45, 3, v3
	v_lshl_add_u32 v4, v2, 9, v45
	s_delay_alu instid0(VALU_DEP_1)
	v_cmpx_gt_u32_e64 s3, v4
	s_cbranch_execz .LBB57_9
; %bb.7:
	v_lshlrev_b32_e32 v5, 10, v2
	v_lshlrev_b32_e32 v6, 4, v3
	s_mov_b32 s15, 0
	s_delay_alu instid0(VALU_DEP_1) | instskip(NEXT) | instid1(VALU_DEP_1)
	v_add_co_u32 v0, s2, v5, v6
	v_add_co_ci_u32_e64 v1, null, 0, 0, s2
	v_add_nc_u32_e32 v5, v5, v6
	s_delay_alu instid0(VALU_DEP_3) | instskip(NEXT) | instid1(VALU_DEP_3)
	v_add_co_u32 v0, vcc_lo, s8, v0
	v_add_co_ci_u32_e32 v1, vcc_lo, s9, v1, vcc_lo
	.p2align	6
.LBB57_8:                               ; =>This Inner Loop Header: Depth=1
	global_load_b128 v[6:9], v[0:1], off
	v_add_nc_u32_e32 v4, 0x2000, v4
	v_add_co_u32 v0, vcc_lo, 0x4000, v0
	v_add_co_ci_u32_e32 v1, vcc_lo, 0, v1, vcc_lo
	s_delay_alu instid0(VALU_DEP_3) | instskip(NEXT) | instid1(VALU_DEP_1)
	v_cmp_le_u32_e64 s2, s3, v4
	s_or_b32 s15, s2, s15
	s_waitcnt vmcnt(0)
	ds_store_b128 v5, v[6:9]
	v_add_nc_u32_e32 v5, 0x4000, v5
	s_and_not1_b32 exec_lo, exec_lo, s15
	s_cbranch_execnz .LBB57_8
.LBB57_9:
	s_or_b32 exec_lo, exec_lo, s14
	v_cmp_gt_u32_e32 vcc_lo, s18, v2
	v_cmp_gt_u32_e64 s2, s7, v34
	s_waitcnt lgkmcnt(0)
	s_barrier
	buffer_gl0_inv
	s_and_b32 s2, vcc_lo, s2
	s_delay_alu instid0(SALU_CYCLE_1)
	s_and_saveexec_b32 s3, s2
	s_cbranch_execz .LBB57_52
; %bb.10:
	v_cvt_f32_u32_e32 v0, s10
	s_cmp_lg_u32 s4, 0
	s_clause 0x1
	s_load_b64 s[14:15], s[0:1], 0x18
	s_load_b64 s[16:17], s[0:1], 0x30
	s_cselect_b32 s3, -1, 0
	s_add_i32 s20, s4, -8
	v_rcp_iflag_f32_e32 v0, v0
	s_add_i32 s21, s7, -1
	s_cmp_lg_u64 s[12:13], 0
	s_mul_i32 s1, s18, s19
	s_cselect_b32 s22, -1, 0
	s_sub_i32 s2, 0, s10
	s_lshl_b32 s23, s1, 1
	s_abs_i32 s1, s11
	s_add_i32 s24, s7, -2
	v_cmp_eq_u32_e64 s0, 63, v3
	s_waitcnt_depctr 0xfff
	v_mul_f32_e32 v0, 0x4f7ffffe, v0
	v_mov_b32_e32 v36, 0
	v_mbcnt_lo_u32_b32 v47, -1, 0
	s_delay_alu instid0(VALU_DEP_3) | instskip(NEXT) | instid1(VALU_DEP_1)
	v_cvt_u32_f32_e32 v0, v0
	v_mul_lo_u32 v1, s2, v0
	s_sub_i32 s2, 1, s1
	s_cmp_lt_u32 s1, 2
	s_cselect_b32 s2, s2, 1
	s_delay_alu instid0(SALU_CYCLE_1) | instskip(SKIP_1) | instid1(VALU_DEP_1)
	s_sub_i32 s11, s2, s1
	s_cmp_ge_u32 s2, s1
	v_mul_hi_u32 v1, v0, v1
	s_cselect_b32 s25, s11, s2
	s_mov_b32 s11, 0
	s_mul_i32 s25, s25, s10
	s_delay_alu instid0(VALU_DEP_1)
	v_add_nc_u32_e32 v46, v0, v1
	s_branch .LBB57_13
.LBB57_11:                              ;   in Loop: Header=BB57_13 Depth=1
	s_or_b32 exec_lo, exec_lo, s27
	v_mov_b32_e32 v34, s24
.LBB57_12:                              ;   in Loop: Header=BB57_13 Depth=1
	s_or_b32 exec_lo, exec_lo, s26
	s_delay_alu instid0(VALU_DEP_1) | instskip(SKIP_1) | instid1(SALU_CYCLE_1)
	v_cmp_le_u32_e32 vcc_lo, s7, v34
	s_or_b32 s11, vcc_lo, s11
	s_and_not1_b32 exec_lo, exec_lo, s11
	s_cbranch_execz .LBB57_52
.LBB57_13:                              ; =>This Loop Header: Depth=1
                                        ;     Child Loop BB57_18 Depth 2
                                        ;     Child Loop BB57_47 Depth 2
	v_dual_mov_b32 v50, v36 :: v_dual_add_nc_u32 v37, 1, v34
	v_mov_b32_e32 v51, v36
	v_mov_b32_e32 v49, v36
	;; [unrolled: 1-line block ×3, first 2 shown]
	s_and_not1_b32 vcc_lo, exec_lo, s3
	s_cbranch_vccnz .LBB57_36
; %bb.14:                               ;   in Loop: Header=BB57_13 Depth=1
	v_min_u32_e32 v0, s21, v34
	s_waitcnt lgkmcnt(0)
	v_min_u32_e32 v1, s21, v37
	v_dual_mov_b32 v49, 0 :: v_dual_mov_b32 v50, 0
	v_mov_b32_e32 v51, 0
	v_mul_lo_u32 v35, v0, s5
	s_delay_alu instid0(VALU_DEP_4) | instskip(SKIP_2) | instid1(VALU_DEP_3)
	v_mul_lo_u32 v0, v1, s5
	v_dual_mov_b32 v1, v36 :: v_dual_mov_b32 v48, 0
	s_mov_b32 s1, 0
	v_lshlrev_b64 v[38:39], 1, v[35:36]
	s_delay_alu instid0(VALU_DEP_2)
	v_lshlrev_b64 v[40:41], 1, v[0:1]
	s_branch .LBB57_18
.LBB57_15:                              ;   in Loop: Header=BB57_18 Depth=2
	s_or_b32 exec_lo, exec_lo, s19
.LBB57_16:                              ;   in Loop: Header=BB57_18 Depth=2
	s_delay_alu instid0(SALU_CYCLE_1)
	s_or_b32 exec_lo, exec_lo, s18
.LBB57_17:                              ;   in Loop: Header=BB57_18 Depth=2
	s_delay_alu instid0(SALU_CYCLE_1)
	s_or_b32 exec_lo, exec_lo, s2
	s_waitcnt vmcnt(0) lgkmcnt(0)
	;;#ASMSTART
	v_dot2_f32_f16 v51, v20, v12, v51
	;;#ASMEND
	;;#ASMSTART
	v_dot2_f32_f16 v50, v20, v8, v50
	;;#ASMEND
	;; [unrolled: 3-line block ×16, first 2 shown]
	s_addk_i32 s1, 0x400
	;;#ASMSTART
	v_dot2_f32_f16 v51, v28, v4, v51
	;;#ASMEND
	;;#ASMSTART
	v_dot2_f32_f16 v50, v28, v0, v50
	;;#ASMEND
	;; [unrolled: 3-line block ×8, first 2 shown]
	s_cmp_ge_u32 s1, s4
	;;#ASMSTART
	v_dot2_f32_f16 v51, v30, v6, v51
	;;#ASMEND
	;;#ASMSTART
	v_dot2_f32_f16 v50, v30, v2, v50
	;;#ASMEND
	;;#ASMSTART
	v_dot2_f32_f16 v49, v26, v6, v49
	;;#ASMEND
	;;#ASMSTART
	v_dot2_f32_f16 v48, v26, v2, v48
	;;#ASMEND
	;;#ASMSTART
	v_dot2_f32_f16 v51, v31, v7, v51
	;;#ASMEND
	;;#ASMSTART
	v_dot2_f32_f16 v50, v31, v3, v50
	;;#ASMEND
	;;#ASMSTART
	v_dot2_f32_f16 v49, v27, v7, v49
	;;#ASMEND
	;;#ASMSTART
	v_dot2_f32_f16 v48, v27, v3, v48
	;;#ASMEND
	s_cbranch_scc1 .LBB57_36
.LBB57_18:                              ;   Parent Loop BB57_13 Depth=1
                                        ; =>  This Inner Loop Header: Depth=2
	v_dual_mov_b32 v26, 0 :: v_dual_add_nc_u32 v43, s1, v45
	v_dual_mov_b32 v25, 0 :: v_dual_mov_b32 v24, 0
	v_dual_mov_b32 v19, 0 :: v_dual_mov_b32 v18, 0
	s_delay_alu instid0(VALU_DEP_3) | instskip(SKIP_2) | instid1(VALU_DEP_3)
	v_min_u32_e32 v35, s20, v43
	v_dual_mov_b32 v27, 0 :: v_dual_add_nc_u32 v42, 0x200, v43
	v_dual_mov_b32 v31, 0 :: v_dual_mov_b32 v30, 0
	v_lshlrev_b64 v[0:1], 1, v[35:36]
	s_delay_alu instid0(VALU_DEP_3) | instskip(SKIP_3) | instid1(VALU_DEP_4)
	v_min_u32_e32 v35, s20, v42
	v_dual_mov_b32 v29, 0 :: v_dual_mov_b32 v28, 0
	v_dual_mov_b32 v23, 0 :: v_dual_mov_b32 v22, 0
	s_waitcnt lgkmcnt(0)
	v_add_co_u32 v4, vcc_lo, s14, v0
	v_add_co_ci_u32_e32 v5, vcc_lo, s15, v1, vcc_lo
	v_lshlrev_b64 v[0:1], 1, v[35:36]
	s_delay_alu instid0(VALU_DEP_3) | instskip(NEXT) | instid1(VALU_DEP_3)
	v_add_co_u32 v2, vcc_lo, v4, v38
	v_add_co_ci_u32_e32 v3, vcc_lo, v5, v39, vcc_lo
	v_dual_mov_b32 v21, 0 :: v_dual_mov_b32 v20, 0
	s_delay_alu instid0(VALU_DEP_4) | instskip(SKIP_3) | instid1(VALU_DEP_4)
	v_add_co_u32 v6, vcc_lo, s14, v0
	v_add_co_ci_u32_e32 v7, vcc_lo, s15, v1, vcc_lo
	v_add_co_u32 v0, vcc_lo, v4, v40
	v_add_co_ci_u32_e32 v1, vcc_lo, v5, v41, vcc_lo
	v_add_co_u32 v4, vcc_lo, v6, v38
	s_delay_alu instid0(VALU_DEP_4)
	v_add_co_ci_u32_e32 v5, vcc_lo, v7, v39, vcc_lo
	v_add_co_u32 v16, vcc_lo, v6, v40
	v_add_co_ci_u32_e32 v17, vcc_lo, v7, v41, vcc_lo
	s_clause 0x3
	global_load_b128 v[12:15], v[2:3], off slc dlc
	global_load_b128 v[8:11], v[0:1], off slc dlc
	;; [unrolled: 1-line block ×4, first 2 shown]
	v_dual_mov_b32 v17, 0 :: v_dual_mov_b32 v16, 0
	s_mov_b32 s2, exec_lo
	v_cmpx_gt_u32_e64 s4, v43
	s_cbranch_execz .LBB57_17
; %bb.19:                               ;   in Loop: Header=BB57_18 Depth=2
	s_mov_b32 s18, exec_lo
                                        ; implicit-def: $vgpr23
	v_cmpx_lt_u32_e32 0x7fff, v43
	s_xor_b32 s18, exec_lo, s18
	s_cbranch_execz .LBB57_21
; %bb.20:                               ;   in Loop: Header=BB57_18 Depth=2
	v_mov_b32_e32 v44, v36
	s_delay_alu instid0(VALU_DEP_1) | instskip(NEXT) | instid1(VALU_DEP_1)
	v_lshlrev_b64 v[16:17], 1, v[43:44]
	v_add_co_u32 v16, vcc_lo, s8, v16
	s_delay_alu instid0(VALU_DEP_2)
	v_add_co_ci_u32_e32 v17, vcc_lo, s9, v17, vcc_lo
	global_load_b128 v[20:23], v[16:17], off
.LBB57_21:                              ;   in Loop: Header=BB57_18 Depth=2
	s_and_not1_saveexec_b32 s18, s18
	s_cbranch_execz .LBB57_23
; %bb.22:                               ;   in Loop: Header=BB57_18 Depth=2
	v_lshlrev_b32_e32 v16, 1, v43
	s_waitcnt vmcnt(0)
	ds_load_b128 v[20:23], v16
.LBB57_23:                              ;   in Loop: Header=BB57_18 Depth=2
	s_or_b32 exec_lo, exec_lo, s18
	v_add_nc_u32_e32 v35, s6, v43
	s_mov_b32 s18, exec_lo
                                        ; implicit-def: $vgpr19
	s_delay_alu instid0(VALU_DEP_1)
	v_cmpx_lt_u32_e32 0x7fff, v35
	s_xor_b32 s18, exec_lo, s18
	s_cbranch_execz .LBB57_25
; %bb.24:                               ;   in Loop: Header=BB57_18 Depth=2
	v_lshlrev_b64 v[16:17], 1, v[35:36]
	s_delay_alu instid0(VALU_DEP_1) | instskip(NEXT) | instid1(VALU_DEP_2)
	v_add_co_u32 v16, vcc_lo, s8, v16
	v_add_co_ci_u32_e32 v17, vcc_lo, s9, v17, vcc_lo
	global_load_b128 v[16:19], v[16:17], off
.LBB57_25:                              ;   in Loop: Header=BB57_18 Depth=2
	s_and_not1_saveexec_b32 s18, s18
	s_cbranch_execz .LBB57_27
; %bb.26:                               ;   in Loop: Header=BB57_18 Depth=2
	s_waitcnt vmcnt(0)
	v_lshlrev_b32_e32 v16, 1, v35
	ds_load_b128 v[16:19], v16
.LBB57_27:                              ;   in Loop: Header=BB57_18 Depth=2
	s_or_b32 exec_lo, exec_lo, s18
	v_dual_mov_b32 v27, 0 :: v_dual_mov_b32 v26, 0
	v_dual_mov_b32 v25, 0 :: v_dual_mov_b32 v24, 0
	;; [unrolled: 1-line block ×4, first 2 shown]
	s_mov_b32 s18, exec_lo
	v_cmpx_gt_u32_e64 s4, v42
	s_cbranch_execz .LBB57_16
; %bb.28:                               ;   in Loop: Header=BB57_18 Depth=2
	s_mov_b32 s19, exec_lo
                                        ; implicit-def: $vgpr31
	v_cmpx_lt_u32_e32 0x7fff, v42
	s_xor_b32 s19, exec_lo, s19
	s_cbranch_execz .LBB57_30
; %bb.29:                               ;   in Loop: Header=BB57_18 Depth=2
	v_mov_b32_e32 v43, v36
	s_delay_alu instid0(VALU_DEP_1) | instskip(NEXT) | instid1(VALU_DEP_1)
	v_lshlrev_b64 v[24:25], 1, v[42:43]
                                        ; implicit-def: $vgpr43
	v_add_co_u32 v24, vcc_lo, s8, v24
	s_delay_alu instid0(VALU_DEP_2)
	v_add_co_ci_u32_e32 v25, vcc_lo, s9, v25, vcc_lo
	global_load_b128 v[28:31], v[24:25], off
.LBB57_30:                              ;   in Loop: Header=BB57_18 Depth=2
	s_and_not1_saveexec_b32 s19, s19
	s_cbranch_execz .LBB57_32
; %bb.31:                               ;   in Loop: Header=BB57_18 Depth=2
	v_lshlrev_b32_e32 v24, 1, v43
	s_waitcnt vmcnt(0)
	ds_load_b128 v[28:31], v24 offset:1024
.LBB57_32:                              ;   in Loop: Header=BB57_18 Depth=2
	s_or_b32 exec_lo, exec_lo, s19
	v_add_nc_u32_e32 v24, s6, v42
	s_mov_b32 s19, exec_lo
                                        ; implicit-def: $vgpr27
	s_delay_alu instid0(VALU_DEP_1)
	v_cmpx_lt_u32_e32 0x7fff, v24
	s_xor_b32 s19, exec_lo, s19
	s_cbranch_execz .LBB57_34
; %bb.33:                               ;   in Loop: Header=BB57_18 Depth=2
	v_mov_b32_e32 v25, v36
	s_delay_alu instid0(VALU_DEP_1) | instskip(NEXT) | instid1(VALU_DEP_1)
	v_lshlrev_b64 v[24:25], 1, v[24:25]
	v_add_co_u32 v24, vcc_lo, s8, v24
	s_delay_alu instid0(VALU_DEP_2)
	v_add_co_ci_u32_e32 v25, vcc_lo, s9, v25, vcc_lo
	global_load_b128 v[24:27], v[24:25], off
.LBB57_34:                              ;   in Loop: Header=BB57_18 Depth=2
	s_and_not1_saveexec_b32 s19, s19
	s_cbranch_execz .LBB57_15
; %bb.35:                               ;   in Loop: Header=BB57_18 Depth=2
	s_waitcnt vmcnt(0)
	v_lshlrev_b32_e32 v24, 1, v35
	ds_load_b128 v[24:27], v24 offset:1024
	s_branch .LBB57_15
.LBB57_36:                              ;   in Loop: Header=BB57_13 Depth=1
	v_cvt_i32_f32_e32 v0, v51
	s_waitcnt lgkmcnt(0)
	v_cvt_i32_f32_e32 v1, v50
	v_cvt_i32_f32_e32 v2, v49
	;; [unrolled: 1-line block ×3, first 2 shown]
	v_cvt_f32_i32_dpp v0, v0 row_shr:8 row_mask:0xf bank_mask:0xf bound_ctrl:1
	s_delay_alu instid0(VALU_DEP_4) | instskip(NEXT) | instid1(VALU_DEP_4)
	v_cvt_f32_i32_dpp v1, v1 row_shr:8 row_mask:0xf bank_mask:0xf bound_ctrl:1
	v_cvt_f32_i32_dpp v2, v2 row_shr:8 row_mask:0xf bank_mask:0xf bound_ctrl:1
	s_delay_alu instid0(VALU_DEP_4) | instskip(NEXT) | instid1(VALU_DEP_3)
	v_cvt_f32_i32_dpp v3, v3 row_shr:8 row_mask:0xf bank_mask:0xf bound_ctrl:1
	v_dual_add_f32 v0, v51, v0 :: v_dual_add_f32 v1, v50, v1
	s_delay_alu instid0(VALU_DEP_2) | instskip(NEXT) | instid1(VALU_DEP_2)
	v_dual_add_f32 v2, v49, v2 :: v_dual_add_f32 v3, v48, v3
	v_cvt_i32_f32_e32 v4, v0
	s_delay_alu instid0(VALU_DEP_3) | instskip(NEXT) | instid1(VALU_DEP_3)
	v_cvt_i32_f32_e32 v5, v1
	v_cvt_i32_f32_e32 v6, v2
	s_delay_alu instid0(VALU_DEP_4) | instskip(NEXT) | instid1(VALU_DEP_4)
	v_cvt_i32_f32_e32 v7, v3
	v_cvt_f32_i32_dpp v4, v4 row_shr:4 row_mask:0xf bank_mask:0xf bound_ctrl:1
	s_delay_alu instid0(VALU_DEP_4) | instskip(NEXT) | instid1(VALU_DEP_4)
	v_cvt_f32_i32_dpp v5, v5 row_shr:4 row_mask:0xf bank_mask:0xf bound_ctrl:1
	v_cvt_f32_i32_dpp v6, v6 row_shr:4 row_mask:0xf bank_mask:0xf bound_ctrl:1
	s_delay_alu instid0(VALU_DEP_4) | instskip(NEXT) | instid1(VALU_DEP_3)
	v_cvt_f32_i32_dpp v7, v7 row_shr:4 row_mask:0xf bank_mask:0xf bound_ctrl:1
	v_dual_add_f32 v0, v0, v4 :: v_dual_add_f32 v1, v1, v5
	s_delay_alu instid0(VALU_DEP_2) | instskip(NEXT) | instid1(VALU_DEP_2)
	v_dual_add_f32 v2, v2, v6 :: v_dual_add_f32 v3, v3, v7
	v_cvt_i32_f32_e32 v4, v0
	s_delay_alu instid0(VALU_DEP_3) | instskip(NEXT) | instid1(VALU_DEP_3)
	v_cvt_i32_f32_e32 v5, v1
	v_cvt_i32_f32_e32 v6, v2
	s_delay_alu instid0(VALU_DEP_4) | instskip(NEXT) | instid1(VALU_DEP_4)
	v_cvt_i32_f32_e32 v7, v3
	v_cvt_f32_i32_dpp v4, v4 row_shr:2 row_mask:0xf bank_mask:0xf bound_ctrl:1
	s_delay_alu instid0(VALU_DEP_4) | instskip(NEXT) | instid1(VALU_DEP_4)
	v_cvt_f32_i32_dpp v5, v5 row_shr:2 row_mask:0xf bank_mask:0xf bound_ctrl:1
	v_cvt_f32_i32_dpp v6, v6 row_shr:2 row_mask:0xf bank_mask:0xf bound_ctrl:1
	s_delay_alu instid0(VALU_DEP_4) | instskip(NEXT) | instid1(VALU_DEP_3)
	v_cvt_f32_i32_dpp v7, v7 row_shr:2 row_mask:0xf bank_mask:0xf bound_ctrl:1
	v_dual_add_f32 v0, v0, v4 :: v_dual_add_f32 v1, v1, v5
	s_delay_alu instid0(VALU_DEP_2) | instskip(SKIP_1) | instid1(VALU_DEP_3)
	v_dual_add_f32 v2, v2, v6 :: v_dual_add_f32 v3, v3, v7
	v_xor_b32_e32 v4, 16, v47
	v_cvt_i32_f32_e32 v5, v0
	s_delay_alu instid0(VALU_DEP_4) | instskip(NEXT) | instid1(VALU_DEP_4)
	v_cvt_i32_f32_e32 v6, v1
	v_cvt_i32_f32_e32 v7, v2
	s_waitcnt vmcnt(0)
	v_cvt_i32_f32_e32 v8, v3
	v_cmp_gt_i32_e32 vcc_lo, 32, v4
	v_cvt_f32_i32_dpp v5, v5 row_shr:1 row_mask:0xf bank_mask:0xf bound_ctrl:1
	v_cvt_f32_i32_dpp v9, v6 row_shr:1 row_mask:0xf bank_mask:0xf bound_ctrl:1
	;; [unrolled: 1-line block ×4, first 2 shown]
	v_cndmask_b32_e32 v4, v47, v4, vcc_lo
	v_add_f32_e32 v6, v0, v5
	s_delay_alu instid0(VALU_DEP_4) | instskip(NEXT) | instid1(VALU_DEP_4)
	v_add_f32_e32 v2, v2, v7
	v_add_f32_e32 v0, v3, v8
	s_delay_alu instid0(VALU_DEP_4)
	v_lshlrev_b32_e32 v10, 2, v4
	v_add_f32_e32 v4, v1, v9
	ds_bpermute_b32 v7, v10, v6
	ds_bpermute_b32 v5, v10, v4
	;; [unrolled: 1-line block ×4, first 2 shown]
	s_and_saveexec_b32 s18, s0
	s_cbranch_execz .LBB57_44
; %bb.37:                               ;   in Loop: Header=BB57_13 Depth=1
	v_dual_mov_b32 v8, 0 :: v_dual_mov_b32 v9, 0
	v_dual_mov_b32 v10, 0 :: v_dual_mov_b32 v11, 0
	s_and_not1_b32 vcc_lo, exec_lo, s22
	s_cbranch_vccnz .LBB57_39
; %bb.38:                               ;   in Loop: Header=BB57_13 Depth=1
	v_mul_hi_u32 v8, v34, v46
	v_mul_hi_u32 v9, v37, v46
	s_delay_alu instid0(VALU_DEP_2) | instskip(NEXT) | instid1(VALU_DEP_2)
	v_mul_lo_u32 v8, v8, s10
	v_mul_lo_u32 v9, v9, s10
	s_delay_alu instid0(VALU_DEP_2) | instskip(NEXT) | instid1(VALU_DEP_2)
	v_sub_nc_u32_e32 v8, v34, v8
	v_sub_nc_u32_e32 v9, v37, v9
	s_delay_alu instid0(VALU_DEP_2) | instskip(SKIP_1) | instid1(VALU_DEP_3)
	v_subrev_nc_u32_e32 v10, s10, v8
	v_cmp_le_u32_e32 vcc_lo, s10, v8
	v_subrev_nc_u32_e32 v11, s10, v9
	s_delay_alu instid0(VALU_DEP_3) | instskip(SKIP_1) | instid1(VALU_DEP_3)
	v_cndmask_b32_e32 v8, v8, v10, vcc_lo
	v_cmp_le_u32_e32 vcc_lo, s10, v9
	v_cndmask_b32_e32 v10, v9, v11, vcc_lo
	s_delay_alu instid0(VALU_DEP_3) | instskip(SKIP_1) | instid1(VALU_DEP_2)
	v_subrev_nc_u32_e32 v9, s10, v8
	v_cmp_le_u32_e32 vcc_lo, s10, v8
	v_cndmask_b32_e32 v35, v8, v9, vcc_lo
	s_delay_alu instid0(VALU_DEP_4) | instskip(SKIP_1) | instid1(VALU_DEP_2)
	v_subrev_nc_u32_e32 v11, s10, v10
	v_cmp_le_u32_e32 vcc_lo, s10, v10
	v_dual_mov_b32 v9, v36 :: v_dual_cndmask_b32 v8, v10, v11
	s_delay_alu instid0(VALU_DEP_4) | instskip(SKIP_1) | instid1(VALU_DEP_3)
	v_lshlrev_b64 v[10:11], 1, v[35:36]
	v_add_nc_u32_e32 v35, s25, v35
	v_lshlrev_b64 v[12:13], 1, v[8:9]
	s_delay_alu instid0(VALU_DEP_2) | instskip(SKIP_4) | instid1(VALU_DEP_4)
	v_lshlrev_b64 v[14:15], 1, v[35:36]
	v_add_nc_u32_e32 v35, s25, v8
	v_add_co_u32 v8, vcc_lo, s12, v10
	v_add_co_ci_u32_e32 v9, vcc_lo, s13, v11, vcc_lo
	v_add_co_u32 v12, vcc_lo, s12, v12
	v_lshlrev_b64 v[10:11], 1, v[35:36]
	v_add_co_ci_u32_e32 v13, vcc_lo, s13, v13, vcc_lo
	v_add_co_u32 v14, vcc_lo, s12, v14
	v_add_co_ci_u32_e32 v15, vcc_lo, s13, v15, vcc_lo
	s_delay_alu instid0(VALU_DEP_4)
	v_add_co_u32 v16, vcc_lo, s12, v10
	v_add_co_ci_u32_e32 v17, vcc_lo, s13, v11, vcc_lo
	s_clause 0x3
	global_load_u16 v11, v[8:9], off
	global_load_u16 v10, v[12:13], off
	;; [unrolled: 1-line block ×4, first 2 shown]
.LBB57_39:                              ;   in Loop: Header=BB57_13 Depth=1
	v_cmp_ne_u32_e32 vcc_lo, 0, v32
	s_and_saveexec_b32 s2, vcc_lo
	s_cbranch_execnz .LBB57_49
; %bb.40:                               ;   in Loop: Header=BB57_13 Depth=1
	s_or_b32 exec_lo, exec_lo, s2
	v_cmp_ne_u32_e64 s1, 0, v33
	s_delay_alu instid0(VALU_DEP_1)
	s_and_saveexec_b32 s19, s1
	s_cbranch_execnz .LBB57_50
.LBB57_41:                              ;   in Loop: Header=BB57_13 Depth=1
	s_or_b32 exec_lo, exec_lo, s19
	v_add_nc_u32_e32 v35, s7, v34
	s_and_saveexec_b32 s2, vcc_lo
	s_cbranch_execnz .LBB57_51
.LBB57_42:                              ;   in Loop: Header=BB57_13 Depth=1
	s_or_b32 exec_lo, exec_lo, s2
	s_delay_alu instid0(SALU_CYCLE_1)
	s_and_b32 exec_lo, exec_lo, s1
	s_cbranch_execz .LBB57_44
.LBB57_43:                              ;   in Loop: Header=BB57_13 Depth=1
	s_waitcnt lgkmcnt(0)
	v_dual_add_f32 v0, v0, v1 :: v_dual_add_nc_u32 v35, 1, v35
	s_waitcnt vmcnt(0)
	v_cvt_f32_f16_e32 v1, v8
	s_delay_alu instid0(VALU_DEP_1) | instskip(NEXT) | instid1(VALU_DEP_3)
	v_add_f32_e32 v2, v0, v1
	v_lshlrev_b64 v[0:1], 1, v[35:36]
	s_delay_alu instid0(VALU_DEP_2) | instskip(NEXT) | instid1(VALU_DEP_2)
	v_cvt_f16_f32_e32 v2, v2
	v_add_co_u32 v0, vcc_lo, s16, v0
	s_delay_alu instid0(VALU_DEP_3)
	v_add_co_ci_u32_e32 v1, vcc_lo, s17, v1, vcc_lo
	global_store_b16 v[0:1], v2, off
.LBB57_44:                              ;   in Loop: Header=BB57_13 Depth=1
	s_or_b32 exec_lo, exec_lo, s18
	v_add_nc_u32_e32 v34, s23, v34
	s_delay_alu instid0(VALU_DEP_1) | instskip(SKIP_1) | instid1(VALU_DEP_2)
	v_add_nc_u32_e32 v0, 2, v34
	v_cmp_gt_u32_e32 vcc_lo, s7, v34
	v_cmp_le_u32_e64 s1, s7, v0
	s_delay_alu instid0(VALU_DEP_1) | instskip(NEXT) | instid1(SALU_CYCLE_1)
	s_and_b32 s1, vcc_lo, s1
	s_and_saveexec_b32 s26, s1
	s_cbranch_execz .LBB57_12
; %bb.45:                               ;   in Loop: Header=BB57_13 Depth=1
	s_mov_b32 s27, exec_lo
	v_cmpx_ne_u32_e64 s24, v34
	s_cbranch_execz .LBB57_11
; %bb.46:                               ;   in Loop: Header=BB57_13 Depth=1
	v_subrev_nc_u32_e32 v0, s24, v34
	s_mov_b32 s28, 0
	s_mov_b64 s[18:19], 0
	s_delay_alu instid0(VALU_DEP_1)
	v_cmp_lt_u32_e32 vcc_lo, 1, v0
	v_cndmask_b32_e32 v0, 1, v0, vcc_lo
.LBB57_47:                              ;   Parent Loop BB57_13 Depth=1
                                        ; =>  This Inner Loop Header: Depth=2
	s_cmp_lg_u32 s18, 1
	s_cselect_b32 vcc_lo, -1, 0
	s_cmp_lg_u32 s18, 0
	v_cndmask_b32_e32 v33, 0, v33, vcc_lo
	s_cselect_b32 s1, -1, 0
	s_add_u32 s18, s18, 1
	v_cndmask_b32_e64 v32, 0, v32, s1
	v_cmp_eq_u32_e64 s2, s18, v0
	s_addc_u32 s19, s19, 0
	s_delay_alu instid0(VALU_DEP_1) | instskip(NEXT) | instid1(SALU_CYCLE_1)
	s_or_b32 s28, s2, s28
	s_and_not1_b32 exec_lo, exec_lo, s28
	s_cbranch_execnz .LBB57_47
; %bb.48:                               ;   in Loop: Header=BB57_13 Depth=1
	s_or_b32 exec_lo, exec_lo, s28
	s_branch .LBB57_11
.LBB57_49:                              ;   in Loop: Header=BB57_13 Depth=1
	s_waitcnt lgkmcnt(0)
	v_dual_add_f32 v6, v6, v7 :: v_dual_mov_b32 v35, v36
	s_waitcnt vmcnt(3)
	v_cvt_f32_f16_e32 v7, v11
	s_delay_alu instid0(VALU_DEP_1) | instskip(NEXT) | instid1(VALU_DEP_3)
	v_add_f32_e32 v11, v6, v7
	v_lshlrev_b64 v[6:7], 1, v[34:35]
	s_delay_alu instid0(VALU_DEP_2) | instskip(NEXT) | instid1(VALU_DEP_2)
	v_cvt_f16_f32_e32 v11, v11
	v_add_co_u32 v6, s1, s16, v6
	s_delay_alu instid0(VALU_DEP_1) | instskip(SKIP_3) | instid1(VALU_DEP_1)
	v_add_co_ci_u32_e64 v7, s1, s17, v7, s1
	global_store_b16 v[6:7], v11, off
	s_or_b32 exec_lo, exec_lo, s2
	v_cmp_ne_u32_e64 s1, 0, v33
	s_and_saveexec_b32 s19, s1
	s_cbranch_execz .LBB57_41
.LBB57_50:                              ;   in Loop: Header=BB57_13 Depth=1
	s_waitcnt lgkmcnt(0)
	v_add_f32_e32 v4, v4, v5
	s_waitcnt vmcnt(2)
	v_cvt_f32_f16_e32 v5, v10
	v_mov_b32_e32 v38, v36
	s_delay_alu instid0(VALU_DEP_2) | instskip(NEXT) | instid1(VALU_DEP_2)
	v_add_f32_e32 v6, v4, v5
	v_lshlrev_b64 v[4:5], 1, v[37:38]
	s_delay_alu instid0(VALU_DEP_2) | instskip(NEXT) | instid1(VALU_DEP_2)
	v_cvt_f16_f32_e32 v6, v6
	v_add_co_u32 v4, s2, s16, v4
	s_delay_alu instid0(VALU_DEP_1)
	v_add_co_ci_u32_e64 v5, s2, s17, v5, s2
	global_store_b16 v[4:5], v6, off
	s_or_b32 exec_lo, exec_lo, s19
	v_add_nc_u32_e32 v35, s7, v34
	s_and_saveexec_b32 s2, vcc_lo
	s_cbranch_execz .LBB57_42
.LBB57_51:                              ;   in Loop: Header=BB57_13 Depth=1
	s_waitcnt lgkmcnt(0)
	v_add_f32_e32 v2, v2, v3
	s_waitcnt vmcnt(1)
	v_cvt_f32_f16_e32 v3, v9
	s_delay_alu instid0(VALU_DEP_1) | instskip(SKIP_1) | instid1(VALU_DEP_2)
	v_add_f32_e32 v4, v2, v3
	v_lshlrev_b64 v[2:3], 1, v[35:36]
	v_cvt_f16_f32_e32 v4, v4
	s_delay_alu instid0(VALU_DEP_2) | instskip(NEXT) | instid1(VALU_DEP_3)
	v_add_co_u32 v2, vcc_lo, s16, v2
	v_add_co_ci_u32_e32 v3, vcc_lo, s17, v3, vcc_lo
	global_store_b16 v[2:3], v4, off
	s_or_b32 exec_lo, exec_lo, s2
	s_delay_alu instid0(SALU_CYCLE_1)
	s_and_b32 exec_lo, exec_lo, s1
	s_cbranch_execnz .LBB57_43
	s_branch .LBB57_44
.LBB57_52:
	s_nop 0
	s_sendmsg sendmsg(MSG_DEALLOC_VGPRS)
	s_endpgm
	.section	.rodata,"a",@progbits
	.p2align	6, 0x0
	.amdhsa_kernel _Z12wvSplitK_hf_I6__halfLi64ELi2ELi16ELi8ELi2ELi2EEviiiiiiPKT_S3_S3_PS1_ii
		.amdhsa_group_segment_fixed_size 65536
		.amdhsa_private_segment_fixed_size 0
		.amdhsa_kernarg_size 64
		.amdhsa_user_sgpr_count 15
		.amdhsa_user_sgpr_dispatch_ptr 0
		.amdhsa_user_sgpr_queue_ptr 0
		.amdhsa_user_sgpr_kernarg_segment_ptr 1
		.amdhsa_user_sgpr_dispatch_id 0
		.amdhsa_user_sgpr_private_segment_size 0
		.amdhsa_wavefront_size32 1
		.amdhsa_uses_dynamic_stack 0
		.amdhsa_enable_private_segment 0
		.amdhsa_system_sgpr_workgroup_id_x 1
		.amdhsa_system_sgpr_workgroup_id_y 0
		.amdhsa_system_sgpr_workgroup_id_z 0
		.amdhsa_system_sgpr_workgroup_info 0
		.amdhsa_system_vgpr_workitem_id 1
		.amdhsa_next_free_vgpr 52
		.amdhsa_next_free_sgpr 29
		.amdhsa_reserve_vcc 1
		.amdhsa_float_round_mode_32 0
		.amdhsa_float_round_mode_16_64 0
		.amdhsa_float_denorm_mode_32 3
		.amdhsa_float_denorm_mode_16_64 3
		.amdhsa_dx10_clamp 1
		.amdhsa_ieee_mode 1
		.amdhsa_fp16_overflow 0
		.amdhsa_workgroup_processor_mode 1
		.amdhsa_memory_ordered 1
		.amdhsa_forward_progress 0
		.amdhsa_shared_vgpr_count 0
		.amdhsa_exception_fp_ieee_invalid_op 0
		.amdhsa_exception_fp_denorm_src 0
		.amdhsa_exception_fp_ieee_div_zero 0
		.amdhsa_exception_fp_ieee_overflow 0
		.amdhsa_exception_fp_ieee_underflow 0
		.amdhsa_exception_fp_ieee_inexact 0
		.amdhsa_exception_int_div_zero 0
	.end_amdhsa_kernel
	.section	.text._Z12wvSplitK_hf_I6__halfLi64ELi2ELi16ELi8ELi2ELi2EEviiiiiiPKT_S3_S3_PS1_ii,"axG",@progbits,_Z12wvSplitK_hf_I6__halfLi64ELi2ELi16ELi8ELi2ELi2EEviiiiiiPKT_S3_S3_PS1_ii,comdat
.Lfunc_end57:
	.size	_Z12wvSplitK_hf_I6__halfLi64ELi2ELi16ELi8ELi2ELi2EEviiiiiiPKT_S3_S3_PS1_ii, .Lfunc_end57-_Z12wvSplitK_hf_I6__halfLi64ELi2ELi16ELi8ELi2ELi2EEviiiiiiPKT_S3_S3_PS1_ii
                                        ; -- End function
	.section	.AMDGPU.csdata,"",@progbits
; Kernel info:
; codeLenInByte = 3360
; NumSgprs: 31
; NumVgprs: 52
; ScratchSize: 0
; MemoryBound: 0
; FloatMode: 240
; IeeeMode: 1
; LDSByteSize: 65536 bytes/workgroup (compile time only)
; SGPRBlocks: 3
; VGPRBlocks: 6
; NumSGPRsForWavesPerEU: 31
; NumVGPRsForWavesPerEU: 52
; Occupancy: 16
; WaveLimiterHint : 0
; COMPUTE_PGM_RSRC2:SCRATCH_EN: 0
; COMPUTE_PGM_RSRC2:USER_SGPR: 15
; COMPUTE_PGM_RSRC2:TRAP_HANDLER: 0
; COMPUTE_PGM_RSRC2:TGID_X_EN: 1
; COMPUTE_PGM_RSRC2:TGID_Y_EN: 0
; COMPUTE_PGM_RSRC2:TGID_Z_EN: 0
; COMPUTE_PGM_RSRC2:TIDIG_COMP_CNT: 1
	.section	.text._Z16wvSplitK_hf_big_I6__halfLi64ELi2ELi16ELi8ELi2ELi2EEviiiiiiPKT_S3_S3_PS1_ii,"axG",@progbits,_Z16wvSplitK_hf_big_I6__halfLi64ELi2ELi16ELi8ELi2ELi2EEviiiiiiPKT_S3_S3_PS1_ii,comdat
	.protected	_Z16wvSplitK_hf_big_I6__halfLi64ELi2ELi16ELi8ELi2ELi2EEviiiiiiPKT_S3_S3_PS1_ii ; -- Begin function _Z16wvSplitK_hf_big_I6__halfLi64ELi2ELi16ELi8ELi2ELi2EEviiiiiiPKT_S3_S3_PS1_ii
	.globl	_Z16wvSplitK_hf_big_I6__halfLi64ELi2ELi16ELi8ELi2ELi2EEviiiiiiPKT_S3_S3_PS1_ii
	.p2align	8
	.type	_Z16wvSplitK_hf_big_I6__halfLi64ELi2ELi16ELi8ELi2ELi2EEviiiiiiPKT_S3_S3_PS1_ii,@function
_Z16wvSplitK_hf_big_I6__halfLi64ELi2ELi16ELi8ELi2ELi2EEviiiiiiPKT_S3_S3_PS1_ii: ; @_Z16wvSplitK_hf_big_I6__halfLi64ELi2ELi16ELi8ELi2ELi2EEviiiiiiPKT_S3_S3_PS1_ii
; %bb.0:
	s_load_b64 s[20:21], s[0:1], 0x38
	v_bfe_u32 v1, v0, 10, 10
	s_mov_b32 s2, exec_lo
	s_waitcnt lgkmcnt(0)
	s_delay_alu instid0(VALU_DEP_1)
	v_cmpx_gt_u32_e64 s20, v1
	s_cbranch_execz .LBB58_48
; %bb.1:
	s_load_b128 s[16:19], s[0:1], 0x0
	s_mul_i32 s15, s15, s20
	s_mov_b32 s4, 1
	v_add_lshl_u32 v34, s15, v1, 1
	s_mov_b32 s5, s4
	s_delay_alu instid0(SALU_CYCLE_1) | instskip(NEXT) | instid1(VALU_DEP_2)
	v_dual_mov_b32 v33, s5 :: v_dual_mov_b32 v32, s4
	v_add_nc_u32_e32 v2, 2, v34
	s_waitcnt lgkmcnt(0)
	v_cmp_gt_u32_e32 vcc_lo, s19, v34
	s_delay_alu instid0(VALU_DEP_2) | instskip(NEXT) | instid1(VALU_DEP_1)
	v_cmp_le_u32_e64 s2, s19, v2
	s_and_b32 s2, vcc_lo, s2
	s_delay_alu instid0(SALU_CYCLE_1)
	s_and_saveexec_b32 s6, s2
	s_cbranch_execz .LBB58_7
; %bb.2:
	v_dual_mov_b32 v33, s5 :: v_dual_mov_b32 v32, s4
	s_add_i32 s7, s19, -2
	s_mov_b32 s8, exec_lo
	v_cmpx_ne_u32_e64 s7, v34
	s_cbranch_execz .LBB58_6
; %bb.3:
	v_subrev_nc_u32_e32 v2, s7, v34
	s_mov_b32 s2, 1
	s_mov_b32 s9, 0
	s_mov_b64 s[4:5], 0
	s_mov_b32 s3, s2
	v_cmp_lt_u32_e32 vcc_lo, 1, v2
	v_cndmask_b32_e32 v2, 1, v2, vcc_lo
.LBB58_4:                               ; =>This Inner Loop Header: Depth=1
	s_cmp_lg_u32 s4, 1
	s_cselect_b32 s3, s3, 0
	s_cmp_lg_u32 s4, 0
	s_cselect_b32 s2, s2, 0
	s_add_u32 s4, s4, 1
	v_dual_mov_b32 v33, s3 :: v_dual_mov_b32 v32, s2
	v_cmp_eq_u32_e32 vcc_lo, s4, v2
	s_addc_u32 s5, s5, 0
	s_or_b32 s9, vcc_lo, s9
	s_delay_alu instid0(SALU_CYCLE_1)
	s_and_not1_b32 exec_lo, exec_lo, s9
	s_cbranch_execnz .LBB58_4
; %bb.5:
	s_or_b32 exec_lo, exec_lo, s9
	v_mov_b32_e32 v34, s7
.LBB58_6:
	s_or_b32 exec_lo, exec_lo, s8
.LBB58_7:
	s_delay_alu instid0(SALU_CYCLE_1)
	s_or_b32 exec_lo, exec_lo, s6
	s_lshl_b32 s2, s20, 1
	s_abs_i32 s6, s19
	s_abs_i32 s3, s2
	s_mov_b32 s22, 0
	v_cvt_f32_u32_e32 v2, s3
	s_sub_i32 s5, 0, s3
	s_delay_alu instid0(VALU_DEP_1) | instskip(SKIP_2) | instid1(VALU_DEP_1)
	v_rcp_iflag_f32_e32 v2, v2
	s_waitcnt_depctr 0xfff
	v_mul_f32_e32 v2, 0x4f7ffffe, v2
	v_cvt_u32_f32_e32 v2, v2
	s_delay_alu instid0(VALU_DEP_1) | instskip(NEXT) | instid1(VALU_DEP_1)
	v_readfirstlane_b32 s4, v2
	s_mul_i32 s5, s5, s4
	s_delay_alu instid0(SALU_CYCLE_1) | instskip(NEXT) | instid1(SALU_CYCLE_1)
	s_mul_hi_u32 s5, s4, s5
	s_add_i32 s4, s4, s5
	s_ashr_i32 s5, s19, 31
	s_mul_hi_u32 s4, s6, s4
	s_delay_alu instid0(SALU_CYCLE_1) | instskip(NEXT) | instid1(SALU_CYCLE_1)
	s_mul_i32 s4, s4, s3
	s_sub_i32 s4, s6, s4
	s_delay_alu instid0(SALU_CYCLE_1) | instskip(SKIP_2) | instid1(SALU_CYCLE_1)
	s_sub_i32 s6, s4, s3
	s_cmp_ge_u32 s4, s3
	s_cselect_b32 s4, s6, s4
	s_sub_i32 s6, s4, s3
	s_cmp_ge_u32 s4, s3
	s_cselect_b32 s3, s6, s4
	s_add_i32 s2, s2, s19
	s_xor_b32 s3, s3, s5
	s_delay_alu instid0(SALU_CYCLE_1) | instskip(NEXT) | instid1(SALU_CYCLE_1)
	s_sub_i32 s3, s3, s5
	s_sub_i32 s2, s2, s3
	s_cmp_eq_u32 s3, 0
	s_cselect_b32 s3, s19, s2
	s_delay_alu instid0(SALU_CYCLE_1)
	v_cmp_gt_u32_e32 vcc_lo, s3, v34
	s_and_b32 exec_lo, exec_lo, vcc_lo
	s_cbranch_execz .LBB58_48
; %bb.8:
	s_load_b256 s[4:11], s[0:1], 0x10
	s_min_u32 s23, s18, 0x4000
	s_cmp_lg_u32 s16, 0
	s_load_b64 s[12:13], s[0:1], 0x30
	s_mul_i32 s0, s21, s20
	s_cselect_b32 s21, -1, 0
	s_cmp_lg_u32 s18, 0
	v_and_b32_e32 v0, 0x3ff, v0
	s_cselect_b32 s24, -1, 0
	s_lshl_b32 s25, s20, 9
	s_add_i32 s26, s16, -8
	s_add_i32 s27, s19, -1
	s_lshl_b32 s28, s0, 1
	v_dual_mov_b32 v36, 0 :: v_dual_lshlrev_b32 v41, 3, v0
	v_cmp_eq_u32_e64 s0, 63, v0
	v_lshlrev_b32_e32 v0, 4, v0
	v_mbcnt_lo_u32_b32 v46, -1, 0
	s_delay_alu instid0(VALU_DEP_4)
	v_lshl_add_u32 v42, v1, 9, v41
	s_waitcnt lgkmcnt(0)
	v_cvt_f32_u32_e32 v2, s4
	s_cmp_lg_u64 s[10:11], 0
	v_lshl_add_u32 v43, v1, 10, v0
	s_cselect_b32 s29, -1, 0
	s_sub_i32 s1, 0, s4
	v_rcp_iflag_f32_e32 v2, v2
	v_add_nc_u32_e32 v44, s18, v42
	s_waitcnt_depctr 0xfff
	v_mul_f32_e32 v2, 0x4f7ffffe, v2
	s_delay_alu instid0(VALU_DEP_1) | instskip(NEXT) | instid1(VALU_DEP_1)
	v_cvt_u32_f32_e32 v2, v2
	v_mul_lo_u32 v3, s1, v2
	s_abs_i32 s1, s5
	s_add_i32 s5, s19, -2
	s_sub_i32 s2, 1, s1
	s_cmp_lt_u32 s1, 2
	s_cselect_b32 s2, s2, 1
	s_delay_alu instid0(SALU_CYCLE_1) | instskip(NEXT) | instid1(VALU_DEP_1)
	s_sub_i32 s14, s2, s1
	v_mul_hi_u32 v3, v2, v3
	s_cmp_ge_u32 s2, s1
	s_cselect_b32 s31, s14, s2
	s_add_u32 s30, s12, 2
	s_mul_i32 s31, s31, s4
	s_addc_u32 s33, s13, 0
	s_lshl_b32 s34, s23, 1
	s_delay_alu instid0(VALU_DEP_1)
	v_add_nc_u32_e32 v45, v2, v3
	s_lshl_b32 s20, s20, 10
	s_branch .LBB58_12
.LBB58_9:                               ;   in Loop: Header=BB58_12 Depth=1
	s_or_b32 exec_lo, exec_lo, s37
	v_mov_b32_e32 v34, s5
.LBB58_10:                              ;   in Loop: Header=BB58_12 Depth=1
	s_or_b32 exec_lo, exec_lo, s36
.LBB58_11:                              ;   in Loop: Header=BB58_12 Depth=1
	s_delay_alu instid0(SALU_CYCLE_1) | instskip(NEXT) | instid1(VALU_DEP_1)
	s_or_b32 exec_lo, exec_lo, s35
	v_cmp_le_u32_e32 vcc_lo, s3, v34
	s_or_b32 s22, vcc_lo, s22
	s_delay_alu instid0(SALU_CYCLE_1)
	s_and_not1_b32 exec_lo, exec_lo, s22
	s_cbranch_execz .LBB58_48
.LBB58_12:                              ; =>This Loop Header: Depth=1
                                        ;     Child Loop BB58_17 Depth 2
                                        ;       Child Loop BB58_22 Depth 3
                                        ;     Child Loop BB58_43 Depth 2
	v_mov_b32_e32 v50, v36
	v_mov_b32_e32 v49, v36
	;; [unrolled: 1-line block ×4, first 2 shown]
	s_and_not1_b32 vcc_lo, exec_lo, s21
	s_mov_b32 s14, 0
	s_cbranch_vccnz .LBB58_29
; %bb.13:                               ;   in Loop: Header=BB58_12 Depth=1
	v_add_nc_u32_e32 v0, 1, v34
	s_waitcnt lgkmcnt(0)
	v_min_u32_e32 v1, s27, v34
	v_cmp_gt_u32_e64 s1, s19, v34
	v_dual_mov_b32 v47, 0 :: v_dual_mov_b32 v48, 0
	v_dual_mov_b32 v49, 0 :: v_dual_mov_b32 v50, 0
	s_delay_alu instid0(VALU_DEP_4) | instskip(SKIP_3) | instid1(VALU_DEP_1)
	v_mul_lo_u32 v35, v1, s17
	v_mov_b32_e32 v1, v36
	v_min_u32_e32 v0, s27, v0
	s_mov_b32 s15, 0
	v_mul_lo_u32 v0, v0, s17
	s_delay_alu instid0(VALU_DEP_4) | instskip(NEXT) | instid1(VALU_DEP_2)
	v_lshlrev_b64 v[37:38], 1, v[35:36]
	v_lshlrev_b64 v[39:40], 1, v[0:1]
	s_branch .LBB58_17
.LBB58_14:                              ;   in Loop: Header=BB58_17 Depth=2
	s_or_b32 exec_lo, exec_lo, s36
.LBB58_15:                              ;   in Loop: Header=BB58_17 Depth=2
	s_delay_alu instid0(SALU_CYCLE_1)
	s_or_b32 exec_lo, exec_lo, s35
	s_waitcnt vmcnt(3) lgkmcnt(1)
	;;#ASMSTART
	v_dot2_f32_f16 v50, v28, v20, v50
	;;#ASMEND
	s_waitcnt vmcnt(2)
	;;#ASMSTART
	v_dot2_f32_f16 v49, v28, v16, v49
	;;#ASMEND
	s_waitcnt lgkmcnt(0)
	;;#ASMSTART
	v_dot2_f32_f16 v48, v24, v20, v48
	;;#ASMEND
	;;#ASMSTART
	v_dot2_f32_f16 v47, v24, v16, v47
	;;#ASMEND
	;; [unrolled: 3-line block ×14, first 2 shown]
	s_waitcnt vmcnt(1)
	;;#ASMSTART
	v_dot2_f32_f16 v50, v12, v4, v50
	;;#ASMEND
	s_waitcnt vmcnt(0)
	;;#ASMSTART
	v_dot2_f32_f16 v49, v12, v0, v49
	;;#ASMEND
	;;#ASMSTART
	v_dot2_f32_f16 v48, v8, v4, v48
	;;#ASMEND
	;; [unrolled: 3-line block ×15, first 2 shown]
.LBB58_16:                              ;   in Loop: Header=BB58_17 Depth=2
	s_or_b32 exec_lo, exec_lo, s2
	s_addk_i32 s15, 0x400
	s_delay_alu instid0(SALU_CYCLE_1)
	s_cmp_ge_u32 s15, s16
	s_cbranch_scc1 .LBB58_29
.LBB58_17:                              ;   Parent Loop BB58_12 Depth=1
                                        ; =>  This Loop Header: Depth=2
                                        ;       Child Loop BB58_22 Depth 3
	s_cmp_eq_u32 s15, 0
	s_cselect_b32 s35, -1, 0
	s_add_i32 s2, s14, s23
	s_delay_alu instid0(SALU_CYCLE_1) | instskip(SKIP_1) | instid1(SALU_CYCLE_1)
	s_cmp_eq_u32 s15, s2
	s_cselect_b32 s36, -1, 0
	s_or_b32 s36, s35, s36
	s_delay_alu instid0(SALU_CYCLE_1)
	s_and_not1_b32 vcc_lo, exec_lo, s36
	s_cbranch_vccz .LBB58_19
; %bb.18:                               ;   in Loop: Header=BB58_17 Depth=2
	s_and_saveexec_b32 s2, s1
	s_cbranch_execz .LBB58_16
	s_branch .LBB58_26
.LBB58_19:                              ;   in Loop: Header=BB58_17 Depth=2
	s_and_b32 s35, s35, exec_lo
	s_cselect_b32 s14, s14, s2
	s_and_not1_b32 vcc_lo, exec_lo, s24
	s_waitcnt vmcnt(0)
	s_waitcnt_vscnt null, 0x0
	s_barrier
	buffer_gl0_inv
	s_cbranch_vccnz .LBB58_25
; %bb.20:                               ;   in Loop: Header=BB58_17 Depth=2
	v_add_nc_u32_e32 v0, s14, v44
	v_dual_mov_b32 v2, v43 :: v_dual_add_nc_u32 v1, s14, v42
	s_mov_b32 s35, 0
	s_mov_b32 s36, 0
                                        ; implicit-def: $sgpr37
	s_set_inst_prefetch_distance 0x1
	s_branch .LBB58_22
	.p2align	6
.LBB58_21:                              ;   in Loop: Header=BB58_22 Depth=3
	s_or_b32 exec_lo, exec_lo, s2
	s_delay_alu instid0(SALU_CYCLE_1) | instskip(NEXT) | instid1(SALU_CYCLE_1)
	s_and_b32 s2, exec_lo, s37
	s_or_b32 s35, s2, s35
	s_delay_alu instid0(SALU_CYCLE_1)
	s_and_not1_b32 exec_lo, exec_lo, s35
	s_cbranch_execz .LBB58_24
.LBB58_22:                              ;   Parent Loop BB58_12 Depth=1
                                        ;     Parent Loop BB58_17 Depth=2
                                        ; =>    This Inner Loop Header: Depth=3
	v_add_nc_u32_e32 v35, s36, v1
	v_add_nc_u32_e32 v3, s36, v42
	s_or_b32 s37, s37, exec_lo
	s_delay_alu instid0(VALU_DEP_2) | instskip(NEXT) | instid1(VALU_DEP_2)
	v_cmp_gt_u32_e32 vcc_lo, s18, v35
	v_cmp_gt_u32_e64 s2, s23, v3
	s_delay_alu instid0(VALU_DEP_1) | instskip(NEXT) | instid1(SALU_CYCLE_1)
	s_and_b32 s38, s2, vcc_lo
	s_and_saveexec_b32 s2, s38
	s_cbranch_execz .LBB58_21
; %bb.23:                               ;   in Loop: Header=BB58_22 Depth=3
	v_lshlrev_b64 v[3:4], 1, v[35:36]
	v_add_nc_u32_e32 v35, s36, v0
	s_add_i32 s36, s36, s25
	v_add_nc_u32_e32 v11, s34, v2
	s_cmp_ge_u32 s36, s23
	s_delay_alu instid0(VALU_DEP_2) | instskip(SKIP_3) | instid1(VALU_DEP_3)
	v_lshlrev_b64 v[7:8], 1, v[35:36]
	v_add_co_u32 v3, vcc_lo, s8, v3
	v_add_co_ci_u32_e32 v4, vcc_lo, s9, v4, vcc_lo
	s_cselect_b32 s38, -1, 0
	v_add_co_u32 v7, vcc_lo, s8, v7
	global_load_b128 v[3:6], v[3:4], off
	v_add_co_ci_u32_e32 v8, vcc_lo, s9, v8, vcc_lo
	s_and_not1_b32 s37, s37, exec_lo
	s_and_b32 s38, s38, exec_lo
	global_load_b128 v[7:10], v[7:8], off
	s_or_b32 s37, s37, s38
	s_waitcnt vmcnt(1)
	ds_store_b128 v2, v[3:6]
	v_add_nc_u32_e32 v2, s20, v2
	s_waitcnt vmcnt(0)
	ds_store_2addr_b64 v11, v[7:8], v[9:10] offset1:1
	s_branch .LBB58_21
.LBB58_24:                              ;   in Loop: Header=BB58_17 Depth=2
	s_set_inst_prefetch_distance 0x2
	s_or_b32 exec_lo, exec_lo, s35
.LBB58_25:                              ;   in Loop: Header=BB58_17 Depth=2
	s_waitcnt lgkmcnt(0)
	s_barrier
	buffer_gl0_inv
	s_and_saveexec_b32 s2, s1
	s_cbranch_execz .LBB58_16
.LBB58_26:                              ;   in Loop: Header=BB58_17 Depth=2
	v_dual_mov_b32 v28, 0 :: v_dual_add_nc_u32 v51, s15, v41
	v_dual_mov_b32 v30, 0 :: v_dual_mov_b32 v31, 0
	v_dual_mov_b32 v12, 0 :: v_dual_mov_b32 v13, 0
	s_delay_alu instid0(VALU_DEP_3) | instskip(SKIP_2) | instid1(VALU_DEP_3)
	v_min_u32_e32 v35, s26, v51
	v_dual_mov_b32 v29, 0 :: v_dual_add_nc_u32 v52, 0x200, v51
	v_dual_mov_b32 v14, 0 :: v_dual_mov_b32 v15, 0
	v_lshlrev_b64 v[0:1], 1, v[35:36]
	s_delay_alu instid0(VALU_DEP_3) | instskip(SKIP_2) | instid1(VALU_DEP_4)
	v_min_u32_e32 v35, s26, v52
	v_dual_mov_b32 v24, 0 :: v_dual_mov_b32 v25, 0
	v_dual_mov_b32 v26, 0 :: v_dual_mov_b32 v27, 0
	v_add_co_u32 v4, vcc_lo, s6, v0
	v_add_co_ci_u32_e32 v5, vcc_lo, s7, v1, vcc_lo
	v_lshlrev_b64 v[0:1], 1, v[35:36]
	s_delay_alu instid0(VALU_DEP_3) | instskip(NEXT) | instid1(VALU_DEP_3)
	v_add_co_u32 v2, vcc_lo, v4, v37
	v_add_co_ci_u32_e32 v3, vcc_lo, v5, v38, vcc_lo
	s_waitcnt vmcnt(2)
	v_dual_mov_b32 v10, 0 :: v_dual_mov_b32 v11, 0
	s_delay_alu instid0(VALU_DEP_4) | instskip(SKIP_3) | instid1(VALU_DEP_4)
	v_add_co_u32 v6, vcc_lo, s6, v0
	v_add_co_ci_u32_e32 v7, vcc_lo, s7, v1, vcc_lo
	v_add_co_u32 v0, vcc_lo, v4, v39
	v_add_co_ci_u32_e32 v1, vcc_lo, v5, v40, vcc_lo
	v_add_co_u32 v4, vcc_lo, v6, v37
	s_delay_alu instid0(VALU_DEP_4)
	v_add_co_ci_u32_e32 v5, vcc_lo, v7, v38, vcc_lo
	s_waitcnt vmcnt(0)
	v_add_co_u32 v8, vcc_lo, v6, v39
	v_add_co_ci_u32_e32 v9, vcc_lo, v7, v40, vcc_lo
	s_clause 0x3
	global_load_b128 v[20:23], v[2:3], off slc dlc
	global_load_b128 v[16:19], v[0:1], off slc dlc
	;; [unrolled: 1-line block ×4, first 2 shown]
	v_dual_mov_b32 v8, 0 :: v_dual_mov_b32 v9, 0
	s_mov_b32 s35, exec_lo
	v_cmpx_gt_u32_e64 s16, v51
	s_cbranch_execz .LBB58_15
; %bb.27:                               ;   in Loop: Header=BB58_17 Depth=2
	v_subrev_nc_u32_e32 v8, s14, v51
	v_mov_b32_e32 v11, 0
	v_dual_mov_b32 v9, 0 :: v_dual_mov_b32 v14, 0
	v_dual_mov_b32 v15, 0 :: v_dual_mov_b32 v12, 0
	s_delay_alu instid0(VALU_DEP_4) | instskip(SKIP_2) | instid1(VALU_DEP_2)
	v_dual_mov_b32 v10, 0 :: v_dual_lshlrev_b32 v51, 1, v8
	v_dual_mov_b32 v8, 0 :: v_dual_mov_b32 v13, 0
	s_mov_b32 s36, exec_lo
	v_lshl_add_u32 v35, s23, 1, v51
	ds_load_b128 v[28:31], v51
	ds_load_b128 v[24:27], v35
	v_cmpx_gt_u32_e64 s16, v52
	s_cbranch_execz .LBB58_14
; %bb.28:                               ;   in Loop: Header=BB58_17 Depth=2
	ds_load_b128 v[12:15], v51 offset:1024
	ds_load_b128 v[8:11], v35 offset:1024
	s_branch .LBB58_14
.LBB58_29:                              ;   in Loop: Header=BB58_12 Depth=1
	s_mov_b32 s1, exec_lo
	v_cmpx_le_u32_e64 s19, v34
	s_xor_b32 s1, exec_lo, s1
; %bb.30:                               ;   in Loop: Header=BB58_12 Depth=1
	v_add_nc_u32_e32 v34, s28, v34
                                        ; implicit-def: $vgpr50
                                        ; implicit-def: $vgpr49
                                        ; implicit-def: $vgpr48
                                        ; implicit-def: $vgpr47
; %bb.31:                               ;   in Loop: Header=BB58_12 Depth=1
	s_and_not1_saveexec_b32 s35, s1
	s_cbranch_execz .LBB58_11
; %bb.32:                               ;   in Loop: Header=BB58_12 Depth=1
	v_cvt_i32_f32_e32 v0, v50
	s_waitcnt lgkmcnt(0)
	v_cvt_i32_f32_e32 v1, v49
	v_cvt_i32_f32_e32 v2, v48
	;; [unrolled: 1-line block ×3, first 2 shown]
	v_cvt_f32_i32_dpp v0, v0 row_shr:8 row_mask:0xf bank_mask:0xf bound_ctrl:1
	s_delay_alu instid0(VALU_DEP_4) | instskip(NEXT) | instid1(VALU_DEP_4)
	v_cvt_f32_i32_dpp v1, v1 row_shr:8 row_mask:0xf bank_mask:0xf bound_ctrl:1
	v_cvt_f32_i32_dpp v2, v2 row_shr:8 row_mask:0xf bank_mask:0xf bound_ctrl:1
	s_delay_alu instid0(VALU_DEP_4) | instskip(NEXT) | instid1(VALU_DEP_3)
	v_cvt_f32_i32_dpp v3, v3 row_shr:8 row_mask:0xf bank_mask:0xf bound_ctrl:1
	v_dual_add_f32 v0, v50, v0 :: v_dual_add_f32 v1, v49, v1
	s_delay_alu instid0(VALU_DEP_2) | instskip(NEXT) | instid1(VALU_DEP_2)
	v_dual_add_f32 v2, v48, v2 :: v_dual_add_f32 v3, v47, v3
	v_cvt_i32_f32_e32 v4, v0
	s_delay_alu instid0(VALU_DEP_3) | instskip(NEXT) | instid1(VALU_DEP_3)
	v_cvt_i32_f32_e32 v5, v1
	v_cvt_i32_f32_e32 v6, v2
	s_delay_alu instid0(VALU_DEP_4) | instskip(NEXT) | instid1(VALU_DEP_4)
	v_cvt_i32_f32_e32 v7, v3
	v_cvt_f32_i32_dpp v4, v4 row_shr:4 row_mask:0xf bank_mask:0xf bound_ctrl:1
	s_delay_alu instid0(VALU_DEP_4) | instskip(NEXT) | instid1(VALU_DEP_4)
	v_cvt_f32_i32_dpp v5, v5 row_shr:4 row_mask:0xf bank_mask:0xf bound_ctrl:1
	v_cvt_f32_i32_dpp v6, v6 row_shr:4 row_mask:0xf bank_mask:0xf bound_ctrl:1
	s_delay_alu instid0(VALU_DEP_4) | instskip(NEXT) | instid1(VALU_DEP_3)
	v_cvt_f32_i32_dpp v7, v7 row_shr:4 row_mask:0xf bank_mask:0xf bound_ctrl:1
	v_dual_add_f32 v0, v0, v4 :: v_dual_add_f32 v1, v1, v5
	s_delay_alu instid0(VALU_DEP_2) | instskip(NEXT) | instid1(VALU_DEP_2)
	v_dual_add_f32 v2, v2, v6 :: v_dual_add_f32 v3, v3, v7
	v_cvt_i32_f32_e32 v4, v0
	s_delay_alu instid0(VALU_DEP_3) | instskip(NEXT) | instid1(VALU_DEP_3)
	v_cvt_i32_f32_e32 v5, v1
	v_cvt_i32_f32_e32 v6, v2
	s_delay_alu instid0(VALU_DEP_4) | instskip(NEXT) | instid1(VALU_DEP_4)
	v_cvt_i32_f32_e32 v7, v3
	v_cvt_f32_i32_dpp v4, v4 row_shr:2 row_mask:0xf bank_mask:0xf bound_ctrl:1
	s_delay_alu instid0(VALU_DEP_4) | instskip(NEXT) | instid1(VALU_DEP_4)
	v_cvt_f32_i32_dpp v5, v5 row_shr:2 row_mask:0xf bank_mask:0xf bound_ctrl:1
	v_cvt_f32_i32_dpp v6, v6 row_shr:2 row_mask:0xf bank_mask:0xf bound_ctrl:1
	s_delay_alu instid0(VALU_DEP_4) | instskip(NEXT) | instid1(VALU_DEP_3)
	v_cvt_f32_i32_dpp v7, v7 row_shr:2 row_mask:0xf bank_mask:0xf bound_ctrl:1
	v_dual_add_f32 v0, v0, v4 :: v_dual_add_f32 v1, v1, v5
	s_delay_alu instid0(VALU_DEP_2) | instskip(SKIP_1) | instid1(VALU_DEP_3)
	v_dual_add_f32 v2, v2, v6 :: v_dual_add_f32 v3, v3, v7
	v_xor_b32_e32 v4, 16, v46
	v_cvt_i32_f32_e32 v5, v0
	s_delay_alu instid0(VALU_DEP_4) | instskip(NEXT) | instid1(VALU_DEP_4)
	v_cvt_i32_f32_e32 v6, v1
	v_cvt_i32_f32_e32 v7, v2
	s_waitcnt vmcnt(0)
	v_cvt_i32_f32_e32 v8, v3
	v_cmp_gt_i32_e32 vcc_lo, 32, v4
	v_cvt_f32_i32_dpp v5, v5 row_shr:1 row_mask:0xf bank_mask:0xf bound_ctrl:1
	v_cvt_f32_i32_dpp v9, v6 row_shr:1 row_mask:0xf bank_mask:0xf bound_ctrl:1
	;; [unrolled: 1-line block ×4, first 2 shown]
	v_cndmask_b32_e32 v4, v46, v4, vcc_lo
	v_add_f32_e32 v6, v0, v5
	s_delay_alu instid0(VALU_DEP_4) | instskip(NEXT) | instid1(VALU_DEP_4)
	v_add_f32_e32 v2, v2, v7
	v_add_f32_e32 v0, v3, v8
	s_delay_alu instid0(VALU_DEP_4)
	v_lshlrev_b32_e32 v10, 2, v4
	v_add_f32_e32 v4, v1, v9
	ds_bpermute_b32 v7, v10, v6
	ds_bpermute_b32 v5, v10, v4
	;; [unrolled: 1-line block ×4, first 2 shown]
	s_and_saveexec_b32 s14, s0
	s_cbranch_execz .LBB58_40
; %bb.33:                               ;   in Loop: Header=BB58_12 Depth=1
	v_dual_mov_b32 v8, 0 :: v_dual_mov_b32 v9, 0
	v_dual_mov_b32 v10, 0 :: v_dual_mov_b32 v11, 0
	s_and_not1_b32 vcc_lo, exec_lo, s29
	s_cbranch_vccnz .LBB58_35
; %bb.34:                               ;   in Loop: Header=BB58_12 Depth=1
	v_mul_hi_u32 v8, v34, v45
	s_delay_alu instid0(VALU_DEP_1) | instskip(NEXT) | instid1(VALU_DEP_1)
	v_mul_lo_u32 v8, v8, s4
	v_sub_nc_u32_e32 v8, v34, v8
	s_delay_alu instid0(VALU_DEP_1) | instskip(SKIP_1) | instid1(VALU_DEP_2)
	v_subrev_nc_u32_e32 v11, s4, v8
	v_cmp_le_u32_e32 vcc_lo, s4, v8
	v_dual_cndmask_b32 v8, v8, v11 :: v_dual_add_nc_u32 v9, 1, v34
	s_delay_alu instid0(VALU_DEP_1) | instskip(NEXT) | instid1(VALU_DEP_2)
	v_mul_hi_u32 v10, v9, v45
	v_subrev_nc_u32_e32 v11, s4, v8
	s_delay_alu instid0(VALU_DEP_2) | instskip(NEXT) | instid1(VALU_DEP_1)
	v_mul_lo_u32 v10, v10, s4
	v_sub_nc_u32_e32 v9, v9, v10
	s_delay_alu instid0(VALU_DEP_1) | instskip(SKIP_1) | instid1(VALU_DEP_2)
	v_subrev_nc_u32_e32 v10, s4, v9
	v_cmp_le_u32_e32 vcc_lo, s4, v9
	v_cndmask_b32_e32 v12, v9, v10, vcc_lo
	v_cmp_le_u32_e32 vcc_lo, s4, v8
	v_mov_b32_e32 v9, v36
	v_cndmask_b32_e32 v35, v8, v11, vcc_lo
	s_delay_alu instid0(VALU_DEP_4) | instskip(SKIP_1) | instid1(VALU_DEP_3)
	v_subrev_nc_u32_e32 v8, s4, v12
	v_cmp_le_u32_e32 vcc_lo, s4, v12
	v_lshlrev_b64 v[10:11], 1, v[35:36]
	s_delay_alu instid0(VALU_DEP_3) | instskip(NEXT) | instid1(VALU_DEP_1)
	v_dual_cndmask_b32 v8, v12, v8 :: v_dual_add_nc_u32 v35, s31, v35
	v_lshlrev_b64 v[14:15], 1, v[35:36]
	s_delay_alu instid0(VALU_DEP_2) | instskip(SKIP_3) | instid1(VALU_DEP_3)
	v_lshlrev_b64 v[12:13], 1, v[8:9]
	v_add_nc_u32_e32 v35, s31, v8
	v_add_co_u32 v8, vcc_lo, s10, v10
	v_add_co_ci_u32_e32 v9, vcc_lo, s11, v11, vcc_lo
	v_lshlrev_b64 v[10:11], 1, v[35:36]
	v_add_co_u32 v12, vcc_lo, s10, v12
	v_add_co_ci_u32_e32 v13, vcc_lo, s11, v13, vcc_lo
	v_add_co_u32 v14, vcc_lo, s10, v14
	v_add_co_ci_u32_e32 v15, vcc_lo, s11, v15, vcc_lo
	;; [unrolled: 2-line block ×3, first 2 shown]
	s_clause 0x3
	global_load_u16 v11, v[8:9], off
	global_load_u16 v10, v[12:13], off
	;; [unrolled: 1-line block ×4, first 2 shown]
.LBB58_35:                              ;   in Loop: Header=BB58_12 Depth=1
	v_cmp_ne_u32_e32 vcc_lo, 0, v32
	s_and_saveexec_b32 s2, vcc_lo
	s_cbranch_execnz .LBB58_45
; %bb.36:                               ;   in Loop: Header=BB58_12 Depth=1
	s_or_b32 exec_lo, exec_lo, s2
	v_cmp_ne_u32_e64 s1, 0, v33
	s_delay_alu instid0(VALU_DEP_1)
	s_and_saveexec_b32 s15, s1
	s_cbranch_execnz .LBB58_46
.LBB58_37:                              ;   in Loop: Header=BB58_12 Depth=1
	s_or_b32 exec_lo, exec_lo, s15
	v_add_nc_u32_e32 v35, s19, v34
	s_and_saveexec_b32 s2, vcc_lo
	s_cbranch_execnz .LBB58_47
.LBB58_38:                              ;   in Loop: Header=BB58_12 Depth=1
	s_or_b32 exec_lo, exec_lo, s2
	s_delay_alu instid0(SALU_CYCLE_1)
	s_and_b32 exec_lo, exec_lo, s1
	s_cbranch_execz .LBB58_40
.LBB58_39:                              ;   in Loop: Header=BB58_12 Depth=1
	s_waitcnt lgkmcnt(0)
	v_dual_add_f32 v0, v0, v1 :: v_dual_add_nc_u32 v35, 1, v35
	s_waitcnt vmcnt(0)
	v_cvt_f32_f16_e32 v1, v8
	s_delay_alu instid0(VALU_DEP_1) | instskip(NEXT) | instid1(VALU_DEP_3)
	v_add_f32_e32 v2, v0, v1
	v_lshlrev_b64 v[0:1], 1, v[35:36]
	s_delay_alu instid0(VALU_DEP_2) | instskip(NEXT) | instid1(VALU_DEP_2)
	v_cvt_f16_f32_e32 v2, v2
	v_add_co_u32 v0, vcc_lo, s12, v0
	s_delay_alu instid0(VALU_DEP_3)
	v_add_co_ci_u32_e32 v1, vcc_lo, s13, v1, vcc_lo
	global_store_b16 v[0:1], v2, off
.LBB58_40:                              ;   in Loop: Header=BB58_12 Depth=1
	s_or_b32 exec_lo, exec_lo, s14
	v_add_nc_u32_e32 v34, s28, v34
	s_delay_alu instid0(VALU_DEP_1) | instskip(SKIP_1) | instid1(VALU_DEP_2)
	v_add_nc_u32_e32 v0, 2, v34
	v_cmp_gt_u32_e32 vcc_lo, s19, v34
	v_cmp_le_u32_e64 s1, s19, v0
	s_delay_alu instid0(VALU_DEP_1) | instskip(NEXT) | instid1(SALU_CYCLE_1)
	s_and_b32 s1, vcc_lo, s1
	s_and_saveexec_b32 s36, s1
	s_cbranch_execz .LBB58_10
; %bb.41:                               ;   in Loop: Header=BB58_12 Depth=1
	s_mov_b32 s37, exec_lo
	v_cmpx_ne_u32_e64 s5, v34
	s_cbranch_execz .LBB58_9
; %bb.42:                               ;   in Loop: Header=BB58_12 Depth=1
	v_subrev_nc_u32_e32 v0, s5, v34
	s_mov_b32 s38, 0
	s_mov_b64 s[14:15], 0
	s_delay_alu instid0(VALU_DEP_1)
	v_cmp_lt_u32_e32 vcc_lo, 1, v0
	v_cndmask_b32_e32 v0, 1, v0, vcc_lo
.LBB58_43:                              ;   Parent Loop BB58_12 Depth=1
                                        ; =>  This Inner Loop Header: Depth=2
	s_cmp_lg_u32 s14, 1
	s_cselect_b32 vcc_lo, -1, 0
	s_cmp_lg_u32 s14, 0
	v_cndmask_b32_e32 v33, 0, v33, vcc_lo
	s_cselect_b32 s1, -1, 0
	s_add_u32 s14, s14, 1
	v_cndmask_b32_e64 v32, 0, v32, s1
	v_cmp_eq_u32_e64 s2, s14, v0
	s_addc_u32 s15, s15, 0
	s_delay_alu instid0(VALU_DEP_1) | instskip(NEXT) | instid1(SALU_CYCLE_1)
	s_or_b32 s38, s2, s38
	s_and_not1_b32 exec_lo, exec_lo, s38
	s_cbranch_execnz .LBB58_43
; %bb.44:                               ;   in Loop: Header=BB58_12 Depth=1
	s_or_b32 exec_lo, exec_lo, s38
	s_branch .LBB58_9
.LBB58_45:                              ;   in Loop: Header=BB58_12 Depth=1
	s_waitcnt lgkmcnt(3)
	v_dual_add_f32 v6, v6, v7 :: v_dual_mov_b32 v35, v36
	s_waitcnt vmcnt(3)
	v_cvt_f32_f16_e32 v7, v11
	s_delay_alu instid0(VALU_DEP_1) | instskip(NEXT) | instid1(VALU_DEP_3)
	v_add_f32_e32 v11, v6, v7
	v_lshlrev_b64 v[6:7], 1, v[34:35]
	s_delay_alu instid0(VALU_DEP_2) | instskip(NEXT) | instid1(VALU_DEP_2)
	v_cvt_f16_f32_e32 v11, v11
	v_add_co_u32 v6, s1, s12, v6
	s_delay_alu instid0(VALU_DEP_1) | instskip(SKIP_3) | instid1(VALU_DEP_1)
	v_add_co_ci_u32_e64 v7, s1, s13, v7, s1
	global_store_b16 v[6:7], v11, off
	s_or_b32 exec_lo, exec_lo, s2
	v_cmp_ne_u32_e64 s1, 0, v33
	s_and_saveexec_b32 s15, s1
	s_cbranch_execz .LBB58_37
.LBB58_46:                              ;   in Loop: Header=BB58_12 Depth=1
	s_waitcnt lgkmcnt(2)
	v_add_f32_e32 v4, v4, v5
	s_waitcnt vmcnt(2)
	v_cvt_f32_f16_e32 v5, v10
	v_mov_b32_e32 v35, v36
	s_delay_alu instid0(VALU_DEP_2) | instskip(NEXT) | instid1(VALU_DEP_2)
	v_add_f32_e32 v6, v4, v5
	v_lshlrev_b64 v[4:5], 1, v[34:35]
	s_delay_alu instid0(VALU_DEP_2) | instskip(NEXT) | instid1(VALU_DEP_2)
	v_cvt_f16_f32_e32 v6, v6
	v_add_co_u32 v4, s2, s30, v4
	s_delay_alu instid0(VALU_DEP_1)
	v_add_co_ci_u32_e64 v5, s2, s33, v5, s2
	global_store_b16 v[4:5], v6, off
	s_or_b32 exec_lo, exec_lo, s15
	v_add_nc_u32_e32 v35, s19, v34
	s_and_saveexec_b32 s2, vcc_lo
	s_cbranch_execz .LBB58_38
.LBB58_47:                              ;   in Loop: Header=BB58_12 Depth=1
	s_waitcnt lgkmcnt(1)
	v_add_f32_e32 v2, v2, v3
	s_waitcnt vmcnt(1)
	v_cvt_f32_f16_e32 v3, v9
	s_delay_alu instid0(VALU_DEP_1) | instskip(SKIP_1) | instid1(VALU_DEP_2)
	v_add_f32_e32 v4, v2, v3
	v_lshlrev_b64 v[2:3], 1, v[35:36]
	v_cvt_f16_f32_e32 v4, v4
	s_delay_alu instid0(VALU_DEP_2) | instskip(NEXT) | instid1(VALU_DEP_3)
	v_add_co_u32 v2, vcc_lo, s12, v2
	v_add_co_ci_u32_e32 v3, vcc_lo, s13, v3, vcc_lo
	global_store_b16 v[2:3], v4, off
	s_or_b32 exec_lo, exec_lo, s2
	s_delay_alu instid0(SALU_CYCLE_1)
	s_and_b32 exec_lo, exec_lo, s1
	s_cbranch_execnz .LBB58_39
	s_branch .LBB58_40
.LBB58_48:
	s_nop 0
	s_sendmsg sendmsg(MSG_DEALLOC_VGPRS)
	s_endpgm
	.section	.rodata,"a",@progbits
	.p2align	6, 0x0
	.amdhsa_kernel _Z16wvSplitK_hf_big_I6__halfLi64ELi2ELi16ELi8ELi2ELi2EEviiiiiiPKT_S3_S3_PS1_ii
		.amdhsa_group_segment_fixed_size 65536
		.amdhsa_private_segment_fixed_size 0
		.amdhsa_kernarg_size 64
		.amdhsa_user_sgpr_count 15
		.amdhsa_user_sgpr_dispatch_ptr 0
		.amdhsa_user_sgpr_queue_ptr 0
		.amdhsa_user_sgpr_kernarg_segment_ptr 1
		.amdhsa_user_sgpr_dispatch_id 0
		.amdhsa_user_sgpr_private_segment_size 0
		.amdhsa_wavefront_size32 1
		.amdhsa_uses_dynamic_stack 0
		.amdhsa_enable_private_segment 0
		.amdhsa_system_sgpr_workgroup_id_x 1
		.amdhsa_system_sgpr_workgroup_id_y 0
		.amdhsa_system_sgpr_workgroup_id_z 0
		.amdhsa_system_sgpr_workgroup_info 0
		.amdhsa_system_vgpr_workitem_id 1
		.amdhsa_next_free_vgpr 53
		.amdhsa_next_free_sgpr 39
		.amdhsa_reserve_vcc 1
		.amdhsa_float_round_mode_32 0
		.amdhsa_float_round_mode_16_64 0
		.amdhsa_float_denorm_mode_32 3
		.amdhsa_float_denorm_mode_16_64 3
		.amdhsa_dx10_clamp 1
		.amdhsa_ieee_mode 1
		.amdhsa_fp16_overflow 0
		.amdhsa_workgroup_processor_mode 1
		.amdhsa_memory_ordered 1
		.amdhsa_forward_progress 0
		.amdhsa_shared_vgpr_count 0
		.amdhsa_exception_fp_ieee_invalid_op 0
		.amdhsa_exception_fp_denorm_src 0
		.amdhsa_exception_fp_ieee_div_zero 0
		.amdhsa_exception_fp_ieee_overflow 0
		.amdhsa_exception_fp_ieee_underflow 0
		.amdhsa_exception_fp_ieee_inexact 0
		.amdhsa_exception_int_div_zero 0
	.end_amdhsa_kernel
	.section	.text._Z16wvSplitK_hf_big_I6__halfLi64ELi2ELi16ELi8ELi2ELi2EEviiiiiiPKT_S3_S3_PS1_ii,"axG",@progbits,_Z16wvSplitK_hf_big_I6__halfLi64ELi2ELi16ELi8ELi2ELi2EEviiiiiiPKT_S3_S3_PS1_ii,comdat
.Lfunc_end58:
	.size	_Z16wvSplitK_hf_big_I6__halfLi64ELi2ELi16ELi8ELi2ELi2EEviiiiiiPKT_S3_S3_PS1_ii, .Lfunc_end58-_Z16wvSplitK_hf_big_I6__halfLi64ELi2ELi16ELi8ELi2ELi2EEviiiiiiPKT_S3_S3_PS1_ii
                                        ; -- End function
	.section	.AMDGPU.csdata,"",@progbits
; Kernel info:
; codeLenInByte = 3460
; NumSgprs: 41
; NumVgprs: 53
; ScratchSize: 0
; MemoryBound: 0
; FloatMode: 240
; IeeeMode: 1
; LDSByteSize: 65536 bytes/workgroup (compile time only)
; SGPRBlocks: 5
; VGPRBlocks: 6
; NumSGPRsForWavesPerEU: 41
; NumVGPRsForWavesPerEU: 53
; Occupancy: 16
; WaveLimiterHint : 0
; COMPUTE_PGM_RSRC2:SCRATCH_EN: 0
; COMPUTE_PGM_RSRC2:USER_SGPR: 15
; COMPUTE_PGM_RSRC2:TRAP_HANDLER: 0
; COMPUTE_PGM_RSRC2:TGID_X_EN: 1
; COMPUTE_PGM_RSRC2:TGID_Y_EN: 0
; COMPUTE_PGM_RSRC2:TGID_Z_EN: 0
; COMPUTE_PGM_RSRC2:TIDIG_COMP_CNT: 1
	.section	.text._Z16wvSplitK_hf_sml_I6__halfLi64ELi3ELi16ELi8ELi2ELi2EEviiiiiiPKT_S3_S3_PS1_ii,"axG",@progbits,_Z16wvSplitK_hf_sml_I6__halfLi64ELi3ELi16ELi8ELi2ELi2EEviiiiiiPKT_S3_S3_PS1_ii,comdat
	.protected	_Z16wvSplitK_hf_sml_I6__halfLi64ELi3ELi16ELi8ELi2ELi2EEviiiiiiPKT_S3_S3_PS1_ii ; -- Begin function _Z16wvSplitK_hf_sml_I6__halfLi64ELi3ELi16ELi8ELi2ELi2EEviiiiiiPKT_S3_S3_PS1_ii
	.globl	_Z16wvSplitK_hf_sml_I6__halfLi64ELi3ELi16ELi8ELi2ELi2EEviiiiiiPKT_S3_S3_PS1_ii
	.p2align	8
	.type	_Z16wvSplitK_hf_sml_I6__halfLi64ELi3ELi16ELi8ELi2ELi2EEviiiiiiPKT_S3_S3_PS1_ii,@function
_Z16wvSplitK_hf_sml_I6__halfLi64ELi3ELi16ELi8ELi2ELi2EEviiiiiiPKT_S3_S3_PS1_ii: ; @_Z16wvSplitK_hf_sml_I6__halfLi64ELi3ELi16ELi8ELi2ELi2EEviiiiiiPKT_S3_S3_PS1_ii
; %bb.0:
	s_clause 0x2
	s_load_b128 s[4:7], s[0:1], 0x0
	s_load_b64 s[8:9], s[0:1], 0x10
	s_load_b64 s[10:11], s[0:1], 0x28
	v_and_b32_e32 v3, 0x3ff, v0
	v_bfe_u32 v0, v0, 10, 10
	s_mov_b32 s12, exec_lo
	s_delay_alu instid0(VALU_DEP_2) | instskip(NEXT) | instid1(VALU_DEP_1)
	v_lshlrev_b32_e32 v52, 3, v3
	v_lshl_add_u32 v4, v0, 9, v52
	s_waitcnt lgkmcnt(0)
	s_lshl_b32 s6, s6, 1
	s_delay_alu instid0(SALU_CYCLE_1)
	s_min_u32 s3, s6, 0x8000
	s_delay_alu instid0(VALU_DEP_1) | instid1(SALU_CYCLE_1)
	v_cmpx_gt_u32_e64 s3, v4
	s_cbranch_execz .LBB59_3
; %bb.1:
	s_load_b64 s[16:17], s[0:1], 0x20
	v_lshlrev_b32_e32 v5, 10, v0
	v_lshlrev_b32_e32 v6, 4, v3
	s_mov_b32 s13, 0
	s_delay_alu instid0(VALU_DEP_1) | instskip(NEXT) | instid1(VALU_DEP_1)
	v_add_co_u32 v1, s2, v5, v6
	v_add_co_ci_u32_e64 v2, null, 0, 0, s2
	v_add_nc_u32_e32 v5, v5, v6
	s_waitcnt lgkmcnt(0)
	s_delay_alu instid0(VALU_DEP_3) | instskip(NEXT) | instid1(VALU_DEP_3)
	v_add_co_u32 v1, vcc_lo, s16, v1
	v_add_co_ci_u32_e32 v2, vcc_lo, s17, v2, vcc_lo
	.p2align	6
.LBB59_2:                               ; =>This Inner Loop Header: Depth=1
	global_load_b128 v[6:9], v[1:2], off
	v_add_nc_u32_e32 v4, 0x2000, v4
	v_add_co_u32 v1, vcc_lo, 0x4000, v1
	v_add_co_ci_u32_e32 v2, vcc_lo, 0, v2, vcc_lo
	s_delay_alu instid0(VALU_DEP_3) | instskip(NEXT) | instid1(VALU_DEP_1)
	v_cmp_le_u32_e64 s2, s3, v4
	s_or_b32 s13, s2, s13
	s_waitcnt vmcnt(0)
	ds_store_b128 v5, v[6:9]
	v_add_nc_u32_e32 v5, 0x4000, v5
	s_and_not1_b32 exec_lo, exec_lo, s13
	s_cbranch_execnz .LBB59_2
.LBB59_3:
	s_or_b32 exec_lo, exec_lo, s12
	s_load_b64 s[16:17], s[0:1], 0x38
	s_waitcnt lgkmcnt(0)
	s_barrier
	buffer_gl0_inv
	s_mov_b32 s2, exec_lo
	v_cmpx_gt_u32_e64 s16, v0
	s_cbranch_execz .LBB59_20
; %bb.4:
	v_mad_u64_u32 v[1:2], null, s15, s16, v[0:1]
	s_delay_alu instid0(VALU_DEP_1) | instskip(NEXT) | instid1(VALU_DEP_1)
	v_lshl_add_u32 v40, v1, 1, v1
	v_cmp_gt_u32_e32 vcc_lo, s7, v40
	s_and_b32 exec_lo, exec_lo, vcc_lo
	s_cbranch_execz .LBB59_20
; %bb.5:
	v_cvt_f32_u32_e32 v0, s8
	s_cmp_lg_u32 s4, 0
	s_mul_i32 s16, s16, s17
	s_cselect_b32 s14, -1, 0
	s_add_i32 s15, s4, -8
	v_rcp_iflag_f32_e32 v0, v0
	s_add_i32 s18, s7, -1
	s_cmp_lg_u64 s[10:11], 0
	v_mov_b32_e32 v42, 0
	s_cselect_b32 s19, -1, 0
	s_sub_i32 s2, 0, s8
	s_abs_i32 s9, s9
	v_mbcnt_lo_u32_b32 v55, -1, 0
	s_sub_i32 s17, 1, s9
	s_cmp_lt_u32 s9, 2
	s_waitcnt_depctr 0xfff
	v_dual_mul_f32 v0, 0x4f7ffffe, v0 :: v_dual_lshlrev_b32 v53, 4, v3
	s_cselect_b32 s17, s17, 1
	s_delay_alu instid0(SALU_CYCLE_1) | instskip(NEXT) | instid1(VALU_DEP_1)
	s_sub_i32 s20, s17, s9
	v_cvt_u32_f32_e32 v0, v0
	s_cmp_ge_u32 s17, s9
	s_mul_i32 s9, s16, 3
	s_cselect_b32 s17, s20, s17
	s_delay_alu instid0(SALU_CYCLE_1)
	s_mul_i32 s16, s17, s8
	v_mul_lo_u32 v1, s2, v0
	s_clause 0x1
	s_load_b64 s[2:3], s[0:1], 0x18
	s_load_b64 s[12:13], s[0:1], 0x30
	v_cmp_eq_u32_e64 s0, 63, v3
	s_mov_b32 s1, 0
	s_delay_alu instid0(VALU_DEP_2) | instskip(NEXT) | instid1(VALU_DEP_1)
	v_mul_hi_u32 v1, v0, v1
	v_add_nc_u32_e32 v54, v0, v1
	s_branch .LBB59_8
.LBB59_6:                               ;   in Loop: Header=BB59_8 Depth=1
	s_waitcnt lgkmcnt(0)
	v_add_f32_e32 v2, v2, v3
	s_waitcnt vmcnt(5)
	v_cvt_f32_f16_e32 v3, v17
	v_dual_add_f32 v6, v6, v10 :: v_dual_add_f32 v7, v7, v11
	v_add_f32_e32 v4, v4, v8
	v_add_f32_e32 v8, v5, v9
	s_delay_alu instid0(VALU_DEP_4)
	v_add_f32_e32 v10, v2, v3
	v_lshlrev_b64 v[2:3], 1, v[40:41]
	s_waitcnt vmcnt(4)
	v_cvt_f32_f16_e32 v5, v16
	v_add_nc_u32_e32 v41, s7, v40
	v_cvt_f16_f32_e32 v9, v10
	v_add_f32_e32 v10, v0, v1
	v_add_co_u32 v2, vcc_lo, s12, v2
	v_add_f32_e32 v5, v6, v5
	v_add_co_ci_u32_e32 v3, vcc_lo, s13, v3, vcc_lo
	s_waitcnt vmcnt(3)
	v_cvt_f32_f16_e32 v6, v15
	v_lshlrev_b64 v[0:1], 1, v[45:46]
	v_cvt_f16_f32_e32 v11, v5
	s_waitcnt vmcnt(2)
	v_cvt_f32_f16_e32 v5, v14
	global_store_b16 v[2:3], v9, off
	v_add_f32_e32 v2, v7, v6
	s_waitcnt vmcnt(1)
	v_cvt_f32_f16_e32 v9, v13
	v_add_co_u32 v0, vcc_lo, s12, v0
	v_add_f32_e32 v6, v4, v5
	v_cvt_f16_f32_e32 v14, v2
	v_lshlrev_b64 v[2:3], 1, v[43:44]
	v_dual_mov_b32 v5, v42 :: v_dual_add_nc_u32 v4, 1, v41
	s_delay_alu instid0(VALU_DEP_4)
	v_cvt_f16_f32_e32 v13, v6
	v_lshlrev_b64 v[6:7], 1, v[41:42]
	v_add_nc_u32_e32 v41, 2, v41
	v_add_f32_e32 v8, v8, v9
	s_waitcnt vmcnt(0)
	v_cvt_f32_f16_e32 v9, v12
	v_add_co_ci_u32_e32 v1, vcc_lo, s13, v1, vcc_lo
	v_add_co_u32 v2, vcc_lo, s12, v2
	v_lshlrev_b64 v[4:5], 1, v[4:5]
	v_add_co_ci_u32_e32 v3, vcc_lo, s13, v3, vcc_lo
	v_add_co_u32 v6, vcc_lo, s12, v6
	v_cvt_f16_f32_e32 v12, v8
	v_add_f32_e32 v10, v10, v9
	v_lshlrev_b64 v[8:9], 1, v[41:42]
	v_add_co_ci_u32_e32 v7, vcc_lo, s13, v7, vcc_lo
	v_add_co_u32 v4, vcc_lo, s12, v4
	v_add_co_ci_u32_e32 v5, vcc_lo, s13, v5, vcc_lo
	s_delay_alu instid0(VALU_DEP_4)
	v_add_co_u32 v8, vcc_lo, s12, v8
	v_cvt_f16_f32_e32 v10, v10
	v_add_co_ci_u32_e32 v9, vcc_lo, s13, v9, vcc_lo
	s_clause 0x4
	global_store_b16 v[0:1], v11, off
	global_store_b16 v[2:3], v14, off
	;; [unrolled: 1-line block ×5, first 2 shown]
.LBB59_7:                               ;   in Loop: Header=BB59_8 Depth=1
	s_or_b32 exec_lo, exec_lo, s17
	v_add_nc_u32_e32 v40, s9, v40
	s_delay_alu instid0(VALU_DEP_1) | instskip(SKIP_1) | instid1(SALU_CYCLE_1)
	v_cmp_le_u32_e32 vcc_lo, s7, v40
	s_or_b32 s1, vcc_lo, s1
	s_and_not1_b32 exec_lo, exec_lo, s1
	s_cbranch_execz .LBB59_20
.LBB59_8:                               ; =>This Loop Header: Depth=1
                                        ;     Child Loop BB59_12 Depth 2
	v_dual_mov_b32 v60, v42 :: v_dual_add_nc_u32 v45, 1, v40
	v_dual_mov_b32 v58, v42 :: v_dual_add_nc_u32 v43, 2, v40
	v_mov_b32_e32 v59, v42
	v_mov_b32_e32 v57, v42
	;; [unrolled: 1-line block ×4, first 2 shown]
	s_and_not1_b32 vcc_lo, exec_lo, s14
	s_cbranch_vccnz .LBB59_15
; %bb.9:                                ;   in Loop: Header=BB59_8 Depth=1
	v_min_u32_e32 v0, s18, v40
	s_waitcnt lgkmcnt(0)
	v_min_u32_e32 v1, s18, v45
	v_min_u32_e32 v2, s18, v43
	v_dual_mov_b32 v3, v42 :: v_dual_mov_b32 v56, 0
	v_mul_lo_u32 v41, v0, s5
	s_delay_alu instid0(VALU_DEP_4) | instskip(NEXT) | instid1(VALU_DEP_4)
	v_mul_lo_u32 v0, v1, s5
	v_mul_lo_u32 v2, v2, s5
	v_dual_mov_b32 v1, v42 :: v_dual_mov_b32 v44, 0
	v_dual_mov_b32 v61, v53 :: v_dual_mov_b32 v58, 0
	;; [unrolled: 1-line block ×3, first 2 shown]
	v_lshlrev_b64 v[46:47], 1, v[41:42]
	s_delay_alu instid0(VALU_DEP_4)
	v_lshlrev_b64 v[48:49], 1, v[0:1]
	v_lshlrev_b64 v[50:51], 1, v[2:3]
	v_mov_b32_e32 v59, 0
	s_mov_b32 s17, 0
	s_branch .LBB59_12
.LBB59_10:                              ;   in Loop: Header=BB59_12 Depth=2
	s_or_b32 exec_lo, exec_lo, s21
.LBB59_11:                              ;   in Loop: Header=BB59_12 Depth=2
	s_delay_alu instid0(SALU_CYCLE_1)
	s_or_b32 exec_lo, exec_lo, s20
	s_waitcnt vmcnt(5) lgkmcnt(1)
	;;#ASMSTART
	v_dot2_f32_f16 v60, v36, v32, v60
	;;#ASMEND
	s_waitcnt vmcnt(4)
	;;#ASMSTART
	v_dot2_f32_f16 v59, v36, v24, v59
	;;#ASMEND
	s_waitcnt vmcnt(3)
	;;#ASMSTART
	v_dot2_f32_f16 v58, v36, v20, v58
	;;#ASMEND
	s_waitcnt lgkmcnt(0)
	;;#ASMSTART
	v_dot2_f32_f16 v57, v28, v32, v57
	;;#ASMEND
	;;#ASMSTART
	v_dot2_f32_f16 v56, v28, v24, v56
	;;#ASMEND
	;;#ASMSTART
	v_dot2_f32_f16 v44, v28, v20, v44
	;;#ASMEND
	;;#ASMSTART
	v_dot2_f32_f16 v60, v37, v33, v60
	;;#ASMEND
	;;#ASMSTART
	v_dot2_f32_f16 v59, v37, v25, v59
	;;#ASMEND
	;;#ASMSTART
	v_dot2_f32_f16 v58, v37, v21, v58
	;;#ASMEND
	;;#ASMSTART
	v_dot2_f32_f16 v57, v29, v33, v57
	;;#ASMEND
	;;#ASMSTART
	v_dot2_f32_f16 v56, v29, v25, v56
	;;#ASMEND
	;;#ASMSTART
	v_dot2_f32_f16 v44, v29, v21, v44
	;;#ASMEND
	;;#ASMSTART
	v_dot2_f32_f16 v60, v38, v34, v60
	;;#ASMEND
	;;#ASMSTART
	v_dot2_f32_f16 v59, v38, v26, v59
	;;#ASMEND
	;;#ASMSTART
	v_dot2_f32_f16 v58, v38, v22, v58
	;;#ASMEND
	;;#ASMSTART
	v_dot2_f32_f16 v57, v30, v34, v57
	;;#ASMEND
	;;#ASMSTART
	v_dot2_f32_f16 v56, v30, v26, v56
	;;#ASMEND
	;;#ASMSTART
	v_dot2_f32_f16 v44, v30, v22, v44
	;;#ASMEND
	v_add_nc_u32_e32 v61, 0x800, v61
	;;#ASMSTART
	v_dot2_f32_f16 v60, v39, v35, v60
	;;#ASMEND
	;;#ASMSTART
	v_dot2_f32_f16 v59, v39, v27, v59
	;;#ASMEND
	;;#ASMSTART
	v_dot2_f32_f16 v58, v39, v23, v58
	;;#ASMEND
	;;#ASMSTART
	v_dot2_f32_f16 v57, v31, v35, v57
	;;#ASMEND
	;;#ASMSTART
	v_dot2_f32_f16 v56, v31, v27, v56
	;;#ASMEND
	;;#ASMSTART
	v_dot2_f32_f16 v44, v31, v23, v44
	;;#ASMEND
	s_addk_i32 s17, 0x400
	s_waitcnt vmcnt(2)
	;;#ASMSTART
	v_dot2_f32_f16 v60, v16, v12, v60
	;;#ASMEND
	s_waitcnt vmcnt(1)
	;;#ASMSTART
	v_dot2_f32_f16 v59, v16, v4, v59
	;;#ASMEND
	;; [unrolled: 4-line block ×3, first 2 shown]
	;;#ASMSTART
	v_dot2_f32_f16 v57, v8, v12, v57
	;;#ASMEND
	;;#ASMSTART
	v_dot2_f32_f16 v56, v8, v4, v56
	;;#ASMEND
	;; [unrolled: 3-line block ×9, first 2 shown]
	s_cmp_ge_u32 s17, s4
	;;#ASMSTART
	v_dot2_f32_f16 v60, v18, v14, v60
	;;#ASMEND
	;;#ASMSTART
	v_dot2_f32_f16 v59, v18, v6, v59
	;;#ASMEND
	;; [unrolled: 3-line block ×12, first 2 shown]
	s_cbranch_scc1 .LBB59_15
.LBB59_12:                              ;   Parent Loop BB59_8 Depth=1
                                        ; =>  This Inner Loop Header: Depth=2
	v_dual_mov_b32 v37, 0 :: v_dual_add_nc_u32 v16, s17, v52
	v_dual_mov_b32 v36, 0 :: v_dual_mov_b32 v17, 0
	v_dual_mov_b32 v38, 0 :: v_dual_mov_b32 v19, 0
	s_delay_alu instid0(VALU_DEP_3) | instskip(SKIP_2) | instid1(VALU_DEP_3)
	v_min_u32_e32 v41, s15, v16
	v_dual_mov_b32 v39, 0 :: v_dual_add_nc_u32 v62, 0x200, v16
	v_dual_mov_b32 v18, 0 :: v_dual_mov_b32 v31, 0
	v_lshlrev_b64 v[0:1], 1, v[41:42]
	s_delay_alu instid0(VALU_DEP_3) | instskip(SKIP_3) | instid1(VALU_DEP_4)
	v_min_u32_e32 v41, s15, v62
	v_mov_b32_e32 v28, 0
	v_dual_mov_b32 v30, 0 :: v_dual_mov_b32 v29, 0
	s_waitcnt lgkmcnt(0)
	v_add_co_u32 v6, vcc_lo, s2, v0
	v_add_co_ci_u32_e32 v7, vcc_lo, s3, v1, vcc_lo
	v_lshlrev_b64 v[0:1], 1, v[41:42]
	s_delay_alu instid0(VALU_DEP_3) | instskip(NEXT) | instid1(VALU_DEP_3)
	v_add_co_u32 v2, vcc_lo, v6, v46
	v_add_co_ci_u32_e32 v3, vcc_lo, v7, v47, vcc_lo
	v_add_co_u32 v4, vcc_lo, v6, v48
	v_add_co_ci_u32_e32 v5, vcc_lo, v7, v49, vcc_lo
	;; [unrolled: 2-line block ×4, first 2 shown]
	s_delay_alu instid0(VALU_DEP_4) | instskip(NEXT) | instid1(VALU_DEP_4)
	v_add_co_u32 v6, vcc_lo, v10, v46
	v_add_co_ci_u32_e32 v7, vcc_lo, v11, v47, vcc_lo
	v_add_co_u32 v8, vcc_lo, v10, v48
	v_add_co_ci_u32_e32 v9, vcc_lo, v11, v49, vcc_lo
	;; [unrolled: 2-line block ×3, first 2 shown]
	s_clause 0x5
	global_load_b128 v[32:35], v[2:3], off slc dlc
	global_load_b128 v[24:27], v[4:5], off slc dlc
	;; [unrolled: 1-line block ×6, first 2 shown]
	v_mov_b32_e32 v11, 0
	v_cmp_gt_u32_e32 vcc_lo, s4, v16
	v_mov_b32_e32 v16, 0
	v_dual_mov_b32 v8, 0 :: v_dual_mov_b32 v9, 0
	v_mov_b32_e32 v10, 0
	s_and_saveexec_b32 s20, vcc_lo
	s_cbranch_execz .LBB59_11
; %bb.13:                               ;   in Loop: Header=BB59_12 Depth=2
	v_dual_mov_b32 v10, 0 :: v_dual_add_nc_u32 v41, s6, v61
	v_dual_mov_b32 v11, 0 :: v_dual_mov_b32 v8, 0
	ds_load_b128 v[36:39], v61
	ds_load_b128 v[28:31], v41
	v_dual_mov_b32 v9, 0 :: v_dual_mov_b32 v18, 0
	v_dual_mov_b32 v19, 0 :: v_dual_mov_b32 v16, 0
	v_mov_b32_e32 v17, 0
	s_mov_b32 s21, exec_lo
	v_cmpx_gt_u32_e64 s4, v62
	s_cbranch_execz .LBB59_10
; %bb.14:                               ;   in Loop: Header=BB59_12 Depth=2
	ds_load_b128 v[16:19], v61 offset:1024
	ds_load_b128 v[8:11], v41 offset:1024
	s_branch .LBB59_10
.LBB59_15:                              ;   in Loop: Header=BB59_8 Depth=1
	; sched_barrier mask(0x00000000)
	s_waitcnt lgkmcnt(0)
	v_xor_b32_e32 v1, 16, v55
	v_cvt_i32_f32_e32 v0, v60
	v_cvt_i32_f32_e32 v2, v59
	;; [unrolled: 1-line block ×4, first 2 shown]
	v_cmp_gt_i32_e32 vcc_lo, 32, v1
	v_cvt_f32_i32_dpp v0, v0 row_shr:8 row_mask:0xf bank_mask:0xf bound_ctrl:1
	v_cvt_f32_i32_dpp v2, v2 row_shr:8 row_mask:0xf bank_mask:0xf bound_ctrl:1
	;; [unrolled: 1-line block ×3, first 2 shown]
	v_cvt_i32_f32_e32 v4, v57
	s_delay_alu instid0(VALU_DEP_4) | instskip(SKIP_2) | instid1(VALU_DEP_4)
	v_dual_cndmask_b32 v1, v55, v1 :: v_dual_add_f32 v0, v60, v0
	v_cvt_f32_i32_dpp v3, v3 row_shr:8 row_mask:0xf bank_mask:0xf bound_ctrl:1
	v_cvt_i32_f32_e32 v6, v44
	v_cvt_f32_i32_dpp v4, v4 row_shr:8 row_mask:0xf bank_mask:0xf bound_ctrl:1
	s_delay_alu instid0(VALU_DEP_4) | instskip(SKIP_1) | instid1(VALU_DEP_3)
	v_dual_add_f32 v2, v59, v2 :: v_dual_lshlrev_b32 v1, 2, v1
	v_cvt_i32_f32_e32 v7, v0
	v_dual_add_f32 v3, v58, v3 :: v_dual_add_f32 v4, v57, v4
	v_cvt_f32_i32_dpp v6, v6 row_shr:8 row_mask:0xf bank_mask:0xf bound_ctrl:1
	s_delay_alu instid0(VALU_DEP_4) | instskip(NEXT) | instid1(VALU_DEP_4)
	v_cvt_i32_f32_e32 v8, v2
	v_cvt_f32_i32_dpp v7, v7 row_shr:4 row_mask:0xf bank_mask:0xf bound_ctrl:1
	s_delay_alu instid0(VALU_DEP_4) | instskip(NEXT) | instid1(VALU_DEP_3)
	v_cvt_i32_f32_e32 v9, v4
	v_cvt_f32_i32_dpp v8, v8 row_shr:4 row_mask:0xf bank_mask:0xf bound_ctrl:1
	v_add_f32_e32 v5, v56, v5
	s_delay_alu instid0(VALU_DEP_3) | instskip(NEXT) | instid1(VALU_DEP_3)
	v_cvt_f32_i32_dpp v9, v9 row_shr:4 row_mask:0xf bank_mask:0xf bound_ctrl:1
	v_add_f32_e32 v8, v2, v8
	s_delay_alu instid0(VALU_DEP_3) | instskip(NEXT) | instid1(VALU_DEP_2)
	v_cvt_i32_f32_e32 v10, v5
	v_cvt_i32_f32_e32 v2, v8
	s_delay_alu instid0(VALU_DEP_2) | instskip(SKIP_2) | instid1(VALU_DEP_4)
	v_cvt_f32_i32_dpp v10, v10 row_shr:4 row_mask:0xf bank_mask:0xf bound_ctrl:1
	v_add_f32_e32 v0, v0, v7
	v_cvt_i32_f32_e32 v7, v3
	v_cvt_f32_i32_dpp v13, v2 row_shr:2 row_mask:0xf bank_mask:0xf bound_ctrl:1
	s_delay_alu instid0(VALU_DEP_4) | instskip(NEXT) | instid1(VALU_DEP_4)
	v_add_f32_e32 v5, v5, v10
	v_cvt_i32_f32_e32 v12, v0
	s_delay_alu instid0(VALU_DEP_4) | instskip(SKIP_1) | instid1(VALU_DEP_3)
	v_cvt_f32_i32_dpp v7, v7 row_shr:4 row_mask:0xf bank_mask:0xf bound_ctrl:1
	v_add_f32_e32 v6, v44, v6
	v_cvt_f32_i32_dpp v12, v12 row_shr:2 row_mask:0xf bank_mask:0xf bound_ctrl:1
	s_delay_alu instid0(VALU_DEP_3) | instskip(NEXT) | instid1(VALU_DEP_3)
	v_add_f32_e32 v3, v3, v7
	v_cvt_i32_f32_e32 v11, v6
	s_delay_alu instid0(VALU_DEP_3) | instskip(NEXT) | instid1(VALU_DEP_3)
	v_add_f32_e32 v0, v0, v12
	v_cvt_i32_f32_e32 v7, v3
	s_delay_alu instid0(VALU_DEP_3) | instskip(NEXT) | instid1(VALU_DEP_2)
	v_cvt_f32_i32_dpp v11, v11 row_shr:4 row_mask:0xf bank_mask:0xf bound_ctrl:1
	v_cvt_f32_i32_dpp v7, v7 row_shr:2 row_mask:0xf bank_mask:0xf bound_ctrl:1
	v_add_f32_e32 v4, v4, v9
	v_cvt_i32_f32_e32 v9, v0
	s_delay_alu instid0(VALU_DEP_3) | instskip(NEXT) | instid1(VALU_DEP_3)
	v_add_f32_e32 v7, v3, v7
	v_cvt_i32_f32_e32 v10, v4
	s_delay_alu instid0(VALU_DEP_3) | instskip(NEXT) | instid1(VALU_DEP_2)
	v_cvt_f32_i32_dpp v2, v9 row_shr:1 row_mask:0xf bank_mask:0xf bound_ctrl:1
	v_cvt_f32_i32_dpp v9, v10 row_shr:2 row_mask:0xf bank_mask:0xf bound_ctrl:1
	s_delay_alu instid0(VALU_DEP_1) | instskip(SKIP_1) | instid1(VALU_DEP_1)
	v_add_f32_e32 v4, v4, v9
	v_cvt_i32_f32_e32 v9, v7
	v_cvt_f32_i32_dpp v9, v9 row_shr:1 row_mask:0xf bank_mask:0xf bound_ctrl:1
	v_add_f32_e32 v6, v6, v11
	v_cvt_i32_f32_e32 v11, v5
	s_delay_alu instid0(VALU_DEP_3) | instskip(NEXT) | instid1(VALU_DEP_3)
	v_add_f32_e32 v7, v7, v9
	v_cvt_i32_f32_e32 v12, v6
	s_delay_alu instid0(VALU_DEP_3) | instskip(NEXT) | instid1(VALU_DEP_2)
	v_cvt_f32_i32_dpp v10, v11 row_shr:2 row_mask:0xf bank_mask:0xf bound_ctrl:1
	v_cvt_f32_i32_dpp v11, v12 row_shr:2 row_mask:0xf bank_mask:0xf bound_ctrl:1
	s_delay_alu instid0(VALU_DEP_2)
	v_add_f32_e32 v5, v5, v10
	v_add_f32_e32 v2, v0, v2
	;; [unrolled: 1-line block ×3, first 2 shown]
	v_cvt_i32_f32_e32 v10, v4
	v_add_f32_e32 v8, v6, v11
	v_cvt_i32_f32_e32 v11, v5
	s_delay_alu instid0(VALU_DEP_4) | instskip(NEXT) | instid1(VALU_DEP_4)
	v_cvt_i32_f32_e32 v6, v0
	v_cvt_f32_i32_dpp v10, v10 row_shr:1 row_mask:0xf bank_mask:0xf bound_ctrl:1
	s_delay_alu instid0(VALU_DEP_4) | instskip(NEXT) | instid1(VALU_DEP_4)
	v_cvt_i32_f32_e32 v12, v8
	v_cvt_f32_i32_dpp v11, v11 row_shr:1 row_mask:0xf bank_mask:0xf bound_ctrl:1
	s_delay_alu instid0(VALU_DEP_4) | instskip(NEXT) | instid1(VALU_DEP_4)
	v_cvt_f32_i32_dpp v6, v6 row_shr:1 row_mask:0xf bank_mask:0xf bound_ctrl:1
	v_add_f32_e32 v4, v4, v10
	s_delay_alu instid0(VALU_DEP_4) | instskip(NEXT) | instid1(VALU_DEP_4)
	v_cvt_f32_i32_dpp v12, v12 row_shr:1 row_mask:0xf bank_mask:0xf bound_ctrl:1
	v_add_f32_e32 v5, v5, v11
	ds_bpermute_b32 v3, v1, v2
	v_add_f32_e32 v6, v0, v6
	ds_bpermute_b32 v11, v1, v7
	;; [unrolled: 2-line block ×3, first 2 shown]
	ds_bpermute_b32 v9, v1, v5
	ds_bpermute_b32 v10, v1, v6
	;; [unrolled: 1-line block ×3, first 2 shown]
	s_and_saveexec_b32 s17, s0
	s_cbranch_execz .LBB59_7
; %bb.16:                               ;   in Loop: Header=BB59_8 Depth=1
	s_and_b32 vcc_lo, exec_lo, s19
	s_cbranch_vccz .LBB59_18
; %bb.17:                               ;   in Loop: Header=BB59_8 Depth=1
	v_mul_hi_u32 v12, v40, v54
	v_mul_hi_u32 v13, v45, v54
	;; [unrolled: 1-line block ×3, first 2 shown]
	v_mov_b32_e32 v44, v42
	v_mov_b32_e32 v46, v42
	v_mul_lo_u32 v12, v12, s8
	v_mul_lo_u32 v13, v13, s8
	;; [unrolled: 1-line block ×3, first 2 shown]
	s_delay_alu instid0(VALU_DEP_3) | instskip(NEXT) | instid1(VALU_DEP_3)
	v_sub_nc_u32_e32 v12, v40, v12
	v_sub_nc_u32_e32 v13, v45, v13
	s_delay_alu instid0(VALU_DEP_3) | instskip(NEXT) | instid1(VALU_DEP_3)
	v_sub_nc_u32_e32 v14, v43, v14
	v_subrev_nc_u32_e32 v15, s8, v12
	v_cmp_le_u32_e32 vcc_lo, s8, v12
	s_delay_alu instid0(VALU_DEP_4) | instskip(NEXT) | instid1(VALU_DEP_4)
	v_subrev_nc_u32_e32 v16, s8, v13
	v_subrev_nc_u32_e32 v17, s8, v14
	s_delay_alu instid0(VALU_DEP_4) | instskip(SKIP_1) | instid1(VALU_DEP_4)
	v_cndmask_b32_e32 v12, v12, v15, vcc_lo
	v_cmp_le_u32_e32 vcc_lo, s8, v13
	v_dual_mov_b32 v15, v42 :: v_dual_cndmask_b32 v16, v13, v16
	v_cmp_le_u32_e32 vcc_lo, s8, v14
	v_mov_b32_e32 v13, v42
	s_delay_alu instid0(VALU_DEP_3) | instskip(SKIP_3) | instid1(VALU_DEP_2)
	v_subrev_nc_u32_e32 v18, s8, v16
	v_cndmask_b32_e32 v14, v14, v17, vcc_lo
	v_subrev_nc_u32_e32 v17, s8, v12
	v_cmp_le_u32_e32 vcc_lo, s8, v12
	v_cndmask_b32_e32 v41, v12, v17, vcc_lo
	v_cmp_le_u32_e32 vcc_lo, s8, v16
	v_cndmask_b32_e32 v12, v16, v18, vcc_lo
	s_delay_alu instid0(VALU_DEP_3) | instskip(SKIP_1) | instid1(VALU_DEP_1)
	v_lshlrev_b64 v[16:17], 1, v[41:42]
	v_add_nc_u32_e32 v41, s16, v41
	v_lshlrev_b64 v[22:23], 1, v[41:42]
	s_delay_alu instid0(VALU_DEP_4) | instskip(SKIP_2) | instid1(VALU_DEP_2)
	v_add_nc_u32_e32 v41, s16, v12
	v_subrev_nc_u32_e32 v19, s8, v14
	v_cmp_le_u32_e32 vcc_lo, s8, v14
	v_cndmask_b32_e32 v14, v14, v19, vcc_lo
	v_lshlrev_b64 v[18:19], 1, v[12:13]
	v_add_co_u32 v12, vcc_lo, s10, v16
	v_add_co_ci_u32_e32 v13, vcc_lo, s11, v17, vcc_lo
	s_delay_alu instid0(VALU_DEP_4) | instskip(NEXT) | instid1(VALU_DEP_4)
	v_lshlrev_b64 v[20:21], 1, v[14:15]
	v_add_co_u32 v15, vcc_lo, s10, v18
	v_add_co_ci_u32_e32 v16, vcc_lo, s11, v19, vcc_lo
	s_delay_alu instid0(VALU_DEP_3) | instskip(NEXT) | instid1(VALU_DEP_4)
	v_add_co_u32 v18, vcc_lo, s10, v20
	v_add_co_ci_u32_e32 v19, vcc_lo, s11, v21, vcc_lo
	v_lshlrev_b64 v[20:21], 1, v[41:42]
	v_add_nc_u32_e32 v41, s16, v14
	v_add_co_u32 v22, vcc_lo, s10, v22
	v_add_co_ci_u32_e32 v23, vcc_lo, s11, v23, vcc_lo
	s_delay_alu instid0(VALU_DEP_3) | instskip(SKIP_3) | instid1(VALU_DEP_4)
	v_lshlrev_b64 v[24:25], 1, v[41:42]
	v_add_co_u32 v20, vcc_lo, s10, v20
	v_add_co_ci_u32_e32 v21, vcc_lo, s11, v21, vcc_lo
	v_mov_b32_e32 v41, v42
	v_add_co_u32 v24, vcc_lo, s10, v24
	v_add_co_ci_u32_e32 v25, vcc_lo, s11, v25, vcc_lo
	s_clause 0x5
	global_load_u16 v17, v[12:13], off
	global_load_u16 v16, v[15:16], off
	;; [unrolled: 1-line block ×6, first 2 shown]
	s_cbranch_execnz .LBB59_6
	s_branch .LBB59_19
.LBB59_18:                              ;   in Loop: Header=BB59_8 Depth=1
                                        ; implicit-def: $vgpr12
                                        ; implicit-def: $vgpr13
                                        ; implicit-def: $vgpr14
                                        ; implicit-def: $vgpr15
                                        ; implicit-def: $vgpr16
                                        ; implicit-def: $vgpr17
.LBB59_19:                              ;   in Loop: Header=BB59_8 Depth=1
	s_waitcnt vmcnt(4)
	v_dual_mov_b32 v41, v42 :: v_dual_mov_b32 v16, 0
	v_dual_mov_b32 v46, v42 :: v_dual_mov_b32 v17, 0
	s_waitcnt vmcnt(3)
	v_dual_mov_b32 v44, v42 :: v_dual_mov_b32 v15, 0
	s_waitcnt vmcnt(1)
	v_dual_mov_b32 v14, 0 :: v_dual_mov_b32 v13, 0
	s_waitcnt vmcnt(0)
	v_mov_b32_e32 v12, 0
	s_branch .LBB59_6
.LBB59_20:
	s_nop 0
	s_sendmsg sendmsg(MSG_DEALLOC_VGPRS)
	s_endpgm
	.section	.rodata,"a",@progbits
	.p2align	6, 0x0
	.amdhsa_kernel _Z16wvSplitK_hf_sml_I6__halfLi64ELi3ELi16ELi8ELi2ELi2EEviiiiiiPKT_S3_S3_PS1_ii
		.amdhsa_group_segment_fixed_size 65536
		.amdhsa_private_segment_fixed_size 0
		.amdhsa_kernarg_size 64
		.amdhsa_user_sgpr_count 15
		.amdhsa_user_sgpr_dispatch_ptr 0
		.amdhsa_user_sgpr_queue_ptr 0
		.amdhsa_user_sgpr_kernarg_segment_ptr 1
		.amdhsa_user_sgpr_dispatch_id 0
		.amdhsa_user_sgpr_private_segment_size 0
		.amdhsa_wavefront_size32 1
		.amdhsa_uses_dynamic_stack 0
		.amdhsa_enable_private_segment 0
		.amdhsa_system_sgpr_workgroup_id_x 1
		.amdhsa_system_sgpr_workgroup_id_y 0
		.amdhsa_system_sgpr_workgroup_id_z 0
		.amdhsa_system_sgpr_workgroup_info 0
		.amdhsa_system_vgpr_workitem_id 1
		.amdhsa_next_free_vgpr 63
		.amdhsa_next_free_sgpr 22
		.amdhsa_reserve_vcc 1
		.amdhsa_float_round_mode_32 0
		.amdhsa_float_round_mode_16_64 0
		.amdhsa_float_denorm_mode_32 3
		.amdhsa_float_denorm_mode_16_64 3
		.amdhsa_dx10_clamp 1
		.amdhsa_ieee_mode 1
		.amdhsa_fp16_overflow 0
		.amdhsa_workgroup_processor_mode 1
		.amdhsa_memory_ordered 1
		.amdhsa_forward_progress 0
		.amdhsa_shared_vgpr_count 0
		.amdhsa_exception_fp_ieee_invalid_op 0
		.amdhsa_exception_fp_denorm_src 0
		.amdhsa_exception_fp_ieee_div_zero 0
		.amdhsa_exception_fp_ieee_overflow 0
		.amdhsa_exception_fp_ieee_underflow 0
		.amdhsa_exception_fp_ieee_inexact 0
		.amdhsa_exception_int_div_zero 0
	.end_amdhsa_kernel
	.section	.text._Z16wvSplitK_hf_sml_I6__halfLi64ELi3ELi16ELi8ELi2ELi2EEviiiiiiPKT_S3_S3_PS1_ii,"axG",@progbits,_Z16wvSplitK_hf_sml_I6__halfLi64ELi3ELi16ELi8ELi2ELi2EEviiiiiiPKT_S3_S3_PS1_ii,comdat
.Lfunc_end59:
	.size	_Z16wvSplitK_hf_sml_I6__halfLi64ELi3ELi16ELi8ELi2ELi2EEviiiiiiPKT_S3_S3_PS1_ii, .Lfunc_end59-_Z16wvSplitK_hf_sml_I6__halfLi64ELi3ELi16ELi8ELi2ELi2EEviiiiiiPKT_S3_S3_PS1_ii
                                        ; -- End function
	.section	.AMDGPU.csdata,"",@progbits
; Kernel info:
; codeLenInByte = 3396
; NumSgprs: 24
; NumVgprs: 63
; ScratchSize: 0
; MemoryBound: 0
; FloatMode: 240
; IeeeMode: 1
; LDSByteSize: 65536 bytes/workgroup (compile time only)
; SGPRBlocks: 2
; VGPRBlocks: 7
; NumSGPRsForWavesPerEU: 24
; NumVGPRsForWavesPerEU: 63
; Occupancy: 16
; WaveLimiterHint : 0
; COMPUTE_PGM_RSRC2:SCRATCH_EN: 0
; COMPUTE_PGM_RSRC2:USER_SGPR: 15
; COMPUTE_PGM_RSRC2:TRAP_HANDLER: 0
; COMPUTE_PGM_RSRC2:TGID_X_EN: 1
; COMPUTE_PGM_RSRC2:TGID_Y_EN: 0
; COMPUTE_PGM_RSRC2:TGID_Z_EN: 0
; COMPUTE_PGM_RSRC2:TIDIG_COMP_CNT: 1
	.section	.text._Z12wvSplitK_hf_I6__halfLi64ELi3ELi16ELi8ELi2ELi2EEviiiiiiPKT_S3_S3_PS1_ii,"axG",@progbits,_Z12wvSplitK_hf_I6__halfLi64ELi3ELi16ELi8ELi2ELi2EEviiiiiiPKT_S3_S3_PS1_ii,comdat
	.protected	_Z12wvSplitK_hf_I6__halfLi64ELi3ELi16ELi8ELi2ELi2EEviiiiiiPKT_S3_S3_PS1_ii ; -- Begin function _Z12wvSplitK_hf_I6__halfLi64ELi3ELi16ELi8ELi2ELi2EEviiiiiiPKT_S3_S3_PS1_ii
	.globl	_Z12wvSplitK_hf_I6__halfLi64ELi3ELi16ELi8ELi2ELi2EEviiiiiiPKT_S3_S3_PS1_ii
	.p2align	8
	.type	_Z12wvSplitK_hf_I6__halfLi64ELi3ELi16ELi8ELi2ELi2EEviiiiiiPKT_S3_S3_PS1_ii,@function
_Z12wvSplitK_hf_I6__halfLi64ELi3ELi16ELi8ELi2ELi2EEviiiiiiPKT_S3_S3_PS1_ii: ; @_Z12wvSplitK_hf_I6__halfLi64ELi3ELi16ELi8ELi2ELi2EEviiiiiiPKT_S3_S3_PS1_ii
; %bb.0:
	s_clause 0x1
	s_load_b64 s[18:19], s[0:1], 0x38
	s_load_b128 s[4:7], s[0:1], 0x0
	v_bfe_u32 v1, v0, 10, 10
	s_mov_b32 s8, 1
	s_delay_alu instid0(SALU_CYCLE_1) | instskip(SKIP_1) | instid1(SALU_CYCLE_1)
	s_mov_b32 s9, s8
	s_mov_b32 s10, s8
	v_mov_b32_e32 v42, s10
	v_dual_mov_b32 v40, s8 :: v_dual_mov_b32 v41, s9
	s_waitcnt lgkmcnt(0)
	v_mad_u64_u32 v[2:3], null, s15, s18, v[1:2]
	s_clause 0x1
	s_load_b64 s[12:13], s[0:1], 0x20
	s_load_b64 s[14:15], s[0:1], 0x10
	s_delay_alu instid0(VALU_DEP_1) | instskip(NEXT) | instid1(VALU_DEP_1)
	v_lshl_add_u32 v43, v2, 1, v2
	v_add_nc_u32_e32 v2, 3, v43
	v_cmp_gt_u32_e32 vcc_lo, s7, v43
	s_delay_alu instid0(VALU_DEP_2) | instskip(NEXT) | instid1(VALU_DEP_1)
	v_cmp_le_u32_e64 s2, s7, v2
	s_and_b32 s2, vcc_lo, s2
	s_delay_alu instid0(SALU_CYCLE_1)
	s_and_saveexec_b32 s11, s2
	s_cbranch_execz .LBB60_6
; %bb.1:
	v_dual_mov_b32 v42, s10 :: v_dual_mov_b32 v41, s9
	v_mov_b32_e32 v40, s8
	s_add_i32 s16, s7, -3
	s_mov_b32 s17, exec_lo
	v_cmpx_ne_u32_e64 s16, v43
	s_cbranch_execz .LBB60_5
; %bb.2:
	v_subrev_nc_u32_e32 v2, s16, v43
	s_mov_b32 s20, 0
	s_mov_b64 s[2:3], 0
	s_mov_b32 s9, s8
	s_mov_b32 s10, s8
	v_cmp_lt_u32_e32 vcc_lo, 1, v2
	v_cndmask_b32_e32 v2, 1, v2, vcc_lo
.LBB60_3:                               ; =>This Inner Loop Header: Depth=1
	s_cmp_lg_u32 s2, 2
	s_cselect_b32 s10, s10, 0
	s_cmp_lg_u32 s2, 1
	s_cselect_b32 s9, s9, 0
	;; [unrolled: 2-line block ×3, first 2 shown]
	s_add_u32 s2, s2, 1
	v_dual_mov_b32 v42, s10 :: v_dual_mov_b32 v41, s9
	v_cmp_eq_u32_e32 vcc_lo, s2, v2
	v_mov_b32_e32 v40, s8
	s_addc_u32 s3, s3, 0
	s_or_b32 s20, vcc_lo, s20
	s_delay_alu instid0(SALU_CYCLE_1)
	s_and_not1_b32 exec_lo, exec_lo, s20
	s_cbranch_execnz .LBB60_3
; %bb.4:
	s_or_b32 exec_lo, exec_lo, s20
	v_mov_b32_e32 v43, s16
.LBB60_5:
	s_or_b32 exec_lo, exec_lo, s17
.LBB60_6:
	s_delay_alu instid0(SALU_CYCLE_1)
	s_or_b32 exec_lo, exec_lo, s11
	s_load_b64 s[8:9], s[0:1], 0x28
	v_and_b32_e32 v0, 0x3ff, v0
	s_lshl_b32 s2, s6, 1
	s_mov_b32 s10, exec_lo
	s_min_u32 s3, s2, 0x8000
	s_delay_alu instid0(VALU_DEP_1) | instskip(NEXT) | instid1(VALU_DEP_1)
	v_lshlrev_b32_e32 v57, 3, v0
	v_lshl_add_u32 v4, v1, 9, v57
	s_delay_alu instid0(VALU_DEP_1)
	v_cmpx_gt_u32_e64 s3, v4
	s_cbranch_execz .LBB60_9
; %bb.7:
	v_lshlrev_b32_e32 v5, 10, v1
	v_lshlrev_b32_e32 v6, 4, v0
	s_mov_b32 s11, 0
	s_delay_alu instid0(VALU_DEP_1) | instskip(NEXT) | instid1(VALU_DEP_1)
	v_add_co_u32 v2, s2, v5, v6
	v_add_co_ci_u32_e64 v3, null, 0, 0, s2
	v_add_nc_u32_e32 v5, v5, v6
	s_waitcnt lgkmcnt(0)
	s_delay_alu instid0(VALU_DEP_3) | instskip(NEXT) | instid1(VALU_DEP_3)
	v_add_co_u32 v2, vcc_lo, s12, v2
	v_add_co_ci_u32_e32 v3, vcc_lo, s13, v3, vcc_lo
	.p2align	6
.LBB60_8:                               ; =>This Inner Loop Header: Depth=1
	global_load_b128 v[6:9], v[2:3], off
	v_add_nc_u32_e32 v4, 0x2000, v4
	v_add_co_u32 v2, vcc_lo, 0x4000, v2
	v_add_co_ci_u32_e32 v3, vcc_lo, 0, v3, vcc_lo
	s_delay_alu instid0(VALU_DEP_3) | instskip(NEXT) | instid1(VALU_DEP_1)
	v_cmp_le_u32_e64 s2, s3, v4
	s_or_b32 s11, s2, s11
	s_waitcnt vmcnt(0)
	ds_store_b128 v5, v[6:9]
	v_add_nc_u32_e32 v5, 0x4000, v5
	s_and_not1_b32 exec_lo, exec_lo, s11
	s_cbranch_execnz .LBB60_8
.LBB60_9:
	s_or_b32 exec_lo, exec_lo, s10
	v_cmp_gt_u32_e32 vcc_lo, s18, v1
	v_cmp_gt_u32_e64 s2, s7, v43
	s_waitcnt lgkmcnt(0)
	s_barrier
	buffer_gl0_inv
	s_and_b32 s2, vcc_lo, s2
	s_delay_alu instid0(SALU_CYCLE_1)
	s_and_saveexec_b32 s3, s2
	s_cbranch_execz .LBB60_56
; %bb.10:
	v_cvt_f32_u32_e32 v1, s14
	s_cmp_lg_u32 s4, 0
	s_clause 0x1
	s_load_b64 s[10:11], s[0:1], 0x18
	s_load_b64 s[16:17], s[0:1], 0x30
	s_cselect_b32 s20, -1, 0
	s_add_i32 s21, s4, -8
	v_rcp_iflag_f32_e32 v1, v1
	s_add_i32 s22, s7, -1
	s_cmp_lg_u64 s[8:9], 0
	v_cmp_eq_u32_e64 s0, 63, v0
	s_cselect_b32 s23, -1, 0
	s_sub_i32 s2, 0, s14
	s_add_i32 s25, s7, -3
	v_mbcnt_lo_u32_b32 v59, -1, 0
	s_mul_i32 s1, s18, s19
	s_mov_b32 s24, 0
	s_waitcnt_depctr 0xfff
	v_mul_f32_e32 v1, 0x4f7ffffe, v1
	s_delay_alu instid0(VALU_DEP_1) | instskip(NEXT) | instid1(VALU_DEP_1)
	v_cvt_u32_f32_e32 v1, v1
	v_mul_lo_u32 v2, s2, v1
	s_abs_i32 s2, s15
	s_delay_alu instid0(SALU_CYCLE_1) | instskip(SKIP_2) | instid1(SALU_CYCLE_1)
	s_sub_i32 s3, 1, s2
	s_cmp_lt_u32 s2, 2
	s_cselect_b32 s3, s3, 1
	s_sub_i32 s15, s3, s2
	s_delay_alu instid0(VALU_DEP_1)
	v_mul_hi_u32 v0, v1, v2
	s_cmp_ge_u32 s3, s2
	v_mov_b32_e32 v45, 0
	s_cselect_b32 s26, s15, s3
	s_mul_i32 s15, s1, 3
	s_mul_i32 s26, s26, s14
	s_delay_alu instid0(VALU_DEP_2)
	v_add_nc_u32_e32 v58, v1, v0
	s_branch .LBB60_13
.LBB60_11:                              ;   in Loop: Header=BB60_13 Depth=1
	s_or_b32 exec_lo, exec_lo, s28
	v_mov_b32_e32 v43, s25
.LBB60_12:                              ;   in Loop: Header=BB60_13 Depth=1
	s_or_b32 exec_lo, exec_lo, s27
	s_delay_alu instid0(VALU_DEP_1) | instskip(SKIP_1) | instid1(SALU_CYCLE_1)
	v_cmp_le_u32_e32 vcc_lo, s7, v43
	s_or_b32 s24, vcc_lo, s24
	s_and_not1_b32 exec_lo, exec_lo, s24
	s_cbranch_execz .LBB60_56
.LBB60_13:                              ; =>This Loop Header: Depth=1
                                        ;     Child Loop BB60_18 Depth 2
                                        ;     Child Loop BB60_49 Depth 2
	v_dual_mov_b32 v64, v45 :: v_dual_add_nc_u32 v47, 1, v43
	v_dual_mov_b32 v65, v45 :: v_dual_add_nc_u32 v46, 2, v43
	v_mov_b32_e32 v63, v45
	v_mov_b32_e32 v62, v45
	;; [unrolled: 1-line block ×4, first 2 shown]
	s_and_not1_b32 vcc_lo, exec_lo, s20
	s_cbranch_vccnz .LBB60_36
; %bb.14:                               ;   in Loop: Header=BB60_13 Depth=1
	v_min_u32_e32 v0, s22, v43
	s_waitcnt lgkmcnt(0)
	v_min_u32_e32 v1, s22, v47
	v_min_u32_e32 v2, s22, v46
	v_dual_mov_b32 v3, v45 :: v_dual_mov_b32 v62, 0
	v_mul_lo_u32 v44, v0, s5
	s_delay_alu instid0(VALU_DEP_4) | instskip(NEXT) | instid1(VALU_DEP_4)
	v_mul_lo_u32 v0, v1, s5
	v_mul_lo_u32 v2, v2, s5
	v_dual_mov_b32 v1, v45 :: v_dual_mov_b32 v60, 0
	v_dual_mov_b32 v61, 0 :: v_dual_mov_b32 v64, 0
	v_mov_b32_e32 v63, 0
	v_lshlrev_b64 v[48:49], 1, v[44:45]
	s_delay_alu instid0(VALU_DEP_4)
	v_lshlrev_b64 v[50:51], 1, v[0:1]
	v_lshlrev_b64 v[52:53], 1, v[2:3]
	v_mov_b32_e32 v65, 0
	s_mov_b32 s1, 0
	s_branch .LBB60_18
.LBB60_15:                              ;   in Loop: Header=BB60_18 Depth=2
	s_or_b32 exec_lo, exec_lo, s18
.LBB60_16:                              ;   in Loop: Header=BB60_18 Depth=2
	s_delay_alu instid0(SALU_CYCLE_1)
	s_or_b32 exec_lo, exec_lo, s3
.LBB60_17:                              ;   in Loop: Header=BB60_18 Depth=2
	s_delay_alu instid0(SALU_CYCLE_1)
	s_or_b32 exec_lo, exec_lo, s2
	s_waitcnt vmcnt(0) lgkmcnt(0)
	;;#ASMSTART
	v_dot2_f32_f16 v65, v28, v20, v65
	;;#ASMEND
	;;#ASMSTART
	v_dot2_f32_f16 v64, v28, v16, v64
	;;#ASMEND
	;; [unrolled: 3-line block ×24, first 2 shown]
	s_addk_i32 s1, 0x400
	;;#ASMSTART
	v_dot2_f32_f16 v65, v36, v8, v65
	;;#ASMEND
	;;#ASMSTART
	v_dot2_f32_f16 v64, v36, v4, v64
	;;#ASMEND
	;; [unrolled: 3-line block ×12, first 2 shown]
	s_cmp_ge_u32 s1, s4
	;;#ASMSTART
	v_dot2_f32_f16 v65, v38, v10, v65
	;;#ASMEND
	;;#ASMSTART
	v_dot2_f32_f16 v64, v38, v6, v64
	;;#ASMEND
	;;#ASMSTART
	v_dot2_f32_f16 v63, v38, v2, v63
	;;#ASMEND
	;;#ASMSTART
	v_dot2_f32_f16 v62, v34, v10, v62
	;;#ASMEND
	;;#ASMSTART
	v_dot2_f32_f16 v61, v34, v6, v61
	;;#ASMEND
	;;#ASMSTART
	v_dot2_f32_f16 v60, v34, v2, v60
	;;#ASMEND
	;;#ASMSTART
	v_dot2_f32_f16 v65, v39, v11, v65
	;;#ASMEND
	;;#ASMSTART
	v_dot2_f32_f16 v64, v39, v7, v64
	;;#ASMEND
	;;#ASMSTART
	v_dot2_f32_f16 v63, v39, v3, v63
	;;#ASMEND
	;;#ASMSTART
	v_dot2_f32_f16 v62, v35, v11, v62
	;;#ASMEND
	;;#ASMSTART
	v_dot2_f32_f16 v61, v35, v7, v61
	;;#ASMEND
	;;#ASMSTART
	v_dot2_f32_f16 v60, v35, v3, v60
	;;#ASMEND
	s_cbranch_scc1 .LBB60_36
.LBB60_18:                              ;   Parent Loop BB60_13 Depth=1
                                        ; =>  This Inner Loop Header: Depth=2
	v_dual_mov_b32 v34, 0 :: v_dual_add_nc_u32 v55, s1, v57
	v_dual_mov_b32 v33, 0 :: v_dual_mov_b32 v32, 0
	v_dual_mov_b32 v39, 0 :: v_dual_mov_b32 v38, 0
	s_delay_alu instid0(VALU_DEP_3) | instskip(SKIP_2) | instid1(VALU_DEP_3)
	v_min_u32_e32 v44, s21, v55
	v_dual_mov_b32 v35, 0 :: v_dual_add_nc_u32 v54, 0x200, v55
	v_dual_mov_b32 v37, 0 :: v_dual_mov_b32 v36, 0
	v_lshlrev_b64 v[0:1], 1, v[44:45]
	s_delay_alu instid0(VALU_DEP_3) | instskip(SKIP_3) | instid1(VALU_DEP_4)
	v_min_u32_e32 v44, s21, v54
	v_dual_mov_b32 v31, 0 :: v_dual_mov_b32 v30, 0
	v_dual_mov_b32 v29, 0 :: v_dual_mov_b32 v28, 0
	s_waitcnt lgkmcnt(0)
	v_add_co_u32 v6, vcc_lo, s10, v0
	v_add_co_ci_u32_e32 v7, vcc_lo, s11, v1, vcc_lo
	v_lshlrev_b64 v[0:1], 1, v[44:45]
	s_delay_alu instid0(VALU_DEP_3) | instskip(NEXT) | instid1(VALU_DEP_3)
	v_add_co_u32 v2, vcc_lo, v6, v48
	v_add_co_ci_u32_e32 v3, vcc_lo, v7, v49, vcc_lo
	v_add_co_u32 v4, vcc_lo, v6, v50
	v_add_co_ci_u32_e32 v5, vcc_lo, v7, v51, vcc_lo
	;; [unrolled: 2-line block ×4, first 2 shown]
	s_delay_alu instid0(VALU_DEP_4) | instskip(NEXT) | instid1(VALU_DEP_4)
	v_add_co_u32 v6, vcc_lo, v8, v48
	v_add_co_ci_u32_e32 v7, vcc_lo, v9, v49, vcc_lo
	v_add_co_u32 v24, vcc_lo, v8, v50
	v_add_co_ci_u32_e32 v25, vcc_lo, v9, v51, vcc_lo
	;; [unrolled: 2-line block ×3, first 2 shown]
	s_clause 0x5
	global_load_b128 v[20:23], v[2:3], off slc dlc
	global_load_b128 v[16:19], v[4:5], off slc dlc
	;; [unrolled: 1-line block ×6, first 2 shown]
	v_dual_mov_b32 v27, 0 :: v_dual_mov_b32 v26, 0
	v_dual_mov_b32 v25, 0 :: v_dual_mov_b32 v24, 0
	s_mov_b32 s2, exec_lo
	v_cmpx_gt_u32_e64 s4, v55
	s_cbranch_execz .LBB60_17
; %bb.19:                               ;   in Loop: Header=BB60_18 Depth=2
	s_mov_b32 s3, exec_lo
                                        ; implicit-def: $vgpr31
	v_cmpx_lt_u32_e32 0x7fff, v55
	s_xor_b32 s3, exec_lo, s3
	s_cbranch_execz .LBB60_21
; %bb.20:                               ;   in Loop: Header=BB60_18 Depth=2
	v_mov_b32_e32 v56, v45
	s_delay_alu instid0(VALU_DEP_1) | instskip(NEXT) | instid1(VALU_DEP_1)
	v_lshlrev_b64 v[24:25], 1, v[55:56]
	v_add_co_u32 v24, vcc_lo, s12, v24
	s_delay_alu instid0(VALU_DEP_2)
	v_add_co_ci_u32_e32 v25, vcc_lo, s13, v25, vcc_lo
	global_load_b128 v[28:31], v[24:25], off
.LBB60_21:                              ;   in Loop: Header=BB60_18 Depth=2
	s_and_not1_saveexec_b32 s3, s3
	s_cbranch_execz .LBB60_23
; %bb.22:                               ;   in Loop: Header=BB60_18 Depth=2
	v_lshlrev_b32_e32 v24, 1, v55
	s_waitcnt vmcnt(0)
	ds_load_b128 v[28:31], v24
.LBB60_23:                              ;   in Loop: Header=BB60_18 Depth=2
	s_or_b32 exec_lo, exec_lo, s3
	v_add_nc_u32_e32 v44, s6, v55
	s_mov_b32 s3, exec_lo
                                        ; implicit-def: $vgpr27
	s_delay_alu instid0(VALU_DEP_1)
	v_cmpx_lt_u32_e32 0x7fff, v44
	s_xor_b32 s3, exec_lo, s3
	s_cbranch_execz .LBB60_25
; %bb.24:                               ;   in Loop: Header=BB60_18 Depth=2
	v_lshlrev_b64 v[24:25], 1, v[44:45]
	s_delay_alu instid0(VALU_DEP_1) | instskip(NEXT) | instid1(VALU_DEP_2)
	v_add_co_u32 v24, vcc_lo, s12, v24
	v_add_co_ci_u32_e32 v25, vcc_lo, s13, v25, vcc_lo
	global_load_b128 v[24:27], v[24:25], off
.LBB60_25:                              ;   in Loop: Header=BB60_18 Depth=2
	s_and_not1_saveexec_b32 s3, s3
	s_cbranch_execz .LBB60_27
; %bb.26:                               ;   in Loop: Header=BB60_18 Depth=2
	s_waitcnt vmcnt(0)
	v_lshlrev_b32_e32 v24, 1, v44
	ds_load_b128 v[24:27], v24
.LBB60_27:                              ;   in Loop: Header=BB60_18 Depth=2
	s_or_b32 exec_lo, exec_lo, s3
	v_dual_mov_b32 v35, 0 :: v_dual_mov_b32 v34, 0
	v_dual_mov_b32 v33, 0 :: v_dual_mov_b32 v32, 0
	;; [unrolled: 1-line block ×4, first 2 shown]
	s_mov_b32 s3, exec_lo
	v_cmpx_gt_u32_e64 s4, v54
	s_cbranch_execz .LBB60_16
; %bb.28:                               ;   in Loop: Header=BB60_18 Depth=2
	s_mov_b32 s18, exec_lo
                                        ; implicit-def: $vgpr39
	v_cmpx_lt_u32_e32 0x7fff, v54
	s_xor_b32 s18, exec_lo, s18
	s_cbranch_execz .LBB60_30
; %bb.29:                               ;   in Loop: Header=BB60_18 Depth=2
	v_mov_b32_e32 v55, v45
	s_delay_alu instid0(VALU_DEP_1) | instskip(NEXT) | instid1(VALU_DEP_1)
	v_lshlrev_b64 v[32:33], 1, v[54:55]
                                        ; implicit-def: $vgpr55
	v_add_co_u32 v32, vcc_lo, s12, v32
	s_delay_alu instid0(VALU_DEP_2)
	v_add_co_ci_u32_e32 v33, vcc_lo, s13, v33, vcc_lo
	global_load_b128 v[36:39], v[32:33], off
.LBB60_30:                              ;   in Loop: Header=BB60_18 Depth=2
	s_and_not1_saveexec_b32 s18, s18
	s_cbranch_execz .LBB60_32
; %bb.31:                               ;   in Loop: Header=BB60_18 Depth=2
	v_lshlrev_b32_e32 v32, 1, v55
	s_waitcnt vmcnt(0)
	ds_load_b128 v[36:39], v32 offset:1024
.LBB60_32:                              ;   in Loop: Header=BB60_18 Depth=2
	s_or_b32 exec_lo, exec_lo, s18
	v_add_nc_u32_e32 v32, s6, v54
	s_mov_b32 s18, exec_lo
                                        ; implicit-def: $vgpr35
	s_delay_alu instid0(VALU_DEP_1)
	v_cmpx_lt_u32_e32 0x7fff, v32
	s_xor_b32 s18, exec_lo, s18
	s_cbranch_execz .LBB60_34
; %bb.33:                               ;   in Loop: Header=BB60_18 Depth=2
	v_mov_b32_e32 v33, v45
	s_delay_alu instid0(VALU_DEP_1) | instskip(NEXT) | instid1(VALU_DEP_1)
	v_lshlrev_b64 v[32:33], 1, v[32:33]
	v_add_co_u32 v32, vcc_lo, s12, v32
	s_delay_alu instid0(VALU_DEP_2)
	v_add_co_ci_u32_e32 v33, vcc_lo, s13, v33, vcc_lo
	global_load_b128 v[32:35], v[32:33], off
.LBB60_34:                              ;   in Loop: Header=BB60_18 Depth=2
	s_and_not1_saveexec_b32 s18, s18
	s_cbranch_execz .LBB60_15
; %bb.35:                               ;   in Loop: Header=BB60_18 Depth=2
	s_waitcnt vmcnt(0)
	v_lshlrev_b32_e32 v32, 1, v44
	ds_load_b128 v[32:35], v32 offset:1024
	s_branch .LBB60_15
.LBB60_36:                              ;   in Loop: Header=BB60_13 Depth=1
	v_cvt_i32_f32_e32 v0, v65
	s_waitcnt lgkmcnt(0)
	v_xor_b32_e32 v1, 16, v59
	v_cvt_i32_f32_e32 v5, v61
	v_cvt_i32_f32_e32 v6, v60
	;; [unrolled: 1-line block ×3, first 2 shown]
	v_cvt_f32_i32_dpp v0, v0 row_shr:8 row_mask:0xf bank_mask:0xf bound_ctrl:1
	v_cmp_gt_i32_e32 vcc_lo, 32, v1
	v_cvt_f32_i32_dpp v5, v5 row_shr:8 row_mask:0xf bank_mask:0xf bound_ctrl:1
	v_cvt_i32_f32_e32 v3, v63
	v_cvt_i32_f32_e32 v4, v62
	v_dual_add_f32 v0, v65, v0 :: v_dual_cndmask_b32 v1, v59, v1
	v_cvt_f32_i32_dpp v6, v6 row_shr:8 row_mask:0xf bank_mask:0xf bound_ctrl:1
	v_add_f32_e32 v5, v61, v5
	v_cvt_f32_i32_dpp v2, v2 row_shr:8 row_mask:0xf bank_mask:0xf bound_ctrl:1
	s_delay_alu instid0(VALU_DEP_4)
	v_cvt_i32_f32_e32 v7, v0
	v_cvt_f32_i32_dpp v3, v3 row_shr:8 row_mask:0xf bank_mask:0xf bound_ctrl:1
	v_add_f32_e32 v6, v60, v6
	v_cvt_f32_i32_dpp v4, v4 row_shr:8 row_mask:0xf bank_mask:0xf bound_ctrl:1
	v_cvt_i32_f32_e32 v10, v5
	v_cvt_f32_i32_dpp v7, v7 row_shr:4 row_mask:0xf bank_mask:0xf bound_ctrl:1
	v_dual_add_f32 v2, v64, v2 :: v_dual_lshlrev_b32 v1, 2, v1
	s_delay_alu instid0(VALU_DEP_4)
	v_dual_add_f32 v3, v63, v3 :: v_dual_add_f32 v4, v62, v4
	v_cvt_i32_f32_e32 v11, v6
	v_cvt_f32_i32_dpp v10, v10 row_shr:4 row_mask:0xf bank_mask:0xf bound_ctrl:1
	v_add_f32_e32 v0, v0, v7
	v_cvt_i32_f32_e32 v8, v2
	v_cvt_i32_f32_e32 v7, v3
	;; [unrolled: 1-line block ×3, first 2 shown]
	v_add_f32_e32 v5, v5, v10
	s_waitcnt vmcnt(0)
	v_cvt_i32_f32_e32 v12, v0
	v_cvt_f32_i32_dpp v11, v11 row_shr:4 row_mask:0xf bank_mask:0xf bound_ctrl:1
	v_cvt_f32_i32_dpp v8, v8 row_shr:4 row_mask:0xf bank_mask:0xf bound_ctrl:1
	v_cvt_f32_i32_dpp v7, v7 row_shr:4 row_mask:0xf bank_mask:0xf bound_ctrl:1
	v_cvt_f32_i32_dpp v9, v9 row_shr:4 row_mask:0xf bank_mask:0xf bound_ctrl:1
	v_cvt_f32_i32_dpp v12, v12 row_shr:2 row_mask:0xf bank_mask:0xf bound_ctrl:1
	v_add_f32_e32 v6, v6, v11
	v_cvt_i32_f32_e32 v11, v5
	v_dual_add_f32 v2, v2, v8 :: v_dual_add_f32 v3, v3, v7
	s_delay_alu instid0(VALU_DEP_4) | instskip(NEXT) | instid1(VALU_DEP_3)
	v_add_f32_e32 v0, v0, v12
	v_cvt_f32_i32_dpp v11, v11 row_shr:2 row_mask:0xf bank_mask:0xf bound_ctrl:1
	v_add_f32_e32 v4, v4, v9
	s_delay_alu instid0(VALU_DEP_4)
	v_cvt_i32_f32_e32 v7, v2
	v_cvt_i32_f32_e32 v8, v3
	;; [unrolled: 1-line block ×3, first 2 shown]
	v_add_f32_e32 v5, v5, v11
	v_cvt_i32_f32_e32 v10, v4
	v_cvt_f32_i32_dpp v7, v7 row_shr:2 row_mask:0xf bank_mask:0xf bound_ctrl:1
	v_cvt_f32_i32_dpp v8, v8 row_shr:2 row_mask:0xf bank_mask:0xf bound_ctrl:1
	;; [unrolled: 1-line block ×3, first 2 shown]
	s_delay_alu instid0(VALU_DEP_4) | instskip(NEXT) | instid1(VALU_DEP_2)
	v_cvt_f32_i32_dpp v13, v10 row_shr:2 row_mask:0xf bank_mask:0xf bound_ctrl:1
	v_add_f32_e32 v10, v0, v9
	v_add_f32_e32 v0, v2, v7
	s_delay_alu instid0(VALU_DEP_3) | instskip(SKIP_2) | instid1(VALU_DEP_4)
	v_dual_add_f32 v2, v3, v8 :: v_dual_add_f32 v3, v4, v13
	v_cvt_i32_f32_e32 v12, v6
	v_cvt_i32_f32_e32 v9, v5
	;; [unrolled: 1-line block ×3, first 2 shown]
	s_delay_alu instid0(VALU_DEP_4) | instskip(NEXT) | instid1(VALU_DEP_4)
	v_cvt_i32_f32_e32 v8, v3
	v_cvt_f32_i32_dpp v12, v12 row_shr:2 row_mask:0xf bank_mask:0xf bound_ctrl:1
	s_delay_alu instid0(VALU_DEP_4) | instskip(NEXT) | instid1(VALU_DEP_4)
	v_cvt_f32_i32_dpp v9, v9 row_shr:1 row_mask:0xf bank_mask:0xf bound_ctrl:1
	v_cvt_f32_i32_dpp v4, v4 row_shr:1 row_mask:0xf bank_mask:0xf bound_ctrl:1
	s_delay_alu instid0(VALU_DEP_4) | instskip(NEXT) | instid1(VALU_DEP_4)
	v_cvt_f32_i32_dpp v13, v8 row_shr:1 row_mask:0xf bank_mask:0xf bound_ctrl:1
	v_add_f32_e32 v7, v6, v12
	v_cvt_i32_f32_e32 v6, v2
	s_delay_alu instid0(VALU_DEP_4) | instskip(SKIP_4) | instid1(VALU_DEP_2)
	v_add_f32_e32 v8, v0, v4
	ds_bpermute_b32 v11, v1, v10
	v_add_f32_e32 v4, v3, v13
	v_cvt_i32_f32_e32 v12, v7
	v_cvt_f32_i32_dpp v6, v6 row_shr:1 row_mask:0xf bank_mask:0xf bound_ctrl:1
	v_cvt_f32_i32_dpp v12, v12 row_shr:1 row_mask:0xf bank_mask:0xf bound_ctrl:1
	s_delay_alu instid0(VALU_DEP_2)
	v_add_f32_e32 v6, v2, v6
	v_add_f32_e32 v2, v5, v9
	ds_bpermute_b32 v9, v1, v8
	ds_bpermute_b32 v5, v1, v4
	v_add_f32_e32 v0, v7, v12
	ds_bpermute_b32 v7, v1, v6
	ds_bpermute_b32 v3, v1, v2
	;; [unrolled: 1-line block ×3, first 2 shown]
	s_and_saveexec_b32 s18, s0
	s_cbranch_execz .LBB60_46
; %bb.37:                               ;   in Loop: Header=BB60_13 Depth=1
	v_dual_mov_b32 v17, 0 :: v_dual_mov_b32 v16, 0
	v_dual_mov_b32 v15, 0 :: v_dual_mov_b32 v14, 0
	;; [unrolled: 1-line block ×3, first 2 shown]
	s_and_not1_b32 vcc_lo, exec_lo, s23
	s_cbranch_vccnz .LBB60_39
; %bb.38:                               ;   in Loop: Header=BB60_13 Depth=1
	v_mul_hi_u32 v12, v43, v58
	v_mul_hi_u32 v13, v47, v58
	;; [unrolled: 1-line block ×3, first 2 shown]
	s_delay_alu instid0(VALU_DEP_3) | instskip(NEXT) | instid1(VALU_DEP_3)
	v_mul_lo_u32 v12, v12, s14
	v_mul_lo_u32 v13, v13, s14
	s_delay_alu instid0(VALU_DEP_3) | instskip(NEXT) | instid1(VALU_DEP_3)
	v_mul_lo_u32 v14, v14, s14
	v_sub_nc_u32_e32 v12, v43, v12
	s_delay_alu instid0(VALU_DEP_3) | instskip(NEXT) | instid1(VALU_DEP_3)
	v_sub_nc_u32_e32 v13, v47, v13
	v_sub_nc_u32_e32 v14, v46, v14
	s_delay_alu instid0(VALU_DEP_3) | instskip(SKIP_1) | instid1(VALU_DEP_4)
	v_subrev_nc_u32_e32 v15, s14, v12
	v_cmp_le_u32_e32 vcc_lo, s14, v12
	v_subrev_nc_u32_e32 v16, s14, v13
	s_delay_alu instid0(VALU_DEP_4) | instskip(NEXT) | instid1(VALU_DEP_4)
	v_subrev_nc_u32_e32 v17, s14, v14
	v_cndmask_b32_e32 v12, v12, v15, vcc_lo
	v_cmp_le_u32_e32 vcc_lo, s14, v13
	v_mov_b32_e32 v15, v45
	v_cndmask_b32_e32 v16, v13, v16, vcc_lo
	v_mov_b32_e32 v13, v45
	v_cmp_le_u32_e32 vcc_lo, s14, v14
	s_delay_alu instid0(VALU_DEP_3) | instskip(SKIP_3) | instid1(VALU_DEP_3)
	v_subrev_nc_u32_e32 v18, s14, v16
	v_cndmask_b32_e32 v14, v14, v17, vcc_lo
	v_subrev_nc_u32_e32 v17, s14, v12
	v_cmp_le_u32_e32 vcc_lo, s14, v12
	v_subrev_nc_u32_e32 v19, s14, v14
	s_delay_alu instid0(VALU_DEP_3) | instskip(SKIP_3) | instid1(VALU_DEP_4)
	v_cndmask_b32_e32 v44, v12, v17, vcc_lo
	v_cmp_le_u32_e32 vcc_lo, s14, v16
	v_cndmask_b32_e32 v12, v16, v18, vcc_lo
	v_cmp_le_u32_e32 vcc_lo, s14, v14
	v_lshlrev_b64 v[16:17], 1, v[44:45]
	v_add_nc_u32_e32 v44, s26, v44
	v_cndmask_b32_e32 v14, v14, v19, vcc_lo
	v_lshlrev_b64 v[18:19], 1, v[12:13]
	s_delay_alu instid0(VALU_DEP_3)
	v_lshlrev_b64 v[22:23], 1, v[44:45]
	v_add_nc_u32_e32 v44, s26, v12
	v_add_co_u32 v12, vcc_lo, s8, v16
	v_lshlrev_b64 v[20:21], 1, v[14:15]
	v_add_co_ci_u32_e32 v13, vcc_lo, s9, v17, vcc_lo
	v_add_co_u32 v15, vcc_lo, s8, v18
	v_add_co_ci_u32_e32 v16, vcc_lo, s9, v19, vcc_lo
	s_delay_alu instid0(VALU_DEP_4)
	v_add_co_u32 v18, vcc_lo, s8, v20
	v_add_co_ci_u32_e32 v19, vcc_lo, s9, v21, vcc_lo
	v_lshlrev_b64 v[20:21], 1, v[44:45]
	v_add_nc_u32_e32 v44, s26, v14
	v_add_co_u32 v22, vcc_lo, s8, v22
	v_add_co_ci_u32_e32 v23, vcc_lo, s9, v23, vcc_lo
	s_delay_alu instid0(VALU_DEP_3) | instskip(SKIP_2) | instid1(VALU_DEP_3)
	v_lshlrev_b64 v[24:25], 1, v[44:45]
	v_add_co_u32 v20, vcc_lo, s8, v20
	v_add_co_ci_u32_e32 v21, vcc_lo, s9, v21, vcc_lo
	v_add_co_u32 v24, vcc_lo, s8, v24
	s_delay_alu instid0(VALU_DEP_4)
	v_add_co_ci_u32_e32 v25, vcc_lo, s9, v25, vcc_lo
	s_clause 0x5
	global_load_u16 v17, v[12:13], off
	global_load_u16 v16, v[15:16], off
	global_load_u16 v15, v[18:19], off
	global_load_u16 v14, v[22:23], off
	global_load_u16 v13, v[20:21], off
	global_load_u16 v12, v[24:25], off
.LBB60_39:                              ;   in Loop: Header=BB60_13 Depth=1
	v_cmp_ne_u32_e32 vcc_lo, 0, v40
	s_and_saveexec_b32 s2, vcc_lo
	s_cbranch_execnz .LBB60_51
; %bb.40:                               ;   in Loop: Header=BB60_13 Depth=1
	s_or_b32 exec_lo, exec_lo, s2
	v_cmp_ne_u32_e64 s1, 0, v41
	s_delay_alu instid0(VALU_DEP_1)
	s_and_saveexec_b32 s3, s1
	s_cbranch_execnz .LBB60_52
.LBB60_41:                              ;   in Loop: Header=BB60_13 Depth=1
	s_or_b32 exec_lo, exec_lo, s3
	v_cmp_ne_u32_e64 s2, 0, v42
	s_delay_alu instid0(VALU_DEP_1)
	s_and_saveexec_b32 s19, s2
	s_cbranch_execnz .LBB60_53
.LBB60_42:                              ;   in Loop: Header=BB60_13 Depth=1
	s_or_b32 exec_lo, exec_lo, s19
	v_add_nc_u32_e32 v44, s7, v43
	s_and_saveexec_b32 s3, vcc_lo
	s_cbranch_execnz .LBB60_54
.LBB60_43:                              ;   in Loop: Header=BB60_13 Depth=1
	s_or_b32 exec_lo, exec_lo, s3
	s_and_saveexec_b32 s3, s1
	s_cbranch_execnz .LBB60_55
.LBB60_44:                              ;   in Loop: Header=BB60_13 Depth=1
	s_or_b32 exec_lo, exec_lo, s3
	s_delay_alu instid0(SALU_CYCLE_1)
	s_and_b32 exec_lo, exec_lo, s2
	s_cbranch_execz .LBB60_46
.LBB60_45:                              ;   in Loop: Header=BB60_13 Depth=1
	s_waitcnt lgkmcnt(0)
	v_add_f32_e32 v0, v0, v1
	s_waitcnt vmcnt(0)
	v_cvt_f32_f16_e32 v1, v12
	v_add_nc_u32_e32 v44, 2, v44
	s_delay_alu instid0(VALU_DEP_2) | instskip(NEXT) | instid1(VALU_DEP_2)
	v_add_f32_e32 v2, v0, v1
	v_lshlrev_b64 v[0:1], 1, v[44:45]
	s_delay_alu instid0(VALU_DEP_2) | instskip(NEXT) | instid1(VALU_DEP_2)
	v_cvt_f16_f32_e32 v2, v2
	v_add_co_u32 v0, vcc_lo, s16, v0
	s_delay_alu instid0(VALU_DEP_3)
	v_add_co_ci_u32_e32 v1, vcc_lo, s17, v1, vcc_lo
	global_store_b16 v[0:1], v2, off
.LBB60_46:                              ;   in Loop: Header=BB60_13 Depth=1
	s_or_b32 exec_lo, exec_lo, s18
	v_add_nc_u32_e32 v43, s15, v43
	s_delay_alu instid0(VALU_DEP_1) | instskip(SKIP_1) | instid1(VALU_DEP_2)
	v_add_nc_u32_e32 v0, 3, v43
	v_cmp_gt_u32_e32 vcc_lo, s7, v43
	v_cmp_le_u32_e64 s1, s7, v0
	s_delay_alu instid0(VALU_DEP_1) | instskip(NEXT) | instid1(SALU_CYCLE_1)
	s_and_b32 s1, vcc_lo, s1
	s_and_saveexec_b32 s27, s1
	s_cbranch_execz .LBB60_12
; %bb.47:                               ;   in Loop: Header=BB60_13 Depth=1
	s_mov_b32 s28, exec_lo
	v_cmpx_ne_u32_e64 s25, v43
	s_cbranch_execz .LBB60_11
; %bb.48:                               ;   in Loop: Header=BB60_13 Depth=1
	v_subrev_nc_u32_e32 v0, s25, v43
	s_mov_b32 s29, 0
	s_mov_b64 s[18:19], 0
	s_delay_alu instid0(VALU_DEP_1)
	v_cmp_lt_u32_e32 vcc_lo, 1, v0
	v_cndmask_b32_e32 v0, 1, v0, vcc_lo
	.p2align	6
.LBB60_49:                              ;   Parent Loop BB60_13 Depth=1
                                        ; =>  This Inner Loop Header: Depth=2
	s_cmp_lg_u32 s18, 2
	s_cselect_b32 vcc_lo, -1, 0
	s_cmp_lg_u32 s18, 1
	v_cndmask_b32_e32 v42, 0, v42, vcc_lo
	s_cselect_b32 s1, -1, 0
	s_cmp_lg_u32 s18, 0
	v_cndmask_b32_e64 v41, 0, v41, s1
	s_cselect_b32 s2, -1, 0
	s_add_u32 s18, s18, 1
	v_cndmask_b32_e64 v40, 0, v40, s2
	v_cmp_eq_u32_e64 s3, s18, v0
	s_addc_u32 s19, s19, 0
	s_delay_alu instid0(VALU_DEP_1) | instskip(NEXT) | instid1(SALU_CYCLE_1)
	s_or_b32 s29, s3, s29
	s_and_not1_b32 exec_lo, exec_lo, s29
	s_cbranch_execnz .LBB60_49
; %bb.50:                               ;   in Loop: Header=BB60_13 Depth=1
	s_or_b32 exec_lo, exec_lo, s29
	s_branch .LBB60_11
.LBB60_51:                              ;   in Loop: Header=BB60_13 Depth=1
	s_waitcnt lgkmcnt(0)
	v_add_f32_e32 v10, v10, v11
	s_waitcnt vmcnt(5)
	v_cvt_f32_f16_e32 v11, v17
	s_delay_alu instid0(VALU_DEP_1) | instskip(NEXT) | instid1(VALU_DEP_1)
	v_dual_mov_b32 v44, v45 :: v_dual_add_f32 v17, v10, v11
	v_lshlrev_b64 v[10:11], 1, v[43:44]
	s_delay_alu instid0(VALU_DEP_2) | instskip(NEXT) | instid1(VALU_DEP_2)
	v_cvt_f16_f32_e32 v17, v17
	v_add_co_u32 v10, s1, s16, v10
	s_delay_alu instid0(VALU_DEP_1) | instskip(SKIP_3) | instid1(VALU_DEP_1)
	v_add_co_ci_u32_e64 v11, s1, s17, v11, s1
	global_store_b16 v[10:11], v17, off
	s_or_b32 exec_lo, exec_lo, s2
	v_cmp_ne_u32_e64 s1, 0, v41
	s_and_saveexec_b32 s3, s1
	s_cbranch_execz .LBB60_41
.LBB60_52:                              ;   in Loop: Header=BB60_13 Depth=1
	s_waitcnt lgkmcnt(0)
	v_add_f32_e32 v8, v8, v9
	s_waitcnt vmcnt(4)
	v_cvt_f32_f16_e32 v9, v16
	v_mov_b32_e32 v48, v45
	s_delay_alu instid0(VALU_DEP_2) | instskip(NEXT) | instid1(VALU_DEP_2)
	v_add_f32_e32 v10, v8, v9
	v_lshlrev_b64 v[8:9], 1, v[47:48]
	s_delay_alu instid0(VALU_DEP_2) | instskip(NEXT) | instid1(VALU_DEP_2)
	v_cvt_f16_f32_e32 v10, v10
	v_add_co_u32 v8, s2, s16, v8
	s_delay_alu instid0(VALU_DEP_1) | instskip(SKIP_3) | instid1(VALU_DEP_1)
	v_add_co_ci_u32_e64 v9, s2, s17, v9, s2
	global_store_b16 v[8:9], v10, off
	s_or_b32 exec_lo, exec_lo, s3
	v_cmp_ne_u32_e64 s2, 0, v42
	s_and_saveexec_b32 s19, s2
	s_cbranch_execz .LBB60_42
.LBB60_53:                              ;   in Loop: Header=BB60_13 Depth=1
	s_waitcnt lgkmcnt(0)
	v_dual_add_f32 v6, v6, v7 :: v_dual_mov_b32 v47, v45
	s_waitcnt vmcnt(3)
	v_cvt_f32_f16_e32 v7, v15
	s_delay_alu instid0(VALU_DEP_1) | instskip(NEXT) | instid1(VALU_DEP_3)
	v_add_f32_e32 v8, v6, v7
	v_lshlrev_b64 v[6:7], 1, v[46:47]
	s_delay_alu instid0(VALU_DEP_2) | instskip(NEXT) | instid1(VALU_DEP_2)
	v_cvt_f16_f32_e32 v8, v8
	v_add_co_u32 v6, s3, s16, v6
	s_delay_alu instid0(VALU_DEP_1)
	v_add_co_ci_u32_e64 v7, s3, s17, v7, s3
	global_store_b16 v[6:7], v8, off
	s_or_b32 exec_lo, exec_lo, s19
	v_add_nc_u32_e32 v44, s7, v43
	s_and_saveexec_b32 s3, vcc_lo
	s_cbranch_execz .LBB60_43
.LBB60_54:                              ;   in Loop: Header=BB60_13 Depth=1
	s_waitcnt lgkmcnt(0)
	v_add_f32_e32 v4, v4, v5
	s_waitcnt vmcnt(2)
	v_cvt_f32_f16_e32 v5, v14
	s_delay_alu instid0(VALU_DEP_1) | instskip(SKIP_1) | instid1(VALU_DEP_2)
	v_add_f32_e32 v6, v4, v5
	v_lshlrev_b64 v[4:5], 1, v[44:45]
	v_cvt_f16_f32_e32 v6, v6
	s_delay_alu instid0(VALU_DEP_2) | instskip(NEXT) | instid1(VALU_DEP_3)
	v_add_co_u32 v4, vcc_lo, s16, v4
	v_add_co_ci_u32_e32 v5, vcc_lo, s17, v5, vcc_lo
	global_store_b16 v[4:5], v6, off
	s_or_b32 exec_lo, exec_lo, s3
	s_and_saveexec_b32 s3, s1
	s_cbranch_execz .LBB60_44
.LBB60_55:                              ;   in Loop: Header=BB60_13 Depth=1
	s_waitcnt lgkmcnt(0)
	v_dual_add_f32 v4, v2, v3 :: v_dual_mov_b32 v3, v45
	v_add_nc_u32_e32 v2, 1, v44
	s_waitcnt vmcnt(1)
	v_cvt_f32_f16_e32 v5, v13
	s_delay_alu instid0(VALU_DEP_2) | instskip(NEXT) | instid1(VALU_DEP_2)
	v_lshlrev_b64 v[2:3], 1, v[2:3]
	v_add_f32_e32 v4, v4, v5
	s_delay_alu instid0(VALU_DEP_1) | instskip(NEXT) | instid1(VALU_DEP_3)
	v_cvt_f16_f32_e32 v4, v4
	v_add_co_u32 v2, vcc_lo, s16, v2
	s_delay_alu instid0(VALU_DEP_4) | instskip(SKIP_2) | instid1(SALU_CYCLE_1)
	v_add_co_ci_u32_e32 v3, vcc_lo, s17, v3, vcc_lo
	global_store_b16 v[2:3], v4, off
	s_or_b32 exec_lo, exec_lo, s3
	s_and_b32 exec_lo, exec_lo, s2
	s_cbranch_execnz .LBB60_45
	s_branch .LBB60_46
.LBB60_56:
	s_nop 0
	s_sendmsg sendmsg(MSG_DEALLOC_VGPRS)
	s_endpgm
	.section	.rodata,"a",@progbits
	.p2align	6, 0x0
	.amdhsa_kernel _Z12wvSplitK_hf_I6__halfLi64ELi3ELi16ELi8ELi2ELi2EEviiiiiiPKT_S3_S3_PS1_ii
		.amdhsa_group_segment_fixed_size 65536
		.amdhsa_private_segment_fixed_size 0
		.amdhsa_kernarg_size 64
		.amdhsa_user_sgpr_count 15
		.amdhsa_user_sgpr_dispatch_ptr 0
		.amdhsa_user_sgpr_queue_ptr 0
		.amdhsa_user_sgpr_kernarg_segment_ptr 1
		.amdhsa_user_sgpr_dispatch_id 0
		.amdhsa_user_sgpr_private_segment_size 0
		.amdhsa_wavefront_size32 1
		.amdhsa_uses_dynamic_stack 0
		.amdhsa_enable_private_segment 0
		.amdhsa_system_sgpr_workgroup_id_x 1
		.amdhsa_system_sgpr_workgroup_id_y 0
		.amdhsa_system_sgpr_workgroup_id_z 0
		.amdhsa_system_sgpr_workgroup_info 0
		.amdhsa_system_vgpr_workitem_id 1
		.amdhsa_next_free_vgpr 66
		.amdhsa_next_free_sgpr 30
		.amdhsa_reserve_vcc 1
		.amdhsa_float_round_mode_32 0
		.amdhsa_float_round_mode_16_64 0
		.amdhsa_float_denorm_mode_32 3
		.amdhsa_float_denorm_mode_16_64 3
		.amdhsa_dx10_clamp 1
		.amdhsa_ieee_mode 1
		.amdhsa_fp16_overflow 0
		.amdhsa_workgroup_processor_mode 1
		.amdhsa_memory_ordered 1
		.amdhsa_forward_progress 0
		.amdhsa_shared_vgpr_count 0
		.amdhsa_exception_fp_ieee_invalid_op 0
		.amdhsa_exception_fp_denorm_src 0
		.amdhsa_exception_fp_ieee_div_zero 0
		.amdhsa_exception_fp_ieee_overflow 0
		.amdhsa_exception_fp_ieee_underflow 0
		.amdhsa_exception_fp_ieee_inexact 0
		.amdhsa_exception_int_div_zero 0
	.end_amdhsa_kernel
	.section	.text._Z12wvSplitK_hf_I6__halfLi64ELi3ELi16ELi8ELi2ELi2EEviiiiiiPKT_S3_S3_PS1_ii,"axG",@progbits,_Z12wvSplitK_hf_I6__halfLi64ELi3ELi16ELi8ELi2ELi2EEviiiiiiPKT_S3_S3_PS1_ii,comdat
.Lfunc_end60:
	.size	_Z12wvSplitK_hf_I6__halfLi64ELi3ELi16ELi8ELi2ELi2EEviiiiiiPKT_S3_S3_PS1_ii, .Lfunc_end60-_Z12wvSplitK_hf_I6__halfLi64ELi3ELi16ELi8ELi2ELi2EEviiiiiiPKT_S3_S3_PS1_ii
                                        ; -- End function
	.section	.AMDGPU.csdata,"",@progbits
; Kernel info:
; codeLenInByte = 4268
; NumSgprs: 32
; NumVgprs: 66
; ScratchSize: 0
; MemoryBound: 0
; FloatMode: 240
; IeeeMode: 1
; LDSByteSize: 65536 bytes/workgroup (compile time only)
; SGPRBlocks: 3
; VGPRBlocks: 8
; NumSGPRsForWavesPerEU: 32
; NumVGPRsForWavesPerEU: 66
; Occupancy: 16
; WaveLimiterHint : 0
; COMPUTE_PGM_RSRC2:SCRATCH_EN: 0
; COMPUTE_PGM_RSRC2:USER_SGPR: 15
; COMPUTE_PGM_RSRC2:TRAP_HANDLER: 0
; COMPUTE_PGM_RSRC2:TGID_X_EN: 1
; COMPUTE_PGM_RSRC2:TGID_Y_EN: 0
; COMPUTE_PGM_RSRC2:TGID_Z_EN: 0
; COMPUTE_PGM_RSRC2:TIDIG_COMP_CNT: 1
	.section	.text._Z16wvSplitK_hf_big_I6__halfLi64ELi3ELi16ELi8ELi2ELi2EEviiiiiiPKT_S3_S3_PS1_ii,"axG",@progbits,_Z16wvSplitK_hf_big_I6__halfLi64ELi3ELi16ELi8ELi2ELi2EEviiiiiiPKT_S3_S3_PS1_ii,comdat
	.protected	_Z16wvSplitK_hf_big_I6__halfLi64ELi3ELi16ELi8ELi2ELi2EEviiiiiiPKT_S3_S3_PS1_ii ; -- Begin function _Z16wvSplitK_hf_big_I6__halfLi64ELi3ELi16ELi8ELi2ELi2EEviiiiiiPKT_S3_S3_PS1_ii
	.globl	_Z16wvSplitK_hf_big_I6__halfLi64ELi3ELi16ELi8ELi2ELi2EEviiiiiiPKT_S3_S3_PS1_ii
	.p2align	8
	.type	_Z16wvSplitK_hf_big_I6__halfLi64ELi3ELi16ELi8ELi2ELi2EEviiiiiiPKT_S3_S3_PS1_ii,@function
_Z16wvSplitK_hf_big_I6__halfLi64ELi3ELi16ELi8ELi2ELi2EEviiiiiiPKT_S3_S3_PS1_ii: ; @_Z16wvSplitK_hf_big_I6__halfLi64ELi3ELi16ELi8ELi2ELi2EEviiiiiiPKT_S3_S3_PS1_ii
; %bb.0:
	s_load_b64 s[20:21], s[0:1], 0x38
	v_bfe_u32 v1, v0, 10, 10
	s_mov_b32 s2, exec_lo
	s_waitcnt lgkmcnt(0)
	s_delay_alu instid0(VALU_DEP_1)
	v_cmpx_gt_u32_e64 s20, v1
	s_cbranch_execz .LBB61_52
; %bb.1:
	s_load_b128 s[16:19], s[0:1], 0x0
	v_mad_u64_u32 v[2:3], null, s15, s20, v[1:2]
	s_mov_b32 s4, 1
	s_delay_alu instid0(SALU_CYCLE_1) | instskip(SKIP_1) | instid1(SALU_CYCLE_1)
	s_mov_b32 s5, s4
	s_mov_b32 s6, s4
	v_mov_b32_e32 v42, s6
	s_delay_alu instid0(VALU_DEP_2) | instskip(SKIP_1) | instid1(VALU_DEP_2)
	v_lshl_add_u32 v43, v2, 1, v2
	v_dual_mov_b32 v40, s4 :: v_dual_mov_b32 v41, s5
	v_add_nc_u32_e32 v2, 3, v43
	s_waitcnt lgkmcnt(0)
	v_cmp_gt_u32_e32 vcc_lo, s19, v43
	s_delay_alu instid0(VALU_DEP_2) | instskip(NEXT) | instid1(VALU_DEP_1)
	v_cmp_le_u32_e64 s2, s19, v2
	s_and_b32 s2, vcc_lo, s2
	s_delay_alu instid0(SALU_CYCLE_1)
	s_and_saveexec_b32 s7, s2
	s_cbranch_execz .LBB61_7
; %bb.2:
	v_dual_mov_b32 v42, s6 :: v_dual_mov_b32 v41, s5
	v_mov_b32_e32 v40, s4
	s_add_i32 s8, s19, -3
	s_mov_b32 s9, exec_lo
	v_cmpx_ne_u32_e64 s8, v43
	s_cbranch_execz .LBB61_6
; %bb.3:
	v_subrev_nc_u32_e32 v2, s8, v43
	s_mov_b32 s10, 0
	s_mov_b64 s[2:3], 0
	s_mov_b32 s5, s4
	s_mov_b32 s6, s4
	v_cmp_lt_u32_e32 vcc_lo, 1, v2
	v_cndmask_b32_e32 v2, 1, v2, vcc_lo
.LBB61_4:                               ; =>This Inner Loop Header: Depth=1
	s_cmp_lg_u32 s2, 2
	s_cselect_b32 s6, s6, 0
	s_cmp_lg_u32 s2, 1
	s_cselect_b32 s5, s5, 0
	;; [unrolled: 2-line block ×3, first 2 shown]
	s_add_u32 s2, s2, 1
	v_dual_mov_b32 v42, s6 :: v_dual_mov_b32 v41, s5
	v_cmp_eq_u32_e32 vcc_lo, s2, v2
	v_mov_b32_e32 v40, s4
	s_addc_u32 s3, s3, 0
	s_or_b32 s10, vcc_lo, s10
	s_delay_alu instid0(SALU_CYCLE_1)
	s_and_not1_b32 exec_lo, exec_lo, s10
	s_cbranch_execnz .LBB61_4
; %bb.5:
	s_or_b32 exec_lo, exec_lo, s10
	v_mov_b32_e32 v43, s8
.LBB61_6:
	s_or_b32 exec_lo, exec_lo, s9
.LBB61_7:
	s_delay_alu instid0(SALU_CYCLE_1)
	s_or_b32 exec_lo, exec_lo, s7
	s_mul_i32 s2, s20, 3
	s_abs_i32 s6, s19
	s_abs_i32 s3, s2
	s_mov_b32 s23, 0
	v_cvt_f32_u32_e32 v2, s3
	s_sub_i32 s5, 0, s3
	s_delay_alu instid0(VALU_DEP_1) | instskip(SKIP_2) | instid1(VALU_DEP_1)
	v_rcp_iflag_f32_e32 v2, v2
	s_waitcnt_depctr 0xfff
	v_mul_f32_e32 v2, 0x4f7ffffe, v2
	v_cvt_u32_f32_e32 v2, v2
	s_delay_alu instid0(VALU_DEP_1) | instskip(NEXT) | instid1(VALU_DEP_1)
	v_readfirstlane_b32 s4, v2
	s_mul_i32 s5, s5, s4
	s_delay_alu instid0(SALU_CYCLE_1) | instskip(NEXT) | instid1(SALU_CYCLE_1)
	s_mul_hi_u32 s5, s4, s5
	s_add_i32 s4, s4, s5
	s_ashr_i32 s5, s19, 31
	s_mul_hi_u32 s4, s6, s4
	s_delay_alu instid0(SALU_CYCLE_1) | instskip(NEXT) | instid1(SALU_CYCLE_1)
	s_mul_i32 s4, s4, s3
	s_sub_i32 s4, s6, s4
	s_delay_alu instid0(SALU_CYCLE_1) | instskip(SKIP_2) | instid1(SALU_CYCLE_1)
	s_sub_i32 s6, s4, s3
	s_cmp_ge_u32 s4, s3
	s_cselect_b32 s4, s6, s4
	s_sub_i32 s6, s4, s3
	s_cmp_ge_u32 s4, s3
	s_cselect_b32 s3, s6, s4
	s_add_i32 s4, s2, s19
	s_xor_b32 s3, s3, s5
	s_delay_alu instid0(SALU_CYCLE_1) | instskip(NEXT) | instid1(SALU_CYCLE_1)
	s_sub_i32 s3, s3, s5
	s_sub_i32 s4, s4, s3
	s_cmp_eq_u32 s3, 0
	s_cselect_b32 s22, s19, s4
	s_delay_alu instid0(SALU_CYCLE_1)
	v_cmp_gt_u32_e32 vcc_lo, s22, v43
	s_and_b32 exec_lo, exec_lo, vcc_lo
	s_cbranch_execz .LBB61_52
; %bb.8:
	s_load_b256 s[4:11], s[0:1], 0x10
	v_dual_mov_b32 v45, 0 :: v_dual_and_b32 v0, 0x3ff, v0
	s_min_u32 s24, s18, 0x4000
	s_cmp_lg_u32 s16, 0
	s_load_b64 s[12:13], s[0:1], 0x30
	s_delay_alu instid0(VALU_DEP_1)
	v_lshlrev_b32_e32 v52, 3, v0
	s_cselect_b32 s25, -1, 0
	s_cmp_lg_u32 s18, 0
	s_mul_i32 s21, s2, s21
	s_cselect_b32 s26, -1, 0
	v_lshl_add_u32 v53, v1, 9, v52
	s_lshl_b32 s27, s20, 9
	s_add_i32 s28, s16, -8
	s_add_i32 s29, s19, -1
	v_cmp_eq_u32_e64 s0, 63, v0
	v_lshlrev_b32_e32 v0, 4, v0
	v_mbcnt_lo_u32_b32 v57, -1, 0
	v_add_nc_u32_e32 v55, s18, v53
	s_waitcnt lgkmcnt(0)
	v_cvt_f32_u32_e32 v2, s4
	s_cmp_lg_u64 s[10:11], 0
	v_lshl_add_u32 v54, v1, 10, v0
	s_cselect_b32 s30, -1, 0
	s_sub_i32 s1, 0, s4
	v_rcp_iflag_f32_e32 v2, v2
	s_waitcnt_depctr 0xfff
	v_mul_f32_e32 v2, 0x4f7ffffe, v2
	s_delay_alu instid0(VALU_DEP_1) | instskip(NEXT) | instid1(VALU_DEP_1)
	v_cvt_u32_f32_e32 v2, v2
	v_mul_lo_u32 v3, s1, v2
	s_abs_i32 s1, s5
	s_add_i32 s5, s19, -3
	s_sub_i32 s2, 1, s1
	s_cmp_lt_u32 s1, 2
	s_cselect_b32 s2, s2, 1
	s_delay_alu instid0(SALU_CYCLE_1) | instskip(NEXT) | instid1(VALU_DEP_1)
	s_sub_i32 s3, s2, s1
	v_mul_hi_u32 v3, v2, v3
	s_cmp_ge_u32 s2, s1
	s_cselect_b32 s33, s3, s2
	s_add_u32 s31, s12, 2
	s_mul_i32 s33, s33, s4
	s_addc_u32 s34, s13, 0
	s_lshl_b32 s35, s24, 1
	s_delay_alu instid0(VALU_DEP_1)
	v_add_nc_u32_e32 v56, v2, v3
	s_lshl_b32 s20, s20, 10
	s_branch .LBB61_12
.LBB61_9:                               ;   in Loop: Header=BB61_12 Depth=1
	s_or_b32 exec_lo, exec_lo, s38
	v_mov_b32_e32 v43, s5
.LBB61_10:                              ;   in Loop: Header=BB61_12 Depth=1
	s_or_b32 exec_lo, exec_lo, s37
.LBB61_11:                              ;   in Loop: Header=BB61_12 Depth=1
	s_delay_alu instid0(SALU_CYCLE_1) | instskip(NEXT) | instid1(VALU_DEP_1)
	s_or_b32 exec_lo, exec_lo, s36
	v_cmp_le_u32_e32 vcc_lo, s22, v43
	s_or_b32 s23, vcc_lo, s23
	s_delay_alu instid0(SALU_CYCLE_1)
	s_and_not1_b32 exec_lo, exec_lo, s23
	s_cbranch_execz .LBB61_52
.LBB61_12:                              ; =>This Loop Header: Depth=1
                                        ;     Child Loop BB61_17 Depth 2
                                        ;       Child Loop BB61_22 Depth 3
                                        ;     Child Loop BB61_45 Depth 2
	v_mov_b32_e32 v63, v45
	v_mov_b32_e32 v62, v45
	;; [unrolled: 1-line block ×6, first 2 shown]
	s_and_not1_b32 vcc_lo, exec_lo, s25
	s_mov_b32 s3, 0
	s_cbranch_vccnz .LBB61_29
; %bb.13:                               ;   in Loop: Header=BB61_12 Depth=1
	v_add_nc_u32_e32 v0, 1, v43
	v_dual_mov_b32 v58, 0 :: v_dual_add_nc_u32 v1, 2, v43
	v_min_u32_e32 v2, s29, v43
	v_cmp_gt_u32_e64 s1, s19, v43
	v_dual_mov_b32 v59, 0 :: v_dual_mov_b32 v62, 0
	s_waitcnt lgkmcnt(1)
	v_min_u32_e32 v3, s29, v1
	v_mov_b32_e32 v1, v45
	v_min_u32_e32 v0, s29, v0
	v_mul_lo_u32 v44, v2, s17
	v_mov_b32_e32 v60, 0
	v_mul_lo_u32 v2, v3, s17
	v_mov_b32_e32 v3, v45
	;; [unrolled: 2-line block ×3, first 2 shown]
	v_mov_b32_e32 v63, 0
	s_mov_b32 s14, 0
	v_lshlrev_b64 v[46:47], 1, v[44:45]
	v_lshlrev_b64 v[50:51], 1, v[2:3]
	;; [unrolled: 1-line block ×3, first 2 shown]
	s_branch .LBB61_17
.LBB61_14:                              ;   in Loop: Header=BB61_17 Depth=2
	s_or_b32 exec_lo, exec_lo, s36
.LBB61_15:                              ;   in Loop: Header=BB61_17 Depth=2
	s_delay_alu instid0(SALU_CYCLE_1)
	s_or_b32 exec_lo, exec_lo, s15
	s_waitcnt vmcnt(5) lgkmcnt(1)
	;;#ASMSTART
	v_dot2_f32_f16 v63, v36, v32, v63
	;;#ASMEND
	s_waitcnt vmcnt(4)
	;;#ASMSTART
	v_dot2_f32_f16 v62, v36, v24, v62
	;;#ASMEND
	s_waitcnt vmcnt(3)
	;;#ASMSTART
	v_dot2_f32_f16 v61, v36, v20, v61
	;;#ASMEND
	s_waitcnt lgkmcnt(0)
	;;#ASMSTART
	v_dot2_f32_f16 v60, v28, v32, v60
	;;#ASMEND
	;;#ASMSTART
	v_dot2_f32_f16 v59, v28, v24, v59
	;;#ASMEND
	;; [unrolled: 3-line block ×21, first 2 shown]
	s_waitcnt vmcnt(2)
	;;#ASMSTART
	v_dot2_f32_f16 v63, v16, v12, v63
	;;#ASMEND
	s_waitcnt vmcnt(1)
	;;#ASMSTART
	v_dot2_f32_f16 v62, v16, v4, v62
	;;#ASMEND
	;; [unrolled: 4-line block ×3, first 2 shown]
	;;#ASMSTART
	v_dot2_f32_f16 v60, v8, v12, v60
	;;#ASMEND
	;;#ASMSTART
	v_dot2_f32_f16 v59, v8, v4, v59
	;;#ASMEND
	;; [unrolled: 3-line block ×21, first 2 shown]
.LBB61_16:                              ;   in Loop: Header=BB61_17 Depth=2
	s_or_b32 exec_lo, exec_lo, s2
	s_addk_i32 s14, 0x400
	s_delay_alu instid0(SALU_CYCLE_1)
	s_cmp_ge_u32 s14, s16
	s_cbranch_scc1 .LBB61_29
.LBB61_17:                              ;   Parent Loop BB61_12 Depth=1
                                        ; =>  This Loop Header: Depth=2
                                        ;       Child Loop BB61_22 Depth 3
	s_cmp_eq_u32 s14, 0
	s_cselect_b32 s15, -1, 0
	s_add_i32 s2, s3, s24
	s_delay_alu instid0(SALU_CYCLE_1) | instskip(SKIP_1) | instid1(SALU_CYCLE_1)
	s_cmp_eq_u32 s14, s2
	s_cselect_b32 s36, -1, 0
	s_or_b32 s36, s15, s36
	s_delay_alu instid0(SALU_CYCLE_1)
	s_and_not1_b32 vcc_lo, exec_lo, s36
	s_cbranch_vccz .LBB61_19
; %bb.18:                               ;   in Loop: Header=BB61_17 Depth=2
	s_and_saveexec_b32 s2, s1
	s_cbranch_execz .LBB61_16
	s_branch .LBB61_26
.LBB61_19:                              ;   in Loop: Header=BB61_17 Depth=2
	s_and_b32 s15, s15, exec_lo
	s_cselect_b32 s3, s3, s2
	s_and_not1_b32 vcc_lo, exec_lo, s26
	s_waitcnt vmcnt(0) lgkmcnt(0)
	s_waitcnt_vscnt null, 0x0
	s_barrier
	buffer_gl0_inv
	s_cbranch_vccnz .LBB61_25
; %bb.20:                               ;   in Loop: Header=BB61_17 Depth=2
	v_add_nc_u32_e32 v0, s3, v55
	v_dual_mov_b32 v2, v54 :: v_dual_add_nc_u32 v1, s3, v53
	s_mov_b32 s15, 0
	s_mov_b32 s36, 0
                                        ; implicit-def: $sgpr37
	s_set_inst_prefetch_distance 0x1
	s_branch .LBB61_22
	.p2align	6
.LBB61_21:                              ;   in Loop: Header=BB61_22 Depth=3
	s_or_b32 exec_lo, exec_lo, s2
	s_delay_alu instid0(SALU_CYCLE_1) | instskip(NEXT) | instid1(SALU_CYCLE_1)
	s_and_b32 s2, exec_lo, s37
	s_or_b32 s15, s2, s15
	s_delay_alu instid0(SALU_CYCLE_1)
	s_and_not1_b32 exec_lo, exec_lo, s15
	s_cbranch_execz .LBB61_24
.LBB61_22:                              ;   Parent Loop BB61_12 Depth=1
                                        ;     Parent Loop BB61_17 Depth=2
                                        ; =>    This Inner Loop Header: Depth=3
	v_add_nc_u32_e32 v44, s36, v1
	v_add_nc_u32_e32 v3, s36, v53
	s_or_b32 s37, s37, exec_lo
	s_delay_alu instid0(VALU_DEP_2) | instskip(NEXT) | instid1(VALU_DEP_2)
	v_cmp_gt_u32_e32 vcc_lo, s18, v44
	v_cmp_gt_u32_e64 s2, s24, v3
	s_delay_alu instid0(VALU_DEP_1) | instskip(NEXT) | instid1(SALU_CYCLE_1)
	s_and_b32 s38, s2, vcc_lo
	s_and_saveexec_b32 s2, s38
	s_cbranch_execz .LBB61_21
; %bb.23:                               ;   in Loop: Header=BB61_22 Depth=3
	v_lshlrev_b64 v[3:4], 1, v[44:45]
	v_add_nc_u32_e32 v44, s36, v0
	s_add_i32 s36, s36, s27
	v_add_nc_u32_e32 v11, s35, v2
	s_cmp_ge_u32 s36, s24
	s_delay_alu instid0(VALU_DEP_2) | instskip(SKIP_3) | instid1(VALU_DEP_3)
	v_lshlrev_b64 v[7:8], 1, v[44:45]
	v_add_co_u32 v3, vcc_lo, s8, v3
	v_add_co_ci_u32_e32 v4, vcc_lo, s9, v4, vcc_lo
	s_cselect_b32 s38, -1, 0
	v_add_co_u32 v7, vcc_lo, s8, v7
	global_load_b128 v[3:6], v[3:4], off
	v_add_co_ci_u32_e32 v8, vcc_lo, s9, v8, vcc_lo
	s_and_not1_b32 s37, s37, exec_lo
	s_and_b32 s38, s38, exec_lo
	global_load_b128 v[7:10], v[7:8], off
	s_or_b32 s37, s37, s38
	s_waitcnt vmcnt(1)
	ds_store_b128 v2, v[3:6]
	v_add_nc_u32_e32 v2, s20, v2
	s_waitcnt vmcnt(0)
	ds_store_2addr_b64 v11, v[7:8], v[9:10] offset1:1
	s_branch .LBB61_21
.LBB61_24:                              ;   in Loop: Header=BB61_17 Depth=2
	s_set_inst_prefetch_distance 0x2
	s_or_b32 exec_lo, exec_lo, s15
.LBB61_25:                              ;   in Loop: Header=BB61_17 Depth=2
	s_waitcnt lgkmcnt(0)
	s_barrier
	buffer_gl0_inv
	s_and_saveexec_b32 s2, s1
	s_cbranch_execz .LBB61_16
.LBB61_26:                              ;   in Loop: Header=BB61_17 Depth=2
	v_dual_mov_b32 v37, 0 :: v_dual_add_nc_u32 v64, s14, v52
	v_dual_mov_b32 v38, 0 :: v_dual_mov_b32 v39, 0
	s_waitcnt vmcnt(3)
	v_dual_mov_b32 v16, 0 :: v_dual_mov_b32 v17, 0
	s_delay_alu instid0(VALU_DEP_3) | instskip(SKIP_2) | instid1(VALU_DEP_3)
	v_min_u32_e32 v44, s28, v64
	v_dual_mov_b32 v36, 0 :: v_dual_add_nc_u32 v65, 0x200, v64
	v_dual_mov_b32 v18, 0 :: v_dual_mov_b32 v19, 0
	v_lshlrev_b64 v[0:1], 1, v[44:45]
	s_delay_alu instid0(VALU_DEP_3) | instskip(SKIP_2) | instid1(VALU_DEP_4)
	v_min_u32_e32 v44, s28, v65
	v_dual_mov_b32 v28, 0 :: v_dual_mov_b32 v29, 0
	v_dual_mov_b32 v30, 0 :: v_dual_mov_b32 v31, 0
	v_add_co_u32 v6, vcc_lo, s6, v0
	v_add_co_ci_u32_e32 v7, vcc_lo, s7, v1, vcc_lo
	v_lshlrev_b64 v[0:1], 1, v[44:45]
	s_delay_alu instid0(VALU_DEP_3) | instskip(NEXT) | instid1(VALU_DEP_3)
	v_add_co_u32 v2, vcc_lo, v6, v46
	v_add_co_ci_u32_e32 v3, vcc_lo, v7, v47, vcc_lo
	v_add_co_u32 v4, vcc_lo, v6, v48
	s_waitcnt lgkmcnt(0)
	v_add_co_ci_u32_e32 v5, vcc_lo, v7, v49, vcc_lo
	v_add_co_u32 v10, vcc_lo, s6, v0
	v_add_co_ci_u32_e32 v11, vcc_lo, s7, v1, vcc_lo
	v_add_co_u32 v0, vcc_lo, v6, v50
	v_add_co_ci_u32_e32 v1, vcc_lo, v7, v51, vcc_lo
	s_delay_alu instid0(VALU_DEP_4) | instskip(NEXT) | instid1(VALU_DEP_4)
	v_add_co_u32 v6, vcc_lo, v10, v46
	v_add_co_ci_u32_e32 v7, vcc_lo, v11, v47, vcc_lo
	v_add_co_u32 v8, vcc_lo, v10, v48
	v_add_co_ci_u32_e32 v9, vcc_lo, v11, v49, vcc_lo
	;; [unrolled: 2-line block ×3, first 2 shown]
	s_clause 0x5
	global_load_b128 v[32:35], v[2:3], off slc dlc
	global_load_b128 v[24:27], v[4:5], off slc dlc
	;; [unrolled: 1-line block ×6, first 2 shown]
	v_dual_mov_b32 v8, 0 :: v_dual_mov_b32 v9, 0
	v_dual_mov_b32 v10, 0 :: v_dual_mov_b32 v11, 0
	s_mov_b32 s15, exec_lo
	v_cmpx_gt_u32_e64 s16, v64
	s_cbranch_execz .LBB61_15
; %bb.27:                               ;   in Loop: Header=BB61_17 Depth=2
	v_subrev_nc_u32_e32 v8, s3, v64
	v_dual_mov_b32 v10, 0 :: v_dual_mov_b32 v9, 0
	v_dual_mov_b32 v18, 0 :: v_dual_mov_b32 v17, 0
	s_delay_alu instid0(VALU_DEP_3) | instskip(SKIP_2) | instid1(VALU_DEP_3)
	v_dual_mov_b32 v11, 0 :: v_dual_lshlrev_b32 v64, 1, v8
	v_dual_mov_b32 v8, 0 :: v_dual_mov_b32 v19, 0
	v_mov_b32_e32 v16, 0
	v_lshl_add_u32 v44, s24, 1, v64
	s_mov_b32 s36, exec_lo
	ds_load_b128 v[36:39], v64
	ds_load_b128 v[28:31], v44
	v_cmpx_gt_u32_e64 s16, v65
	s_cbranch_execz .LBB61_14
; %bb.28:                               ;   in Loop: Header=BB61_17 Depth=2
	ds_load_b128 v[16:19], v64 offset:1024
	ds_load_b128 v[8:11], v44 offset:1024
	s_branch .LBB61_14
.LBB61_29:                              ;   in Loop: Header=BB61_12 Depth=1
	s_mov_b32 s1, exec_lo
	v_cmpx_le_u32_e64 s19, v43
	s_xor_b32 s1, exec_lo, s1
; %bb.30:                               ;   in Loop: Header=BB61_12 Depth=1
	v_add_nc_u32_e32 v43, s21, v43
                                        ; implicit-def: $vgpr63
                                        ; implicit-def: $vgpr62
                                        ; implicit-def: $vgpr61
                                        ; implicit-def: $vgpr60
                                        ; implicit-def: $vgpr59
                                        ; implicit-def: $vgpr58
; %bb.31:                               ;   in Loop: Header=BB61_12 Depth=1
	s_and_not1_saveexec_b32 s36, s1
	s_cbranch_execz .LBB61_11
; %bb.32:                               ;   in Loop: Header=BB61_12 Depth=1
	v_cvt_i32_f32_e32 v0, v63
	v_xor_b32_e32 v1, 16, v57
	s_waitcnt lgkmcnt(0)
	v_cvt_i32_f32_e32 v5, v59
	v_cvt_i32_f32_e32 v6, v58
	;; [unrolled: 1-line block ×3, first 2 shown]
	v_cvt_f32_i32_dpp v0, v0 row_shr:8 row_mask:0xf bank_mask:0xf bound_ctrl:1
	v_cmp_gt_i32_e32 vcc_lo, 32, v1
	v_cvt_i32_f32_e32 v3, v61
	v_cvt_i32_f32_e32 v4, v60
	v_cvt_f32_i32_dpp v5, v5 row_shr:8 row_mask:0xf bank_mask:0xf bound_ctrl:1
	v_dual_add_f32 v0, v63, v0 :: v_dual_cndmask_b32 v1, v57, v1
	v_cvt_f32_i32_dpp v6, v6 row_shr:8 row_mask:0xf bank_mask:0xf bound_ctrl:1
	v_cvt_f32_i32_dpp v2, v2 row_shr:8 row_mask:0xf bank_mask:0xf bound_ctrl:1
	;; [unrolled: 1-line block ×4, first 2 shown]
	v_cvt_i32_f32_e32 v7, v0
	v_dual_add_f32 v5, v59, v5 :: v_dual_add_f32 v6, v58, v6
	s_waitcnt vmcnt(0)
	v_lshlrev_b32_e32 v13, 2, v1
	v_dual_add_f32 v1, v62, v2 :: v_dual_add_f32 v4, v60, v4
	v_add_f32_e32 v2, v61, v3
	v_cvt_f32_i32_dpp v3, v7 row_shr:4 row_mask:0xf bank_mask:0xf bound_ctrl:1
	v_cvt_i32_f32_e32 v10, v6
	v_cvt_i32_f32_e32 v9, v5
	;; [unrolled: 1-line block ×4, first 2 shown]
	s_delay_alu instid0(VALU_DEP_4)
	v_cvt_f32_i32_dpp v10, v10 row_shr:4 row_mask:0xf bank_mask:0xf bound_ctrl:1
	v_add_f32_e32 v0, v0, v3
	v_cvt_i32_f32_e32 v3, v2
	v_cvt_f32_i32_dpp v8, v8 row_shr:4 row_mask:0xf bank_mask:0xf bound_ctrl:1
	v_cvt_f32_i32_dpp v9, v9 row_shr:4 row_mask:0xf bank_mask:0xf bound_ctrl:1
	;; [unrolled: 1-line block ×3, first 2 shown]
	s_delay_alu instid0(VALU_DEP_4) | instskip(NEXT) | instid1(VALU_DEP_1)
	v_cvt_f32_i32_dpp v3, v3 row_shr:4 row_mask:0xf bank_mask:0xf bound_ctrl:1
	v_dual_add_f32 v2, v2, v3 :: v_dual_add_f32 v3, v4, v8
	s_delay_alu instid0(VALU_DEP_4) | instskip(SKIP_1) | instid1(VALU_DEP_3)
	v_dual_add_f32 v4, v5, v9 :: v_dual_add_f32 v5, v6, v10
	v_cvt_i32_f32_e32 v11, v0
	v_cvt_i32_f32_e32 v9, v3
	s_delay_alu instid0(VALU_DEP_2) | instskip(NEXT) | instid1(VALU_DEP_2)
	v_cvt_f32_i32_dpp v11, v11 row_shr:2 row_mask:0xf bank_mask:0xf bound_ctrl:1
	v_cvt_f32_i32_dpp v9, v9 row_shr:2 row_mask:0xf bank_mask:0xf bound_ctrl:1
	v_add_f32_e32 v1, v1, v7
	v_cvt_i32_f32_e32 v7, v2
	s_delay_alu instid0(VALU_DEP_4) | instskip(SKIP_1) | instid1(VALU_DEP_4)
	v_add_f32_e32 v0, v0, v11
	v_cvt_i32_f32_e32 v11, v5
	v_cvt_i32_f32_e32 v6, v1
	s_delay_alu instid0(VALU_DEP_4) | instskip(NEXT) | instid1(VALU_DEP_3)
	v_cvt_f32_i32_dpp v7, v7 row_shr:2 row_mask:0xf bank_mask:0xf bound_ctrl:1
	v_cvt_f32_i32_dpp v14, v11 row_shr:2 row_mask:0xf bank_mask:0xf bound_ctrl:1
	s_delay_alu instid0(VALU_DEP_3) | instskip(NEXT) | instid1(VALU_DEP_2)
	v_cvt_f32_i32_dpp v6, v6 row_shr:2 row_mask:0xf bank_mask:0xf bound_ctrl:1
	v_add_f32_e32 v5, v5, v14
	v_cvt_i32_f32_e32 v8, v0
	s_delay_alu instid0(VALU_DEP_1) | instskip(NEXT) | instid1(VALU_DEP_1)
	v_cvt_f32_i32_dpp v8, v8 row_shr:1 row_mask:0xf bank_mask:0xf bound_ctrl:1
	v_add_f32_e32 v11, v0, v8
	v_cvt_i32_f32_e32 v10, v4
	v_dual_add_f32 v0, v1, v6 :: v_dual_add_f32 v1, v2, v7
	v_add_f32_e32 v2, v3, v9
	v_cvt_i32_f32_e32 v9, v5
	s_delay_alu instid0(VALU_DEP_4) | instskip(SKIP_3) | instid1(VALU_DEP_2)
	v_cvt_f32_i32_dpp v10, v10 row_shr:2 row_mask:0xf bank_mask:0xf bound_ctrl:1
	ds_bpermute_b32 v12, v13, v11
	v_cvt_i32_f32_e32 v6, v1
	v_cvt_i32_f32_e32 v7, v2
	v_cvt_f32_i32_dpp v6, v6 row_shr:1 row_mask:0xf bank_mask:0xf bound_ctrl:1
	s_delay_alu instid0(VALU_DEP_2) | instskip(SKIP_3) | instid1(VALU_DEP_4)
	v_cvt_f32_i32_dpp v7, v7 row_shr:1 row_mask:0xf bank_mask:0xf bound_ctrl:1
	v_add_f32_e32 v3, v4, v10
	v_cvt_i32_f32_e32 v4, v0
	v_cvt_f32_i32_dpp v10, v9 row_shr:1 row_mask:0xf bank_mask:0xf bound_ctrl:1
	v_dual_add_f32 v1, v1, v6 :: v_dual_add_f32 v6, v2, v7
	s_delay_alu instid0(VALU_DEP_4) | instskip(NEXT) | instid1(VALU_DEP_4)
	v_cvt_i32_f32_e32 v8, v3
	v_cvt_f32_i32_dpp v4, v4 row_shr:1 row_mask:0xf bank_mask:0xf bound_ctrl:1
	s_delay_alu instid0(VALU_DEP_4) | instskip(SKIP_3) | instid1(VALU_DEP_2)
	v_add_f32_e32 v2, v5, v10
	ds_bpermute_b32 v7, v13, v6
	v_cvt_f32_i32_dpp v8, v8 row_shr:1 row_mask:0xf bank_mask:0xf bound_ctrl:1
	v_add_f32_e32 v9, v0, v4
	v_add_f32_e32 v4, v3, v8
	ds_bpermute_b32 v10, v13, v9
	ds_bpermute_b32 v8, v13, v1
	;; [unrolled: 1-line block ×4, first 2 shown]
	s_and_saveexec_b32 s14, s0
	s_cbranch_execz .LBB61_42
; %bb.33:                               ;   in Loop: Header=BB61_12 Depth=1
	v_dual_mov_b32 v18, 0 :: v_dual_mov_b32 v17, 0
	v_dual_mov_b32 v15, 0 :: v_dual_add_nc_u32 v0, 2, v43
	v_dual_mov_b32 v16, 0 :: v_dual_mov_b32 v13, 0
	v_mov_b32_e32 v14, 0
	s_and_not1_b32 vcc_lo, exec_lo, s30
	s_cbranch_vccnz .LBB61_35
; %bb.34:                               ;   in Loop: Header=BB61_12 Depth=1
	v_mul_hi_u32 v13, v43, v56
	v_mul_hi_u32 v15, v0, v56
	s_delay_alu instid0(VALU_DEP_2) | instskip(NEXT) | instid1(VALU_DEP_2)
	v_mul_lo_u32 v13, v13, s4
	v_mul_lo_u32 v15, v15, s4
	s_delay_alu instid0(VALU_DEP_2) | instskip(NEXT) | instid1(VALU_DEP_2)
	v_sub_nc_u32_e32 v13, v43, v13
	v_sub_nc_u32_e32 v15, v0, v15
	s_delay_alu instid0(VALU_DEP_2) | instskip(SKIP_1) | instid1(VALU_DEP_2)
	v_subrev_nc_u32_e32 v17, s4, v13
	v_cmp_le_u32_e32 vcc_lo, s4, v13
	v_dual_cndmask_b32 v13, v13, v17 :: v_dual_add_nc_u32 v14, 1, v43
	s_delay_alu instid0(VALU_DEP_1) | instskip(SKIP_1) | instid1(VALU_DEP_3)
	v_mul_hi_u32 v16, v14, v56
	v_cmp_le_u32_e32 vcc_lo, s4, v15
	v_subrev_nc_u32_e32 v18, s4, v13
	s_delay_alu instid0(VALU_DEP_3) | instskip(NEXT) | instid1(VALU_DEP_1)
	v_mul_lo_u32 v16, v16, s4
	v_sub_nc_u32_e32 v16, v14, v16
	v_subrev_nc_u32_e32 v14, s4, v15
	s_delay_alu instid0(VALU_DEP_2) | instskip(NEXT) | instid1(VALU_DEP_2)
	v_subrev_nc_u32_e32 v17, s4, v16
	v_dual_cndmask_b32 v15, v15, v14 :: v_dual_mov_b32 v14, v45
	v_cmp_le_u32_e32 vcc_lo, s4, v16
	s_delay_alu instid0(VALU_DEP_3) | instskip(SKIP_1) | instid1(VALU_DEP_4)
	v_cndmask_b32_e32 v19, v16, v17, vcc_lo
	v_cmp_le_u32_e32 vcc_lo, s4, v13
	v_subrev_nc_u32_e32 v17, s4, v15
	v_cndmask_b32_e32 v44, v13, v18, vcc_lo
	v_cmp_le_u32_e32 vcc_lo, s4, v15
	v_mov_b32_e32 v16, v45
	v_subrev_nc_u32_e32 v13, s4, v19
	v_cndmask_b32_e32 v15, v15, v17, vcc_lo
	v_cmp_le_u32_e32 vcc_lo, s4, v19
	v_lshlrev_b64 v[17:18], 1, v[44:45]
	s_delay_alu instid0(VALU_DEP_4) | instskip(NEXT) | instid1(VALU_DEP_4)
	v_dual_cndmask_b32 v13, v19, v13 :: v_dual_add_nc_u32 v44, s33, v44
	v_lshlrev_b64 v[19:20], 1, v[15:16]
	s_delay_alu instid0(VALU_DEP_2) | instskip(NEXT) | instid1(VALU_DEP_3)
	v_lshlrev_b64 v[23:24], 1, v[44:45]
	v_add_nc_u32_e32 v44, s33, v13
	v_lshlrev_b64 v[21:22], 1, v[13:14]
	v_add_co_u32 v13, vcc_lo, s10, v17
	v_add_co_ci_u32_e32 v14, vcc_lo, s11, v18, vcc_lo
	v_add_co_u32 v19, vcc_lo, s10, v19
	v_lshlrev_b64 v[16:17], 1, v[44:45]
	v_add_nc_u32_e32 v44, s33, v15
	v_add_co_ci_u32_e32 v20, vcc_lo, s11, v20, vcc_lo
	v_add_co_u32 v21, vcc_lo, s10, v21
	v_add_co_ci_u32_e32 v22, vcc_lo, s11, v22, vcc_lo
	v_add_co_u32 v23, vcc_lo, s10, v23
	v_lshlrev_b64 v[25:26], 1, v[44:45]
	v_add_co_ci_u32_e32 v24, vcc_lo, s11, v24, vcc_lo
	v_add_co_u32 v27, vcc_lo, s10, v16
	v_add_co_ci_u32_e32 v28, vcc_lo, s11, v17, vcc_lo
	s_delay_alu instid0(VALU_DEP_4)
	v_add_co_u32 v25, vcc_lo, s10, v25
	v_add_co_ci_u32_e32 v26, vcc_lo, s11, v26, vcc_lo
	s_clause 0x5
	global_load_u16 v18, v[13:14], off
	global_load_u16 v17, v[21:22], off
	;; [unrolled: 1-line block ×6, first 2 shown]
.LBB61_35:                              ;   in Loop: Header=BB61_12 Depth=1
	v_cmp_ne_u32_e32 vcc_lo, 0, v40
	s_and_saveexec_b32 s2, vcc_lo
	s_cbranch_execnz .LBB61_47
; %bb.36:                               ;   in Loop: Header=BB61_12 Depth=1
	s_or_b32 exec_lo, exec_lo, s2
	v_cmp_ne_u32_e64 s1, 0, v41
	s_delay_alu instid0(VALU_DEP_1)
	s_and_saveexec_b32 s3, s1
	s_cbranch_execnz .LBB61_48
.LBB61_37:                              ;   in Loop: Header=BB61_12 Depth=1
	s_or_b32 exec_lo, exec_lo, s3
	v_cmp_ne_u32_e64 s2, 0, v42
	s_delay_alu instid0(VALU_DEP_1)
	s_and_saveexec_b32 s15, s2
	s_cbranch_execnz .LBB61_49
.LBB61_38:                              ;   in Loop: Header=BB61_12 Depth=1
	s_or_b32 exec_lo, exec_lo, s15
	v_add_nc_u32_e32 v44, s19, v43
	s_and_saveexec_b32 s3, vcc_lo
	s_cbranch_execnz .LBB61_50
.LBB61_39:                              ;   in Loop: Header=BB61_12 Depth=1
	s_or_b32 exec_lo, exec_lo, s3
	s_and_saveexec_b32 s3, s1
	s_cbranch_execnz .LBB61_51
.LBB61_40:                              ;   in Loop: Header=BB61_12 Depth=1
	s_or_b32 exec_lo, exec_lo, s3
	s_delay_alu instid0(SALU_CYCLE_1)
	s_and_b32 exec_lo, exec_lo, s2
	s_cbranch_execz .LBB61_42
.LBB61_41:                              ;   in Loop: Header=BB61_12 Depth=1
	s_waitcnt lgkmcnt(1)
	v_add_f32_e32 v0, v2, v3
	s_waitcnt vmcnt(0)
	v_cvt_f32_f16_e32 v1, v13
	v_add_nc_u32_e32 v44, 2, v44
	s_delay_alu instid0(VALU_DEP_2) | instskip(NEXT) | instid1(VALU_DEP_2)
	v_add_f32_e32 v2, v0, v1
	v_lshlrev_b64 v[0:1], 1, v[44:45]
	s_delay_alu instid0(VALU_DEP_2) | instskip(NEXT) | instid1(VALU_DEP_2)
	v_cvt_f16_f32_e32 v2, v2
	v_add_co_u32 v0, vcc_lo, s12, v0
	s_delay_alu instid0(VALU_DEP_3)
	v_add_co_ci_u32_e32 v1, vcc_lo, s13, v1, vcc_lo
	global_store_b16 v[0:1], v2, off
.LBB61_42:                              ;   in Loop: Header=BB61_12 Depth=1
	s_or_b32 exec_lo, exec_lo, s14
	v_add_nc_u32_e32 v43, s21, v43
	s_delay_alu instid0(VALU_DEP_1) | instskip(SKIP_1) | instid1(VALU_DEP_2)
	v_add_nc_u32_e32 v0, 3, v43
	v_cmp_gt_u32_e32 vcc_lo, s19, v43
	v_cmp_le_u32_e64 s1, s19, v0
	s_delay_alu instid0(VALU_DEP_1) | instskip(NEXT) | instid1(SALU_CYCLE_1)
	s_and_b32 s1, vcc_lo, s1
	s_and_saveexec_b32 s37, s1
	s_cbranch_execz .LBB61_10
; %bb.43:                               ;   in Loop: Header=BB61_12 Depth=1
	s_mov_b32 s38, exec_lo
	v_cmpx_ne_u32_e64 s5, v43
	s_cbranch_execz .LBB61_9
; %bb.44:                               ;   in Loop: Header=BB61_12 Depth=1
	v_subrev_nc_u32_e32 v0, s5, v43
	s_mov_b32 s39, 0
	s_mov_b64 s[14:15], 0
	s_delay_alu instid0(VALU_DEP_1)
	v_cmp_lt_u32_e32 vcc_lo, 1, v0
	v_cndmask_b32_e32 v0, 1, v0, vcc_lo
	.p2align	6
.LBB61_45:                              ;   Parent Loop BB61_12 Depth=1
                                        ; =>  This Inner Loop Header: Depth=2
	s_cmp_lg_u32 s14, 2
	s_cselect_b32 vcc_lo, -1, 0
	s_cmp_lg_u32 s14, 1
	v_cndmask_b32_e32 v42, 0, v42, vcc_lo
	s_cselect_b32 s1, -1, 0
	s_cmp_lg_u32 s14, 0
	v_cndmask_b32_e64 v41, 0, v41, s1
	s_cselect_b32 s2, -1, 0
	s_add_u32 s14, s14, 1
	v_cndmask_b32_e64 v40, 0, v40, s2
	v_cmp_eq_u32_e64 s3, s14, v0
	s_addc_u32 s15, s15, 0
	s_delay_alu instid0(VALU_DEP_1) | instskip(NEXT) | instid1(SALU_CYCLE_1)
	s_or_b32 s39, s3, s39
	s_and_not1_b32 exec_lo, exec_lo, s39
	s_cbranch_execnz .LBB61_45
; %bb.46:                               ;   in Loop: Header=BB61_12 Depth=1
	s_or_b32 exec_lo, exec_lo, s39
	s_branch .LBB61_9
.LBB61_47:                              ;   in Loop: Header=BB61_12 Depth=1
	s_waitcnt lgkmcnt(5)
	v_dual_add_f32 v11, v11, v12 :: v_dual_mov_b32 v44, v45
	s_waitcnt vmcnt(5)
	v_cvt_f32_f16_e32 v12, v18
	s_delay_alu instid0(VALU_DEP_1) | instskip(NEXT) | instid1(VALU_DEP_3)
	v_add_f32_e32 v18, v11, v12
	v_lshlrev_b64 v[11:12], 1, v[43:44]
	s_delay_alu instid0(VALU_DEP_2) | instskip(NEXT) | instid1(VALU_DEP_2)
	v_cvt_f16_f32_e32 v18, v18
	v_add_co_u32 v11, s1, s12, v11
	s_delay_alu instid0(VALU_DEP_1) | instskip(SKIP_3) | instid1(VALU_DEP_1)
	v_add_co_ci_u32_e64 v12, s1, s13, v12, s1
	global_store_b16 v[11:12], v18, off
	s_or_b32 exec_lo, exec_lo, s2
	v_cmp_ne_u32_e64 s1, 0, v41
	s_and_saveexec_b32 s3, s1
	s_cbranch_execz .LBB61_37
.LBB61_48:                              ;   in Loop: Header=BB61_12 Depth=1
	s_waitcnt lgkmcnt(3)
	v_add_f32_e32 v9, v9, v10
	s_waitcnt vmcnt(4)
	v_cvt_f32_f16_e32 v10, v17
	v_mov_b32_e32 v44, v45
	s_delay_alu instid0(VALU_DEP_2) | instskip(NEXT) | instid1(VALU_DEP_2)
	v_add_f32_e32 v11, v9, v10
	v_lshlrev_b64 v[9:10], 1, v[43:44]
	s_delay_alu instid0(VALU_DEP_2) | instskip(NEXT) | instid1(VALU_DEP_2)
	v_cvt_f16_f32_e32 v11, v11
	v_add_co_u32 v9, s2, s31, v9
	s_delay_alu instid0(VALU_DEP_1) | instskip(SKIP_3) | instid1(VALU_DEP_1)
	v_add_co_ci_u32_e64 v10, s2, s34, v10, s2
	global_store_b16 v[9:10], v11, off
	s_or_b32 exec_lo, exec_lo, s3
	v_cmp_ne_u32_e64 s2, 0, v42
	s_and_saveexec_b32 s15, s2
	s_cbranch_execz .LBB61_38
.LBB61_49:                              ;   in Loop: Header=BB61_12 Depth=1
	s_waitcnt lgkmcnt(2)
	v_add_f32_e32 v8, v1, v8
	s_waitcnt vmcnt(3)
	v_cvt_f32_f16_e32 v9, v16
	s_delay_alu instid0(VALU_DEP_1) | instskip(NEXT) | instid1(VALU_DEP_1)
	v_dual_mov_b32 v1, v45 :: v_dual_add_f32 v8, v8, v9
	v_lshlrev_b64 v[0:1], 1, v[0:1]
	s_delay_alu instid0(VALU_DEP_2) | instskip(NEXT) | instid1(VALU_DEP_2)
	v_cvt_f16_f32_e32 v8, v8
	v_add_co_u32 v0, s3, s12, v0
	s_delay_alu instid0(VALU_DEP_1)
	v_add_co_ci_u32_e64 v1, s3, s13, v1, s3
	global_store_b16 v[0:1], v8, off
	s_or_b32 exec_lo, exec_lo, s15
	v_add_nc_u32_e32 v44, s19, v43
	s_and_saveexec_b32 s3, vcc_lo
	s_cbranch_execz .LBB61_39
.LBB61_50:                              ;   in Loop: Header=BB61_12 Depth=1
	s_waitcnt lgkmcnt(4)
	v_add_f32_e32 v0, v6, v7
	s_waitcnt vmcnt(2)
	v_cvt_f32_f16_e32 v1, v15
	s_delay_alu instid0(VALU_DEP_1) | instskip(SKIP_1) | instid1(VALU_DEP_2)
	v_add_f32_e32 v6, v0, v1
	v_lshlrev_b64 v[0:1], 1, v[44:45]
	v_cvt_f16_f32_e32 v6, v6
	s_delay_alu instid0(VALU_DEP_2) | instskip(NEXT) | instid1(VALU_DEP_3)
	v_add_co_u32 v0, vcc_lo, s12, v0
	v_add_co_ci_u32_e32 v1, vcc_lo, s13, v1, vcc_lo
	global_store_b16 v[0:1], v6, off
	s_or_b32 exec_lo, exec_lo, s3
	s_and_saveexec_b32 s3, s1
	s_cbranch_execz .LBB61_40
.LBB61_51:                              ;   in Loop: Header=BB61_12 Depth=1
	s_waitcnt lgkmcnt(0)
	v_dual_add_f32 v4, v4, v5 :: v_dual_mov_b32 v1, v45
	v_add_nc_u32_e32 v0, 1, v44
	s_waitcnt vmcnt(1)
	v_cvt_f32_f16_e32 v5, v14
	s_delay_alu instid0(VALU_DEP_2) | instskip(NEXT) | instid1(VALU_DEP_2)
	v_lshlrev_b64 v[0:1], 1, v[0:1]
	v_add_f32_e32 v4, v4, v5
	s_delay_alu instid0(VALU_DEP_1) | instskip(NEXT) | instid1(VALU_DEP_3)
	v_cvt_f16_f32_e32 v4, v4
	v_add_co_u32 v0, vcc_lo, s12, v0
	s_delay_alu instid0(VALU_DEP_4) | instskip(SKIP_2) | instid1(SALU_CYCLE_1)
	v_add_co_ci_u32_e32 v1, vcc_lo, s13, v1, vcc_lo
	global_store_b16 v[0:1], v4, off
	s_or_b32 exec_lo, exec_lo, s3
	s_and_b32 exec_lo, exec_lo, s2
	s_cbranch_execnz .LBB61_41
	s_branch .LBB61_42
.LBB61_52:
	s_nop 0
	s_sendmsg sendmsg(MSG_DEALLOC_VGPRS)
	s_endpgm
	.section	.rodata,"a",@progbits
	.p2align	6, 0x0
	.amdhsa_kernel _Z16wvSplitK_hf_big_I6__halfLi64ELi3ELi16ELi8ELi2ELi2EEviiiiiiPKT_S3_S3_PS1_ii
		.amdhsa_group_segment_fixed_size 65536
		.amdhsa_private_segment_fixed_size 0
		.amdhsa_kernarg_size 64
		.amdhsa_user_sgpr_count 15
		.amdhsa_user_sgpr_dispatch_ptr 0
		.amdhsa_user_sgpr_queue_ptr 0
		.amdhsa_user_sgpr_kernarg_segment_ptr 1
		.amdhsa_user_sgpr_dispatch_id 0
		.amdhsa_user_sgpr_private_segment_size 0
		.amdhsa_wavefront_size32 1
		.amdhsa_uses_dynamic_stack 0
		.amdhsa_enable_private_segment 0
		.amdhsa_system_sgpr_workgroup_id_x 1
		.amdhsa_system_sgpr_workgroup_id_y 0
		.amdhsa_system_sgpr_workgroup_id_z 0
		.amdhsa_system_sgpr_workgroup_info 0
		.amdhsa_system_vgpr_workitem_id 1
		.amdhsa_next_free_vgpr 66
		.amdhsa_next_free_sgpr 40
		.amdhsa_reserve_vcc 1
		.amdhsa_float_round_mode_32 0
		.amdhsa_float_round_mode_16_64 0
		.amdhsa_float_denorm_mode_32 3
		.amdhsa_float_denorm_mode_16_64 3
		.amdhsa_dx10_clamp 1
		.amdhsa_ieee_mode 1
		.amdhsa_fp16_overflow 0
		.amdhsa_workgroup_processor_mode 1
		.amdhsa_memory_ordered 1
		.amdhsa_forward_progress 0
		.amdhsa_shared_vgpr_count 0
		.amdhsa_exception_fp_ieee_invalid_op 0
		.amdhsa_exception_fp_denorm_src 0
		.amdhsa_exception_fp_ieee_div_zero 0
		.amdhsa_exception_fp_ieee_overflow 0
		.amdhsa_exception_fp_ieee_underflow 0
		.amdhsa_exception_fp_ieee_inexact 0
		.amdhsa_exception_int_div_zero 0
	.end_amdhsa_kernel
	.section	.text._Z16wvSplitK_hf_big_I6__halfLi64ELi3ELi16ELi8ELi2ELi2EEviiiiiiPKT_S3_S3_PS1_ii,"axG",@progbits,_Z16wvSplitK_hf_big_I6__halfLi64ELi3ELi16ELi8ELi2ELi2EEviiiiiiPKT_S3_S3_PS1_ii,comdat
.Lfunc_end61:
	.size	_Z16wvSplitK_hf_big_I6__halfLi64ELi3ELi16ELi8ELi2ELi2EEviiiiiiPKT_S3_S3_PS1_ii, .Lfunc_end61-_Z16wvSplitK_hf_big_I6__halfLi64ELi3ELi16ELi8ELi2ELi2EEviiiiiiPKT_S3_S3_PS1_ii
                                        ; -- End function
	.section	.AMDGPU.csdata,"",@progbits
; Kernel info:
; codeLenInByte = 4368
; NumSgprs: 42
; NumVgprs: 66
; ScratchSize: 0
; MemoryBound: 0
; FloatMode: 240
; IeeeMode: 1
; LDSByteSize: 65536 bytes/workgroup (compile time only)
; SGPRBlocks: 5
; VGPRBlocks: 8
; NumSGPRsForWavesPerEU: 42
; NumVGPRsForWavesPerEU: 66
; Occupancy: 16
; WaveLimiterHint : 0
; COMPUTE_PGM_RSRC2:SCRATCH_EN: 0
; COMPUTE_PGM_RSRC2:USER_SGPR: 15
; COMPUTE_PGM_RSRC2:TRAP_HANDLER: 0
; COMPUTE_PGM_RSRC2:TGID_X_EN: 1
; COMPUTE_PGM_RSRC2:TGID_Y_EN: 0
; COMPUTE_PGM_RSRC2:TGID_Z_EN: 0
; COMPUTE_PGM_RSRC2:TIDIG_COMP_CNT: 1
	.section	.text._Z16wvSplitK_hf_sml_I6__halfLi64ELi4ELi16ELi8ELi1ELi2EEviiiiiiPKT_S3_S3_PS1_ii,"axG",@progbits,_Z16wvSplitK_hf_sml_I6__halfLi64ELi4ELi16ELi8ELi1ELi2EEviiiiiiPKT_S3_S3_PS1_ii,comdat
	.protected	_Z16wvSplitK_hf_sml_I6__halfLi64ELi4ELi16ELi8ELi1ELi2EEviiiiiiPKT_S3_S3_PS1_ii ; -- Begin function _Z16wvSplitK_hf_sml_I6__halfLi64ELi4ELi16ELi8ELi1ELi2EEviiiiiiPKT_S3_S3_PS1_ii
	.globl	_Z16wvSplitK_hf_sml_I6__halfLi64ELi4ELi16ELi8ELi1ELi2EEviiiiiiPKT_S3_S3_PS1_ii
	.p2align	8
	.type	_Z16wvSplitK_hf_sml_I6__halfLi64ELi4ELi16ELi8ELi1ELi2EEviiiiiiPKT_S3_S3_PS1_ii,@function
_Z16wvSplitK_hf_sml_I6__halfLi64ELi4ELi16ELi8ELi1ELi2EEviiiiiiPKT_S3_S3_PS1_ii: ; @_Z16wvSplitK_hf_sml_I6__halfLi64ELi4ELi16ELi8ELi1ELi2EEviiiiiiPKT_S3_S3_PS1_ii
; %bb.0:
	s_clause 0x2
	s_load_b128 s[4:7], s[0:1], 0x0
	s_load_b64 s[8:9], s[0:1], 0x10
	s_load_b64 s[10:11], s[0:1], 0x28
	v_and_b32_e32 v2, 0x3ff, v0
	v_bfe_u32 v3, v0, 10, 10
	s_mov_b32 s12, exec_lo
	s_delay_alu instid0(VALU_DEP_2) | instskip(NEXT) | instid1(VALU_DEP_1)
	v_lshlrev_b32_e32 v35, 3, v2
	v_lshl_add_u32 v4, v3, 9, v35
	s_waitcnt lgkmcnt(0)
	s_lshl_b32 s6, s6, 1
	s_delay_alu instid0(SALU_CYCLE_1)
	s_min_u32 s3, s6, 0x8000
	s_delay_alu instid0(VALU_DEP_1) | instid1(SALU_CYCLE_1)
	v_cmpx_gt_u32_e64 s3, v4
	s_cbranch_execz .LBB62_3
; %bb.1:
	s_load_b64 s[16:17], s[0:1], 0x20
	v_lshlrev_b32_e32 v5, 10, v3
	v_lshlrev_b32_e32 v6, 4, v2
	s_mov_b32 s13, 0
	s_delay_alu instid0(VALU_DEP_1) | instskip(NEXT) | instid1(VALU_DEP_1)
	v_add_co_u32 v0, s2, v5, v6
	v_add_co_ci_u32_e64 v1, null, 0, 0, s2
	v_add_nc_u32_e32 v5, v5, v6
	s_waitcnt lgkmcnt(0)
	s_delay_alu instid0(VALU_DEP_3) | instskip(NEXT) | instid1(VALU_DEP_3)
	v_add_co_u32 v0, vcc_lo, s16, v0
	v_add_co_ci_u32_e32 v1, vcc_lo, s17, v1, vcc_lo
	.p2align	6
.LBB62_2:                               ; =>This Inner Loop Header: Depth=1
	global_load_b128 v[6:9], v[0:1], off
	v_add_nc_u32_e32 v4, 0x2000, v4
	v_add_co_u32 v0, vcc_lo, 0x4000, v0
	v_add_co_ci_u32_e32 v1, vcc_lo, 0, v1, vcc_lo
	s_delay_alu instid0(VALU_DEP_3) | instskip(NEXT) | instid1(VALU_DEP_1)
	v_cmp_le_u32_e64 s2, s3, v4
	s_or_b32 s13, s2, s13
	s_waitcnt vmcnt(0)
	ds_store_b128 v5, v[6:9]
	v_add_nc_u32_e32 v5, 0x4000, v5
	s_and_not1_b32 exec_lo, exec_lo, s13
	s_cbranch_execnz .LBB62_2
.LBB62_3:
	s_or_b32 exec_lo, exec_lo, s12
	s_load_b64 s[16:17], s[0:1], 0x38
	s_waitcnt lgkmcnt(0)
	s_barrier
	buffer_gl0_inv
	s_mov_b32 s2, exec_lo
	v_cmpx_gt_u32_e64 s16, v3
	s_cbranch_execz .LBB62_18
; %bb.4:
	s_mul_i32 s15, s15, s16
	s_delay_alu instid0(SALU_CYCLE_1) | instskip(NEXT) | instid1(VALU_DEP_1)
	v_add_lshl_u32 v24, s15, v3, 2
	v_cmp_gt_u32_e32 vcc_lo, s7, v24
	s_and_b32 exec_lo, exec_lo, vcc_lo
	s_cbranch_execz .LBB62_18
; %bb.5:
	v_cvt_f32_u32_e32 v0, s8
	s_cmp_lg_u32 s4, 0
	v_lshlrev_b32_e32 v36, 4, v2
	s_cselect_b32 s14, -1, 0
	s_add_i32 s15, s4, -8
	v_rcp_iflag_f32_e32 v0, v0
	s_add_i32 s18, s7, -1
	s_cmp_lg_u64 s[10:11], 0
	v_mbcnt_lo_u32_b32 v38, -1, 0
	s_cselect_b32 s19, -1, 0
	s_sub_i32 s2, 0, s8
	s_abs_i32 s9, s9
	s_waitcnt_depctr 0xfff
	v_mul_f32_e32 v0, 0x4f7ffffe, v0
	s_delay_alu instid0(VALU_DEP_1) | instskip(NEXT) | instid1(VALU_DEP_1)
	v_cvt_u32_f32_e32 v0, v0
	v_mul_lo_u32 v1, s2, v0
	s_clause 0x1
	s_load_b64 s[2:3], s[0:1], 0x18
	s_load_b64 s[12:13], s[0:1], 0x30
	s_mul_i32 s1, s16, s17
	s_sub_i32 s16, 1, s9
	s_lshl_b32 s1, s1, 2
	s_cmp_lt_u32 s9, 2
	v_cmp_eq_u32_e64 s0, 63, v2
	s_cselect_b32 s16, s16, 1
	v_mul_hi_u32 v1, v0, v1
	s_sub_i32 s17, s16, s9
	s_cmp_ge_u32 s16, s9
	v_mov_b32_e32 v26, 0
	s_cselect_b32 s16, s17, s16
	s_mov_b32 s9, 0
	s_mul_i32 s16, s16, s8
	s_delay_alu instid0(VALU_DEP_2)
	v_add_nc_u32_e32 v37, v0, v1
	s_branch .LBB62_8
.LBB62_6:                               ;   in Loop: Header=BB62_8 Depth=1
	s_waitcnt lgkmcnt(0)
	v_dual_add_f32 v0, v0, v3 :: v_dual_add_f32 v3, v1, v4
	s_waitcnt vmcnt(7)
	v_cvt_f32_f16_e32 v1, v23
	v_add_f32_e32 v2, v2, v5
	v_dual_add_f32 v4, v7, v12 :: v_dual_add_f32 v5, v8, v13
	s_delay_alu instid0(VALU_DEP_3)
	v_dual_add_f32 v11, v6, v11 :: v_dual_add_f32 v0, v0, v1
	s_waitcnt vmcnt(6)
	v_cvt_f32_f16_e32 v6, v22
	v_add_f32_e32 v7, v9, v14
	s_waitcnt vmcnt(5)
	v_cvt_f32_f16_e32 v8, v21
	s_waitcnt vmcnt(4)
	v_cvt_f32_f16_e32 v9, v20
	v_dual_add_f32 v10, v10, v15 :: v_dual_add_f32 v3, v3, v6
	s_waitcnt vmcnt(3)
	v_cvt_f32_f16_e32 v6, v19
	v_add_f32_e32 v2, v2, v8
	v_add_f32_e32 v4, v4, v9
	v_cvt_f16_f32_e32 v12, v0
	v_lshlrev_b64 v[0:1], 1, v[24:25]
	v_add_nc_u32_e32 v25, s7, v24
	v_add_f32_e32 v5, v5, v6
	s_waitcnt vmcnt(2)
	v_cvt_f32_f16_e32 v6, v18
	v_cvt_f16_f32_e32 v2, v2
	v_cvt_f16_f32_e32 v4, v4
	;; [unrolled: 1-line block ×3, first 2 shown]
	s_waitcnt vmcnt(1)
	v_cvt_f32_f16_e32 v14, v17
	v_dual_add_f32 v13, v7, v6 :: v_dual_add_nc_u32 v6, 1, v25
	v_mov_b32_e32 v7, v26
	v_pack_b32_f16 v3, v2, v4
	v_pack_b32_f16 v2, v12, v8
	v_add_nc_u32_e32 v8, 2, v25
	v_cvt_f16_f32_e32 v12, v5
	v_lshlrev_b64 v[4:5], 1, v[25:26]
	v_dual_add_f32 v10, v10, v14 :: v_dual_add_nc_u32 v25, 3, v25
	s_waitcnt vmcnt(0)
	v_cvt_f32_f16_e32 v14, v16
	v_mov_b32_e32 v9, v26
	v_add_co_u32 v0, vcc_lo, s12, v0
	v_lshlrev_b64 v[6:7], 1, v[6:7]
	s_delay_alu instid0(VALU_DEP_4)
	v_add_f32_e32 v14, v11, v14
	v_add_co_ci_u32_e32 v1, vcc_lo, s13, v1, vcc_lo
	v_add_co_u32 v4, vcc_lo, s12, v4
	v_lshlrev_b64 v[8:9], 1, v[8:9]
	v_add_co_ci_u32_e32 v5, vcc_lo, s13, v5, vcc_lo
	v_add_co_u32 v6, vcc_lo, s12, v6
	v_cvt_f16_f32_e32 v15, v10
	v_lshlrev_b64 v[10:11], 1, v[25:26]
	v_add_co_ci_u32_e32 v7, vcc_lo, s13, v7, vcc_lo
	v_add_co_u32 v8, vcc_lo, s12, v8
	v_add_co_ci_u32_e32 v9, vcc_lo, s13, v9, vcc_lo
	v_cvt_f16_f32_e32 v13, v13
	v_add_co_u32 v10, vcc_lo, s12, v10
	v_cvt_f16_f32_e32 v14, v14
	v_add_co_ci_u32_e32 v11, vcc_lo, s13, v11, vcc_lo
	s_clause 0x4
	global_store_b64 v[0:1], v[2:3], off
	global_store_b16 v[4:5], v12, off
	global_store_b16 v[6:7], v13, off
	;; [unrolled: 1-line block ×4, first 2 shown]
.LBB62_7:                               ;   in Loop: Header=BB62_8 Depth=1
	s_or_b32 exec_lo, exec_lo, s17
	v_add_nc_u32_e32 v24, s1, v24
	s_delay_alu instid0(VALU_DEP_1) | instskip(SKIP_1) | instid1(SALU_CYCLE_1)
	v_cmp_le_u32_e32 vcc_lo, s7, v24
	s_or_b32 s9, vcc_lo, s9
	s_and_not1_b32 exec_lo, exec_lo, s9
	s_cbranch_execz .LBB62_18
.LBB62_8:                               ; =>This Loop Header: Depth=1
                                        ;     Child Loop BB62_11 Depth 2
	v_mov_b32_e32 v46, v26
	v_mov_b32_e32 v45, v26
	;; [unrolled: 1-line block ×8, first 2 shown]
	s_and_not1_b32 vcc_lo, exec_lo, s14
	s_cbranch_vccnz .LBB62_13
; %bb.9:                                ;   in Loop: Header=BB62_8 Depth=1
	v_or_b32_e32 v0, 1, v24
	v_or_b32_e32 v1, 2, v24
	;; [unrolled: 1-line block ×3, first 2 shown]
	s_waitcnt lgkmcnt(0)
	v_min_u32_e32 v3, s18, v24
	v_dual_mov_b32 v5, v26 :: v_dual_mov_b32 v44, 0
	v_min_u32_e32 v0, s18, v0
	v_min_u32_e32 v1, s18, v1
	;; [unrolled: 1-line block ×3, first 2 shown]
	v_mul_lo_u32 v25, v3, s5
	v_dual_mov_b32 v3, v26 :: v_dual_mov_b32 v42, 0
	v_mul_lo_u32 v0, v0, s5
	v_mul_lo_u32 v2, v1, s5
	;; [unrolled: 1-line block ×3, first 2 shown]
	v_dual_mov_b32 v1, v26 :: v_dual_mov_b32 v40, 0
	v_lshlrev_b64 v[27:28], 1, v[25:26]
	v_dual_mov_b32 v47, v36 :: v_dual_mov_b32 v46, 0
	s_delay_alu instid0(VALU_DEP_3)
	v_lshlrev_b64 v[29:30], 1, v[0:1]
	v_lshlrev_b64 v[31:32], 1, v[2:3]
	;; [unrolled: 1-line block ×3, first 2 shown]
	v_mov_b32_e32 v41, 0
	v_mov_b32_e32 v39, 0
	v_mov_b32_e32 v43, 0
	v_mov_b32_e32 v45, 0
	s_mov_b32 s17, 0
	s_branch .LBB62_11
.LBB62_10:                              ;   in Loop: Header=BB62_11 Depth=2
	s_or_b32 exec_lo, exec_lo, s20
	v_add_nc_u32_e32 v47, 0x400, v47
	s_addk_i32 s17, 0x200
	s_waitcnt vmcnt(3) lgkmcnt(1)
	;;#ASMSTART
	v_dot2_f32_f16 v46, v20, v16, v46
	;;#ASMEND
	s_waitcnt vmcnt(2)
	;;#ASMSTART
	v_dot2_f32_f16 v45, v20, v12, v45
	;;#ASMEND
	s_waitcnt vmcnt(1)
	;;#ASMSTART
	v_dot2_f32_f16 v44, v20, v8, v44
	;;#ASMEND
	s_waitcnt vmcnt(0)
	;;#ASMSTART
	v_dot2_f32_f16 v43, v20, v0, v43
	;;#ASMEND
	s_waitcnt lgkmcnt(0)
	;;#ASMSTART
	v_dot2_f32_f16 v40, v4, v16, v40
	;;#ASMEND
	;;#ASMSTART
	v_dot2_f32_f16 v42, v4, v12, v42
	;;#ASMEND
	;;#ASMSTART
	v_dot2_f32_f16 v41, v4, v8, v41
	;;#ASMEND
	;;#ASMSTART
	v_dot2_f32_f16 v39, v4, v0, v39
	;;#ASMEND
	;;#ASMSTART
	v_dot2_f32_f16 v46, v21, v17, v46
	;;#ASMEND
	;;#ASMSTART
	v_dot2_f32_f16 v45, v21, v13, v45
	;;#ASMEND
	;;#ASMSTART
	v_dot2_f32_f16 v44, v21, v9, v44
	;;#ASMEND
	;;#ASMSTART
	v_dot2_f32_f16 v43, v21, v1, v43
	;;#ASMEND
	;;#ASMSTART
	v_dot2_f32_f16 v40, v5, v17, v40
	;;#ASMEND
	;;#ASMSTART
	v_dot2_f32_f16 v42, v5, v13, v42
	;;#ASMEND
	;;#ASMSTART
	v_dot2_f32_f16 v41, v5, v9, v41
	;;#ASMEND
	;;#ASMSTART
	v_dot2_f32_f16 v39, v5, v1, v39
	;;#ASMEND
	s_cmp_ge_u32 s17, s4
	;;#ASMSTART
	v_dot2_f32_f16 v46, v22, v18, v46
	;;#ASMEND
	;;#ASMSTART
	v_dot2_f32_f16 v45, v22, v14, v45
	;;#ASMEND
	;; [unrolled: 3-line block ×16, first 2 shown]
	s_cbranch_scc1 .LBB62_13
.LBB62_11:                              ;   Parent Loop BB62_8 Depth=1
                                        ; =>  This Inner Loop Header: Depth=2
	v_dual_mov_b32 v21, 0 :: v_dual_add_nc_u32 v20, s17, v35
	v_dual_mov_b32 v22, 0 :: v_dual_mov_b32 v23, 0
	s_delay_alu instid0(VALU_DEP_2) | instskip(NEXT) | instid1(VALU_DEP_1)
	v_min_u32_e32 v25, s15, v20
	v_lshlrev_b64 v[0:1], 1, v[25:26]
	s_waitcnt lgkmcnt(0)
	s_delay_alu instid0(VALU_DEP_1) | instskip(NEXT) | instid1(VALU_DEP_2)
	v_add_co_u32 v6, vcc_lo, s2, v0
	v_add_co_ci_u32_e32 v7, vcc_lo, s3, v1, vcc_lo
	s_delay_alu instid0(VALU_DEP_2) | instskip(NEXT) | instid1(VALU_DEP_2)
	v_add_co_u32 v0, vcc_lo, v6, v27
	v_add_co_ci_u32_e32 v1, vcc_lo, v7, v28, vcc_lo
	v_add_co_u32 v2, vcc_lo, v6, v29
	v_add_co_ci_u32_e32 v3, vcc_lo, v7, v30, vcc_lo
	;; [unrolled: 2-line block ×4, first 2 shown]
	s_clause 0x3
	global_load_b128 v[16:19], v[0:1], off slc dlc
	global_load_b128 v[12:15], v[2:3], off slc dlc
	;; [unrolled: 1-line block ×4, first 2 shown]
	v_mov_b32_e32 v5, 0
	v_cmp_gt_u32_e32 vcc_lo, s4, v20
	v_mov_b32_e32 v20, 0
	v_dual_mov_b32 v4, 0 :: v_dual_mov_b32 v7, 0
	v_mov_b32_e32 v6, 0
	s_and_saveexec_b32 s20, vcc_lo
	s_cbranch_execz .LBB62_10
; %bb.12:                               ;   in Loop: Header=BB62_11 Depth=2
	v_add_nc_u32_e32 v4, s6, v47
	ds_load_b128 v[20:23], v47
	ds_load_b128 v[4:7], v4
	s_branch .LBB62_10
.LBB62_13:                              ;   in Loop: Header=BB62_8 Depth=1
	; sched_barrier mask(0x00000000)
	v_cvt_i32_f32_e32 v0, v46
	v_cvt_i32_f32_e32 v1, v45
	;; [unrolled: 1-line block ×3, first 2 shown]
	s_waitcnt lgkmcnt(0)
	v_xor_b32_e32 v3, 16, v38
	v_cvt_i32_f32_e32 v4, v43
	v_cvt_f32_i32_dpp v0, v0 row_shr:8 row_mask:0xf bank_mask:0xf bound_ctrl:1
	v_cvt_f32_i32_dpp v1, v1 row_shr:8 row_mask:0xf bank_mask:0xf bound_ctrl:1
	;; [unrolled: 1-line block ×3, first 2 shown]
	v_cmp_gt_i32_e32 vcc_lo, 32, v3
	v_cvt_i32_f32_e32 v10, v41
	s_delay_alu instid0(VALU_DEP_4) | instskip(NEXT) | instid1(VALU_DEP_4)
	v_dual_add_f32 v0, v46, v0 :: v_dual_add_f32 v1, v45, v1
	v_dual_add_f32 v2, v44, v2 :: v_dual_cndmask_b32 v3, v38, v3
	v_cvt_f32_i32_dpp v4, v4 row_shr:8 row_mask:0xf bank_mask:0xf bound_ctrl:1
	s_delay_alu instid0(VALU_DEP_3) | instskip(NEXT) | instid1(VALU_DEP_4)
	v_cvt_i32_f32_e32 v7, v0
	v_cvt_i32_f32_e32 v8, v1
	s_delay_alu instid0(VALU_DEP_4)
	v_cvt_i32_f32_e32 v9, v2
	v_cvt_f32_i32_dpp v10, v10 row_shr:8 row_mask:0xf bank_mask:0xf bound_ctrl:1
	v_lshlrev_b32_e32 v16, 2, v3
	v_cvt_f32_i32_dpp v7, v7 row_shr:4 row_mask:0xf bank_mask:0xf bound_ctrl:1
	v_cvt_f32_i32_dpp v8, v8 row_shr:4 row_mask:0xf bank_mask:0xf bound_ctrl:1
	;; [unrolled: 1-line block ×3, first 2 shown]
	v_cvt_i32_f32_e32 v11, v39
	v_cvt_i32_f32_e32 v5, v40
	s_delay_alu instid0(VALU_DEP_4) | instskip(SKIP_1) | instid1(VALU_DEP_4)
	v_dual_add_f32 v0, v0, v7 :: v_dual_add_f32 v1, v1, v8
	v_cvt_i32_f32_e32 v6, v42
	v_cvt_f32_i32_dpp v11, v11 row_shr:8 row_mask:0xf bank_mask:0xf bound_ctrl:1
	s_delay_alu instid0(VALU_DEP_4) | instskip(NEXT) | instid1(VALU_DEP_4)
	v_cvt_f32_i32_dpp v5, v5 row_shr:8 row_mask:0xf bank_mask:0xf bound_ctrl:1
	v_cvt_i32_f32_e32 v7, v0
	v_cvt_i32_f32_e32 v8, v1
	v_cvt_f32_i32_dpp v6, v6 row_shr:8 row_mask:0xf bank_mask:0xf bound_ctrl:1
	s_delay_alu instid0(VALU_DEP_3) | instskip(NEXT) | instid1(VALU_DEP_3)
	v_cvt_f32_i32_dpp v7, v7 row_shr:2 row_mask:0xf bank_mask:0xf bound_ctrl:1
	v_cvt_f32_i32_dpp v8, v8 row_shr:2 row_mask:0xf bank_mask:0xf bound_ctrl:1
	v_add_f32_e32 v2, v2, v9
	s_delay_alu instid0(VALU_DEP_2) | instskip(NEXT) | instid1(VALU_DEP_2)
	v_dual_add_f32 v0, v0, v7 :: v_dual_add_f32 v1, v1, v8
	v_cvt_i32_f32_e32 v9, v2
	v_add_f32_e32 v7, v43, v4
	s_delay_alu instid0(VALU_DEP_3) | instskip(NEXT) | instid1(VALU_DEP_3)
	v_cvt_i32_f32_e32 v4, v1
	v_cvt_f32_i32_dpp v9, v9 row_shr:2 row_mask:0xf bank_mask:0xf bound_ctrl:1
	s_delay_alu instid0(VALU_DEP_2) | instskip(NEXT) | instid1(VALU_DEP_2)
	v_cvt_f32_i32_dpp v4, v4 row_shr:1 row_mask:0xf bank_mask:0xf bound_ctrl:1
	v_dual_add_f32 v2, v2, v9 :: v_dual_add_f32 v9, v41, v10
	v_cvt_i32_f32_e32 v3, v0
	s_delay_alu instid0(VALU_DEP_3) | instskip(NEXT) | instid1(VALU_DEP_3)
	v_add_f32_e32 v1, v1, v4
	v_cvt_i32_f32_e32 v14, v9
	s_delay_alu instid0(VALU_DEP_3) | instskip(SKIP_4) | instid1(VALU_DEP_3)
	v_cvt_f32_i32_dpp v3, v3 row_shr:1 row_mask:0xf bank_mask:0xf bound_ctrl:1
	ds_bpermute_b32 v4, v16, v1
	v_cvt_f32_i32_dpp v14, v14 row_shr:4 row_mask:0xf bank_mask:0xf bound_ctrl:1
	v_add_f32_e32 v10, v39, v11
	v_cvt_i32_f32_e32 v11, v7
	v_add_f32_e32 v9, v9, v14
	s_delay_alu instid0(VALU_DEP_3) | instskip(NEXT) | instid1(VALU_DEP_3)
	v_cvt_i32_f32_e32 v15, v10
	v_cvt_f32_i32_dpp v11, v11 row_shr:4 row_mask:0xf bank_mask:0xf bound_ctrl:1
	v_add_f32_e32 v8, v40, v5
	v_cvt_i32_f32_e32 v5, v2
	v_cvt_i32_f32_e32 v14, v9
	v_cvt_f32_i32_dpp v15, v15 row_shr:4 row_mask:0xf bank_mask:0xf bound_ctrl:1
	v_add_f32_e32 v7, v7, v11
	v_cvt_i32_f32_e32 v12, v8
	v_cvt_f32_i32_dpp v5, v5 row_shr:1 row_mask:0xf bank_mask:0xf bound_ctrl:1
	v_cvt_f32_i32_dpp v14, v14 row_shr:2 row_mask:0xf bank_mask:0xf bound_ctrl:1
	v_add_f32_e32 v0, v0, v3
	v_cvt_i32_f32_e32 v11, v7
	v_cvt_f32_i32_dpp v12, v12 row_shr:4 row_mask:0xf bank_mask:0xf bound_ctrl:1
	v_add_f32_e32 v10, v10, v15
	v_add_f32_e32 v2, v2, v5
	s_delay_alu instid0(VALU_DEP_4) | instskip(SKIP_1) | instid1(VALU_DEP_4)
	v_cvt_f32_i32_dpp v11, v11 row_shr:2 row_mask:0xf bank_mask:0xf bound_ctrl:1
	v_add_f32_e32 v6, v42, v6
	v_cvt_i32_f32_e32 v15, v10
	ds_bpermute_b32 v5, v16, v2
	v_add_f32_e32 v7, v7, v11
	v_cvt_i32_f32_e32 v13, v6
	v_add_f32_e32 v11, v9, v14
	v_cvt_f32_i32_dpp v15, v15 row_shr:2 row_mask:0xf bank_mask:0xf bound_ctrl:1
	ds_bpermute_b32 v3, v16, v0
	v_cvt_i32_f32_e32 v9, v7
	v_cvt_f32_i32_dpp v13, v13 row_shr:4 row_mask:0xf bank_mask:0xf bound_ctrl:1
	v_cvt_i32_f32_e32 v14, v11
	s_delay_alu instid0(VALU_DEP_3) | instskip(NEXT) | instid1(VALU_DEP_3)
	v_cvt_f32_i32_dpp v9, v9 row_shr:1 row_mask:0xf bank_mask:0xf bound_ctrl:1
	v_add_f32_e32 v6, v6, v13
	v_add_f32_e32 v8, v8, v12
	s_delay_alu instid0(VALU_DEP_4) | instskip(NEXT) | instid1(VALU_DEP_4)
	v_cvt_f32_i32_dpp v14, v14 row_shr:1 row_mask:0xf bank_mask:0xf bound_ctrl:1
	v_add_f32_e32 v7, v7, v9
	s_delay_alu instid0(VALU_DEP_4) | instskip(NEXT) | instid1(VALU_DEP_4)
	v_cvt_i32_f32_e32 v13, v6
	v_cvt_i32_f32_e32 v12, v8
	s_delay_alu instid0(VALU_DEP_2) | instskip(NEXT) | instid1(VALU_DEP_2)
	v_cvt_f32_i32_dpp v13, v13 row_shr:2 row_mask:0xf bank_mask:0xf bound_ctrl:1
	v_cvt_f32_i32_dpp v12, v12 row_shr:2 row_mask:0xf bank_mask:0xf bound_ctrl:1
	s_delay_alu instid0(VALU_DEP_2) | instskip(NEXT) | instid1(VALU_DEP_1)
	v_add_f32_e32 v6, v6, v13
	v_cvt_i32_f32_e32 v13, v6
	s_delay_alu instid0(VALU_DEP_1) | instskip(NEXT) | instid1(VALU_DEP_4)
	v_cvt_f32_i32_dpp v13, v13 row_shr:1 row_mask:0xf bank_mask:0xf bound_ctrl:1
	v_add_f32_e32 v8, v8, v12
	v_add_f32_e32 v12, v10, v15
	s_delay_alu instid0(VALU_DEP_3) | instskip(NEXT) | instid1(VALU_DEP_3)
	v_add_f32_e32 v9, v6, v13
	v_cvt_i32_f32_e32 v10, v8
	s_delay_alu instid0(VALU_DEP_3) | instskip(NEXT) | instid1(VALU_DEP_2)
	v_cvt_i32_f32_e32 v15, v12
	v_cvt_f32_i32_dpp v10, v10 row_shr:1 row_mask:0xf bank_mask:0xf bound_ctrl:1
	s_delay_alu instid0(VALU_DEP_2) | instskip(NEXT) | instid1(VALU_DEP_2)
	v_cvt_f32_i32_dpp v15, v15 row_shr:1 row_mask:0xf bank_mask:0xf bound_ctrl:1
	v_add_f32_e32 v8, v8, v10
	v_add_f32_e32 v10, v11, v14
	s_delay_alu instid0(VALU_DEP_3)
	v_add_f32_e32 v6, v12, v15
	ds_bpermute_b32 v12, v16, v7
	ds_bpermute_b32 v14, v16, v9
	;; [unrolled: 1-line block ×5, first 2 shown]
	s_and_saveexec_b32 s17, s0
	s_cbranch_execz .LBB62_7
; %bb.14:                               ;   in Loop: Header=BB62_8 Depth=1
	s_and_b32 vcc_lo, exec_lo, s19
	s_cbranch_vccz .LBB62_16
; %bb.15:                               ;   in Loop: Header=BB62_8 Depth=1
	v_mul_hi_u32 v16, v24, v37
	v_or_b32_e32 v18, 1, v24
	v_or_b32_e32 v20, 2, v24
	;; [unrolled: 1-line block ×3, first 2 shown]
	s_delay_alu instid0(VALU_DEP_3) | instskip(NEXT) | instid1(VALU_DEP_3)
	v_mul_hi_u32 v17, v18, v37
	v_mul_hi_u32 v19, v20, v37
	v_mul_lo_u32 v16, v16, s8
	s_delay_alu instid0(VALU_DEP_4) | instskip(NEXT) | instid1(VALU_DEP_4)
	v_mul_hi_u32 v22, v21, v37
	v_mul_lo_u32 v23, v17, s8
	s_delay_alu instid0(VALU_DEP_4) | instskip(NEXT) | instid1(VALU_DEP_4)
	v_mul_lo_u32 v25, v19, s8
	v_sub_nc_u32_e32 v16, v24, v16
	s_delay_alu instid0(VALU_DEP_4) | instskip(NEXT) | instid1(VALU_DEP_2)
	v_mul_lo_u32 v22, v22, s8
	v_subrev_nc_u32_e32 v27, s8, v16
	v_sub_nc_u32_e32 v18, v18, v23
	v_cmp_le_u32_e32 vcc_lo, s8, v16
	v_mov_b32_e32 v17, v26
	v_sub_nc_u32_e32 v20, v20, v25
	v_sub_nc_u32_e32 v22, v21, v22
	v_subrev_nc_u32_e32 v23, s8, v18
	v_cndmask_b32_e32 v16, v16, v27, vcc_lo
	v_cmp_le_u32_e32 vcc_lo, s8, v18
	v_subrev_nc_u32_e32 v25, s8, v20
	v_subrev_nc_u32_e32 v27, s8, v22
	s_delay_alu instid0(VALU_DEP_4) | instskip(SKIP_4) | instid1(VALU_DEP_2)
	v_subrev_nc_u32_e32 v28, s8, v16
	v_cndmask_b32_e32 v18, v18, v23, vcc_lo
	v_cmp_le_u32_e32 vcc_lo, s8, v20
	v_dual_mov_b32 v19, v26 :: v_dual_cndmask_b32 v20, v20, v25
	v_cmp_le_u32_e32 vcc_lo, s8, v22
	v_subrev_nc_u32_e32 v23, s8, v20
	v_cndmask_b32_e32 v27, v22, v27, vcc_lo
	v_cmp_le_u32_e32 vcc_lo, s8, v16
	v_cndmask_b32_e32 v25, v16, v28, vcc_lo
	v_subrev_nc_u32_e32 v22, s8, v18
	v_cmp_le_u32_e32 vcc_lo, s8, v18
	v_subrev_nc_u32_e32 v28, s8, v27
	s_delay_alu instid0(VALU_DEP_3)
	v_cndmask_b32_e32 v16, v18, v22, vcc_lo
	v_cmp_le_u32_e32 vcc_lo, s8, v20
	v_dual_mov_b32 v21, v26 :: v_dual_cndmask_b32 v18, v20, v23
	v_cmp_le_u32_e32 vcc_lo, s8, v27
	v_lshlrev_b64 v[22:23], 1, v[25:26]
	v_add_nc_u32_e32 v25, s16, v25
	s_delay_alu instid0(VALU_DEP_4) | instskip(SKIP_4) | instid1(VALU_DEP_4)
	v_lshlrev_b64 v[29:30], 1, v[18:19]
	v_cndmask_b32_e32 v20, v27, v28, vcc_lo
	v_lshlrev_b64 v[27:28], 1, v[16:17]
	v_add_co_u32 v22, vcc_lo, s10, v22
	v_add_co_ci_u32_e32 v23, vcc_lo, s11, v23, vcc_lo
	v_lshlrev_b64 v[31:32], 1, v[20:21]
	s_delay_alu instid0(VALU_DEP_4)
	v_add_co_u32 v27, vcc_lo, s10, v27
	v_add_co_ci_u32_e32 v28, vcc_lo, s11, v28, vcc_lo
	v_add_co_u32 v29, vcc_lo, s10, v29
	v_lshlrev_b64 v[33:34], 1, v[25:26]
	v_add_nc_u32_e32 v25, s16, v16
	v_add_co_ci_u32_e32 v30, vcc_lo, s11, v30, vcc_lo
	v_add_co_u32 v16, vcc_lo, s10, v31
	v_add_co_ci_u32_e32 v17, vcc_lo, s11, v32, vcc_lo
	s_delay_alu instid0(VALU_DEP_4) | instskip(SKIP_3) | instid1(VALU_DEP_3)
	v_lshlrev_b64 v[31:32], 1, v[25:26]
	v_add_nc_u32_e32 v25, s16, v18
	v_add_co_u32 v18, vcc_lo, s10, v33
	v_add_co_ci_u32_e32 v19, vcc_lo, s11, v34, vcc_lo
	v_lshlrev_b64 v[33:34], 1, v[25:26]
	v_add_nc_u32_e32 v25, s16, v20
	v_add_co_u32 v31, vcc_lo, s10, v31
	v_add_co_ci_u32_e32 v32, vcc_lo, s11, v32, vcc_lo
	s_delay_alu instid0(VALU_DEP_3) | instskip(SKIP_3) | instid1(VALU_DEP_4)
	v_lshlrev_b64 v[20:21], 1, v[25:26]
	v_add_co_u32 v33, vcc_lo, s10, v33
	v_add_co_ci_u32_e32 v34, vcc_lo, s11, v34, vcc_lo
	v_mov_b32_e32 v25, v26
	v_add_co_u32 v39, vcc_lo, s10, v20
	v_add_co_ci_u32_e32 v40, vcc_lo, s11, v21, vcc_lo
	s_clause 0x7
	global_load_u16 v23, v[22:23], off
	global_load_u16 v22, v[27:28], off
	;; [unrolled: 1-line block ×8, first 2 shown]
	s_cbranch_execnz .LBB62_6
	s_branch .LBB62_17
.LBB62_16:                              ;   in Loop: Header=BB62_8 Depth=1
                                        ; implicit-def: $vgpr16
                                        ; implicit-def: $vgpr17
                                        ; implicit-def: $vgpr18
                                        ; implicit-def: $vgpr19
                                        ; implicit-def: $vgpr20
                                        ; implicit-def: $vgpr21
                                        ; implicit-def: $vgpr22
                                        ; implicit-def: $vgpr23
.LBB62_17:                              ;   in Loop: Header=BB62_8 Depth=1
	s_waitcnt vmcnt(6)
	v_dual_mov_b32 v25, v26 :: v_dual_mov_b32 v22, 0
	s_waitcnt vmcnt(4)
	v_dual_mov_b32 v23, 0 :: v_dual_mov_b32 v20, 0
	;; [unrolled: 2-line block ×4, first 2 shown]
	v_mov_b32_e32 v17, 0
	s_branch .LBB62_6
.LBB62_18:
	s_nop 0
	s_sendmsg sendmsg(MSG_DEALLOC_VGPRS)
	s_endpgm
	.section	.rodata,"a",@progbits
	.p2align	6, 0x0
	.amdhsa_kernel _Z16wvSplitK_hf_sml_I6__halfLi64ELi4ELi16ELi8ELi1ELi2EEviiiiiiPKT_S3_S3_PS1_ii
		.amdhsa_group_segment_fixed_size 65536
		.amdhsa_private_segment_fixed_size 0
		.amdhsa_kernarg_size 64
		.amdhsa_user_sgpr_count 15
		.amdhsa_user_sgpr_dispatch_ptr 0
		.amdhsa_user_sgpr_queue_ptr 0
		.amdhsa_user_sgpr_kernarg_segment_ptr 1
		.amdhsa_user_sgpr_dispatch_id 0
		.amdhsa_user_sgpr_private_segment_size 0
		.amdhsa_wavefront_size32 1
		.amdhsa_uses_dynamic_stack 0
		.amdhsa_enable_private_segment 0
		.amdhsa_system_sgpr_workgroup_id_x 1
		.amdhsa_system_sgpr_workgroup_id_y 0
		.amdhsa_system_sgpr_workgroup_id_z 0
		.amdhsa_system_sgpr_workgroup_info 0
		.amdhsa_system_vgpr_workitem_id 1
		.amdhsa_next_free_vgpr 48
		.amdhsa_next_free_sgpr 21
		.amdhsa_reserve_vcc 1
		.amdhsa_float_round_mode_32 0
		.amdhsa_float_round_mode_16_64 0
		.amdhsa_float_denorm_mode_32 3
		.amdhsa_float_denorm_mode_16_64 3
		.amdhsa_dx10_clamp 1
		.amdhsa_ieee_mode 1
		.amdhsa_fp16_overflow 0
		.amdhsa_workgroup_processor_mode 1
		.amdhsa_memory_ordered 1
		.amdhsa_forward_progress 0
		.amdhsa_shared_vgpr_count 0
		.amdhsa_exception_fp_ieee_invalid_op 0
		.amdhsa_exception_fp_denorm_src 0
		.amdhsa_exception_fp_ieee_div_zero 0
		.amdhsa_exception_fp_ieee_overflow 0
		.amdhsa_exception_fp_ieee_underflow 0
		.amdhsa_exception_fp_ieee_inexact 0
		.amdhsa_exception_int_div_zero 0
	.end_amdhsa_kernel
	.section	.text._Z16wvSplitK_hf_sml_I6__halfLi64ELi4ELi16ELi8ELi1ELi2EEviiiiiiPKT_S3_S3_PS1_ii,"axG",@progbits,_Z16wvSplitK_hf_sml_I6__halfLi64ELi4ELi16ELi8ELi1ELi2EEviiiiiiPKT_S3_S3_PS1_ii,comdat
.Lfunc_end62:
	.size	_Z16wvSplitK_hf_sml_I6__halfLi64ELi4ELi16ELi8ELi1ELi2EEviiiiiiPKT_S3_S3_PS1_ii, .Lfunc_end62-_Z16wvSplitK_hf_sml_I6__halfLi64ELi4ELi16ELi8ELi1ELi2EEviiiiiiPKT_S3_S3_PS1_ii
                                        ; -- End function
	.section	.AMDGPU.csdata,"",@progbits
; Kernel info:
; codeLenInByte = 3212
; NumSgprs: 23
; NumVgprs: 48
; ScratchSize: 0
; MemoryBound: 0
; FloatMode: 240
; IeeeMode: 1
; LDSByteSize: 65536 bytes/workgroup (compile time only)
; SGPRBlocks: 2
; VGPRBlocks: 5
; NumSGPRsForWavesPerEU: 23
; NumVGPRsForWavesPerEU: 48
; Occupancy: 16
; WaveLimiterHint : 0
; COMPUTE_PGM_RSRC2:SCRATCH_EN: 0
; COMPUTE_PGM_RSRC2:USER_SGPR: 15
; COMPUTE_PGM_RSRC2:TRAP_HANDLER: 0
; COMPUTE_PGM_RSRC2:TGID_X_EN: 1
; COMPUTE_PGM_RSRC2:TGID_Y_EN: 0
; COMPUTE_PGM_RSRC2:TGID_Z_EN: 0
; COMPUTE_PGM_RSRC2:TIDIG_COMP_CNT: 1
	.section	.text._Z12wvSplitK_hf_I6__halfLi64ELi4ELi16ELi8ELi1ELi2EEviiiiiiPKT_S3_S3_PS1_ii,"axG",@progbits,_Z12wvSplitK_hf_I6__halfLi64ELi4ELi16ELi8ELi1ELi2EEviiiiiiPKT_S3_S3_PS1_ii,comdat
	.protected	_Z12wvSplitK_hf_I6__halfLi64ELi4ELi16ELi8ELi1ELi2EEviiiiiiPKT_S3_S3_PS1_ii ; -- Begin function _Z12wvSplitK_hf_I6__halfLi64ELi4ELi16ELi8ELi1ELi2EEviiiiiiPKT_S3_S3_PS1_ii
	.globl	_Z12wvSplitK_hf_I6__halfLi64ELi4ELi16ELi8ELi1ELi2EEviiiiiiPKT_S3_S3_PS1_ii
	.p2align	8
	.type	_Z12wvSplitK_hf_I6__halfLi64ELi4ELi16ELi8ELi1ELi2EEviiiiiiPKT_S3_S3_PS1_ii,@function
_Z12wvSplitK_hf_I6__halfLi64ELi4ELi16ELi8ELi1ELi2EEviiiiiiPKT_S3_S3_PS1_ii: ; @_Z12wvSplitK_hf_I6__halfLi64ELi4ELi16ELi8ELi1ELi2EEviiiiiiPKT_S3_S3_PS1_ii
; %bb.0:
	s_clause 0x1
	s_load_b64 s[20:21], s[0:1], 0x38
	s_load_b128 s[8:11], s[0:1], 0x0
	v_bfe_u32 v7, v0, 10, 10
	s_clause 0x1
	s_load_b64 s[12:13], s[0:1], 0x20
	s_load_b64 s[16:17], s[0:1], 0x10
	s_mov_b32 s4, 1
	s_delay_alu instid0(SALU_CYCLE_1) | instskip(SKIP_4) | instid1(SALU_CYCLE_1)
	s_mov_b32 s5, s4
	s_mov_b32 s6, s4
	;; [unrolled: 1-line block ×3, first 2 shown]
	s_waitcnt lgkmcnt(0)
	s_mul_i32 s15, s15, s20
	v_add_lshl_u32 v29, s15, v7, 2
	s_delay_alu instid0(VALU_DEP_1) | instskip(SKIP_1) | instid1(VALU_DEP_2)
	v_add_nc_u32_e32 v1, 4, v29
	v_cmp_gt_u32_e32 vcc_lo, s11, v29
	v_cmp_le_u32_e64 s2, s11, v1
	v_dual_mov_b32 v1, s4 :: v_dual_mov_b32 v4, s7
	v_dual_mov_b32 v2, s5 :: v_dual_mov_b32 v3, s6
	s_delay_alu instid0(VALU_DEP_3) | instskip(NEXT) | instid1(SALU_CYCLE_1)
	s_and_b32 s2, vcc_lo, s2
	s_and_saveexec_b32 s14, s2
	s_cbranch_execz .LBB63_6
; %bb.1:
	v_dual_mov_b32 v1, s4 :: v_dual_mov_b32 v2, s5
	v_dual_mov_b32 v3, s6 :: v_dual_mov_b32 v4, s7
	s_add_i32 s15, s11, -4
	s_mov_b32 s18, exec_lo
	v_cmpx_ne_u32_e64 s15, v29
	s_cbranch_execz .LBB63_5
; %bb.2:
	v_subrev_nc_u32_e32 v1, s15, v29
	s_mov_b32 s19, 0
	s_mov_b64 s[2:3], 0
	s_mov_b32 s5, s4
	s_mov_b32 s6, s4
	v_cmp_lt_u32_e32 vcc_lo, 1, v1
	s_mov_b32 s7, s4
	v_cndmask_b32_e32 v5, 1, v1, vcc_lo
	.p2align	6
.LBB63_3:                               ; =>This Inner Loop Header: Depth=1
	s_cmp_lg_u32 s2, 3
	s_cselect_b32 s7, s7, 0
	s_cmp_lg_u32 s2, 2
	s_cselect_b32 s6, s6, 0
	;; [unrolled: 2-line block ×4, first 2 shown]
	s_add_u32 s2, s2, 1
	v_dual_mov_b32 v1, s4 :: v_dual_mov_b32 v2, s5
	v_cmp_eq_u32_e32 vcc_lo, s2, v5
	v_dual_mov_b32 v3, s6 :: v_dual_mov_b32 v4, s7
	s_addc_u32 s3, s3, 0
	s_or_b32 s19, vcc_lo, s19
	s_delay_alu instid0(SALU_CYCLE_1)
	s_and_not1_b32 exec_lo, exec_lo, s19
	s_cbranch_execnz .LBB63_3
; %bb.4:
	s_or_b32 exec_lo, exec_lo, s19
	v_mov_b32_e32 v29, s15
.LBB63_5:
	s_or_b32 exec_lo, exec_lo, s18
.LBB63_6:
	s_delay_alu instid0(SALU_CYCLE_1)
	s_or_b32 exec_lo, exec_lo, s14
	s_load_b64 s[6:7], s[0:1], 0x28
	v_and_b32_e32 v8, 0x3ff, v0
	s_lshl_b32 s22, s10, 1
	s_mov_b32 s4, exec_lo
	s_min_u32 s3, s22, 0x8000
	s_delay_alu instid0(VALU_DEP_1) | instskip(NEXT) | instid1(VALU_DEP_1)
	v_lshlrev_b32_e32 v0, 3, v8
	v_lshl_add_u32 v9, v7, 9, v0
	s_delay_alu instid0(VALU_DEP_1)
	v_cmpx_gt_u32_e64 s3, v9
	s_cbranch_execz .LBB63_9
; %bb.7:
	v_lshlrev_b32_e32 v10, 10, v7
	v_lshlrev_b32_e32 v11, 4, v8
	s_mov_b32 s5, 0
	s_delay_alu instid0(VALU_DEP_1) | instskip(NEXT) | instid1(VALU_DEP_1)
	v_add_co_u32 v5, s2, v10, v11
	v_add_co_ci_u32_e64 v6, null, 0, 0, s2
	v_add_nc_u32_e32 v10, v10, v11
	s_delay_alu instid0(VALU_DEP_3) | instskip(NEXT) | instid1(VALU_DEP_3)
	v_add_co_u32 v5, vcc_lo, s12, v5
	v_add_co_ci_u32_e32 v6, vcc_lo, s13, v6, vcc_lo
	.p2align	6
.LBB63_8:                               ; =>This Inner Loop Header: Depth=1
	global_load_b128 v[11:14], v[5:6], off
	v_add_nc_u32_e32 v9, 0x2000, v9
	v_add_co_u32 v5, vcc_lo, 0x4000, v5
	v_add_co_ci_u32_e32 v6, vcc_lo, 0, v6, vcc_lo
	s_delay_alu instid0(VALU_DEP_3) | instskip(NEXT) | instid1(VALU_DEP_1)
	v_cmp_le_u32_e64 s2, s3, v9
	s_or_b32 s5, s2, s5
	s_waitcnt vmcnt(0)
	ds_store_b128 v10, v[11:14]
	v_add_nc_u32_e32 v10, 0x4000, v10
	s_and_not1_b32 exec_lo, exec_lo, s5
	s_cbranch_execnz .LBB63_8
.LBB63_9:
	s_or_b32 exec_lo, exec_lo, s4
	v_cmp_gt_u32_e32 vcc_lo, s20, v7
	v_cmp_gt_u32_e64 s2, s11, v29
	s_waitcnt lgkmcnt(0)
	s_barrier
	buffer_gl0_inv
	s_and_b32 s2, vcc_lo, s2
	s_delay_alu instid0(SALU_CYCLE_1)
	s_and_saveexec_b32 s3, s2
	s_cbranch_execz .LBB63_50
; %bb.10:
	v_cvt_f32_u32_e32 v5, s16
	s_cmp_lg_u32 s8, 0
	s_clause 0x1
	s_load_b64 s[14:15], s[0:1], 0x18
	s_load_b64 s[18:19], s[0:1], 0x30
	s_cselect_b32 s23, -1, 0
	s_add_i32 s24, s8, -8
	v_rcp_iflag_f32_e32 v5, v5
	s_add_i32 s25, s11, -1
	s_cmp_lg_u64 s[6:7], 0
	s_mul_i32 s1, s20, s21
	s_cselect_b32 s26, -1, 0
	s_sub_i32 s2, 0, s16
	s_lshl_b32 s20, s1, 2
	s_abs_i32 s1, s17
	s_add_i32 s21, s11, -4
	v_cmp_eq_u32_e64 s0, 63, v8
	s_waitcnt_depctr 0xfff
	v_dual_mul_f32 v5, 0x4f7ffffe, v5 :: v_dual_add_nc_u32 v46, s10, v0
	v_mov_b32_e32 v31, 0
	v_lshlrev_b32_e32 v45, 4, v8
	v_mbcnt_lo_u32_b32 v48, -1, 0
	s_delay_alu instid0(VALU_DEP_4) | instskip(SKIP_1) | instid1(VALU_DEP_1)
	v_cvt_u32_f32_e32 v5, v5
	s_mov_b32 s10, 0
	v_mul_lo_u32 v6, s2, v5
	s_sub_i32 s2, 1, s1
	s_cmp_lt_u32 s1, 2
	s_cselect_b32 s2, s2, 1
	s_delay_alu instid0(SALU_CYCLE_1) | instskip(SKIP_1) | instid1(VALU_DEP_1)
	s_sub_i32 s3, s2, s1
	s_cmp_ge_u32 s2, s1
	v_mul_hi_u32 v6, v5, v6
	s_cselect_b32 s17, s3, s2
	s_delay_alu instid0(SALU_CYCLE_1) | instskip(NEXT) | instid1(VALU_DEP_1)
	s_mul_i32 s17, s17, s16
	v_add_nc_u32_e32 v47, v5, v6
	s_branch .LBB63_13
.LBB63_11:                              ;   in Loop: Header=BB63_13 Depth=1
	s_or_b32 exec_lo, exec_lo, s28
	v_mov_b32_e32 v29, s21
.LBB63_12:                              ;   in Loop: Header=BB63_13 Depth=1
	s_or_b32 exec_lo, exec_lo, s27
	s_delay_alu instid0(VALU_DEP_1) | instskip(SKIP_1) | instid1(SALU_CYCLE_1)
	v_cmp_le_u32_e32 vcc_lo, s11, v29
	s_or_b32 s10, vcc_lo, s10
	s_and_not1_b32 exec_lo, exec_lo, s10
	s_cbranch_execz .LBB63_50
.LBB63_13:                              ; =>This Loop Header: Depth=1
                                        ;     Child Loop BB63_17 Depth 2
                                        ;     Child Loop BB63_41 Depth 2
	v_dual_mov_b32 v55, v31 :: v_dual_add_nc_u32 v34, 1, v29
	v_dual_mov_b32 v56, v31 :: v_dual_add_nc_u32 v33, 2, v29
	;; [unrolled: 1-line block ×3, first 2 shown]
	v_mov_b32_e32 v54, v31
	v_mov_b32_e32 v49, v31
	;; [unrolled: 1-line block ×5, first 2 shown]
	s_and_not1_b32 vcc_lo, exec_lo, s23
	s_cbranch_vccnz .LBB63_26
; %bb.14:                               ;   in Loop: Header=BB63_13 Depth=1
	v_min_u32_e32 v5, s25, v29
	s_waitcnt lgkmcnt(0)
	v_min_u32_e32 v6, s25, v34
	v_min_u32_e32 v7, s25, v33
	;; [unrolled: 1-line block ×3, first 2 shown]
	v_dual_mov_b32 v10, v31 :: v_dual_mov_b32 v49, 0
	v_mul_lo_u32 v30, v5, s9
	v_mul_lo_u32 v5, v6, s9
	;; [unrolled: 1-line block ×4, first 2 shown]
	v_dual_mov_b32 v6, v31 :: v_dual_mov_b32 v57, v45
	v_dual_mov_b32 v8, v31 :: v_dual_mov_b32 v51, 0
	v_lshlrev_b64 v[35:36], 1, v[30:31]
	s_delay_alu instid0(VALU_DEP_3) | instskip(SKIP_1) | instid1(VALU_DEP_4)
	v_lshlrev_b64 v[37:38], 1, v[5:6]
	v_dual_mov_b32 v50, 0 :: v_dual_mov_b32 v53, 0
	v_lshlrev_b64 v[39:40], 1, v[7:8]
	v_lshlrev_b64 v[41:42], 1, v[9:10]
	v_dual_mov_b32 v52, 0 :: v_dual_mov_b32 v55, 0
	v_mov_b32_e32 v54, 0
	v_mov_b32_e32 v56, 0
	s_mov_b32 s1, 0
	s_branch .LBB63_17
.LBB63_15:                              ;   in Loop: Header=BB63_17 Depth=2
	s_or_b32 exec_lo, exec_lo, s3
.LBB63_16:                              ;   in Loop: Header=BB63_17 Depth=2
	s_delay_alu instid0(SALU_CYCLE_1)
	s_or_b32 exec_lo, exec_lo, s2
	v_add_nc_u32_e32 v57, 0x400, v57
	s_addk_i32 s1, 0x200
	s_waitcnt vmcnt(0) lgkmcnt(0)
	;;#ASMSTART
	v_dot2_f32_f16 v56, v25, v17, v56
	;;#ASMEND
	;;#ASMSTART
	v_dot2_f32_f16 v55, v25, v13, v55
	;;#ASMEND
	;; [unrolled: 3-line block ×16, first 2 shown]
	s_cmp_ge_u32 s1, s8
	;;#ASMSTART
	v_dot2_f32_f16 v56, v27, v19, v56
	;;#ASMEND
	;;#ASMSTART
	v_dot2_f32_f16 v55, v27, v15, v55
	;;#ASMEND
	;; [unrolled: 3-line block ×16, first 2 shown]
	s_cbranch_scc1 .LBB63_26
.LBB63_17:                              ;   Parent Loop BB63_13 Depth=1
                                        ; =>  This Inner Loop Header: Depth=2
	s_waitcnt vmcnt(3)
	v_dual_mov_b32 v24, 0 :: v_dual_add_nc_u32 v43, s1, v0
	s_waitcnt vmcnt(2)
	v_mov_b32_e32 v23, 0
	v_dual_mov_b32 v27, 0 :: v_dual_mov_b32 v26, 0
	s_delay_alu instid0(VALU_DEP_3) | instskip(SKIP_3) | instid1(VALU_DEP_3)
	v_min_u32_e32 v30, s24, v43
	v_mov_b32_e32 v25, 0
	s_mov_b32 s2, exec_lo
	v_mov_b32_e32 v28, 0
	v_lshlrev_b64 v[5:6], 1, v[30:31]
	s_waitcnt lgkmcnt(0)
	s_delay_alu instid0(VALU_DEP_1) | instskip(NEXT) | instid1(VALU_DEP_2)
	v_add_co_u32 v11, vcc_lo, s14, v5
	v_add_co_ci_u32_e32 v12, vcc_lo, s15, v6, vcc_lo
	s_delay_alu instid0(VALU_DEP_2) | instskip(NEXT) | instid1(VALU_DEP_2)
	v_add_co_u32 v5, vcc_lo, v11, v35
	v_add_co_ci_u32_e32 v6, vcc_lo, v12, v36, vcc_lo
	v_add_co_u32 v7, vcc_lo, v11, v37
	v_add_co_ci_u32_e32 v8, vcc_lo, v12, v38, vcc_lo
	;; [unrolled: 2-line block ×3, first 2 shown]
	s_waitcnt vmcnt(0)
	v_add_co_u32 v21, vcc_lo, v11, v41
	v_add_co_ci_u32_e32 v22, vcc_lo, v12, v42, vcc_lo
	s_clause 0x3
	global_load_b128 v[17:20], v[5:6], off slc dlc
	global_load_b128 v[13:16], v[7:8], off slc dlc
	;; [unrolled: 1-line block ×4, first 2 shown]
	v_dual_mov_b32 v22, 0 :: v_dual_mov_b32 v21, 0
	v_cmpx_gt_u32_e64 s8, v43
	s_cbranch_execz .LBB63_16
; %bb.18:                               ;   in Loop: Header=BB63_17 Depth=2
	s_mov_b32 s3, exec_lo
                                        ; implicit-def: $vgpr28
	v_cmpx_lt_u32_e32 0x7fff, v43
	s_xor_b32 s3, exec_lo, s3
	s_cbranch_execz .LBB63_20
; %bb.19:                               ;   in Loop: Header=BB63_17 Depth=2
	v_mov_b32_e32 v44, v31
	s_delay_alu instid0(VALU_DEP_1) | instskip(NEXT) | instid1(VALU_DEP_1)
	v_lshlrev_b64 v[21:22], 1, v[43:44]
	v_add_co_u32 v21, vcc_lo, s12, v21
	s_delay_alu instid0(VALU_DEP_2)
	v_add_co_ci_u32_e32 v22, vcc_lo, s13, v22, vcc_lo
	global_load_b128 v[25:28], v[21:22], off
.LBB63_20:                              ;   in Loop: Header=BB63_17 Depth=2
	s_and_not1_saveexec_b32 s3, s3
	s_cbranch_execz .LBB63_22
; %bb.21:                               ;   in Loop: Header=BB63_17 Depth=2
	s_waitcnt vmcnt(0)
	ds_load_b128 v[25:28], v57
.LBB63_22:                              ;   in Loop: Header=BB63_17 Depth=2
	s_or_b32 exec_lo, exec_lo, s3
	v_add_nc_u32_e32 v30, s1, v46
	s_mov_b32 s3, exec_lo
                                        ; implicit-def: $vgpr24
	s_delay_alu instid0(VALU_DEP_1)
	v_cmpx_lt_u32_e32 0x7fff, v30
	s_xor_b32 s3, exec_lo, s3
	s_cbranch_execz .LBB63_24
; %bb.23:                               ;   in Loop: Header=BB63_17 Depth=2
	v_lshlrev_b64 v[21:22], 1, v[30:31]
	s_delay_alu instid0(VALU_DEP_1) | instskip(NEXT) | instid1(VALU_DEP_2)
	v_add_co_u32 v21, vcc_lo, s12, v21
	v_add_co_ci_u32_e32 v22, vcc_lo, s13, v22, vcc_lo
	global_load_b128 v[21:24], v[21:22], off
.LBB63_24:                              ;   in Loop: Header=BB63_17 Depth=2
	s_and_not1_saveexec_b32 s3, s3
	s_cbranch_execz .LBB63_15
; %bb.25:                               ;   in Loop: Header=BB63_17 Depth=2
	s_waitcnt vmcnt(0)
	v_add_nc_u32_e32 v21, s22, v57
	ds_load_b128 v[21:24], v21
	s_branch .LBB63_15
.LBB63_26:                              ;   in Loop: Header=BB63_13 Depth=1
	v_cvt_i32_f32_e32 v5, v56
	s_waitcnt lgkmcnt(0)
	v_cvt_i32_f32_e32 v6, v55
	v_cvt_i32_f32_e32 v7, v54
	v_xor_b32_e32 v8, 16, v48
	v_cvt_i32_f32_e32 v9, v53
	v_cvt_f32_i32_dpp v5, v5 row_shr:8 row_mask:0xf bank_mask:0xf bound_ctrl:1
	v_cvt_f32_i32_dpp v6, v6 row_shr:8 row_mask:0xf bank_mask:0xf bound_ctrl:1
	v_cvt_f32_i32_dpp v7, v7 row_shr:8 row_mask:0xf bank_mask:0xf bound_ctrl:1
	v_cmp_gt_i32_e32 vcc_lo, 32, v8
	v_cvt_i32_f32_e32 v11, v52
	s_delay_alu instid0(VALU_DEP_4) | instskip(NEXT) | instid1(VALU_DEP_4)
	v_dual_add_f32 v5, v56, v5 :: v_dual_add_f32 v6, v55, v6
	v_dual_add_f32 v7, v54, v7 :: v_dual_cndmask_b32 v8, v48, v8
	v_cvt_f32_i32_dpp v9, v9 row_shr:8 row_mask:0xf bank_mask:0xf bound_ctrl:1
	s_delay_alu instid0(VALU_DEP_3) | instskip(NEXT) | instid1(VALU_DEP_4)
	v_cvt_i32_f32_e32 v12, v5
	v_cvt_i32_f32_e32 v13, v6
	s_delay_alu instid0(VALU_DEP_4)
	v_cvt_i32_f32_e32 v14, v7
	v_cvt_i32_f32_e32 v10, v50
	v_cvt_i32_f32_e32 v16, v49
	v_cvt_f32_i32_dpp v12, v12 row_shr:4 row_mask:0xf bank_mask:0xf bound_ctrl:1
	v_cvt_f32_i32_dpp v13, v13 row_shr:4 row_mask:0xf bank_mask:0xf bound_ctrl:1
	;; [unrolled: 1-line block ×4, first 2 shown]
	s_waitcnt vmcnt(0)
	v_dual_add_f32 v8, v53, v9 :: v_dual_lshlrev_b32 v21, 2, v8
	v_dual_add_f32 v5, v5, v12 :: v_dual_add_f32 v6, v6, v13
	v_cvt_f32_i32_dpp v10, v10 row_shr:8 row_mask:0xf bank_mask:0xf bound_ctrl:1
	v_cvt_f32_i32_dpp v16, v16 row_shr:8 row_mask:0xf bank_mask:0xf bound_ctrl:1
	v_add_f32_e32 v11, v52, v11
	s_delay_alu instid0(VALU_DEP_4)
	v_cvt_i32_f32_e32 v12, v5
	v_cvt_i32_f32_e32 v13, v6
	;; [unrolled: 1-line block ×3, first 2 shown]
	v_add_f32_e32 v17, v49, v16
	v_cvt_i32_f32_e32 v15, v51
	v_cvt_f32_i32_dpp v12, v12 row_shr:2 row_mask:0xf bank_mask:0xf bound_ctrl:1
	v_cvt_f32_i32_dpp v13, v13 row_shr:2 row_mask:0xf bank_mask:0xf bound_ctrl:1
	v_add_f32_e32 v7, v7, v14
	s_delay_alu instid0(VALU_DEP_4) | instskip(NEXT) | instid1(VALU_DEP_3)
	v_cvt_f32_i32_dpp v15, v15 row_shr:8 row_mask:0xf bank_mask:0xf bound_ctrl:1
	v_add_f32_e32 v6, v6, v13
	s_delay_alu instid0(VALU_DEP_3) | instskip(NEXT) | instid1(VALU_DEP_1)
	v_cvt_i32_f32_e32 v14, v7
	v_cvt_f32_i32_dpp v14, v14 row_shr:2 row_mask:0xf bank_mask:0xf bound_ctrl:1
	s_delay_alu instid0(VALU_DEP_1) | instskip(NEXT) | instid1(VALU_DEP_1)
	v_add_f32_e32 v7, v7, v14
	v_cvt_i32_f32_e32 v13, v7
	s_delay_alu instid0(VALU_DEP_1) | instskip(SKIP_2) | instid1(VALU_DEP_1)
	v_cvt_f32_i32_dpp v13, v13 row_shr:1 row_mask:0xf bank_mask:0xf bound_ctrl:1
	v_add_f32_e32 v5, v5, v12
	v_cvt_i32_f32_e32 v12, v6
	v_cvt_f32_i32_dpp v12, v12 row_shr:1 row_mask:0xf bank_mask:0xf bound_ctrl:1
	s_delay_alu instid0(VALU_DEP_1)
	v_add_f32_e32 v16, v6, v12
	v_add_f32_e32 v12, v7, v13
	v_cvt_i32_f32_e32 v6, v11
	v_cvt_f32_i32_dpp v13, v22 row_shr:4 row_mask:0xf bank_mask:0xf bound_ctrl:1
	v_add_f32_e32 v9, v50, v10
	v_cvt_i32_f32_e32 v10, v5
	ds_bpermute_b32 v18, v21, v16
	v_cvt_f32_i32_dpp v6, v6 row_shr:4 row_mask:0xf bank_mask:0xf bound_ctrl:1
	v_add_f32_e32 v8, v8, v13
	ds_bpermute_b32 v14, v21, v12
	v_cvt_f32_i32_dpp v10, v10 row_shr:1 row_mask:0xf bank_mask:0xf bound_ctrl:1
	v_add_f32_e32 v6, v11, v6
	s_delay_alu instid0(VALU_DEP_2) | instskip(SKIP_2) | instid1(VALU_DEP_4)
	v_add_f32_e32 v19, v5, v10
	v_cvt_i32_f32_e32 v5, v9
	v_cvt_i32_f32_e32 v10, v17
	v_cvt_i32_f32_e32 v13, v6
	ds_bpermute_b32 v20, v21, v19
	v_cvt_f32_i32_dpp v5, v5 row_shr:4 row_mask:0xf bank_mask:0xf bound_ctrl:1
	v_cvt_f32_i32_dpp v10, v10 row_shr:4 row_mask:0xf bank_mask:0xf bound_ctrl:1
	;; [unrolled: 1-line block ×3, first 2 shown]
	s_delay_alu instid0(VALU_DEP_3) | instskip(NEXT) | instid1(VALU_DEP_3)
	v_add_f32_e32 v5, v9, v5
	v_add_f32_e32 v9, v17, v10
	v_cvt_i32_f32_e32 v10, v8
	s_delay_alu instid0(VALU_DEP_4) | instskip(NEXT) | instid1(VALU_DEP_4)
	v_add_f32_e32 v6, v6, v13
	v_cvt_i32_f32_e32 v11, v5
	s_delay_alu instid0(VALU_DEP_4) | instskip(NEXT) | instid1(VALU_DEP_4)
	v_cvt_i32_f32_e32 v17, v9
	v_cvt_f32_i32_dpp v10, v10 row_shr:2 row_mask:0xf bank_mask:0xf bound_ctrl:1
	v_add_f32_e32 v15, v51, v15
	v_cvt_i32_f32_e32 v13, v6
	v_cvt_f32_i32_dpp v11, v11 row_shr:2 row_mask:0xf bank_mask:0xf bound_ctrl:1
	v_cvt_f32_i32_dpp v17, v17 row_shr:2 row_mask:0xf bank_mask:0xf bound_ctrl:1
	v_add_f32_e32 v8, v8, v10
	v_cvt_i32_f32_e32 v7, v15
	v_cvt_f32_i32_dpp v13, v13 row_shr:1 row_mask:0xf bank_mask:0xf bound_ctrl:1
	v_add_f32_e32 v5, v5, v11
	v_add_f32_e32 v10, v9, v17
	v_cvt_i32_f32_e32 v9, v8
	v_cvt_f32_i32_dpp v7, v7 row_shr:4 row_mask:0xf bank_mask:0xf bound_ctrl:1
	s_delay_alu instid0(VALU_DEP_4) | instskip(NEXT) | instid1(VALU_DEP_4)
	v_cvt_i32_f32_e32 v11, v5
	v_cvt_i32_f32_e32 v17, v10
	s_delay_alu instid0(VALU_DEP_4) | instskip(NEXT) | instid1(VALU_DEP_4)
	v_cvt_f32_i32_dpp v9, v9 row_shr:1 row_mask:0xf bank_mask:0xf bound_ctrl:1
	v_add_f32_e32 v7, v15, v7
	s_delay_alu instid0(VALU_DEP_4) | instskip(NEXT) | instid1(VALU_DEP_4)
	v_cvt_f32_i32_dpp v11, v11 row_shr:1 row_mask:0xf bank_mask:0xf bound_ctrl:1
	v_cvt_f32_i32_dpp v17, v17 row_shr:1 row_mask:0xf bank_mask:0xf bound_ctrl:1
	s_delay_alu instid0(VALU_DEP_3) | instskip(NEXT) | instid1(VALU_DEP_3)
	v_cvt_i32_f32_e32 v15, v7
	v_add_f32_e32 v11, v5, v11
	s_delay_alu instid0(VALU_DEP_3) | instskip(NEXT) | instid1(VALU_DEP_3)
	v_add_f32_e32 v5, v10, v17
	v_cvt_f32_i32_dpp v15, v15 row_shr:2 row_mask:0xf bank_mask:0xf bound_ctrl:1
	s_delay_alu instid0(VALU_DEP_1) | instskip(NEXT) | instid1(VALU_DEP_1)
	v_add_f32_e32 v7, v7, v15
	v_cvt_i32_f32_e32 v15, v7
	s_delay_alu instid0(VALU_DEP_1)
	v_cvt_f32_i32_dpp v22, v15 row_shr:1 row_mask:0xf bank_mask:0xf bound_ctrl:1
	v_add_f32_e32 v15, v8, v9
	v_add_f32_e32 v9, v6, v13
	ds_bpermute_b32 v13, v21, v11
	ds_bpermute_b32 v6, v21, v5
	v_add_f32_e32 v7, v7, v22
	ds_bpermute_b32 v17, v21, v15
	ds_bpermute_b32 v10, v21, v9
	ds_bpermute_b32 v8, v21, v7
	s_and_saveexec_b32 s5, s0
	s_cbranch_execz .LBB63_38
; %bb.27:                               ;   in Loop: Header=BB63_13 Depth=1
	v_dual_mov_b32 v28, 0 :: v_dual_mov_b32 v27, 0
	v_dual_mov_b32 v26, 0 :: v_dual_mov_b32 v25, 0
	;; [unrolled: 1-line block ×4, first 2 shown]
	s_and_not1_b32 vcc_lo, exec_lo, s26
	s_cbranch_vccnz .LBB63_29
; %bb.28:                               ;   in Loop: Header=BB63_13 Depth=1
	v_mul_hi_u32 v21, v29, v47
	v_mul_hi_u32 v22, v34, v47
	;; [unrolled: 1-line block ×4, first 2 shown]
	s_delay_alu instid0(VALU_DEP_4) | instskip(NEXT) | instid1(VALU_DEP_4)
	v_mul_lo_u32 v21, v21, s16
	v_mul_lo_u32 v25, v22, s16
	s_delay_alu instid0(VALU_DEP_4) | instskip(NEXT) | instid1(VALU_DEP_4)
	v_mul_lo_u32 v23, v23, s16
	v_mul_lo_u32 v24, v24, s16
	s_delay_alu instid0(VALU_DEP_4) | instskip(NEXT) | instid1(VALU_DEP_4)
	v_sub_nc_u32_e32 v21, v29, v21
	v_sub_nc_u32_e32 v25, v34, v25
	s_delay_alu instid0(VALU_DEP_4) | instskip(NEXT) | instid1(VALU_DEP_4)
	v_sub_nc_u32_e32 v23, v33, v23
	v_sub_nc_u32_e32 v26, v32, v24
	s_delay_alu instid0(VALU_DEP_4)
	v_subrev_nc_u32_e32 v27, s16, v21
	v_cmp_le_u32_e32 vcc_lo, s16, v21
	v_mov_b32_e32 v22, v31
	v_subrev_nc_u32_e32 v28, s16, v25
	v_subrev_nc_u32_e32 v30, s16, v23
	;; [unrolled: 1-line block ×3, first 2 shown]
	v_cndmask_b32_e32 v21, v21, v27, vcc_lo
	v_cmp_le_u32_e32 vcc_lo, s16, v25
	v_mov_b32_e32 v24, v31
	s_delay_alu instid0(VALU_DEP_3) | instskip(SKIP_2) | instid1(VALU_DEP_2)
	v_subrev_nc_u32_e32 v27, s16, v21
	v_cndmask_b32_e32 v25, v25, v28, vcc_lo
	v_cmp_le_u32_e32 vcc_lo, s16, v23
	v_subrev_nc_u32_e32 v28, s16, v25
	v_cndmask_b32_e32 v23, v23, v30, vcc_lo
	v_cmp_le_u32_e32 vcc_lo, s16, v26
	v_dual_cndmask_b32 v35, v26, v35 :: v_dual_mov_b32 v26, v31
	v_cmp_le_u32_e32 vcc_lo, s16, v21
	s_delay_alu instid0(VALU_DEP_2)
	v_subrev_nc_u32_e32 v37, s16, v35
	v_cndmask_b32_e32 v30, v21, v27, vcc_lo
	v_cmp_le_u32_e32 vcc_lo, s16, v25
	v_subrev_nc_u32_e32 v36, s16, v23
	v_cndmask_b32_e32 v21, v25, v28, vcc_lo
	v_cmp_le_u32_e32 vcc_lo, s16, v23
	v_lshlrev_b64 v[27:28], 1, v[30:31]
	s_delay_alu instid0(VALU_DEP_4) | instskip(SKIP_1) | instid1(VALU_DEP_2)
	v_dual_cndmask_b32 v23, v23, v36 :: v_dual_add_nc_u32 v30, s17, v30
	v_cmp_le_u32_e32 vcc_lo, s16, v35
	v_lshlrev_b64 v[41:42], 1, v[30:31]
	v_add_nc_u32_e32 v30, s17, v21
	v_cndmask_b32_e32 v25, v35, v37, vcc_lo
	v_lshlrev_b64 v[35:36], 1, v[21:22]
	v_lshlrev_b64 v[37:38], 1, v[23:24]
	v_add_co_u32 v27, vcc_lo, s6, v27
	v_add_co_ci_u32_e32 v28, vcc_lo, s7, v28, vcc_lo
	s_delay_alu instid0(VALU_DEP_4) | instskip(SKIP_4) | instid1(VALU_DEP_4)
	v_add_co_u32 v35, vcc_lo, s6, v35
	v_lshlrev_b64 v[39:40], 1, v[25:26]
	v_add_co_ci_u32_e32 v36, vcc_lo, s7, v36, vcc_lo
	v_add_co_u32 v37, vcc_lo, s6, v37
	v_add_co_ci_u32_e32 v38, vcc_lo, s7, v38, vcc_lo
	v_add_co_u32 v21, vcc_lo, s6, v39
	v_add_co_ci_u32_e32 v22, vcc_lo, s7, v40, vcc_lo
	v_lshlrev_b64 v[39:40], 1, v[30:31]
	v_add_nc_u32_e32 v30, s17, v23
	v_add_co_u32 v23, vcc_lo, s6, v41
	v_add_co_ci_u32_e32 v24, vcc_lo, s7, v42, vcc_lo
	s_delay_alu instid0(VALU_DEP_3) | instskip(SKIP_3) | instid1(VALU_DEP_3)
	v_lshlrev_b64 v[41:42], 1, v[30:31]
	v_add_nc_u32_e32 v30, s17, v25
	v_add_co_u32 v39, vcc_lo, s6, v39
	v_add_co_ci_u32_e32 v40, vcc_lo, s7, v40, vcc_lo
	v_lshlrev_b64 v[25:26], 1, v[30:31]
	v_add_co_u32 v41, vcc_lo, s6, v41
	v_add_co_ci_u32_e32 v42, vcc_lo, s7, v42, vcc_lo
	s_delay_alu instid0(VALU_DEP_3) | instskip(NEXT) | instid1(VALU_DEP_4)
	v_add_co_u32 v43, vcc_lo, s6, v25
	v_add_co_ci_u32_e32 v44, vcc_lo, s7, v26, vcc_lo
	s_clause 0x7
	global_load_u16 v28, v[27:28], off
	global_load_u16 v27, v[35:36], off
	;; [unrolled: 1-line block ×8, first 2 shown]
.LBB63_29:                              ;   in Loop: Header=BB63_13 Depth=1
	v_cmp_ne_u32_e32 vcc_lo, 0, v1
	s_and_saveexec_b32 s2, vcc_lo
	s_cbranch_execnz .LBB63_43
; %bb.30:                               ;   in Loop: Header=BB63_13 Depth=1
	s_or_b32 exec_lo, exec_lo, s2
	v_cmp_ne_u32_e64 s1, 0, v2
	s_delay_alu instid0(VALU_DEP_1)
	s_and_saveexec_b32 s3, s1
	s_cbranch_execnz .LBB63_44
.LBB63_31:                              ;   in Loop: Header=BB63_13 Depth=1
	s_or_b32 exec_lo, exec_lo, s3
	v_cmp_ne_u32_e64 s2, 0, v3
	s_delay_alu instid0(VALU_DEP_1)
	s_and_saveexec_b32 s4, s2
	s_cbranch_execnz .LBB63_45
.LBB63_32:                              ;   in Loop: Header=BB63_13 Depth=1
	s_or_b32 exec_lo, exec_lo, s4
	v_cmp_ne_u32_e64 s3, 0, v4
	s_delay_alu instid0(VALU_DEP_1)
	s_and_saveexec_b32 s27, s3
	s_cbranch_execnz .LBB63_46
.LBB63_33:                              ;   in Loop: Header=BB63_13 Depth=1
	s_or_b32 exec_lo, exec_lo, s27
	v_add_nc_u32_e32 v30, s11, v29
	s_and_saveexec_b32 s4, vcc_lo
	s_cbranch_execnz .LBB63_47
.LBB63_34:                              ;   in Loop: Header=BB63_13 Depth=1
	s_or_b32 exec_lo, exec_lo, s4
	s_and_saveexec_b32 s4, s1
	s_cbranch_execnz .LBB63_48
.LBB63_35:                              ;   in Loop: Header=BB63_13 Depth=1
	s_or_b32 exec_lo, exec_lo, s4
	s_and_saveexec_b32 s1, s2
	s_cbranch_execnz .LBB63_49
.LBB63_36:                              ;   in Loop: Header=BB63_13 Depth=1
	s_or_b32 exec_lo, exec_lo, s1
	s_delay_alu instid0(SALU_CYCLE_1)
	s_and_b32 exec_lo, exec_lo, s3
	s_cbranch_execz .LBB63_38
.LBB63_37:                              ;   in Loop: Header=BB63_13 Depth=1
	s_waitcnt lgkmcnt(0)
	v_add_f32_e32 v5, v5, v6
	s_waitcnt vmcnt(0)
	v_cvt_f32_f16_e32 v6, v21
	v_add_nc_u32_e32 v30, 3, v30
	s_delay_alu instid0(VALU_DEP_2) | instskip(NEXT) | instid1(VALU_DEP_2)
	v_add_f32_e32 v7, v5, v6
	v_lshlrev_b64 v[5:6], 1, v[30:31]
	s_delay_alu instid0(VALU_DEP_2) | instskip(NEXT) | instid1(VALU_DEP_2)
	v_cvt_f16_f32_e32 v7, v7
	v_add_co_u32 v5, vcc_lo, s18, v5
	s_delay_alu instid0(VALU_DEP_3)
	v_add_co_ci_u32_e32 v6, vcc_lo, s19, v6, vcc_lo
	global_store_b16 v[5:6], v7, off
.LBB63_38:                              ;   in Loop: Header=BB63_13 Depth=1
	s_or_b32 exec_lo, exec_lo, s5
	v_add_nc_u32_e32 v29, s20, v29
	s_delay_alu instid0(VALU_DEP_1) | instskip(SKIP_1) | instid1(VALU_DEP_2)
	v_add_nc_u32_e32 v5, 4, v29
	v_cmp_gt_u32_e32 vcc_lo, s11, v29
	v_cmp_le_u32_e64 s1, s11, v5
	s_delay_alu instid0(VALU_DEP_1) | instskip(NEXT) | instid1(SALU_CYCLE_1)
	s_and_b32 s1, vcc_lo, s1
	s_and_saveexec_b32 s27, s1
	s_cbranch_execz .LBB63_12
; %bb.39:                               ;   in Loop: Header=BB63_13 Depth=1
	s_mov_b32 s28, exec_lo
	v_cmpx_ne_u32_e64 s21, v29
	s_cbranch_execz .LBB63_11
; %bb.40:                               ;   in Loop: Header=BB63_13 Depth=1
	v_subrev_nc_u32_e32 v5, s21, v29
	s_mov_b32 s29, 0
	s_mov_b64 s[4:5], 0
	s_delay_alu instid0(VALU_DEP_1)
	v_cmp_lt_u32_e32 vcc_lo, 1, v5
	v_cndmask_b32_e32 v5, 1, v5, vcc_lo
	.p2align	6
.LBB63_41:                              ;   Parent Loop BB63_13 Depth=1
                                        ; =>  This Inner Loop Header: Depth=2
	s_cmp_lg_u32 s4, 3
	s_cselect_b32 vcc_lo, -1, 0
	s_cmp_lg_u32 s4, 2
	v_cndmask_b32_e32 v4, 0, v4, vcc_lo
	s_cselect_b32 s1, -1, 0
	s_cmp_lg_u32 s4, 1
	v_cndmask_b32_e64 v3, 0, v3, s1
	s_cselect_b32 s2, -1, 0
	s_cmp_lg_u32 s4, 0
	v_cndmask_b32_e64 v2, 0, v2, s2
	s_cselect_b32 s3, -1, 0
	s_add_u32 s4, s4, 1
	v_cndmask_b32_e64 v1, 0, v1, s3
	v_cmp_eq_u32_e32 vcc_lo, s4, v5
	s_addc_u32 s5, s5, 0
	s_or_b32 s29, vcc_lo, s29
	s_delay_alu instid0(SALU_CYCLE_1)
	s_and_not1_b32 exec_lo, exec_lo, s29
	s_cbranch_execnz .LBB63_41
; %bb.42:                               ;   in Loop: Header=BB63_13 Depth=1
	s_or_b32 exec_lo, exec_lo, s29
	s_branch .LBB63_11
.LBB63_43:                              ;   in Loop: Header=BB63_13 Depth=1
	s_waitcnt lgkmcnt(0)
	v_add_f32_e32 v19, v19, v20
	s_waitcnt vmcnt(7)
	v_cvt_f32_f16_e32 v20, v28
	v_mov_b32_e32 v30, v31
	s_delay_alu instid0(VALU_DEP_2) | instskip(NEXT) | instid1(VALU_DEP_2)
	v_add_f32_e32 v28, v19, v20
	v_lshlrev_b64 v[19:20], 1, v[29:30]
	s_delay_alu instid0(VALU_DEP_2) | instskip(NEXT) | instid1(VALU_DEP_2)
	v_cvt_f16_f32_e32 v28, v28
	v_add_co_u32 v19, s1, s18, v19
	s_delay_alu instid0(VALU_DEP_1) | instskip(SKIP_3) | instid1(VALU_DEP_1)
	v_add_co_ci_u32_e64 v20, s1, s19, v20, s1
	global_store_b16 v[19:20], v28, off
	s_or_b32 exec_lo, exec_lo, s2
	v_cmp_ne_u32_e64 s1, 0, v2
	s_and_saveexec_b32 s3, s1
	s_cbranch_execz .LBB63_31
.LBB63_44:                              ;   in Loop: Header=BB63_13 Depth=1
	s_waitcnt lgkmcnt(0)
	v_dual_add_f32 v16, v16, v18 :: v_dual_mov_b32 v35, v31
	s_waitcnt vmcnt(6)
	v_cvt_f32_f16_e32 v18, v27
	s_delay_alu instid0(VALU_DEP_1) | instskip(NEXT) | instid1(VALU_DEP_3)
	v_add_f32_e32 v16, v16, v18
	v_lshlrev_b64 v[18:19], 1, v[34:35]
	s_delay_alu instid0(VALU_DEP_2) | instskip(NEXT) | instid1(VALU_DEP_2)
	v_cvt_f16_f32_e32 v16, v16
	v_add_co_u32 v18, s2, s18, v18
	s_delay_alu instid0(VALU_DEP_1) | instskip(SKIP_3) | instid1(VALU_DEP_1)
	v_add_co_ci_u32_e64 v19, s2, s19, v19, s2
	global_store_b16 v[18:19], v16, off
	s_or_b32 exec_lo, exec_lo, s3
	v_cmp_ne_u32_e64 s2, 0, v3
	s_and_saveexec_b32 s4, s2
	s_cbranch_execz .LBB63_32
.LBB63_45:                              ;   in Loop: Header=BB63_13 Depth=1
	v_mov_b32_e32 v34, v31
	s_waitcnt lgkmcnt(0)
	v_add_f32_e32 v12, v12, v14
	s_waitcnt vmcnt(5)
	v_cvt_f32_f16_e32 v14, v26
	v_lshlrev_b64 v[18:19], 1, v[33:34]
	s_delay_alu instid0(VALU_DEP_2) | instskip(NEXT) | instid1(VALU_DEP_2)
	v_add_f32_e32 v12, v12, v14
	v_add_co_u32 v18, s3, s18, v18
	s_delay_alu instid0(VALU_DEP_2) | instskip(NEXT) | instid1(VALU_DEP_4)
	v_cvt_f16_f32_e32 v12, v12
	v_add_co_ci_u32_e64 v19, s3, s19, v19, s3
	global_store_b16 v[18:19], v12, off
	s_or_b32 exec_lo, exec_lo, s4
	v_cmp_ne_u32_e64 s3, 0, v4
	s_delay_alu instid0(VALU_DEP_1)
	s_and_saveexec_b32 s27, s3
	s_cbranch_execz .LBB63_33
.LBB63_46:                              ;   in Loop: Header=BB63_13 Depth=1
	s_waitcnt lgkmcnt(0)
	v_add_f32_e32 v12, v15, v17
	s_waitcnt vmcnt(4)
	v_cvt_f32_f16_e32 v14, v25
	s_delay_alu instid0(VALU_DEP_1) | instskip(NEXT) | instid1(VALU_DEP_1)
	v_dual_mov_b32 v33, v31 :: v_dual_add_f32 v12, v12, v14
	v_lshlrev_b64 v[14:15], 1, v[32:33]
	s_delay_alu instid0(VALU_DEP_2) | instskip(NEXT) | instid1(VALU_DEP_2)
	v_cvt_f16_f32_e32 v12, v12
	v_add_co_u32 v14, s4, s18, v14
	s_delay_alu instid0(VALU_DEP_1)
	v_add_co_ci_u32_e64 v15, s4, s19, v15, s4
	global_store_b16 v[14:15], v12, off
	s_or_b32 exec_lo, exec_lo, s27
	v_add_nc_u32_e32 v30, s11, v29
	s_and_saveexec_b32 s4, vcc_lo
	s_cbranch_execz .LBB63_34
.LBB63_47:                              ;   in Loop: Header=BB63_13 Depth=1
	s_waitcnt lgkmcnt(0)
	v_add_f32_e32 v11, v11, v13
	s_waitcnt vmcnt(3)
	v_cvt_f32_f16_e32 v12, v24
	s_delay_alu instid0(VALU_DEP_1) | instskip(SKIP_1) | instid1(VALU_DEP_2)
	v_add_f32_e32 v13, v11, v12
	v_lshlrev_b64 v[11:12], 1, v[30:31]
	v_cvt_f16_f32_e32 v13, v13
	s_delay_alu instid0(VALU_DEP_2) | instskip(NEXT) | instid1(VALU_DEP_3)
	v_add_co_u32 v11, vcc_lo, s18, v11
	v_add_co_ci_u32_e32 v12, vcc_lo, s19, v12, vcc_lo
	global_store_b16 v[11:12], v13, off
	s_or_b32 exec_lo, exec_lo, s4
	s_and_saveexec_b32 s4, s1
	s_cbranch_execz .LBB63_35
.LBB63_48:                              ;   in Loop: Header=BB63_13 Depth=1
	s_waitcnt lgkmcnt(0)
	v_dual_add_f32 v11, v9, v10 :: v_dual_mov_b32 v10, v31
	v_add_nc_u32_e32 v9, 1, v30
	s_waitcnt vmcnt(2)
	v_cvt_f32_f16_e32 v12, v23
	s_delay_alu instid0(VALU_DEP_2) | instskip(NEXT) | instid1(VALU_DEP_2)
	v_lshlrev_b64 v[9:10], 1, v[9:10]
	v_add_f32_e32 v11, v11, v12
	s_delay_alu instid0(VALU_DEP_1) | instskip(NEXT) | instid1(VALU_DEP_3)
	v_cvt_f16_f32_e32 v11, v11
	v_add_co_u32 v9, vcc_lo, s18, v9
	s_delay_alu instid0(VALU_DEP_4)
	v_add_co_ci_u32_e32 v10, vcc_lo, s19, v10, vcc_lo
	global_store_b16 v[9:10], v11, off
	s_or_b32 exec_lo, exec_lo, s4
	s_and_saveexec_b32 s1, s2
	s_cbranch_execz .LBB63_36
.LBB63_49:                              ;   in Loop: Header=BB63_13 Depth=1
	s_waitcnt lgkmcnt(0)
	v_add_f32_e32 v9, v7, v8
	v_dual_mov_b32 v8, v31 :: v_dual_add_nc_u32 v7, 2, v30
	s_waitcnt vmcnt(1)
	v_cvt_f32_f16_e32 v10, v22
	s_delay_alu instid0(VALU_DEP_2) | instskip(NEXT) | instid1(VALU_DEP_2)
	v_lshlrev_b64 v[7:8], 1, v[7:8]
	v_add_f32_e32 v9, v9, v10
	s_delay_alu instid0(VALU_DEP_1) | instskip(NEXT) | instid1(VALU_DEP_3)
	v_cvt_f16_f32_e32 v9, v9
	v_add_co_u32 v7, vcc_lo, s18, v7
	s_delay_alu instid0(VALU_DEP_4) | instskip(SKIP_2) | instid1(SALU_CYCLE_1)
	v_add_co_ci_u32_e32 v8, vcc_lo, s19, v8, vcc_lo
	global_store_b16 v[7:8], v9, off
	s_or_b32 exec_lo, exec_lo, s1
	s_and_b32 exec_lo, exec_lo, s3
	s_cbranch_execnz .LBB63_37
	s_branch .LBB63_38
.LBB63_50:
	s_nop 0
	s_sendmsg sendmsg(MSG_DEALLOC_VGPRS)
	s_endpgm
	.section	.rodata,"a",@progbits
	.p2align	6, 0x0
	.amdhsa_kernel _Z12wvSplitK_hf_I6__halfLi64ELi4ELi16ELi8ELi1ELi2EEviiiiiiPKT_S3_S3_PS1_ii
		.amdhsa_group_segment_fixed_size 65536
		.amdhsa_private_segment_fixed_size 0
		.amdhsa_kernarg_size 64
		.amdhsa_user_sgpr_count 15
		.amdhsa_user_sgpr_dispatch_ptr 0
		.amdhsa_user_sgpr_queue_ptr 0
		.amdhsa_user_sgpr_kernarg_segment_ptr 1
		.amdhsa_user_sgpr_dispatch_id 0
		.amdhsa_user_sgpr_private_segment_size 0
		.amdhsa_wavefront_size32 1
		.amdhsa_uses_dynamic_stack 0
		.amdhsa_enable_private_segment 0
		.amdhsa_system_sgpr_workgroup_id_x 1
		.amdhsa_system_sgpr_workgroup_id_y 0
		.amdhsa_system_sgpr_workgroup_id_z 0
		.amdhsa_system_sgpr_workgroup_info 0
		.amdhsa_system_vgpr_workitem_id 1
		.amdhsa_next_free_vgpr 58
		.amdhsa_next_free_sgpr 30
		.amdhsa_reserve_vcc 1
		.amdhsa_float_round_mode_32 0
		.amdhsa_float_round_mode_16_64 0
		.amdhsa_float_denorm_mode_32 3
		.amdhsa_float_denorm_mode_16_64 3
		.amdhsa_dx10_clamp 1
		.amdhsa_ieee_mode 1
		.amdhsa_fp16_overflow 0
		.amdhsa_workgroup_processor_mode 1
		.amdhsa_memory_ordered 1
		.amdhsa_forward_progress 0
		.amdhsa_shared_vgpr_count 0
		.amdhsa_exception_fp_ieee_invalid_op 0
		.amdhsa_exception_fp_denorm_src 0
		.amdhsa_exception_fp_ieee_div_zero 0
		.amdhsa_exception_fp_ieee_overflow 0
		.amdhsa_exception_fp_ieee_underflow 0
		.amdhsa_exception_fp_ieee_inexact 0
		.amdhsa_exception_int_div_zero 0
	.end_amdhsa_kernel
	.section	.text._Z12wvSplitK_hf_I6__halfLi64ELi4ELi16ELi8ELi1ELi2EEviiiiiiPKT_S3_S3_PS1_ii,"axG",@progbits,_Z12wvSplitK_hf_I6__halfLi64ELi4ELi16ELi8ELi1ELi2EEviiiiiiPKT_S3_S3_PS1_ii,comdat
.Lfunc_end63:
	.size	_Z12wvSplitK_hf_I6__halfLi64ELi4ELi16ELi8ELi1ELi2EEviiiiiiPKT_S3_S3_PS1_ii, .Lfunc_end63-_Z12wvSplitK_hf_I6__halfLi64ELi4ELi16ELi8ELi1ELi2EEviiiiiiPKT_S3_S3_PS1_ii
                                        ; -- End function
	.section	.AMDGPU.csdata,"",@progbits
; Kernel info:
; codeLenInByte = 4200
; NumSgprs: 32
; NumVgprs: 58
; ScratchSize: 0
; MemoryBound: 0
; FloatMode: 240
; IeeeMode: 1
; LDSByteSize: 65536 bytes/workgroup (compile time only)
; SGPRBlocks: 3
; VGPRBlocks: 7
; NumSGPRsForWavesPerEU: 32
; NumVGPRsForWavesPerEU: 58
; Occupancy: 16
; WaveLimiterHint : 0
; COMPUTE_PGM_RSRC2:SCRATCH_EN: 0
; COMPUTE_PGM_RSRC2:USER_SGPR: 15
; COMPUTE_PGM_RSRC2:TRAP_HANDLER: 0
; COMPUTE_PGM_RSRC2:TGID_X_EN: 1
; COMPUTE_PGM_RSRC2:TGID_Y_EN: 0
; COMPUTE_PGM_RSRC2:TGID_Z_EN: 0
; COMPUTE_PGM_RSRC2:TIDIG_COMP_CNT: 1
	.section	.text._Z16wvSplitK_hf_big_I6__halfLi64ELi4ELi16ELi8ELi1ELi2EEviiiiiiPKT_S3_S3_PS1_ii,"axG",@progbits,_Z16wvSplitK_hf_big_I6__halfLi64ELi4ELi16ELi8ELi1ELi2EEviiiiiiPKT_S3_S3_PS1_ii,comdat
	.protected	_Z16wvSplitK_hf_big_I6__halfLi64ELi4ELi16ELi8ELi1ELi2EEviiiiiiPKT_S3_S3_PS1_ii ; -- Begin function _Z16wvSplitK_hf_big_I6__halfLi64ELi4ELi16ELi8ELi1ELi2EEviiiiiiPKT_S3_S3_PS1_ii
	.globl	_Z16wvSplitK_hf_big_I6__halfLi64ELi4ELi16ELi8ELi1ELi2EEviiiiiiPKT_S3_S3_PS1_ii
	.p2align	8
	.type	_Z16wvSplitK_hf_big_I6__halfLi64ELi4ELi16ELi8ELi1ELi2EEviiiiiiPKT_S3_S3_PS1_ii,@function
_Z16wvSplitK_hf_big_I6__halfLi64ELi4ELi16ELi8ELi1ELi2EEviiiiiiPKT_S3_S3_PS1_ii: ; @_Z16wvSplitK_hf_big_I6__halfLi64ELi4ELi16ELi8ELi1ELi2EEviiiiiiPKT_S3_S3_PS1_ii
; %bb.0:
	s_load_b64 s[20:21], s[0:1], 0x38
	v_bfe_u32 v5, v0, 10, 10
	s_mov_b32 s2, exec_lo
	s_waitcnt lgkmcnt(0)
	s_delay_alu instid0(VALU_DEP_1)
	v_cmpx_gt_u32_e64 s20, v5
	s_cbranch_execz .LBB64_54
; %bb.1:
	s_load_b128 s[16:19], s[0:1], 0x0
	s_mul_i32 s15, s15, s20
	s_mov_b32 s4, 1
	v_add_lshl_u32 v29, s15, v5, 2
	s_mov_b32 s5, s4
	s_mov_b32 s6, s4
	;; [unrolled: 1-line block ×3, first 2 shown]
	s_delay_alu instid0(VALU_DEP_1) | instskip(SKIP_2) | instid1(VALU_DEP_2)
	v_add_nc_u32_e32 v1, 4, v29
	s_waitcnt lgkmcnt(0)
	v_cmp_gt_u32_e32 vcc_lo, s19, v29
	v_cmp_le_u32_e64 s2, s19, v1
	v_dual_mov_b32 v1, s4 :: v_dual_mov_b32 v4, s7
	v_dual_mov_b32 v2, s5 :: v_dual_mov_b32 v3, s6
	s_delay_alu instid0(VALU_DEP_3) | instskip(NEXT) | instid1(SALU_CYCLE_1)
	s_and_b32 s2, vcc_lo, s2
	s_and_saveexec_b32 s8, s2
	s_cbranch_execz .LBB64_7
; %bb.2:
	v_dual_mov_b32 v1, s4 :: v_dual_mov_b32 v2, s5
	v_dual_mov_b32 v3, s6 :: v_dual_mov_b32 v4, s7
	s_add_i32 s9, s19, -4
	s_mov_b32 s10, exec_lo
	v_cmpx_ne_u32_e64 s9, v29
	s_cbranch_execz .LBB64_6
; %bb.3:
	v_subrev_nc_u32_e32 v1, s9, v29
	s_mov_b32 s11, 0
	s_mov_b64 s[2:3], 0
	s_mov_b32 s5, s4
	s_mov_b32 s6, s4
	v_cmp_lt_u32_e32 vcc_lo, 1, v1
	s_mov_b32 s7, s4
	v_cndmask_b32_e32 v6, 1, v1, vcc_lo
	.p2align	6
.LBB64_4:                               ; =>This Inner Loop Header: Depth=1
	s_cmp_lg_u32 s2, 3
	s_cselect_b32 s7, s7, 0
	s_cmp_lg_u32 s2, 2
	s_cselect_b32 s6, s6, 0
	;; [unrolled: 2-line block ×4, first 2 shown]
	s_add_u32 s2, s2, 1
	v_dual_mov_b32 v1, s4 :: v_dual_mov_b32 v2, s5
	v_cmp_eq_u32_e32 vcc_lo, s2, v6
	v_dual_mov_b32 v3, s6 :: v_dual_mov_b32 v4, s7
	s_addc_u32 s3, s3, 0
	s_or_b32 s11, vcc_lo, s11
	s_delay_alu instid0(SALU_CYCLE_1)
	s_and_not1_b32 exec_lo, exec_lo, s11
	s_cbranch_execnz .LBB64_4
; %bb.5:
	s_or_b32 exec_lo, exec_lo, s11
	v_mov_b32_e32 v29, s9
.LBB64_6:
	s_or_b32 exec_lo, exec_lo, s10
.LBB64_7:
	s_delay_alu instid0(SALU_CYCLE_1)
	s_or_b32 exec_lo, exec_lo, s8
	s_lshl_b32 s2, s20, 2
	s_abs_i32 s6, s19
	s_abs_i32 s3, s2
	s_mov_b32 s23, 0
	v_cvt_f32_u32_e32 v6, s3
	s_sub_i32 s5, 0, s3
	s_delay_alu instid0(VALU_DEP_1) | instskip(SKIP_2) | instid1(VALU_DEP_1)
	v_rcp_iflag_f32_e32 v6, v6
	s_waitcnt_depctr 0xfff
	v_mul_f32_e32 v6, 0x4f7ffffe, v6
	v_cvt_u32_f32_e32 v6, v6
	s_delay_alu instid0(VALU_DEP_1) | instskip(NEXT) | instid1(VALU_DEP_1)
	v_readfirstlane_b32 s4, v6
	s_mul_i32 s5, s5, s4
	s_delay_alu instid0(SALU_CYCLE_1) | instskip(NEXT) | instid1(SALU_CYCLE_1)
	s_mul_hi_u32 s5, s4, s5
	s_add_i32 s4, s4, s5
	s_ashr_i32 s5, s19, 31
	s_mul_hi_u32 s4, s6, s4
	s_delay_alu instid0(SALU_CYCLE_1) | instskip(NEXT) | instid1(SALU_CYCLE_1)
	s_mul_i32 s4, s4, s3
	s_sub_i32 s4, s6, s4
	s_delay_alu instid0(SALU_CYCLE_1) | instskip(SKIP_2) | instid1(SALU_CYCLE_1)
	s_sub_i32 s6, s4, s3
	s_cmp_ge_u32 s4, s3
	s_cselect_b32 s4, s6, s4
	s_sub_i32 s6, s4, s3
	s_cmp_ge_u32 s4, s3
	s_cselect_b32 s3, s6, s4
	s_add_i32 s2, s2, s19
	s_xor_b32 s3, s3, s5
	s_delay_alu instid0(SALU_CYCLE_1) | instskip(NEXT) | instid1(SALU_CYCLE_1)
	s_sub_i32 s3, s3, s5
	s_sub_i32 s2, s2, s3
	s_cmp_eq_u32 s3, 0
	s_cselect_b32 s22, s19, s2
	s_delay_alu instid0(SALU_CYCLE_1)
	v_cmp_gt_u32_e32 vcc_lo, s22, v29
	s_and_b32 exec_lo, exec_lo, vcc_lo
	s_cbranch_execz .LBB64_54
; %bb.8:
	s_load_b256 s[8:15], s[0:1], 0x10
	s_min_u32 s24, s18, 0x4000
	v_and_b32_e32 v7, 0x3ff, v0
	s_cmp_lg_u32 s16, 0
	s_load_b64 s[6:7], s[0:1], 0x30
	s_mul_i32 s0, s21, s20
	s_cselect_b32 s21, -1, 0
	s_cmp_lg_u32 s18, 0
	v_dual_mov_b32 v31, 0 :: v_dual_lshlrev_b32 v0, 3, v7
	s_cselect_b32 s25, -1, 0
	s_lshl_b32 s26, s20, 9
	s_add_i32 s27, s16, -8
	s_add_i32 s28, s19, -1
	s_lshl_b32 s29, s0, 2
	v_cmp_eq_u32_e64 s0, 63, v7
	v_lshl_add_u32 v40, v5, 9, v0
	v_mbcnt_lo_u32_b32 v44, -1, 0
	v_lshlrev_b32_e32 v7, 4, v7
	s_waitcnt lgkmcnt(0)
	v_cvt_f32_u32_e32 v6, s8
	s_cmp_lg_u64 s[14:15], 0
	v_add_nc_u32_e32 v42, s18, v40
	s_cselect_b32 s30, -1, 0
	s_sub_i32 s1, 0, s8
	v_rcp_iflag_f32_e32 v6, v6
	v_lshl_add_u32 v41, v5, 10, v7
	s_waitcnt_depctr 0xfff
	v_mul_f32_e32 v6, 0x4f7ffffe, v6
	s_delay_alu instid0(VALU_DEP_1) | instskip(NEXT) | instid1(VALU_DEP_1)
	v_cvt_u32_f32_e32 v6, v6
	v_mul_lo_u32 v8, s1, v6
	s_abs_i32 s1, s9
	s_add_i32 s9, s19, -4
	s_sub_i32 s2, 1, s1
	s_cmp_lt_u32 s1, 2
	s_cselect_b32 s2, s2, 1
	s_delay_alu instid0(SALU_CYCLE_1) | instskip(NEXT) | instid1(VALU_DEP_1)
	s_sub_i32 s3, s2, s1
	v_mul_hi_u32 v8, v6, v8
	s_cmp_ge_u32 s2, s1
	s_cselect_b32 s33, s3, s2
	s_add_u32 s31, s6, 2
	s_mul_i32 s33, s33, s8
	s_addc_u32 s34, s7, 0
	s_lshl_b32 s35, s24, 1
	s_delay_alu instid0(VALU_DEP_1)
	v_add_nc_u32_e32 v43, v6, v8
	s_lshl_b32 s20, s20, 10
	s_branch .LBB64_12
.LBB64_9:                               ;   in Loop: Header=BB64_12 Depth=1
	s_or_b32 exec_lo, exec_lo, s38
	v_mov_b32_e32 v29, s9
.LBB64_10:                              ;   in Loop: Header=BB64_12 Depth=1
	s_or_b32 exec_lo, exec_lo, s37
.LBB64_11:                              ;   in Loop: Header=BB64_12 Depth=1
	s_delay_alu instid0(SALU_CYCLE_1) | instskip(NEXT) | instid1(VALU_DEP_1)
	s_or_b32 exec_lo, exec_lo, s36
	v_cmp_le_u32_e32 vcc_lo, s22, v29
	s_or_b32 s23, vcc_lo, s23
	s_delay_alu instid0(SALU_CYCLE_1)
	s_and_not1_b32 exec_lo, exec_lo, s23
	s_cbranch_execz .LBB64_54
.LBB64_12:                              ; =>This Loop Header: Depth=1
                                        ;     Child Loop BB64_16 Depth 2
                                        ;       Child Loop BB64_21 Depth 3
                                        ;     Child Loop BB64_45 Depth 2
	v_mov_b32_e32 v52, v31
	v_mov_b32_e32 v51, v31
	;; [unrolled: 1-line block ×8, first 2 shown]
	s_and_not1_b32 vcc_lo, exec_lo, s21
	s_mov_b32 s3, 0
	s_cbranch_vccnz .LBB64_27
; %bb.13:                               ;   in Loop: Header=BB64_12 Depth=1
	v_dual_mov_b32 v47, 0 :: v_dual_add_nc_u32 v6, 2, v29
	v_add_nc_u32_e32 v5, 1, v29
	v_add_nc_u32_e32 v7, 3, v29
	v_min_u32_e32 v8, s28, v29
	s_delay_alu instid0(VALU_DEP_4) | instskip(SKIP_2) | instid1(VALU_DEP_4)
	v_min_u32_e32 v6, s28, v6
	v_dual_mov_b32 v10, v31 :: v_dual_mov_b32 v45, 0
	v_cmp_gt_u32_e64 s1, s19, v29
	v_mul_lo_u32 v30, v8, s17
	v_mov_b32_e32 v8, v31
	s_waitcnt lgkmcnt(0)
	v_min_u32_e32 v9, s28, v7
	v_mul_lo_u32 v7, v6, s17
	v_mov_b32_e32 v6, v31
	v_min_u32_e32 v5, s28, v5
	v_dual_mov_b32 v48, 0 :: v_dual_mov_b32 v49, 0
	v_mul_lo_u32 v9, v9, s17
	s_waitcnt vmcnt(6)
	v_lshlrev_b64 v[32:33], 1, v[30:31]
	v_mul_lo_u32 v5, v5, s17
	v_lshlrev_b64 v[36:37], 1, v[7:8]
	v_dual_mov_b32 v46, 0 :: v_dual_mov_b32 v51, 0
	v_mov_b32_e32 v50, 0
	v_mov_b32_e32 v52, 0
	v_lshlrev_b64 v[38:39], 1, v[9:10]
	s_mov_b32 s4, 0
	v_lshlrev_b64 v[34:35], 1, v[5:6]
	s_branch .LBB64_16
.LBB64_14:                              ;   in Loop: Header=BB64_16 Depth=2
	s_or_b32 exec_lo, exec_lo, s5
	s_waitcnt vmcnt(3) lgkmcnt(1)
	;;#ASMSTART
	v_dot2_f32_f16 v52, v25, v21, v52
	;;#ASMEND
	s_waitcnt vmcnt(2)
	;;#ASMSTART
	v_dot2_f32_f16 v51, v25, v17, v51
	;;#ASMEND
	s_waitcnt vmcnt(1)
	;; [unrolled: 4-line block ×3, first 2 shown]
	;;#ASMSTART
	v_dot2_f32_f16 v49, v25, v5, v49
	;;#ASMEND
	s_waitcnt lgkmcnt(0)
	;;#ASMSTART
	v_dot2_f32_f16 v47, v13, v21, v47
	;;#ASMEND
	;;#ASMSTART
	v_dot2_f32_f16 v48, v13, v17, v48
	;;#ASMEND
	;; [unrolled: 3-line block ×28, first 2 shown]
.LBB64_15:                              ;   in Loop: Header=BB64_16 Depth=2
	s_or_b32 exec_lo, exec_lo, s2
	s_addk_i32 s4, 0x200
	s_delay_alu instid0(SALU_CYCLE_1)
	s_cmp_ge_u32 s4, s16
	s_cbranch_scc1 .LBB64_27
.LBB64_16:                              ;   Parent Loop BB64_12 Depth=1
                                        ; =>  This Loop Header: Depth=2
                                        ;       Child Loop BB64_21 Depth 3
	s_cmp_eq_u32 s4, 0
	s_cselect_b32 s5, -1, 0
	s_add_i32 s2, s3, s24
	s_delay_alu instid0(SALU_CYCLE_1) | instskip(SKIP_1) | instid1(SALU_CYCLE_1)
	s_cmp_eq_u32 s4, s2
	s_cselect_b32 s36, -1, 0
	s_or_b32 s36, s5, s36
	s_delay_alu instid0(SALU_CYCLE_1)
	s_and_not1_b32 vcc_lo, exec_lo, s36
	s_cbranch_vccz .LBB64_18
; %bb.17:                               ;   in Loop: Header=BB64_16 Depth=2
	s_and_saveexec_b32 s2, s1
	s_cbranch_execz .LBB64_15
	s_branch .LBB64_25
.LBB64_18:                              ;   in Loop: Header=BB64_16 Depth=2
	s_and_b32 s5, s5, exec_lo
	s_cselect_b32 s3, s3, s2
	s_and_not1_b32 vcc_lo, exec_lo, s25
	s_waitcnt vmcnt(0)
	s_waitcnt_vscnt null, 0x0
	s_barrier
	buffer_gl0_inv
	s_cbranch_vccnz .LBB64_24
; %bb.19:                               ;   in Loop: Header=BB64_16 Depth=2
	v_add_nc_u32_e32 v5, s3, v42
	v_dual_mov_b32 v7, v41 :: v_dual_add_nc_u32 v6, s3, v40
	s_mov_b32 s5, 0
	s_mov_b32 s36, 0
                                        ; implicit-def: $sgpr37
	s_set_inst_prefetch_distance 0x1
	s_branch .LBB64_21
	.p2align	6
.LBB64_20:                              ;   in Loop: Header=BB64_21 Depth=3
	s_or_b32 exec_lo, exec_lo, s2
	s_delay_alu instid0(SALU_CYCLE_1) | instskip(NEXT) | instid1(SALU_CYCLE_1)
	s_and_b32 s2, exec_lo, s37
	s_or_b32 s5, s2, s5
	s_delay_alu instid0(SALU_CYCLE_1)
	s_and_not1_b32 exec_lo, exec_lo, s5
	s_cbranch_execz .LBB64_23
.LBB64_21:                              ;   Parent Loop BB64_12 Depth=1
                                        ;     Parent Loop BB64_16 Depth=2
                                        ; =>    This Inner Loop Header: Depth=3
	v_add_nc_u32_e32 v30, s36, v6
	v_add_nc_u32_e32 v8, s36, v40
	s_or_b32 s37, s37, exec_lo
	s_delay_alu instid0(VALU_DEP_2) | instskip(NEXT) | instid1(VALU_DEP_2)
	v_cmp_gt_u32_e32 vcc_lo, s18, v30
	v_cmp_gt_u32_e64 s2, s24, v8
	s_delay_alu instid0(VALU_DEP_1) | instskip(NEXT) | instid1(SALU_CYCLE_1)
	s_and_b32 s38, s2, vcc_lo
	s_and_saveexec_b32 s2, s38
	s_cbranch_execz .LBB64_20
; %bb.22:                               ;   in Loop: Header=BB64_21 Depth=3
	v_lshlrev_b64 v[8:9], 1, v[30:31]
	v_add_nc_u32_e32 v30, s36, v5
	s_add_i32 s36, s36, s26
	v_add_nc_u32_e32 v16, s35, v7
	s_cmp_ge_u32 s36, s24
	s_delay_alu instid0(VALU_DEP_2) | instskip(SKIP_3) | instid1(VALU_DEP_3)
	v_lshlrev_b64 v[12:13], 1, v[30:31]
	v_add_co_u32 v8, vcc_lo, s12, v8
	v_add_co_ci_u32_e32 v9, vcc_lo, s13, v9, vcc_lo
	s_cselect_b32 s38, -1, 0
	v_add_co_u32 v12, vcc_lo, s12, v12
	global_load_b128 v[8:11], v[8:9], off
	v_add_co_ci_u32_e32 v13, vcc_lo, s13, v13, vcc_lo
	s_and_not1_b32 s37, s37, exec_lo
	s_and_b32 s38, s38, exec_lo
	global_load_b128 v[12:15], v[12:13], off
	s_or_b32 s37, s37, s38
	s_waitcnt vmcnt(1)
	ds_store_b128 v7, v[8:11]
	v_add_nc_u32_e32 v7, s20, v7
	s_waitcnt vmcnt(0)
	ds_store_2addr_b64 v16, v[12:13], v[14:15] offset1:1
	s_branch .LBB64_20
.LBB64_23:                              ;   in Loop: Header=BB64_16 Depth=2
	s_set_inst_prefetch_distance 0x2
	s_or_b32 exec_lo, exec_lo, s5
.LBB64_24:                              ;   in Loop: Header=BB64_16 Depth=2
	s_waitcnt lgkmcnt(0)
	s_barrier
	buffer_gl0_inv
	s_and_saveexec_b32 s2, s1
	s_cbranch_execz .LBB64_15
.LBB64_25:                              ;   in Loop: Header=BB64_16 Depth=2
	s_waitcnt vmcnt(3)
	v_dual_mov_b32 v26, 0 :: v_dual_add_nc_u32 v53, s4, v0
	s_waitcnt vmcnt(2)
	v_dual_mov_b32 v25, 0 :: v_dual_mov_b32 v28, 0
	v_mov_b32_e32 v27, 0
	s_delay_alu instid0(VALU_DEP_3) | instskip(SKIP_3) | instid1(VALU_DEP_3)
	v_min_u32_e32 v30, s27, v53
	v_mov_b32_e32 v15, 0
	s_mov_b32 s5, exec_lo
	v_mov_b32_e32 v16, 0
	v_lshlrev_b64 v[5:6], 1, v[30:31]
	s_delay_alu instid0(VALU_DEP_1) | instskip(NEXT) | instid1(VALU_DEP_2)
	v_add_co_u32 v11, vcc_lo, s10, v5
	v_add_co_ci_u32_e32 v12, vcc_lo, s11, v6, vcc_lo
	s_delay_alu instid0(VALU_DEP_2) | instskip(NEXT) | instid1(VALU_DEP_2)
	v_add_co_u32 v5, vcc_lo, v11, v32
	v_add_co_ci_u32_e32 v6, vcc_lo, v12, v33, vcc_lo
	v_add_co_u32 v7, vcc_lo, v11, v34
	v_add_co_ci_u32_e32 v8, vcc_lo, v12, v35, vcc_lo
	;; [unrolled: 2-line block ×4, first 2 shown]
	s_clause 0x3
	global_load_b128 v[21:24], v[5:6], off slc dlc
	global_load_b128 v[17:20], v[7:8], off slc dlc
	;; [unrolled: 1-line block ×4, first 2 shown]
	v_dual_mov_b32 v14, 0 :: v_dual_mov_b32 v13, 0
	v_cmpx_gt_u32_e64 s16, v53
	s_cbranch_execz .LBB64_14
; %bb.26:                               ;   in Loop: Header=BB64_16 Depth=2
	v_subrev_nc_u32_e32 v13, s3, v53
	s_delay_alu instid0(VALU_DEP_1) | instskip(NEXT) | instid1(VALU_DEP_1)
	v_lshlrev_b32_e32 v13, 1, v13
	v_lshl_add_u32 v14, s24, 1, v13
	ds_load_b128 v[25:28], v13
	ds_load_b128 v[13:16], v14
	s_branch .LBB64_14
.LBB64_27:                              ;   in Loop: Header=BB64_12 Depth=1
	s_mov_b32 s1, exec_lo
	v_cmpx_le_u32_e64 s19, v29
	s_xor_b32 s1, exec_lo, s1
; %bb.28:                               ;   in Loop: Header=BB64_12 Depth=1
	v_add_nc_u32_e32 v29, s29, v29
                                        ; implicit-def: $vgpr52
                                        ; implicit-def: $vgpr51
                                        ; implicit-def: $vgpr50
                                        ; implicit-def: $vgpr49
                                        ; implicit-def: $vgpr45
                                        ; implicit-def: $vgpr46
                                        ; implicit-def: $vgpr48
                                        ; implicit-def: $vgpr47
; %bb.29:                               ;   in Loop: Header=BB64_12 Depth=1
	s_and_not1_saveexec_b32 s36, s1
	s_cbranch_execz .LBB64_11
; %bb.30:                               ;   in Loop: Header=BB64_12 Depth=1
	v_cvt_i32_f32_e32 v5, v52
	v_cvt_i32_f32_e32 v6, v51
	;; [unrolled: 1-line block ×3, first 2 shown]
	v_xor_b32_e32 v8, 16, v44
	s_waitcnt lgkmcnt(3)
	v_cvt_i32_f32_e32 v15, v46
	v_cvt_f32_i32_dpp v5, v5 row_shr:8 row_mask:0xf bank_mask:0xf bound_ctrl:1
	v_cvt_f32_i32_dpp v6, v6 row_shr:8 row_mask:0xf bank_mask:0xf bound_ctrl:1
	;; [unrolled: 1-line block ×3, first 2 shown]
	v_cmp_gt_i32_e32 vcc_lo, 32, v8
	s_waitcnt lgkmcnt(0)
	v_cvt_i32_f32_e32 v9, v49
	v_dual_add_f32 v5, v52, v5 :: v_dual_add_f32 v6, v51, v6
	v_dual_add_f32 v7, v50, v7 :: v_dual_cndmask_b32 v8, v44, v8
	v_cvt_f32_i32_dpp v15, v15 row_shr:8 row_mask:0xf bank_mask:0xf bound_ctrl:1
	s_delay_alu instid0(VALU_DEP_3) | instskip(NEXT) | instid1(VALU_DEP_4)
	v_cvt_i32_f32_e32 v12, v5
	v_cvt_i32_f32_e32 v13, v6
	s_delay_alu instid0(VALU_DEP_4)
	v_cvt_i32_f32_e32 v14, v7
	v_cvt_f32_i32_dpp v9, v9 row_shr:8 row_mask:0xf bank_mask:0xf bound_ctrl:1
	v_cvt_i32_f32_e32 v10, v47
	v_cvt_f32_i32_dpp v12, v12 row_shr:4 row_mask:0xf bank_mask:0xf bound_ctrl:1
	v_cvt_f32_i32_dpp v13, v13 row_shr:4 row_mask:0xf bank_mask:0xf bound_ctrl:1
	;; [unrolled: 1-line block ×3, first 2 shown]
	s_waitcnt vmcnt(0)
	v_dual_add_f32 v8, v49, v9 :: v_dual_lshlrev_b32 v23, 2, v8
	s_delay_alu instid0(VALU_DEP_3) | instskip(SKIP_2) | instid1(VALU_DEP_4)
	v_dual_add_f32 v5, v5, v12 :: v_dual_add_f32 v6, v6, v13
	v_cvt_i32_f32_e32 v16, v45
	v_cvt_f32_i32_dpp v10, v10 row_shr:8 row_mask:0xf bank_mask:0xf bound_ctrl:1
	v_cvt_i32_f32_e32 v17, v8
	s_delay_alu instid0(VALU_DEP_4) | instskip(SKIP_3) | instid1(VALU_DEP_4)
	v_cvt_i32_f32_e32 v12, v5
	v_cvt_i32_f32_e32 v13, v6
	v_cvt_f32_i32_dpp v16, v16 row_shr:8 row_mask:0xf bank_mask:0xf bound_ctrl:1
	v_cvt_i32_f32_e32 v11, v48
	v_cvt_f32_i32_dpp v12, v12 row_shr:2 row_mask:0xf bank_mask:0xf bound_ctrl:1
	s_delay_alu instid0(VALU_DEP_4) | instskip(SKIP_1) | instid1(VALU_DEP_4)
	v_cvt_f32_i32_dpp v13, v13 row_shr:2 row_mask:0xf bank_mask:0xf bound_ctrl:1
	v_add_f32_e32 v7, v7, v14
	v_cvt_f32_i32_dpp v11, v11 row_shr:8 row_mask:0xf bank_mask:0xf bound_ctrl:1
	s_delay_alu instid0(VALU_DEP_3) | instskip(NEXT) | instid1(VALU_DEP_3)
	v_dual_add_f32 v5, v5, v12 :: v_dual_add_f32 v6, v6, v13
	v_cvt_i32_f32_e32 v14, v7
	s_delay_alu instid0(VALU_DEP_2) | instskip(NEXT) | instid1(VALU_DEP_2)
	v_cvt_i32_f32_e32 v12, v6
	v_cvt_f32_i32_dpp v14, v14 row_shr:2 row_mask:0xf bank_mask:0xf bound_ctrl:1
	s_delay_alu instid0(VALU_DEP_2) | instskip(NEXT) | instid1(VALU_DEP_2)
	v_cvt_f32_i32_dpp v12, v12 row_shr:1 row_mask:0xf bank_mask:0xf bound_ctrl:1
	v_dual_add_f32 v7, v7, v14 :: v_dual_add_f32 v14, v46, v15
	v_add_f32_e32 v15, v45, v16
	s_delay_alu instid0(VALU_DEP_3) | instskip(NEXT) | instid1(VALU_DEP_3)
	v_add_f32_e32 v18, v6, v12
	v_cvt_i32_f32_e32 v13, v7
	s_delay_alu instid0(VALU_DEP_3) | instskip(SKIP_4) | instid1(VALU_DEP_3)
	v_cvt_i32_f32_e32 v12, v15
	ds_bpermute_b32 v20, v23, v18
	v_cvt_f32_i32_dpp v13, v13 row_shr:1 row_mask:0xf bank_mask:0xf bound_ctrl:1
	v_cvt_f32_i32_dpp v12, v12 row_shr:4 row_mask:0xf bank_mask:0xf bound_ctrl:1
	v_add_f32_e32 v11, v48, v11
	v_add_f32_e32 v7, v7, v13
	v_cvt_f32_i32_dpp v13, v17 row_shr:4 row_mask:0xf bank_mask:0xf bound_ctrl:1
	v_add_f32_e32 v9, v47, v10
	v_cvt_i32_f32_e32 v10, v5
	s_delay_alu instid0(VALU_DEP_3) | instskip(NEXT) | instid1(VALU_DEP_2)
	v_add_f32_e32 v8, v8, v13
	v_cvt_f32_i32_dpp v10, v10 row_shr:1 row_mask:0xf bank_mask:0xf bound_ctrl:1
	s_delay_alu instid0(VALU_DEP_1) | instskip(SKIP_2) | instid1(VALU_DEP_2)
	v_add_f32_e32 v21, v5, v10
	v_cvt_i32_f32_e32 v5, v9
	v_cvt_i32_f32_e32 v10, v14
	v_cvt_f32_i32_dpp v5, v5 row_shr:4 row_mask:0xf bank_mask:0xf bound_ctrl:1
	s_delay_alu instid0(VALU_DEP_2) | instskip(NEXT) | instid1(VALU_DEP_2)
	v_cvt_f32_i32_dpp v10, v10 row_shr:4 row_mask:0xf bank_mask:0xf bound_ctrl:1
	v_add_f32_e32 v5, v9, v5
	s_delay_alu instid0(VALU_DEP_2) | instskip(SKIP_1) | instid1(VALU_DEP_2)
	v_dual_add_f32 v9, v14, v10 :: v_dual_add_f32 v10, v15, v12
	v_cvt_i32_f32_e32 v6, v11
	v_cvt_i32_f32_e32 v14, v9
	s_delay_alu instid0(VALU_DEP_3) | instskip(NEXT) | instid1(VALU_DEP_3)
	v_cvt_i32_f32_e32 v15, v10
	v_cvt_f32_i32_dpp v6, v6 row_shr:4 row_mask:0xf bank_mask:0xf bound_ctrl:1
	s_delay_alu instid0(VALU_DEP_3) | instskip(NEXT) | instid1(VALU_DEP_3)
	v_cvt_f32_i32_dpp v14, v14 row_shr:2 row_mask:0xf bank_mask:0xf bound_ctrl:1
	v_cvt_f32_i32_dpp v15, v15 row_shr:2 row_mask:0xf bank_mask:0xf bound_ctrl:1
	s_delay_alu instid0(VALU_DEP_3) | instskip(SKIP_1) | instid1(VALU_DEP_2)
	v_add_f32_e32 v6, v11, v6
	v_cvt_i32_f32_e32 v11, v8
	v_cvt_i32_f32_e32 v13, v6
	s_delay_alu instid0(VALU_DEP_2) | instskip(NEXT) | instid1(VALU_DEP_2)
	v_cvt_f32_i32_dpp v11, v11 row_shr:2 row_mask:0xf bank_mask:0xf bound_ctrl:1
	v_cvt_f32_i32_dpp v13, v13 row_shr:2 row_mask:0xf bank_mask:0xf bound_ctrl:1
	s_delay_alu instid0(VALU_DEP_2)
	v_add_f32_e32 v8, v8, v11
	v_add_f32_e32 v11, v10, v15
	ds_bpermute_b32 v22, v23, v21
	v_add_f32_e32 v6, v6, v13
	v_cvt_i32_f32_e32 v10, v8
	v_cvt_i32_f32_e32 v15, v11
	s_delay_alu instid0(VALU_DEP_3) | instskip(NEXT) | instid1(VALU_DEP_3)
	v_cvt_i32_f32_e32 v13, v6
	v_cvt_f32_i32_dpp v10, v10 row_shr:1 row_mask:0xf bank_mask:0xf bound_ctrl:1
	s_delay_alu instid0(VALU_DEP_3) | instskip(NEXT) | instid1(VALU_DEP_3)
	v_cvt_f32_i32_dpp v15, v15 row_shr:1 row_mask:0xf bank_mask:0xf bound_ctrl:1
	v_cvt_f32_i32_dpp v13, v13 row_shr:1 row_mask:0xf bank_mask:0xf bound_ctrl:1
	s_delay_alu instid0(VALU_DEP_2) | instskip(SKIP_2) | instid1(VALU_DEP_2)
	v_dual_add_f32 v17, v8, v10 :: v_dual_add_f32 v8, v11, v15
	v_cvt_i32_f32_e32 v12, v5
	v_add_f32_e32 v9, v9, v14
	v_cvt_f32_i32_dpp v12, v12 row_shr:2 row_mask:0xf bank_mask:0xf bound_ctrl:1
	s_delay_alu instid0(VALU_DEP_2) | instskip(NEXT) | instid1(VALU_DEP_2)
	v_cvt_i32_f32_e32 v14, v9
	v_add_f32_e32 v5, v5, v12
	s_delay_alu instid0(VALU_DEP_2) | instskip(NEXT) | instid1(VALU_DEP_2)
	v_cvt_f32_i32_dpp v19, v14 row_shr:1 row_mask:0xf bank_mask:0xf bound_ctrl:1
	v_cvt_i32_f32_e32 v12, v5
	s_delay_alu instid0(VALU_DEP_1) | instskip(NEXT) | instid1(VALU_DEP_1)
	v_cvt_f32_i32_dpp v12, v12 row_shr:1 row_mask:0xf bank_mask:0xf bound_ctrl:1
	v_add_f32_e32 v14, v5, v12
	v_add_f32_e32 v12, v6, v13
	;; [unrolled: 1-line block ×3, first 2 shown]
	ds_bpermute_b32 v16, v23, v7
	ds_bpermute_b32 v19, v23, v17
	;; [unrolled: 1-line block ×6, first 2 shown]
	s_and_saveexec_b32 s5, s0
	s_cbranch_execz .LBB64_42
; %bb.31:                               ;   in Loop: Header=BB64_12 Depth=1
	v_dual_mov_b32 v30, 0 :: v_dual_add_nc_u32 v5, 3, v29
	v_dual_mov_b32 v27, 0 :: v_dual_add_nc_u32 v6, 2, v29
	v_dual_mov_b32 v32, 0 :: v_dual_mov_b32 v25, 0
	v_dual_mov_b32 v28, 0 :: v_dual_mov_b32 v23, 0
	v_mov_b32_e32 v26, 0
	v_mov_b32_e32 v24, 0
	s_and_not1_b32 vcc_lo, exec_lo, s30
	s_cbranch_vccnz .LBB64_33
; %bb.32:                               ;   in Loop: Header=BB64_12 Depth=1
	v_mul_hi_u32 v23, v29, v43
	v_mul_hi_u32 v24, v6, v43
	v_add_nc_u32_e32 v25, 1, v29
	v_mul_hi_u32 v26, v5, v43
	s_delay_alu instid0(VALU_DEP_4) | instskip(NEXT) | instid1(VALU_DEP_4)
	v_mul_lo_u32 v23, v23, s8
	v_mul_lo_u32 v28, v24, s8
	v_mov_b32_e32 v24, v31
	v_mul_hi_u32 v27, v25, v43
	v_mul_lo_u32 v30, v26, s8
	v_sub_nc_u32_e32 v23, v29, v23
	v_sub_nc_u32_e32 v32, v6, v28
	s_delay_alu instid0(VALU_DEP_4) | instskip(NEXT) | instid1(VALU_DEP_4)
	v_mul_lo_u32 v27, v27, s8
	v_sub_nc_u32_e32 v30, v5, v30
	s_delay_alu instid0(VALU_DEP_4) | instskip(SKIP_1) | instid1(VALU_DEP_3)
	v_subrev_nc_u32_e32 v33, s8, v23
	v_cmp_le_u32_e32 vcc_lo, s8, v23
	v_subrev_nc_u32_e32 v34, s8, v30
	v_sub_nc_u32_e32 v25, v25, v27
	v_subrev_nc_u32_e32 v27, s8, v32
	v_cndmask_b32_e32 v23, v23, v33, vcc_lo
	v_cmp_le_u32_e32 vcc_lo, s8, v32
	v_mov_b32_e32 v26, v31
	v_subrev_nc_u32_e32 v33, s8, v25
	v_cndmask_b32_e32 v27, v32, v27, vcc_lo
	v_cmp_le_u32_e32 vcc_lo, s8, v30
	v_cndmask_b32_e32 v32, v30, v34, vcc_lo
	v_cmp_le_u32_e32 vcc_lo, s8, v25
	v_mov_b32_e32 v28, v31
	v_subrev_nc_u32_e32 v30, s8, v23
	s_delay_alu instid0(VALU_DEP_4)
	v_subrev_nc_u32_e32 v34, s8, v32
	v_cndmask_b32_e32 v33, v25, v33, vcc_lo
	v_cmp_le_u32_e32 vcc_lo, s8, v23
	v_subrev_nc_u32_e32 v25, s8, v27
	v_cndmask_b32_e32 v30, v23, v30, vcc_lo
	v_cmp_le_u32_e32 vcc_lo, s8, v27
	v_subrev_nc_u32_e32 v23, s8, v33
	s_delay_alu instid0(VALU_DEP_4)
	v_cndmask_b32_e32 v25, v27, v25, vcc_lo
	v_cmp_le_u32_e32 vcc_lo, s8, v32
	v_cndmask_b32_e32 v27, v32, v34, vcc_lo
	v_cmp_le_u32_e32 vcc_lo, s8, v33
	v_cndmask_b32_e32 v23, v33, v23, vcc_lo
	v_lshlrev_b64 v[32:33], 1, v[30:31]
	v_add_nc_u32_e32 v30, s33, v30
	v_lshlrev_b64 v[34:35], 1, v[25:26]
	s_delay_alu instid0(VALU_DEP_4) | instskip(NEXT) | instid1(VALU_DEP_4)
	v_lshlrev_b64 v[38:39], 1, v[23:24]
	v_add_co_u32 v32, vcc_lo, s14, v32
	v_add_co_ci_u32_e32 v33, vcc_lo, s15, v33, vcc_lo
	s_delay_alu instid0(VALU_DEP_3)
	v_add_co_u32 v38, vcc_lo, s14, v38
	v_lshlrev_b64 v[45:46], 1, v[30:31]
	v_add_nc_u32_e32 v30, s33, v23
	v_lshlrev_b64 v[36:37], 1, v[27:28]
	v_add_co_ci_u32_e32 v39, vcc_lo, s15, v39, vcc_lo
	v_add_co_u32 v34, vcc_lo, s14, v34
	v_add_co_ci_u32_e32 v35, vcc_lo, s15, v35, vcc_lo
	s_delay_alu instid0(VALU_DEP_4)
	v_add_co_u32 v23, vcc_lo, s14, v36
	v_add_co_ci_u32_e32 v24, vcc_lo, s15, v37, vcc_lo
	v_lshlrev_b64 v[36:37], 1, v[30:31]
	v_add_nc_u32_e32 v30, s33, v25
	v_add_co_u32 v25, vcc_lo, s14, v45
	v_add_co_ci_u32_e32 v26, vcc_lo, s15, v46, vcc_lo
	s_delay_alu instid0(VALU_DEP_3) | instskip(SKIP_3) | instid1(VALU_DEP_3)
	v_lshlrev_b64 v[45:46], 1, v[30:31]
	v_add_nc_u32_e32 v30, s33, v27
	v_add_co_u32 v36, vcc_lo, s14, v36
	v_add_co_ci_u32_e32 v37, vcc_lo, s15, v37, vcc_lo
	v_lshlrev_b64 v[27:28], 1, v[30:31]
	v_add_co_u32 v45, vcc_lo, s14, v45
	v_add_co_ci_u32_e32 v46, vcc_lo, s15, v46, vcc_lo
	s_delay_alu instid0(VALU_DEP_3) | instskip(NEXT) | instid1(VALU_DEP_4)
	v_add_co_u32 v47, vcc_lo, s14, v27
	v_add_co_ci_u32_e32 v48, vcc_lo, s15, v28, vcc_lo
	s_clause 0x7
	global_load_u16 v30, v[32:33], off
	global_load_u16 v32, v[38:39], off
	;; [unrolled: 1-line block ×8, first 2 shown]
.LBB64_33:                              ;   in Loop: Header=BB64_12 Depth=1
	v_cmp_ne_u32_e32 vcc_lo, 0, v1
	s_and_saveexec_b32 s2, vcc_lo
	s_cbranch_execnz .LBB64_47
; %bb.34:                               ;   in Loop: Header=BB64_12 Depth=1
	s_or_b32 exec_lo, exec_lo, s2
	v_cmp_ne_u32_e64 s1, 0, v2
	s_delay_alu instid0(VALU_DEP_1)
	s_and_saveexec_b32 s3, s1
	s_cbranch_execnz .LBB64_48
.LBB64_35:                              ;   in Loop: Header=BB64_12 Depth=1
	s_or_b32 exec_lo, exec_lo, s3
	v_cmp_ne_u32_e64 s2, 0, v3
	s_delay_alu instid0(VALU_DEP_1)
	s_and_saveexec_b32 s4, s2
	s_cbranch_execnz .LBB64_49
.LBB64_36:                              ;   in Loop: Header=BB64_12 Depth=1
	s_or_b32 exec_lo, exec_lo, s4
	v_cmp_ne_u32_e64 s3, 0, v4
	s_delay_alu instid0(VALU_DEP_1)
	s_and_saveexec_b32 s37, s3
	s_cbranch_execnz .LBB64_50
.LBB64_37:                              ;   in Loop: Header=BB64_12 Depth=1
	s_or_b32 exec_lo, exec_lo, s37
	s_waitcnt vmcnt(7)
	v_add_nc_u32_e32 v30, s19, v29
	s_and_saveexec_b32 s4, vcc_lo
	s_cbranch_execnz .LBB64_51
.LBB64_38:                              ;   in Loop: Header=BB64_12 Depth=1
	s_or_b32 exec_lo, exec_lo, s4
	s_and_saveexec_b32 s4, s1
	s_cbranch_execnz .LBB64_52
.LBB64_39:                              ;   in Loop: Header=BB64_12 Depth=1
	s_or_b32 exec_lo, exec_lo, s4
	s_and_saveexec_b32 s1, s2
	s_cbranch_execnz .LBB64_53
.LBB64_40:                              ;   in Loop: Header=BB64_12 Depth=1
	s_or_b32 exec_lo, exec_lo, s1
	s_delay_alu instid0(SALU_CYCLE_1)
	s_and_b32 exec_lo, exec_lo, s3
	s_cbranch_execz .LBB64_42
.LBB64_41:                              ;   in Loop: Header=BB64_12 Depth=1
	s_waitcnt lgkmcnt(0)
	v_dual_add_f32 v5, v8, v9 :: v_dual_add_nc_u32 v30, 3, v30
	s_waitcnt vmcnt(0)
	v_cvt_f32_f16_e32 v6, v23
	s_delay_alu instid0(VALU_DEP_1) | instskip(NEXT) | instid1(VALU_DEP_3)
	v_add_f32_e32 v7, v5, v6
	v_lshlrev_b64 v[5:6], 1, v[30:31]
	s_delay_alu instid0(VALU_DEP_2) | instskip(NEXT) | instid1(VALU_DEP_2)
	v_cvt_f16_f32_e32 v7, v7
	v_add_co_u32 v5, vcc_lo, s6, v5
	s_delay_alu instid0(VALU_DEP_3)
	v_add_co_ci_u32_e32 v6, vcc_lo, s7, v6, vcc_lo
	global_store_b16 v[5:6], v7, off
.LBB64_42:                              ;   in Loop: Header=BB64_12 Depth=1
	s_or_b32 exec_lo, exec_lo, s5
	v_add_nc_u32_e32 v29, s29, v29
	s_delay_alu instid0(VALU_DEP_1) | instskip(SKIP_1) | instid1(VALU_DEP_2)
	v_add_nc_u32_e32 v5, 4, v29
	v_cmp_gt_u32_e32 vcc_lo, s19, v29
	v_cmp_le_u32_e64 s1, s19, v5
	s_delay_alu instid0(VALU_DEP_1) | instskip(NEXT) | instid1(SALU_CYCLE_1)
	s_and_b32 s1, vcc_lo, s1
	s_and_saveexec_b32 s37, s1
	s_cbranch_execz .LBB64_10
; %bb.43:                               ;   in Loop: Header=BB64_12 Depth=1
	s_mov_b32 s38, exec_lo
	v_cmpx_ne_u32_e64 s9, v29
	s_cbranch_execz .LBB64_9
; %bb.44:                               ;   in Loop: Header=BB64_12 Depth=1
	v_subrev_nc_u32_e32 v5, s9, v29
	s_mov_b32 s39, 0
	s_mov_b64 s[4:5], 0
	s_delay_alu instid0(VALU_DEP_1)
	v_cmp_lt_u32_e32 vcc_lo, 1, v5
	v_cndmask_b32_e32 v5, 1, v5, vcc_lo
	.p2align	6
.LBB64_45:                              ;   Parent Loop BB64_12 Depth=1
                                        ; =>  This Inner Loop Header: Depth=2
	s_cmp_lg_u32 s4, 3
	s_cselect_b32 vcc_lo, -1, 0
	s_cmp_lg_u32 s4, 2
	v_cndmask_b32_e32 v4, 0, v4, vcc_lo
	s_cselect_b32 s1, -1, 0
	s_cmp_lg_u32 s4, 1
	v_cndmask_b32_e64 v3, 0, v3, s1
	s_cselect_b32 s2, -1, 0
	s_cmp_lg_u32 s4, 0
	v_cndmask_b32_e64 v2, 0, v2, s2
	s_cselect_b32 s3, -1, 0
	s_add_u32 s4, s4, 1
	v_cndmask_b32_e64 v1, 0, v1, s3
	v_cmp_eq_u32_e32 vcc_lo, s4, v5
	s_addc_u32 s5, s5, 0
	s_or_b32 s39, vcc_lo, s39
	s_delay_alu instid0(SALU_CYCLE_1)
	s_and_not1_b32 exec_lo, exec_lo, s39
	s_cbranch_execnz .LBB64_45
; %bb.46:                               ;   in Loop: Header=BB64_12 Depth=1
	s_or_b32 exec_lo, exec_lo, s39
	s_branch .LBB64_9
.LBB64_47:                              ;   in Loop: Header=BB64_12 Depth=1
	s_waitcnt lgkmcnt(6)
	v_add_f32_e32 v21, v21, v22
	s_waitcnt vmcnt(7)
	v_cvt_f32_f16_e32 v22, v30
	s_delay_alu instid0(VALU_DEP_1) | instskip(NEXT) | instid1(VALU_DEP_1)
	v_dual_mov_b32 v30, v31 :: v_dual_add_f32 v33, v21, v22
	v_lshlrev_b64 v[21:22], 1, v[29:30]
	s_delay_alu instid0(VALU_DEP_2) | instskip(NEXT) | instid1(VALU_DEP_2)
	v_cvt_f16_f32_e32 v30, v33
	v_add_co_u32 v21, s1, s6, v21
	s_delay_alu instid0(VALU_DEP_1) | instskip(SKIP_3) | instid1(VALU_DEP_1)
	v_add_co_ci_u32_e64 v22, s1, s7, v22, s1
	global_store_b16 v[21:22], v30, off
	s_or_b32 exec_lo, exec_lo, s2
	v_cmp_ne_u32_e64 s1, 0, v2
	s_and_saveexec_b32 s3, s1
	s_cbranch_execz .LBB64_35
.LBB64_48:                              ;   in Loop: Header=BB64_12 Depth=1
	s_waitcnt lgkmcnt(7)
	v_add_f32_e32 v18, v18, v20
	s_waitcnt vmcnt(6)
	v_cvt_f32_f16_e32 v20, v32
	v_mov_b32_e32 v30, v31
	s_delay_alu instid0(VALU_DEP_2) | instskip(NEXT) | instid1(VALU_DEP_2)
	v_add_f32_e32 v18, v18, v20
	v_lshlrev_b64 v[20:21], 1, v[29:30]
	s_delay_alu instid0(VALU_DEP_2) | instskip(NEXT) | instid1(VALU_DEP_2)
	v_cvt_f16_f32_e32 v18, v18
	v_add_co_u32 v20, s2, s31, v20
	s_delay_alu instid0(VALU_DEP_1) | instskip(SKIP_3) | instid1(VALU_DEP_1)
	v_add_co_ci_u32_e64 v21, s2, s34, v21, s2
	global_store_b16 v[20:21], v18, off
	s_or_b32 exec_lo, exec_lo, s3
	v_cmp_ne_u32_e64 s2, 0, v3
	s_and_saveexec_b32 s4, s2
	s_cbranch_execz .LBB64_36
.LBB64_49:                              ;   in Loop: Header=BB64_12 Depth=1
	s_waitcnt lgkmcnt(5)
	v_add_f32_e32 v16, v7, v16
	s_waitcnt vmcnt(5)
	v_cvt_f32_f16_e32 v18, v28
	s_delay_alu instid0(VALU_DEP_1) | instskip(NEXT) | instid1(VALU_DEP_1)
	v_dual_mov_b32 v7, v31 :: v_dual_add_f32 v16, v16, v18
	v_lshlrev_b64 v[6:7], 1, v[6:7]
	s_delay_alu instid0(VALU_DEP_2) | instskip(NEXT) | instid1(VALU_DEP_2)
	v_cvt_f16_f32_e32 v16, v16
	v_add_co_u32 v6, s3, s6, v6
	s_delay_alu instid0(VALU_DEP_1) | instskip(SKIP_3) | instid1(VALU_DEP_1)
	v_add_co_ci_u32_e64 v7, s3, s7, v7, s3
	global_store_b16 v[6:7], v16, off
	s_or_b32 exec_lo, exec_lo, s4
	v_cmp_ne_u32_e64 s3, 0, v4
	s_and_saveexec_b32 s37, s3
	s_cbranch_execz .LBB64_37
.LBB64_50:                              ;   in Loop: Header=BB64_12 Depth=1
	s_waitcnt lgkmcnt(4)
	v_dual_add_f32 v7, v17, v19 :: v_dual_mov_b32 v6, v31
	s_waitcnt vmcnt(4)
	v_cvt_f32_f16_e32 v16, v27
	s_delay_alu instid0(VALU_DEP_2) | instskip(NEXT) | instid1(VALU_DEP_2)
	v_lshlrev_b64 v[5:6], 1, v[5:6]
	v_add_f32_e32 v7, v7, v16
	s_delay_alu instid0(VALU_DEP_1) | instskip(NEXT) | instid1(VALU_DEP_3)
	v_cvt_f16_f32_e32 v7, v7
	v_add_co_u32 v5, s4, s6, v5
	s_delay_alu instid0(VALU_DEP_1)
	v_add_co_ci_u32_e64 v6, s4, s7, v6, s4
	global_store_b16 v[5:6], v7, off
	s_or_b32 exec_lo, exec_lo, s37
	v_add_nc_u32_e32 v30, s19, v29
	s_and_saveexec_b32 s4, vcc_lo
	s_cbranch_execz .LBB64_38
.LBB64_51:                              ;   in Loop: Header=BB64_12 Depth=1
	s_waitcnt lgkmcnt(3)
	v_add_f32_e32 v5, v14, v15
	s_waitcnt vmcnt(3)
	v_cvt_f32_f16_e32 v6, v26
	s_delay_alu instid0(VALU_DEP_1) | instskip(SKIP_1) | instid1(VALU_DEP_2)
	v_add_f32_e32 v7, v5, v6
	v_lshlrev_b64 v[5:6], 1, v[30:31]
	v_cvt_f16_f32_e32 v7, v7
	s_delay_alu instid0(VALU_DEP_2) | instskip(NEXT) | instid1(VALU_DEP_3)
	v_add_co_u32 v5, vcc_lo, s6, v5
	v_add_co_ci_u32_e32 v6, vcc_lo, s7, v6, vcc_lo
	global_store_b16 v[5:6], v7, off
	s_or_b32 exec_lo, exec_lo, s4
	s_and_saveexec_b32 s4, s1
	s_cbranch_execz .LBB64_39
.LBB64_52:                              ;   in Loop: Header=BB64_12 Depth=1
	s_waitcnt lgkmcnt(2)
	v_dual_add_f32 v7, v12, v13 :: v_dual_mov_b32 v6, v31
	v_add_nc_u32_e32 v5, 1, v30
	s_waitcnt vmcnt(2)
	v_cvt_f32_f16_e32 v12, v25
	s_delay_alu instid0(VALU_DEP_2) | instskip(NEXT) | instid1(VALU_DEP_2)
	v_lshlrev_b64 v[5:6], 1, v[5:6]
	v_add_f32_e32 v7, v7, v12
	s_delay_alu instid0(VALU_DEP_1) | instskip(NEXT) | instid1(VALU_DEP_3)
	v_cvt_f16_f32_e32 v7, v7
	v_add_co_u32 v5, vcc_lo, s6, v5
	s_delay_alu instid0(VALU_DEP_4)
	v_add_co_ci_u32_e32 v6, vcc_lo, s7, v6, vcc_lo
	global_store_b16 v[5:6], v7, off
	s_or_b32 exec_lo, exec_lo, s4
	s_and_saveexec_b32 s1, s2
	s_cbranch_execz .LBB64_40
.LBB64_53:                              ;   in Loop: Header=BB64_12 Depth=1
	s_waitcnt lgkmcnt(1)
	v_dual_add_f32 v7, v10, v11 :: v_dual_mov_b32 v6, v31
	v_add_nc_u32_e32 v5, 2, v30
	s_waitcnt vmcnt(1)
	v_cvt_f32_f16_e32 v10, v24
	s_delay_alu instid0(VALU_DEP_2) | instskip(NEXT) | instid1(VALU_DEP_2)
	v_lshlrev_b64 v[5:6], 1, v[5:6]
	v_add_f32_e32 v7, v7, v10
	s_delay_alu instid0(VALU_DEP_1) | instskip(NEXT) | instid1(VALU_DEP_3)
	v_cvt_f16_f32_e32 v7, v7
	v_add_co_u32 v5, vcc_lo, s6, v5
	s_delay_alu instid0(VALU_DEP_4) | instskip(SKIP_2) | instid1(SALU_CYCLE_1)
	v_add_co_ci_u32_e32 v6, vcc_lo, s7, v6, vcc_lo
	global_store_b16 v[5:6], v7, off
	s_or_b32 exec_lo, exec_lo, s1
	s_and_b32 exec_lo, exec_lo, s3
	s_cbranch_execnz .LBB64_41
	s_branch .LBB64_42
.LBB64_54:
	s_nop 0
	s_sendmsg sendmsg(MSG_DEALLOC_VGPRS)
	s_endpgm
	.section	.rodata,"a",@progbits
	.p2align	6, 0x0
	.amdhsa_kernel _Z16wvSplitK_hf_big_I6__halfLi64ELi4ELi16ELi8ELi1ELi2EEviiiiiiPKT_S3_S3_PS1_ii
		.amdhsa_group_segment_fixed_size 65536
		.amdhsa_private_segment_fixed_size 0
		.amdhsa_kernarg_size 64
		.amdhsa_user_sgpr_count 15
		.amdhsa_user_sgpr_dispatch_ptr 0
		.amdhsa_user_sgpr_queue_ptr 0
		.amdhsa_user_sgpr_kernarg_segment_ptr 1
		.amdhsa_user_sgpr_dispatch_id 0
		.amdhsa_user_sgpr_private_segment_size 0
		.amdhsa_wavefront_size32 1
		.amdhsa_uses_dynamic_stack 0
		.amdhsa_enable_private_segment 0
		.amdhsa_system_sgpr_workgroup_id_x 1
		.amdhsa_system_sgpr_workgroup_id_y 0
		.amdhsa_system_sgpr_workgroup_id_z 0
		.amdhsa_system_sgpr_workgroup_info 0
		.amdhsa_system_vgpr_workitem_id 1
		.amdhsa_next_free_vgpr 54
		.amdhsa_next_free_sgpr 40
		.amdhsa_reserve_vcc 1
		.amdhsa_float_round_mode_32 0
		.amdhsa_float_round_mode_16_64 0
		.amdhsa_float_denorm_mode_32 3
		.amdhsa_float_denorm_mode_16_64 3
		.amdhsa_dx10_clamp 1
		.amdhsa_ieee_mode 1
		.amdhsa_fp16_overflow 0
		.amdhsa_workgroup_processor_mode 1
		.amdhsa_memory_ordered 1
		.amdhsa_forward_progress 0
		.amdhsa_shared_vgpr_count 0
		.amdhsa_exception_fp_ieee_invalid_op 0
		.amdhsa_exception_fp_denorm_src 0
		.amdhsa_exception_fp_ieee_div_zero 0
		.amdhsa_exception_fp_ieee_overflow 0
		.amdhsa_exception_fp_ieee_underflow 0
		.amdhsa_exception_fp_ieee_inexact 0
		.amdhsa_exception_int_div_zero 0
	.end_amdhsa_kernel
	.section	.text._Z16wvSplitK_hf_big_I6__halfLi64ELi4ELi16ELi8ELi1ELi2EEviiiiiiPKT_S3_S3_PS1_ii,"axG",@progbits,_Z16wvSplitK_hf_big_I6__halfLi64ELi4ELi16ELi8ELi1ELi2EEviiiiiiPKT_S3_S3_PS1_ii,comdat
.Lfunc_end64:
	.size	_Z16wvSplitK_hf_big_I6__halfLi64ELi4ELi16ELi8ELi1ELi2EEviiiiiiPKT_S3_S3_PS1_ii, .Lfunc_end64-_Z16wvSplitK_hf_big_I6__halfLi64ELi4ELi16ELi8ELi1ELi2EEviiiiiiPKT_S3_S3_PS1_ii
                                        ; -- End function
	.section	.AMDGPU.csdata,"",@progbits
; Kernel info:
; codeLenInByte = 4476
; NumSgprs: 42
; NumVgprs: 54
; ScratchSize: 0
; MemoryBound: 0
; FloatMode: 240
; IeeeMode: 1
; LDSByteSize: 65536 bytes/workgroup (compile time only)
; SGPRBlocks: 5
; VGPRBlocks: 6
; NumSGPRsForWavesPerEU: 42
; NumVGPRsForWavesPerEU: 54
; Occupancy: 16
; WaveLimiterHint : 0
; COMPUTE_PGM_RSRC2:SCRATCH_EN: 0
; COMPUTE_PGM_RSRC2:USER_SGPR: 15
; COMPUTE_PGM_RSRC2:TRAP_HANDLER: 0
; COMPUTE_PGM_RSRC2:TGID_X_EN: 1
; COMPUTE_PGM_RSRC2:TGID_Y_EN: 0
; COMPUTE_PGM_RSRC2:TGID_Z_EN: 0
; COMPUTE_PGM_RSRC2:TIDIG_COMP_CNT: 1
	.section	.text._Z16wvSplitK_hf_sml_I6__halfLi64ELi4ELi16ELi8ELi2ELi2EEviiiiiiPKT_S3_S3_PS1_ii,"axG",@progbits,_Z16wvSplitK_hf_sml_I6__halfLi64ELi4ELi16ELi8ELi2ELi2EEviiiiiiPKT_S3_S3_PS1_ii,comdat
	.protected	_Z16wvSplitK_hf_sml_I6__halfLi64ELi4ELi16ELi8ELi2ELi2EEviiiiiiPKT_S3_S3_PS1_ii ; -- Begin function _Z16wvSplitK_hf_sml_I6__halfLi64ELi4ELi16ELi8ELi2ELi2EEviiiiiiPKT_S3_S3_PS1_ii
	.globl	_Z16wvSplitK_hf_sml_I6__halfLi64ELi4ELi16ELi8ELi2ELi2EEviiiiiiPKT_S3_S3_PS1_ii
	.p2align	8
	.type	_Z16wvSplitK_hf_sml_I6__halfLi64ELi4ELi16ELi8ELi2ELi2EEviiiiiiPKT_S3_S3_PS1_ii,@function
_Z16wvSplitK_hf_sml_I6__halfLi64ELi4ELi16ELi8ELi2ELi2EEviiiiiiPKT_S3_S3_PS1_ii: ; @_Z16wvSplitK_hf_sml_I6__halfLi64ELi4ELi16ELi8ELi2ELi2EEviiiiiiPKT_S3_S3_PS1_ii
; %bb.0:
	s_clause 0x2
	s_load_b128 s[4:7], s[0:1], 0x0
	s_load_b64 s[8:9], s[0:1], 0x10
	s_load_b64 s[10:11], s[0:1], 0x28
	v_and_b32_e32 v2, 0x3ff, v0
	v_bfe_u32 v3, v0, 10, 10
	s_mov_b32 s12, exec_lo
	s_delay_alu instid0(VALU_DEP_2) | instskip(NEXT) | instid1(VALU_DEP_1)
	v_lshlrev_b32_e32 v59, 3, v2
	v_lshl_add_u32 v4, v3, 9, v59
	s_waitcnt lgkmcnt(0)
	s_lshl_b32 s6, s6, 1
	s_delay_alu instid0(SALU_CYCLE_1)
	s_min_u32 s3, s6, 0x8000
	s_delay_alu instid0(VALU_DEP_1) | instid1(SALU_CYCLE_1)
	v_cmpx_gt_u32_e64 s3, v4
	s_cbranch_execz .LBB65_3
; %bb.1:
	s_load_b64 s[16:17], s[0:1], 0x20
	v_lshlrev_b32_e32 v5, 10, v3
	v_lshlrev_b32_e32 v6, 4, v2
	s_mov_b32 s13, 0
	s_delay_alu instid0(VALU_DEP_1) | instskip(NEXT) | instid1(VALU_DEP_1)
	v_add_co_u32 v0, s2, v5, v6
	v_add_co_ci_u32_e64 v1, null, 0, 0, s2
	v_add_nc_u32_e32 v5, v5, v6
	s_waitcnt lgkmcnt(0)
	s_delay_alu instid0(VALU_DEP_3) | instskip(NEXT) | instid1(VALU_DEP_3)
	v_add_co_u32 v0, vcc_lo, s16, v0
	v_add_co_ci_u32_e32 v1, vcc_lo, s17, v1, vcc_lo
	.p2align	6
.LBB65_2:                               ; =>This Inner Loop Header: Depth=1
	global_load_b128 v[6:9], v[0:1], off
	v_add_nc_u32_e32 v4, 0x2000, v4
	v_add_co_u32 v0, vcc_lo, 0x4000, v0
	v_add_co_ci_u32_e32 v1, vcc_lo, 0, v1, vcc_lo
	s_delay_alu instid0(VALU_DEP_3) | instskip(NEXT) | instid1(VALU_DEP_1)
	v_cmp_le_u32_e64 s2, s3, v4
	s_or_b32 s13, s2, s13
	s_waitcnt vmcnt(0)
	ds_store_b128 v5, v[6:9]
	v_add_nc_u32_e32 v5, 0x4000, v5
	s_and_not1_b32 exec_lo, exec_lo, s13
	s_cbranch_execnz .LBB65_2
.LBB65_3:
	s_or_b32 exec_lo, exec_lo, s12
	s_load_b64 s[16:17], s[0:1], 0x38
	s_waitcnt lgkmcnt(0)
	s_barrier
	buffer_gl0_inv
	s_mov_b32 s2, exec_lo
	v_cmpx_gt_u32_e64 s16, v3
	s_cbranch_execz .LBB65_20
; %bb.4:
	s_mul_i32 s15, s15, s16
	s_delay_alu instid0(SALU_CYCLE_1) | instskip(NEXT) | instid1(VALU_DEP_1)
	v_add_lshl_u32 v48, s15, v3, 2
	v_cmp_gt_u32_e32 vcc_lo, s7, v48
	s_and_b32 exec_lo, exec_lo, vcc_lo
	s_cbranch_execz .LBB65_20
; %bb.5:
	v_cvt_f32_u32_e32 v0, s8
	s_cmp_lg_u32 s4, 0
	v_lshlrev_b32_e32 v60, 4, v2
	s_cselect_b32 s14, -1, 0
	s_add_i32 s15, s4, -8
	v_rcp_iflag_f32_e32 v0, v0
	s_add_i32 s18, s7, -1
	s_cmp_lg_u64 s[10:11], 0
	v_mbcnt_lo_u32_b32 v62, -1, 0
	s_cselect_b32 s19, -1, 0
	s_sub_i32 s2, 0, s8
	s_abs_i32 s9, s9
	s_waitcnt_depctr 0xfff
	v_mul_f32_e32 v0, 0x4f7ffffe, v0
	s_delay_alu instid0(VALU_DEP_1) | instskip(NEXT) | instid1(VALU_DEP_1)
	v_cvt_u32_f32_e32 v0, v0
	v_mul_lo_u32 v1, s2, v0
	s_clause 0x1
	s_load_b64 s[2:3], s[0:1], 0x18
	s_load_b64 s[12:13], s[0:1], 0x30
	s_mul_i32 s1, s16, s17
	s_sub_i32 s16, 1, s9
	s_lshl_b32 s1, s1, 2
	s_cmp_lt_u32 s9, 2
	v_cmp_eq_u32_e64 s0, 63, v2
	s_cselect_b32 s16, s16, 1
	v_mul_hi_u32 v1, v0, v1
	s_sub_i32 s17, s16, s9
	s_cmp_ge_u32 s16, s9
	v_mov_b32_e32 v50, 0
	s_cselect_b32 s16, s17, s16
	s_mov_b32 s9, 0
	s_mul_i32 s16, s16, s8
	s_delay_alu instid0(VALU_DEP_2)
	v_add_nc_u32_e32 v61, v0, v1
	s_branch .LBB65_8
.LBB65_6:                               ;   in Loop: Header=BB65_8 Depth=1
	s_waitcnt lgkmcnt(0)
	v_dual_add_f32 v0, v0, v3 :: v_dual_add_f32 v3, v1, v4
	s_waitcnt vmcnt(7)
	v_cvt_f32_f16_e32 v1, v23
	v_add_f32_e32 v2, v2, v5
	v_dual_add_f32 v4, v7, v12 :: v_dual_add_f32 v5, v8, v13
	s_delay_alu instid0(VALU_DEP_3)
	v_dual_add_f32 v11, v6, v11 :: v_dual_add_f32 v0, v0, v1
	s_waitcnt vmcnt(6)
	v_cvt_f32_f16_e32 v6, v22
	v_add_f32_e32 v7, v9, v14
	s_waitcnt vmcnt(5)
	v_cvt_f32_f16_e32 v8, v21
	s_waitcnt vmcnt(4)
	v_cvt_f32_f16_e32 v9, v20
	v_dual_add_f32 v10, v10, v15 :: v_dual_add_f32 v3, v3, v6
	s_waitcnt vmcnt(3)
	v_cvt_f32_f16_e32 v6, v19
	v_add_f32_e32 v2, v2, v8
	v_add_f32_e32 v4, v4, v9
	v_cvt_f16_f32_e32 v12, v0
	v_lshlrev_b64 v[0:1], 1, v[48:49]
	v_add_nc_u32_e32 v49, s7, v48
	v_add_f32_e32 v5, v5, v6
	s_waitcnt vmcnt(2)
	v_cvt_f32_f16_e32 v6, v18
	v_cvt_f16_f32_e32 v2, v2
	v_cvt_f16_f32_e32 v4, v4
	;; [unrolled: 1-line block ×3, first 2 shown]
	s_waitcnt vmcnt(1)
	v_cvt_f32_f16_e32 v14, v17
	v_dual_add_f32 v13, v7, v6 :: v_dual_add_nc_u32 v6, 1, v49
	v_mov_b32_e32 v7, v50
	v_pack_b32_f16 v3, v2, v4
	v_pack_b32_f16 v2, v12, v8
	v_add_nc_u32_e32 v8, 2, v49
	v_cvt_f16_f32_e32 v12, v5
	v_lshlrev_b64 v[4:5], 1, v[49:50]
	v_dual_add_f32 v10, v10, v14 :: v_dual_add_nc_u32 v49, 3, v49
	s_waitcnt vmcnt(0)
	v_cvt_f32_f16_e32 v14, v16
	v_mov_b32_e32 v9, v50
	v_add_co_u32 v0, vcc_lo, s12, v0
	v_lshlrev_b64 v[6:7], 1, v[6:7]
	s_delay_alu instid0(VALU_DEP_4)
	v_add_f32_e32 v14, v11, v14
	v_add_co_ci_u32_e32 v1, vcc_lo, s13, v1, vcc_lo
	v_add_co_u32 v4, vcc_lo, s12, v4
	v_lshlrev_b64 v[8:9], 1, v[8:9]
	v_add_co_ci_u32_e32 v5, vcc_lo, s13, v5, vcc_lo
	v_add_co_u32 v6, vcc_lo, s12, v6
	v_cvt_f16_f32_e32 v15, v10
	v_lshlrev_b64 v[10:11], 1, v[49:50]
	v_add_co_ci_u32_e32 v7, vcc_lo, s13, v7, vcc_lo
	v_add_co_u32 v8, vcc_lo, s12, v8
	v_add_co_ci_u32_e32 v9, vcc_lo, s13, v9, vcc_lo
	v_cvt_f16_f32_e32 v13, v13
	v_add_co_u32 v10, vcc_lo, s12, v10
	v_cvt_f16_f32_e32 v14, v14
	v_add_co_ci_u32_e32 v11, vcc_lo, s13, v11, vcc_lo
	s_clause 0x4
	global_store_b64 v[0:1], v[2:3], off
	global_store_b16 v[4:5], v12, off
	global_store_b16 v[6:7], v13, off
	;; [unrolled: 1-line block ×4, first 2 shown]
.LBB65_7:                               ;   in Loop: Header=BB65_8 Depth=1
	s_or_b32 exec_lo, exec_lo, s17
	v_add_nc_u32_e32 v48, s1, v48
	s_delay_alu instid0(VALU_DEP_1) | instskip(SKIP_1) | instid1(SALU_CYCLE_1)
	v_cmp_le_u32_e32 vcc_lo, s7, v48
	s_or_b32 s9, vcc_lo, s9
	s_and_not1_b32 exec_lo, exec_lo, s9
	s_cbranch_execz .LBB65_20
.LBB65_8:                               ; =>This Loop Header: Depth=1
                                        ;     Child Loop BB65_12 Depth 2
	v_mov_b32_e32 v70, v50
	v_mov_b32_e32 v69, v50
	;; [unrolled: 1-line block ×8, first 2 shown]
	s_and_not1_b32 vcc_lo, exec_lo, s14
	s_cbranch_vccnz .LBB65_15
; %bb.9:                                ;   in Loop: Header=BB65_8 Depth=1
	v_or_b32_e32 v0, 1, v48
	v_or_b32_e32 v1, 2, v48
	;; [unrolled: 1-line block ×3, first 2 shown]
	s_waitcnt lgkmcnt(0)
	v_min_u32_e32 v3, s18, v48
	v_dual_mov_b32 v5, v50 :: v_dual_mov_b32 v68, 0
	v_min_u32_e32 v0, s18, v0
	v_min_u32_e32 v1, s18, v1
	;; [unrolled: 1-line block ×3, first 2 shown]
	v_mul_lo_u32 v49, v3, s5
	v_dual_mov_b32 v3, v50 :: v_dual_mov_b32 v66, 0
	v_mul_lo_u32 v0, v0, s5
	v_mul_lo_u32 v2, v1, s5
	;; [unrolled: 1-line block ×3, first 2 shown]
	v_dual_mov_b32 v1, v50 :: v_dual_mov_b32 v64, 0
	v_lshlrev_b64 v[51:52], 1, v[49:50]
	v_dual_mov_b32 v63, 0 :: v_dual_mov_b32 v70, 0
	s_delay_alu instid0(VALU_DEP_3)
	v_lshlrev_b64 v[53:54], 1, v[0:1]
	v_lshlrev_b64 v[55:56], 1, v[2:3]
	;; [unrolled: 1-line block ×3, first 2 shown]
	v_mov_b32_e32 v71, v60
	v_mov_b32_e32 v65, 0
	;; [unrolled: 1-line block ×4, first 2 shown]
	s_mov_b32 s17, 0
	s_branch .LBB65_12
.LBB65_10:                              ;   in Loop: Header=BB65_12 Depth=2
	s_or_b32 exec_lo, exec_lo, s21
.LBB65_11:                              ;   in Loop: Header=BB65_12 Depth=2
	s_delay_alu instid0(SALU_CYCLE_1)
	s_or_b32 exec_lo, exec_lo, s20
	s_waitcnt vmcnt(7) lgkmcnt(1)
	;;#ASMSTART
	v_dot2_f32_f16 v70, v44, v36, v70
	;;#ASMEND
	s_waitcnt vmcnt(6)
	;;#ASMSTART
	v_dot2_f32_f16 v69, v44, v28, v69
	;;#ASMEND
	s_waitcnt vmcnt(5)
	;; [unrolled: 4-line block ×3, first 2 shown]
	;;#ASMSTART
	v_dot2_f32_f16 v67, v44, v24, v67
	;;#ASMEND
	s_waitcnt lgkmcnt(0)
	;;#ASMSTART
	v_dot2_f32_f16 v66, v40, v36, v66
	;;#ASMEND
	;;#ASMSTART
	v_dot2_f32_f16 v65, v40, v28, v65
	;;#ASMEND
	;; [unrolled: 3-line block ×20, first 2 shown]
	v_add_nc_u32_e32 v71, 0x800, v71
	;;#ASMSTART
	v_dot2_f32_f16 v70, v47, v39, v70
	;;#ASMEND
	;;#ASMSTART
	v_dot2_f32_f16 v69, v47, v31, v69
	;;#ASMEND
	;; [unrolled: 3-line block ×8, first 2 shown]
	s_addk_i32 s17, 0x400
	s_waitcnt vmcnt(3)
	;;#ASMSTART
	v_dot2_f32_f16 v70, v20, v16, v70
	;;#ASMEND
	s_waitcnt vmcnt(2)
	;;#ASMSTART
	v_dot2_f32_f16 v69, v20, v12, v69
	;;#ASMEND
	;; [unrolled: 4-line block ×4, first 2 shown]
	;;#ASMSTART
	v_dot2_f32_f16 v66, v8, v16, v66
	;;#ASMEND
	;;#ASMSTART
	v_dot2_f32_f16 v65, v8, v12, v65
	;;#ASMEND
	;; [unrolled: 3-line block ×12, first 2 shown]
	s_cmp_ge_u32 s17, s4
	;;#ASMSTART
	v_dot2_f32_f16 v70, v22, v18, v70
	;;#ASMEND
	;;#ASMSTART
	v_dot2_f32_f16 v69, v22, v14, v69
	;;#ASMEND
	;; [unrolled: 3-line block ×16, first 2 shown]
	s_cbranch_scc1 .LBB65_15
.LBB65_12:                              ;   Parent Loop BB65_8 Depth=1
                                        ; =>  This Inner Loop Header: Depth=2
	v_dual_mov_b32 v45, 0 :: v_dual_add_nc_u32 v20, s17, v59
	v_dual_mov_b32 v44, 0 :: v_dual_mov_b32 v21, 0
	v_dual_mov_b32 v46, 0 :: v_dual_mov_b32 v23, 0
	s_delay_alu instid0(VALU_DEP_3) | instskip(SKIP_2) | instid1(VALU_DEP_3)
	v_min_u32_e32 v49, s15, v20
	v_dual_mov_b32 v47, 0 :: v_dual_add_nc_u32 v72, 0x200, v20
	v_dual_mov_b32 v22, 0 :: v_dual_mov_b32 v43, 0
	v_lshlrev_b64 v[0:1], 1, v[49:50]
	s_delay_alu instid0(VALU_DEP_3) | instskip(SKIP_3) | instid1(VALU_DEP_4)
	v_min_u32_e32 v49, s15, v72
	v_mov_b32_e32 v40, 0
	v_dual_mov_b32 v42, 0 :: v_dual_mov_b32 v41, 0
	s_waitcnt lgkmcnt(0)
	v_add_co_u32 v8, vcc_lo, s2, v0
	v_add_co_ci_u32_e32 v9, vcc_lo, s3, v1, vcc_lo
	v_lshlrev_b64 v[0:1], 1, v[49:50]
	s_delay_alu instid0(VALU_DEP_3) | instskip(NEXT) | instid1(VALU_DEP_3)
	v_add_co_u32 v2, vcc_lo, v8, v51
	v_add_co_ci_u32_e32 v3, vcc_lo, v9, v52, vcc_lo
	v_add_co_u32 v4, vcc_lo, v8, v53
	v_add_co_ci_u32_e32 v5, vcc_lo, v9, v54, vcc_lo
	v_add_co_u32 v6, vcc_lo, v8, v55
	v_add_co_ci_u32_e32 v7, vcc_lo, v9, v56, vcc_lo
	v_add_co_u32 v10, vcc_lo, s2, v0
	v_add_co_ci_u32_e32 v11, vcc_lo, s3, v1, vcc_lo
	v_add_co_u32 v0, vcc_lo, v8, v57
	v_add_co_ci_u32_e32 v1, vcc_lo, v9, v58, vcc_lo
	s_clause 0x1
	global_load_b128 v[36:39], v[2:3], off slc dlc
	global_load_b128 v[28:31], v[4:5], off slc dlc
	v_add_co_u32 v2, vcc_lo, v10, v51
	v_add_co_ci_u32_e32 v3, vcc_lo, v11, v52, vcc_lo
	v_add_co_u32 v4, vcc_lo, v10, v53
	v_add_co_ci_u32_e32 v5, vcc_lo, v11, v54, vcc_lo
	;; [unrolled: 2-line block ×4, first 2 shown]
	s_clause 0x5
	global_load_b128 v[32:35], v[6:7], off slc dlc
	global_load_b128 v[24:27], v[0:1], off slc dlc
	;; [unrolled: 1-line block ×6, first 2 shown]
	v_mov_b32_e32 v11, 0
	v_cmp_gt_u32_e32 vcc_lo, s4, v20
	v_mov_b32_e32 v20, 0
	v_dual_mov_b32 v8, 0 :: v_dual_mov_b32 v9, 0
	v_mov_b32_e32 v10, 0
	s_and_saveexec_b32 s20, vcc_lo
	s_cbranch_execz .LBB65_11
; %bb.13:                               ;   in Loop: Header=BB65_12 Depth=2
	v_dual_mov_b32 v10, 0 :: v_dual_add_nc_u32 v49, s6, v71
	v_dual_mov_b32 v11, 0 :: v_dual_mov_b32 v8, 0
	ds_load_b128 v[44:47], v71
	ds_load_b128 v[40:43], v49
	v_dual_mov_b32 v9, 0 :: v_dual_mov_b32 v22, 0
	v_dual_mov_b32 v23, 0 :: v_dual_mov_b32 v20, 0
	v_mov_b32_e32 v21, 0
	s_mov_b32 s21, exec_lo
	v_cmpx_gt_u32_e64 s4, v72
	s_cbranch_execz .LBB65_10
; %bb.14:                               ;   in Loop: Header=BB65_12 Depth=2
	ds_load_b128 v[20:23], v71 offset:1024
	ds_load_b128 v[8:11], v49 offset:1024
	s_branch .LBB65_10
.LBB65_15:                              ;   in Loop: Header=BB65_8 Depth=1
	; sched_barrier mask(0x00000000)
	v_cvt_i32_f32_e32 v0, v70
	v_cvt_i32_f32_e32 v1, v69
	;; [unrolled: 1-line block ×3, first 2 shown]
	s_waitcnt lgkmcnt(0)
	v_xor_b32_e32 v3, 16, v62
	v_cvt_i32_f32_e32 v10, v64
	v_cvt_f32_i32_dpp v0, v0 row_shr:8 row_mask:0xf bank_mask:0xf bound_ctrl:1
	v_cvt_f32_i32_dpp v1, v1 row_shr:8 row_mask:0xf bank_mask:0xf bound_ctrl:1
	;; [unrolled: 1-line block ×3, first 2 shown]
	v_cmp_gt_i32_e32 vcc_lo, 32, v3
	v_cvt_i32_f32_e32 v4, v67
	s_delay_alu instid0(VALU_DEP_4) | instskip(NEXT) | instid1(VALU_DEP_4)
	v_dual_add_f32 v0, v70, v0 :: v_dual_add_f32 v1, v69, v1
	v_dual_add_f32 v2, v68, v2 :: v_dual_cndmask_b32 v3, v62, v3
	v_cvt_f32_i32_dpp v10, v10 row_shr:8 row_mask:0xf bank_mask:0xf bound_ctrl:1
	s_delay_alu instid0(VALU_DEP_3) | instskip(NEXT) | instid1(VALU_DEP_4)
	v_cvt_i32_f32_e32 v7, v0
	v_cvt_i32_f32_e32 v8, v1
	s_delay_alu instid0(VALU_DEP_4)
	v_cvt_i32_f32_e32 v9, v2
	v_cvt_i32_f32_e32 v11, v63
	v_cvt_f32_i32_dpp v4, v4 row_shr:8 row_mask:0xf bank_mask:0xf bound_ctrl:1
	v_cvt_f32_i32_dpp v7, v7 row_shr:4 row_mask:0xf bank_mask:0xf bound_ctrl:1
	;; [unrolled: 1-line block ×5, first 2 shown]
	v_lshlrev_b32_e32 v16, 2, v3
	s_delay_alu instid0(VALU_DEP_4) | instskip(SKIP_2) | instid1(VALU_DEP_3)
	v_dual_add_f32 v0, v0, v7 :: v_dual_add_f32 v1, v1, v8
	v_cvt_i32_f32_e32 v5, v66
	v_cvt_i32_f32_e32 v6, v65
	;; [unrolled: 1-line block ×3, first 2 shown]
	s_delay_alu instid0(VALU_DEP_4) | instskip(NEXT) | instid1(VALU_DEP_4)
	v_cvt_i32_f32_e32 v8, v1
	v_cvt_f32_i32_dpp v5, v5 row_shr:8 row_mask:0xf bank_mask:0xf bound_ctrl:1
	s_delay_alu instid0(VALU_DEP_4) | instskip(NEXT) | instid1(VALU_DEP_4)
	v_cvt_f32_i32_dpp v6, v6 row_shr:8 row_mask:0xf bank_mask:0xf bound_ctrl:1
	v_cvt_f32_i32_dpp v7, v7 row_shr:2 row_mask:0xf bank_mask:0xf bound_ctrl:1
	s_delay_alu instid0(VALU_DEP_4) | instskip(NEXT) | instid1(VALU_DEP_1)
	v_cvt_f32_i32_dpp v8, v8 row_shr:2 row_mask:0xf bank_mask:0xf bound_ctrl:1
	v_dual_add_f32 v2, v2, v9 :: v_dual_add_f32 v1, v1, v8
	s_delay_alu instid0(VALU_DEP_1) | instskip(NEXT) | instid1(VALU_DEP_4)
	v_cvt_i32_f32_e32 v9, v2
	v_dual_add_f32 v0, v0, v7 :: v_dual_add_f32 v7, v67, v4
	s_delay_alu instid0(VALU_DEP_3) | instskip(NEXT) | instid1(VALU_DEP_3)
	v_cvt_i32_f32_e32 v4, v1
	v_cvt_f32_i32_dpp v9, v9 row_shr:2 row_mask:0xf bank_mask:0xf bound_ctrl:1
	s_delay_alu instid0(VALU_DEP_2) | instskip(NEXT) | instid1(VALU_DEP_2)
	v_cvt_f32_i32_dpp v4, v4 row_shr:1 row_mask:0xf bank_mask:0xf bound_ctrl:1
	v_dual_add_f32 v2, v2, v9 :: v_dual_add_f32 v9, v64, v10
	s_delay_alu instid0(VALU_DEP_2) | instskip(SKIP_1) | instid1(VALU_DEP_3)
	v_add_f32_e32 v1, v1, v4
	v_cvt_i32_f32_e32 v3, v0
	v_cvt_i32_f32_e32 v14, v9
	ds_bpermute_b32 v4, v16, v1
	v_cvt_f32_i32_dpp v3, v3 row_shr:1 row_mask:0xf bank_mask:0xf bound_ctrl:1
	v_cvt_f32_i32_dpp v14, v14 row_shr:4 row_mask:0xf bank_mask:0xf bound_ctrl:1
	v_add_f32_e32 v10, v63, v11
	v_cvt_i32_f32_e32 v11, v7
	s_delay_alu instid0(VALU_DEP_3) | instskip(NEXT) | instid1(VALU_DEP_3)
	v_add_f32_e32 v9, v9, v14
	v_cvt_i32_f32_e32 v15, v10
	s_delay_alu instid0(VALU_DEP_3)
	v_cvt_f32_i32_dpp v11, v11 row_shr:4 row_mask:0xf bank_mask:0xf bound_ctrl:1
	v_add_f32_e32 v8, v66, v5
	v_cvt_i32_f32_e32 v5, v2
	v_cvt_i32_f32_e32 v14, v9
	v_cvt_f32_i32_dpp v15, v15 row_shr:4 row_mask:0xf bank_mask:0xf bound_ctrl:1
	v_add_f32_e32 v7, v7, v11
	v_cvt_i32_f32_e32 v12, v8
	v_cvt_f32_i32_dpp v5, v5 row_shr:1 row_mask:0xf bank_mask:0xf bound_ctrl:1
	v_cvt_f32_i32_dpp v14, v14 row_shr:2 row_mask:0xf bank_mask:0xf bound_ctrl:1
	v_add_f32_e32 v0, v0, v3
	v_cvt_i32_f32_e32 v11, v7
	v_cvt_f32_i32_dpp v12, v12 row_shr:4 row_mask:0xf bank_mask:0xf bound_ctrl:1
	v_add_f32_e32 v10, v10, v15
	v_add_f32_e32 v2, v2, v5
	s_delay_alu instid0(VALU_DEP_4) | instskip(SKIP_1) | instid1(VALU_DEP_4)
	v_cvt_f32_i32_dpp v11, v11 row_shr:2 row_mask:0xf bank_mask:0xf bound_ctrl:1
	v_add_f32_e32 v6, v65, v6
	v_cvt_i32_f32_e32 v15, v10
	ds_bpermute_b32 v5, v16, v2
	v_add_f32_e32 v7, v7, v11
	v_cvt_i32_f32_e32 v13, v6
	v_add_f32_e32 v11, v9, v14
	v_cvt_f32_i32_dpp v15, v15 row_shr:2 row_mask:0xf bank_mask:0xf bound_ctrl:1
	ds_bpermute_b32 v3, v16, v0
	v_cvt_i32_f32_e32 v9, v7
	v_cvt_f32_i32_dpp v13, v13 row_shr:4 row_mask:0xf bank_mask:0xf bound_ctrl:1
	v_cvt_i32_f32_e32 v14, v11
	s_delay_alu instid0(VALU_DEP_3) | instskip(NEXT) | instid1(VALU_DEP_3)
	v_cvt_f32_i32_dpp v9, v9 row_shr:1 row_mask:0xf bank_mask:0xf bound_ctrl:1
	v_add_f32_e32 v6, v6, v13
	v_add_f32_e32 v8, v8, v12
	s_delay_alu instid0(VALU_DEP_4) | instskip(NEXT) | instid1(VALU_DEP_4)
	v_cvt_f32_i32_dpp v14, v14 row_shr:1 row_mask:0xf bank_mask:0xf bound_ctrl:1
	v_add_f32_e32 v7, v7, v9
	s_delay_alu instid0(VALU_DEP_4) | instskip(NEXT) | instid1(VALU_DEP_4)
	v_cvt_i32_f32_e32 v13, v6
	v_cvt_i32_f32_e32 v12, v8
	s_delay_alu instid0(VALU_DEP_2) | instskip(NEXT) | instid1(VALU_DEP_2)
	v_cvt_f32_i32_dpp v13, v13 row_shr:2 row_mask:0xf bank_mask:0xf bound_ctrl:1
	v_cvt_f32_i32_dpp v12, v12 row_shr:2 row_mask:0xf bank_mask:0xf bound_ctrl:1
	s_delay_alu instid0(VALU_DEP_2) | instskip(NEXT) | instid1(VALU_DEP_1)
	v_add_f32_e32 v6, v6, v13
	v_cvt_i32_f32_e32 v13, v6
	s_delay_alu instid0(VALU_DEP_1) | instskip(NEXT) | instid1(VALU_DEP_4)
	v_cvt_f32_i32_dpp v13, v13 row_shr:1 row_mask:0xf bank_mask:0xf bound_ctrl:1
	v_add_f32_e32 v8, v8, v12
	v_add_f32_e32 v12, v10, v15
	s_delay_alu instid0(VALU_DEP_3) | instskip(NEXT) | instid1(VALU_DEP_3)
	v_add_f32_e32 v9, v6, v13
	v_cvt_i32_f32_e32 v10, v8
	s_delay_alu instid0(VALU_DEP_3) | instskip(NEXT) | instid1(VALU_DEP_2)
	v_cvt_i32_f32_e32 v15, v12
	v_cvt_f32_i32_dpp v10, v10 row_shr:1 row_mask:0xf bank_mask:0xf bound_ctrl:1
	s_delay_alu instid0(VALU_DEP_2) | instskip(NEXT) | instid1(VALU_DEP_2)
	v_cvt_f32_i32_dpp v15, v15 row_shr:1 row_mask:0xf bank_mask:0xf bound_ctrl:1
	v_add_f32_e32 v8, v8, v10
	v_add_f32_e32 v10, v11, v14
	s_delay_alu instid0(VALU_DEP_3)
	v_add_f32_e32 v6, v12, v15
	ds_bpermute_b32 v12, v16, v7
	ds_bpermute_b32 v14, v16, v9
	;; [unrolled: 1-line block ×5, first 2 shown]
	s_and_saveexec_b32 s17, s0
	s_cbranch_execz .LBB65_7
; %bb.16:                               ;   in Loop: Header=BB65_8 Depth=1
	s_and_b32 vcc_lo, exec_lo, s19
	s_cbranch_vccz .LBB65_18
; %bb.17:                               ;   in Loop: Header=BB65_8 Depth=1
	v_mul_hi_u32 v16, v48, v61
	v_or_b32_e32 v18, 1, v48
	v_or_b32_e32 v20, 2, v48
	;; [unrolled: 1-line block ×3, first 2 shown]
	s_delay_alu instid0(VALU_DEP_3) | instskip(NEXT) | instid1(VALU_DEP_3)
	v_mul_hi_u32 v17, v18, v61
	v_mul_hi_u32 v19, v20, v61
	v_mul_lo_u32 v16, v16, s8
	s_delay_alu instid0(VALU_DEP_4) | instskip(NEXT) | instid1(VALU_DEP_4)
	v_mul_hi_u32 v22, v21, v61
	v_mul_lo_u32 v23, v17, s8
	s_delay_alu instid0(VALU_DEP_4) | instskip(NEXT) | instid1(VALU_DEP_4)
	v_mul_lo_u32 v24, v19, s8
	v_sub_nc_u32_e32 v16, v48, v16
	s_delay_alu instid0(VALU_DEP_4) | instskip(NEXT) | instid1(VALU_DEP_2)
	v_mul_lo_u32 v22, v22, s8
	v_subrev_nc_u32_e32 v25, s8, v16
	v_sub_nc_u32_e32 v18, v18, v23
	v_cmp_le_u32_e32 vcc_lo, s8, v16
	v_mov_b32_e32 v17, v50
	v_sub_nc_u32_e32 v20, v20, v24
	v_sub_nc_u32_e32 v22, v21, v22
	v_subrev_nc_u32_e32 v23, s8, v18
	v_cndmask_b32_e32 v16, v16, v25, vcc_lo
	v_cmp_le_u32_e32 vcc_lo, s8, v18
	v_subrev_nc_u32_e32 v24, s8, v20
	v_subrev_nc_u32_e32 v25, s8, v22
	s_delay_alu instid0(VALU_DEP_4) | instskip(SKIP_4) | instid1(VALU_DEP_2)
	v_subrev_nc_u32_e32 v26, s8, v16
	v_cndmask_b32_e32 v18, v18, v23, vcc_lo
	v_cmp_le_u32_e32 vcc_lo, s8, v20
	v_dual_mov_b32 v19, v50 :: v_dual_cndmask_b32 v20, v20, v24
	v_cmp_le_u32_e32 vcc_lo, s8, v22
	v_subrev_nc_u32_e32 v23, s8, v20
	v_cndmask_b32_e32 v24, v22, v25, vcc_lo
	v_cmp_le_u32_e32 vcc_lo, s8, v16
	v_cndmask_b32_e32 v49, v16, v26, vcc_lo
	v_subrev_nc_u32_e32 v22, s8, v18
	v_cmp_le_u32_e32 vcc_lo, s8, v18
	s_delay_alu instid0(VALU_DEP_2) | instskip(SKIP_4) | instid1(VALU_DEP_3)
	v_cndmask_b32_e32 v16, v18, v22, vcc_lo
	v_cmp_le_u32_e32 vcc_lo, s8, v20
	v_dual_mov_b32 v21, v50 :: v_dual_cndmask_b32 v18, v20, v23
	v_lshlrev_b64 v[22:23], 1, v[49:50]
	v_add_nc_u32_e32 v49, s16, v49
	v_lshlrev_b64 v[26:27], 1, v[18:19]
	s_delay_alu instid0(VALU_DEP_2) | instskip(SKIP_3) | instid1(VALU_DEP_2)
	v_lshlrev_b64 v[30:31], 1, v[49:50]
	v_add_nc_u32_e32 v49, s16, v16
	v_subrev_nc_u32_e32 v25, s8, v24
	v_cmp_le_u32_e32 vcc_lo, s8, v24
	v_cndmask_b32_e32 v20, v24, v25, vcc_lo
	v_lshlrev_b64 v[24:25], 1, v[16:17]
	v_add_co_u32 v22, vcc_lo, s10, v22
	v_add_co_ci_u32_e32 v23, vcc_lo, s11, v23, vcc_lo
	s_delay_alu instid0(VALU_DEP_4) | instskip(NEXT) | instid1(VALU_DEP_4)
	v_lshlrev_b64 v[28:29], 1, v[20:21]
	v_add_co_u32 v24, vcc_lo, s10, v24
	v_add_co_ci_u32_e32 v25, vcc_lo, s11, v25, vcc_lo
	v_add_co_u32 v26, vcc_lo, s10, v26
	v_add_co_ci_u32_e32 v27, vcc_lo, s11, v27, vcc_lo
	;; [unrolled: 2-line block ×3, first 2 shown]
	v_lshlrev_b64 v[28:29], 1, v[49:50]
	v_add_nc_u32_e32 v49, s16, v18
	v_add_co_u32 v18, vcc_lo, s10, v30
	v_add_co_ci_u32_e32 v19, vcc_lo, s11, v31, vcc_lo
	s_delay_alu instid0(VALU_DEP_3) | instskip(SKIP_3) | instid1(VALU_DEP_3)
	v_lshlrev_b64 v[30:31], 1, v[49:50]
	v_add_nc_u32_e32 v49, s16, v20
	v_add_co_u32 v28, vcc_lo, s10, v28
	v_add_co_ci_u32_e32 v29, vcc_lo, s11, v29, vcc_lo
	v_lshlrev_b64 v[20:21], 1, v[49:50]
	v_add_co_u32 v30, vcc_lo, s10, v30
	v_add_co_ci_u32_e32 v31, vcc_lo, s11, v31, vcc_lo
	v_mov_b32_e32 v49, v50
	s_delay_alu instid0(VALU_DEP_4)
	v_add_co_u32 v32, vcc_lo, s10, v20
	v_add_co_ci_u32_e32 v33, vcc_lo, s11, v21, vcc_lo
	s_clause 0x7
	global_load_u16 v23, v[22:23], off
	global_load_u16 v22, v[24:25], off
	;; [unrolled: 1-line block ×8, first 2 shown]
	s_cbranch_execnz .LBB65_6
	s_branch .LBB65_19
.LBB65_18:                              ;   in Loop: Header=BB65_8 Depth=1
                                        ; implicit-def: $vgpr16
                                        ; implicit-def: $vgpr17
                                        ; implicit-def: $vgpr18
                                        ; implicit-def: $vgpr19
                                        ; implicit-def: $vgpr20
                                        ; implicit-def: $vgpr21
                                        ; implicit-def: $vgpr22
                                        ; implicit-def: $vgpr23
.LBB65_19:                              ;   in Loop: Header=BB65_8 Depth=1
	s_waitcnt vmcnt(6)
	v_dual_mov_b32 v49, v50 :: v_dual_mov_b32 v22, 0
	s_waitcnt vmcnt(4)
	v_dual_mov_b32 v23, 0 :: v_dual_mov_b32 v20, 0
	;; [unrolled: 2-line block ×4, first 2 shown]
	v_mov_b32_e32 v17, 0
	s_branch .LBB65_6
.LBB65_20:
	s_nop 0
	s_sendmsg sendmsg(MSG_DEALLOC_VGPRS)
	s_endpgm
	.section	.rodata,"a",@progbits
	.p2align	6, 0x0
	.amdhsa_kernel _Z16wvSplitK_hf_sml_I6__halfLi64ELi4ELi16ELi8ELi2ELi2EEviiiiiiPKT_S3_S3_PS1_ii
		.amdhsa_group_segment_fixed_size 65536
		.amdhsa_private_segment_fixed_size 0
		.amdhsa_kernarg_size 64
		.amdhsa_user_sgpr_count 15
		.amdhsa_user_sgpr_dispatch_ptr 0
		.amdhsa_user_sgpr_queue_ptr 0
		.amdhsa_user_sgpr_kernarg_segment_ptr 1
		.amdhsa_user_sgpr_dispatch_id 0
		.amdhsa_user_sgpr_private_segment_size 0
		.amdhsa_wavefront_size32 1
		.amdhsa_uses_dynamic_stack 0
		.amdhsa_enable_private_segment 0
		.amdhsa_system_sgpr_workgroup_id_x 1
		.amdhsa_system_sgpr_workgroup_id_y 0
		.amdhsa_system_sgpr_workgroup_id_z 0
		.amdhsa_system_sgpr_workgroup_info 0
		.amdhsa_system_vgpr_workitem_id 1
		.amdhsa_next_free_vgpr 73
		.amdhsa_next_free_sgpr 22
		.amdhsa_reserve_vcc 1
		.amdhsa_float_round_mode_32 0
		.amdhsa_float_round_mode_16_64 0
		.amdhsa_float_denorm_mode_32 3
		.amdhsa_float_denorm_mode_16_64 3
		.amdhsa_dx10_clamp 1
		.amdhsa_ieee_mode 1
		.amdhsa_fp16_overflow 0
		.amdhsa_workgroup_processor_mode 1
		.amdhsa_memory_ordered 1
		.amdhsa_forward_progress 0
		.amdhsa_shared_vgpr_count 0
		.amdhsa_exception_fp_ieee_invalid_op 0
		.amdhsa_exception_fp_denorm_src 0
		.amdhsa_exception_fp_ieee_div_zero 0
		.amdhsa_exception_fp_ieee_overflow 0
		.amdhsa_exception_fp_ieee_underflow 0
		.amdhsa_exception_fp_ieee_inexact 0
		.amdhsa_exception_int_div_zero 0
	.end_amdhsa_kernel
	.section	.text._Z16wvSplitK_hf_sml_I6__halfLi64ELi4ELi16ELi8ELi2ELi2EEviiiiiiPKT_S3_S3_PS1_ii,"axG",@progbits,_Z16wvSplitK_hf_sml_I6__halfLi64ELi4ELi16ELi8ELi2ELi2EEviiiiiiPKT_S3_S3_PS1_ii,comdat
.Lfunc_end65:
	.size	_Z16wvSplitK_hf_sml_I6__halfLi64ELi4ELi16ELi8ELi2ELi2EEviiiiiiPKT_S3_S3_PS1_ii, .Lfunc_end65-_Z16wvSplitK_hf_sml_I6__halfLi64ELi4ELi16ELi8ELi2ELi2EEviiiiiiPKT_S3_S3_PS1_ii
                                        ; -- End function
	.section	.AMDGPU.csdata,"",@progbits
; Kernel info:
; codeLenInByte = 4092
; NumSgprs: 24
; NumVgprs: 73
; ScratchSize: 0
; MemoryBound: 0
; FloatMode: 240
; IeeeMode: 1
; LDSByteSize: 65536 bytes/workgroup (compile time only)
; SGPRBlocks: 2
; VGPRBlocks: 9
; NumSGPRsForWavesPerEU: 24
; NumVGPRsForWavesPerEU: 73
; Occupancy: 16
; WaveLimiterHint : 0
; COMPUTE_PGM_RSRC2:SCRATCH_EN: 0
; COMPUTE_PGM_RSRC2:USER_SGPR: 15
; COMPUTE_PGM_RSRC2:TRAP_HANDLER: 0
; COMPUTE_PGM_RSRC2:TGID_X_EN: 1
; COMPUTE_PGM_RSRC2:TGID_Y_EN: 0
; COMPUTE_PGM_RSRC2:TGID_Z_EN: 0
; COMPUTE_PGM_RSRC2:TIDIG_COMP_CNT: 1
	.section	.text._Z12wvSplitK_hf_I6__halfLi64ELi4ELi16ELi8ELi2ELi2EEviiiiiiPKT_S3_S3_PS1_ii,"axG",@progbits,_Z12wvSplitK_hf_I6__halfLi64ELi4ELi16ELi8ELi2ELi2EEviiiiiiPKT_S3_S3_PS1_ii,comdat
	.protected	_Z12wvSplitK_hf_I6__halfLi64ELi4ELi16ELi8ELi2ELi2EEviiiiiiPKT_S3_S3_PS1_ii ; -- Begin function _Z12wvSplitK_hf_I6__halfLi64ELi4ELi16ELi8ELi2ELi2EEviiiiiiPKT_S3_S3_PS1_ii
	.globl	_Z12wvSplitK_hf_I6__halfLi64ELi4ELi16ELi8ELi2ELi2EEviiiiiiPKT_S3_S3_PS1_ii
	.p2align	8
	.type	_Z12wvSplitK_hf_I6__halfLi64ELi4ELi16ELi8ELi2ELi2EEviiiiiiPKT_S3_S3_PS1_ii,@function
_Z12wvSplitK_hf_I6__halfLi64ELi4ELi16ELi8ELi2ELi2EEviiiiiiPKT_S3_S3_PS1_ii: ; @_Z12wvSplitK_hf_I6__halfLi64ELi4ELi16ELi8ELi2ELi2EEviiiiiiPKT_S3_S3_PS1_ii
; %bb.0:
	s_clause 0x1
	s_load_b64 s[20:21], s[0:1], 0x38
	s_load_b128 s[8:11], s[0:1], 0x0
	v_bfe_u32 v7, v0, 10, 10
	s_clause 0x1
	s_load_b64 s[12:13], s[0:1], 0x20
	s_load_b64 s[16:17], s[0:1], 0x10
	s_mov_b32 s4, 1
	s_delay_alu instid0(SALU_CYCLE_1) | instskip(SKIP_4) | instid1(SALU_CYCLE_1)
	s_mov_b32 s5, s4
	s_mov_b32 s6, s4
	;; [unrolled: 1-line block ×3, first 2 shown]
	s_waitcnt lgkmcnt(0)
	s_mul_i32 s15, s15, s20
	v_add_lshl_u32 v53, s15, v7, 2
	s_delay_alu instid0(VALU_DEP_1) | instskip(SKIP_1) | instid1(VALU_DEP_2)
	v_add_nc_u32_e32 v1, 4, v53
	v_cmp_gt_u32_e32 vcc_lo, s11, v53
	v_cmp_le_u32_e64 s2, s11, v1
	v_dual_mov_b32 v1, s4 :: v_dual_mov_b32 v4, s7
	v_dual_mov_b32 v2, s5 :: v_dual_mov_b32 v3, s6
	s_delay_alu instid0(VALU_DEP_3) | instskip(NEXT) | instid1(SALU_CYCLE_1)
	s_and_b32 s2, vcc_lo, s2
	s_and_saveexec_b32 s14, s2
	s_cbranch_execz .LBB66_6
; %bb.1:
	v_dual_mov_b32 v1, s4 :: v_dual_mov_b32 v2, s5
	v_dual_mov_b32 v3, s6 :: v_dual_mov_b32 v4, s7
	s_add_i32 s15, s11, -4
	s_mov_b32 s18, exec_lo
	v_cmpx_ne_u32_e64 s15, v53
	s_cbranch_execz .LBB66_5
; %bb.2:
	v_subrev_nc_u32_e32 v1, s15, v53
	s_mov_b32 s19, 0
	s_mov_b64 s[2:3], 0
	s_mov_b32 s5, s4
	s_mov_b32 s6, s4
	v_cmp_lt_u32_e32 vcc_lo, 1, v1
	s_mov_b32 s7, s4
	v_cndmask_b32_e32 v5, 1, v1, vcc_lo
	.p2align	6
.LBB66_3:                               ; =>This Inner Loop Header: Depth=1
	s_cmp_lg_u32 s2, 3
	s_cselect_b32 s7, s7, 0
	s_cmp_lg_u32 s2, 2
	s_cselect_b32 s6, s6, 0
	;; [unrolled: 2-line block ×4, first 2 shown]
	s_add_u32 s2, s2, 1
	v_dual_mov_b32 v1, s4 :: v_dual_mov_b32 v2, s5
	v_cmp_eq_u32_e32 vcc_lo, s2, v5
	v_dual_mov_b32 v3, s6 :: v_dual_mov_b32 v4, s7
	s_addc_u32 s3, s3, 0
	s_or_b32 s19, vcc_lo, s19
	s_delay_alu instid0(SALU_CYCLE_1)
	s_and_not1_b32 exec_lo, exec_lo, s19
	s_cbranch_execnz .LBB66_3
; %bb.4:
	s_or_b32 exec_lo, exec_lo, s19
	v_mov_b32_e32 v53, s15
.LBB66_5:
	s_or_b32 exec_lo, exec_lo, s18
.LBB66_6:
	s_delay_alu instid0(SALU_CYCLE_1)
	s_or_b32 exec_lo, exec_lo, s14
	s_load_b64 s[6:7], s[0:1], 0x28
	v_and_b32_e32 v8, 0x3ff, v0
	s_lshl_b32 s2, s10, 1
	s_mov_b32 s4, exec_lo
	s_min_u32 s3, s2, 0x8000
	s_delay_alu instid0(VALU_DEP_1) | instskip(NEXT) | instid1(VALU_DEP_1)
	v_lshlrev_b32_e32 v0, 3, v8
	v_lshl_add_u32 v9, v7, 9, v0
	s_delay_alu instid0(VALU_DEP_1)
	v_cmpx_gt_u32_e64 s3, v9
	s_cbranch_execz .LBB66_9
; %bb.7:
	v_lshlrev_b32_e32 v10, 10, v7
	v_lshlrev_b32_e32 v11, 4, v8
	s_mov_b32 s5, 0
	s_delay_alu instid0(VALU_DEP_1) | instskip(NEXT) | instid1(VALU_DEP_1)
	v_add_co_u32 v5, s2, v10, v11
	v_add_co_ci_u32_e64 v6, null, 0, 0, s2
	v_add_nc_u32_e32 v10, v10, v11
	s_delay_alu instid0(VALU_DEP_3) | instskip(NEXT) | instid1(VALU_DEP_3)
	v_add_co_u32 v5, vcc_lo, s12, v5
	v_add_co_ci_u32_e32 v6, vcc_lo, s13, v6, vcc_lo
	.p2align	6
.LBB66_8:                               ; =>This Inner Loop Header: Depth=1
	global_load_b128 v[11:14], v[5:6], off
	v_add_nc_u32_e32 v9, 0x2000, v9
	v_add_co_u32 v5, vcc_lo, 0x4000, v5
	v_add_co_ci_u32_e32 v6, vcc_lo, 0, v6, vcc_lo
	s_delay_alu instid0(VALU_DEP_3) | instskip(NEXT) | instid1(VALU_DEP_1)
	v_cmp_le_u32_e64 s2, s3, v9
	s_or_b32 s5, s2, s5
	s_waitcnt vmcnt(0)
	ds_store_b128 v10, v[11:14]
	v_add_nc_u32_e32 v10, 0x4000, v10
	s_and_not1_b32 exec_lo, exec_lo, s5
	s_cbranch_execnz .LBB66_8
.LBB66_9:
	s_or_b32 exec_lo, exec_lo, s4
	v_cmp_gt_u32_e32 vcc_lo, s20, v7
	v_cmp_gt_u32_e64 s2, s11, v53
	s_waitcnt lgkmcnt(0)
	s_barrier
	buffer_gl0_inv
	s_and_b32 s2, vcc_lo, s2
	s_delay_alu instid0(SALU_CYCLE_1)
	s_and_saveexec_b32 s3, s2
	s_cbranch_execz .LBB66_60
; %bb.10:
	v_cvt_f32_u32_e32 v5, s16
	s_cmp_lg_u32 s8, 0
	s_clause 0x1
	s_load_b64 s[14:15], s[0:1], 0x18
	s_load_b64 s[18:19], s[0:1], 0x30
	s_cselect_b32 s22, -1, 0
	s_add_i32 s23, s8, -8
	v_rcp_iflag_f32_e32 v5, v5
	s_add_i32 s24, s11, -1
	s_cmp_lg_u64 s[6:7], 0
	s_mul_i32 s1, s20, s21
	s_cselect_b32 s25, -1, 0
	s_sub_i32 s2, 0, s16
	s_lshl_b32 s20, s1, 2
	s_abs_i32 s1, s17
	s_add_i32 s21, s11, -4
	v_cmp_eq_u32_e64 s0, 63, v8
	s_waitcnt_depctr 0xfff
	v_mul_f32_e32 v5, 0x4f7ffffe, v5
	v_mbcnt_lo_u32_b32 v71, -1, 0
	s_mov_b32 s17, 0
	s_delay_alu instid0(VALU_DEP_2) | instskip(NEXT) | instid1(VALU_DEP_1)
	v_cvt_u32_f32_e32 v5, v5
	v_mul_lo_u32 v6, s2, v5
	s_sub_i32 s2, 1, s1
	s_cmp_lt_u32 s1, 2
	s_cselect_b32 s2, s2, 1
	s_delay_alu instid0(SALU_CYCLE_1) | instskip(SKIP_1) | instid1(VALU_DEP_1)
	s_sub_i32 s3, s2, s1
	s_cmp_ge_u32 s2, s1
	v_mul_hi_u32 v6, v5, v6
	v_mov_b32_e32 v55, 0
	s_cselect_b32 s26, s3, s2
	s_delay_alu instid0(SALU_CYCLE_1) | instskip(NEXT) | instid1(VALU_DEP_2)
	s_mul_i32 s26, s26, s16
	v_add_nc_u32_e32 v70, v5, v6
	s_branch .LBB66_13
.LBB66_11:                              ;   in Loop: Header=BB66_13 Depth=1
	s_or_b32 exec_lo, exec_lo, s28
	v_mov_b32_e32 v53, s21
.LBB66_12:                              ;   in Loop: Header=BB66_13 Depth=1
	s_or_b32 exec_lo, exec_lo, s27
	s_delay_alu instid0(VALU_DEP_1) | instskip(SKIP_1) | instid1(SALU_CYCLE_1)
	v_cmp_le_u32_e32 vcc_lo, s11, v53
	s_or_b32 s17, vcc_lo, s17
	s_and_not1_b32 exec_lo, exec_lo, s17
	s_cbranch_execz .LBB66_60
.LBB66_13:                              ; =>This Loop Header: Depth=1
                                        ;     Child Loop BB66_18 Depth 2
                                        ;     Child Loop BB66_51 Depth 2
	v_dual_mov_b32 v79, v55 :: v_dual_add_nc_u32 v58, 1, v53
	v_dual_mov_b32 v78, v55 :: v_dual_add_nc_u32 v57, 2, v53
	;; [unrolled: 1-line block ×3, first 2 shown]
	v_mov_b32_e32 v76, v55
	v_mov_b32_e32 v75, v55
	;; [unrolled: 1-line block ×5, first 2 shown]
	s_and_not1_b32 vcc_lo, exec_lo, s22
	s_cbranch_vccnz .LBB66_36
; %bb.14:                               ;   in Loop: Header=BB66_13 Depth=1
	v_min_u32_e32 v5, s24, v53
	s_waitcnt lgkmcnt(0)
	v_min_u32_e32 v6, s24, v58
	v_min_u32_e32 v7, s24, v57
	;; [unrolled: 1-line block ×3, first 2 shown]
	v_dual_mov_b32 v10, v55 :: v_dual_mov_b32 v77, 0
	v_mul_lo_u32 v54, v5, s9
	v_mul_lo_u32 v5, v6, s9
	;; [unrolled: 1-line block ×4, first 2 shown]
	v_dual_mov_b32 v6, v55 :: v_dual_mov_b32 v73, 0
	v_dual_mov_b32 v8, v55 :: v_dual_mov_b32 v75, 0
	v_lshlrev_b64 v[59:60], 1, v[54:55]
	s_delay_alu instid0(VALU_DEP_3) | instskip(SKIP_1) | instid1(VALU_DEP_4)
	v_lshlrev_b64 v[61:62], 1, v[5:6]
	v_dual_mov_b32 v72, 0 :: v_dual_mov_b32 v79, 0
	v_lshlrev_b64 v[63:64], 1, v[7:8]
	v_lshlrev_b64 v[65:66], 1, v[9:10]
	v_mov_b32_e32 v74, 0
	v_mov_b32_e32 v76, 0
	v_mov_b32_e32 v78, 0
	s_mov_b32 s1, 0
	s_branch .LBB66_18
.LBB66_15:                              ;   in Loop: Header=BB66_18 Depth=2
	s_or_b32 exec_lo, exec_lo, s4
.LBB66_16:                              ;   in Loop: Header=BB66_18 Depth=2
	s_delay_alu instid0(SALU_CYCLE_1)
	s_or_b32 exec_lo, exec_lo, s3
.LBB66_17:                              ;   in Loop: Header=BB66_18 Depth=2
	s_delay_alu instid0(SALU_CYCLE_1)
	s_or_b32 exec_lo, exec_lo, s2
	s_waitcnt vmcnt(0) lgkmcnt(0)
	;;#ASMSTART
	v_dot2_f32_f16 v79, v41, v33, v79
	;;#ASMEND
	;;#ASMSTART
	v_dot2_f32_f16 v78, v41, v25, v78
	;;#ASMEND
	;; [unrolled: 3-line block ×32, first 2 shown]
	s_addk_i32 s1, 0x400
	;;#ASMSTART
	v_dot2_f32_f16 v79, v49, v17, v79
	;;#ASMEND
	;;#ASMSTART
	v_dot2_f32_f16 v78, v49, v13, v78
	;;#ASMEND
	;; [unrolled: 3-line block ×16, first 2 shown]
	s_cmp_ge_u32 s1, s8
	;;#ASMSTART
	v_dot2_f32_f16 v79, v51, v19, v79
	;;#ASMEND
	;;#ASMSTART
	v_dot2_f32_f16 v78, v51, v15, v78
	;;#ASMEND
	;; [unrolled: 3-line block ×16, first 2 shown]
	s_cbranch_scc1 .LBB66_36
.LBB66_18:                              ;   Parent Loop BB66_13 Depth=1
                                        ; =>  This Inner Loop Header: Depth=2
	v_dual_mov_b32 v47, 0 :: v_dual_add_nc_u32 v68, s1, v0
	v_dual_mov_b32 v46, 0 :: v_dual_mov_b32 v45, 0
	v_dual_mov_b32 v52, 0 :: v_dual_mov_b32 v51, 0
	s_delay_alu instid0(VALU_DEP_3) | instskip(SKIP_2) | instid1(VALU_DEP_3)
	v_min_u32_e32 v54, s23, v68
	v_dual_mov_b32 v48, 0 :: v_dual_add_nc_u32 v67, 0x200, v68
	v_dual_mov_b32 v50, 0 :: v_dual_mov_b32 v49, 0
	v_lshlrev_b64 v[5:6], 1, v[54:55]
	s_delay_alu instid0(VALU_DEP_3) | instskip(SKIP_3) | instid1(VALU_DEP_4)
	v_min_u32_e32 v54, s23, v67
	v_dual_mov_b32 v44, 0 :: v_dual_mov_b32 v43, 0
	v_dual_mov_b32 v42, 0 :: v_dual_mov_b32 v41, 0
	s_waitcnt lgkmcnt(0)
	v_add_co_u32 v13, vcc_lo, s14, v5
	v_add_co_ci_u32_e32 v14, vcc_lo, s15, v6, vcc_lo
	v_lshlrev_b64 v[5:6], 1, v[54:55]
	s_delay_alu instid0(VALU_DEP_3) | instskip(NEXT) | instid1(VALU_DEP_3)
	v_add_co_u32 v7, vcc_lo, v13, v59
	v_add_co_ci_u32_e32 v8, vcc_lo, v14, v60, vcc_lo
	v_add_co_u32 v9, vcc_lo, v13, v61
	v_add_co_ci_u32_e32 v10, vcc_lo, v14, v62, vcc_lo
	;; [unrolled: 2-line block ×5, first 2 shown]
	s_clause 0x1
	global_load_b128 v[33:36], v[7:8], off slc dlc
	global_load_b128 v[25:28], v[9:10], off slc dlc
	v_add_co_u32 v7, vcc_lo, v15, v59
	v_add_co_ci_u32_e32 v8, vcc_lo, v16, v60, vcc_lo
	v_add_co_u32 v9, vcc_lo, v15, v61
	v_add_co_ci_u32_e32 v10, vcc_lo, v16, v62, vcc_lo
	;; [unrolled: 2-line block ×4, first 2 shown]
	s_clause 0x5
	global_load_b128 v[29:32], v[11:12], off slc dlc
	global_load_b128 v[21:24], v[5:6], off slc dlc
	;; [unrolled: 1-line block ×6, first 2 shown]
	v_dual_mov_b32 v40, 0 :: v_dual_mov_b32 v39, 0
	v_dual_mov_b32 v38, 0 :: v_dual_mov_b32 v37, 0
	s_mov_b32 s2, exec_lo
	v_cmpx_gt_u32_e64 s8, v68
	s_cbranch_execz .LBB66_17
; %bb.19:                               ;   in Loop: Header=BB66_18 Depth=2
	s_mov_b32 s3, exec_lo
                                        ; implicit-def: $vgpr44
	v_cmpx_lt_u32_e32 0x7fff, v68
	s_xor_b32 s3, exec_lo, s3
	s_cbranch_execz .LBB66_21
; %bb.20:                               ;   in Loop: Header=BB66_18 Depth=2
	v_mov_b32_e32 v69, v55
	s_delay_alu instid0(VALU_DEP_1) | instskip(NEXT) | instid1(VALU_DEP_1)
	v_lshlrev_b64 v[37:38], 1, v[68:69]
	v_add_co_u32 v37, vcc_lo, s12, v37
	s_delay_alu instid0(VALU_DEP_2)
	v_add_co_ci_u32_e32 v38, vcc_lo, s13, v38, vcc_lo
	global_load_b128 v[41:44], v[37:38], off
.LBB66_21:                              ;   in Loop: Header=BB66_18 Depth=2
	s_and_not1_saveexec_b32 s3, s3
	s_cbranch_execz .LBB66_23
; %bb.22:                               ;   in Loop: Header=BB66_18 Depth=2
	v_lshlrev_b32_e32 v37, 1, v68
	s_waitcnt vmcnt(0)
	ds_load_b128 v[41:44], v37
.LBB66_23:                              ;   in Loop: Header=BB66_18 Depth=2
	s_or_b32 exec_lo, exec_lo, s3
	v_add_nc_u32_e32 v54, s10, v68
	s_mov_b32 s3, exec_lo
                                        ; implicit-def: $vgpr40
	s_delay_alu instid0(VALU_DEP_1)
	v_cmpx_lt_u32_e32 0x7fff, v54
	s_xor_b32 s3, exec_lo, s3
	s_cbranch_execz .LBB66_25
; %bb.24:                               ;   in Loop: Header=BB66_18 Depth=2
	v_lshlrev_b64 v[37:38], 1, v[54:55]
	s_delay_alu instid0(VALU_DEP_1) | instskip(NEXT) | instid1(VALU_DEP_2)
	v_add_co_u32 v37, vcc_lo, s12, v37
	v_add_co_ci_u32_e32 v38, vcc_lo, s13, v38, vcc_lo
	global_load_b128 v[37:40], v[37:38], off
.LBB66_25:                              ;   in Loop: Header=BB66_18 Depth=2
	s_and_not1_saveexec_b32 s3, s3
	s_cbranch_execz .LBB66_27
; %bb.26:                               ;   in Loop: Header=BB66_18 Depth=2
	s_waitcnt vmcnt(0)
	v_lshlrev_b32_e32 v37, 1, v54
	ds_load_b128 v[37:40], v37
.LBB66_27:                              ;   in Loop: Header=BB66_18 Depth=2
	s_or_b32 exec_lo, exec_lo, s3
	v_dual_mov_b32 v48, 0 :: v_dual_mov_b32 v47, 0
	v_dual_mov_b32 v46, 0 :: v_dual_mov_b32 v45, 0
	v_dual_mov_b32 v52, 0 :: v_dual_mov_b32 v51, 0
	v_dual_mov_b32 v50, 0 :: v_dual_mov_b32 v49, 0
	s_mov_b32 s3, exec_lo
	v_cmpx_gt_u32_e64 s8, v67
	s_cbranch_execz .LBB66_16
; %bb.28:                               ;   in Loop: Header=BB66_18 Depth=2
	s_mov_b32 s4, exec_lo
                                        ; implicit-def: $vgpr52
	v_cmpx_lt_u32_e32 0x7fff, v67
	s_xor_b32 s4, exec_lo, s4
	s_cbranch_execz .LBB66_30
; %bb.29:                               ;   in Loop: Header=BB66_18 Depth=2
	v_mov_b32_e32 v68, v55
	s_delay_alu instid0(VALU_DEP_1) | instskip(NEXT) | instid1(VALU_DEP_1)
	v_lshlrev_b64 v[45:46], 1, v[67:68]
                                        ; implicit-def: $vgpr68
	v_add_co_u32 v45, vcc_lo, s12, v45
	s_delay_alu instid0(VALU_DEP_2)
	v_add_co_ci_u32_e32 v46, vcc_lo, s13, v46, vcc_lo
	global_load_b128 v[49:52], v[45:46], off
.LBB66_30:                              ;   in Loop: Header=BB66_18 Depth=2
	s_and_not1_saveexec_b32 s4, s4
	s_cbranch_execz .LBB66_32
; %bb.31:                               ;   in Loop: Header=BB66_18 Depth=2
	v_lshlrev_b32_e32 v45, 1, v68
	s_waitcnt vmcnt(0)
	ds_load_b128 v[49:52], v45 offset:1024
.LBB66_32:                              ;   in Loop: Header=BB66_18 Depth=2
	s_or_b32 exec_lo, exec_lo, s4
	v_add_nc_u32_e32 v45, s10, v67
	s_mov_b32 s4, exec_lo
                                        ; implicit-def: $vgpr48
	s_delay_alu instid0(VALU_DEP_1)
	v_cmpx_lt_u32_e32 0x7fff, v45
	s_xor_b32 s4, exec_lo, s4
	s_cbranch_execz .LBB66_34
; %bb.33:                               ;   in Loop: Header=BB66_18 Depth=2
	v_mov_b32_e32 v46, v55
	s_delay_alu instid0(VALU_DEP_1) | instskip(NEXT) | instid1(VALU_DEP_1)
	v_lshlrev_b64 v[45:46], 1, v[45:46]
	v_add_co_u32 v45, vcc_lo, s12, v45
	s_delay_alu instid0(VALU_DEP_2)
	v_add_co_ci_u32_e32 v46, vcc_lo, s13, v46, vcc_lo
	global_load_b128 v[45:48], v[45:46], off
.LBB66_34:                              ;   in Loop: Header=BB66_18 Depth=2
	s_and_not1_saveexec_b32 s4, s4
	s_cbranch_execz .LBB66_15
; %bb.35:                               ;   in Loop: Header=BB66_18 Depth=2
	s_waitcnt vmcnt(0)
	v_lshlrev_b32_e32 v45, 1, v54
	ds_load_b128 v[45:48], v45 offset:1024
	s_branch .LBB66_15
.LBB66_36:                              ;   in Loop: Header=BB66_13 Depth=1
	v_cvt_i32_f32_e32 v5, v79
	s_waitcnt lgkmcnt(0)
	v_cvt_i32_f32_e32 v6, v78
	v_cvt_i32_f32_e32 v7, v77
	v_xor_b32_e32 v8, 16, v71
	v_cvt_i32_f32_e32 v9, v76
	v_cvt_f32_i32_dpp v5, v5 row_shr:8 row_mask:0xf bank_mask:0xf bound_ctrl:1
	v_cvt_f32_i32_dpp v6, v6 row_shr:8 row_mask:0xf bank_mask:0xf bound_ctrl:1
	;; [unrolled: 1-line block ×3, first 2 shown]
	v_cmp_gt_i32_e32 vcc_lo, 32, v8
	v_cvt_f32_i32_dpp v9, v9 row_shr:8 row_mask:0xf bank_mask:0xf bound_ctrl:1
	s_delay_alu instid0(VALU_DEP_4) | instskip(NEXT) | instid1(VALU_DEP_4)
	v_dual_add_f32 v5, v79, v5 :: v_dual_add_f32 v6, v78, v6
	v_dual_add_f32 v7, v77, v7 :: v_dual_cndmask_b32 v8, v71, v8
	v_cvt_i32_f32_e32 v10, v75
	s_delay_alu instid0(VALU_DEP_3) | instskip(NEXT) | instid1(VALU_DEP_4)
	v_cvt_i32_f32_e32 v12, v5
	v_cvt_i32_f32_e32 v13, v6
	s_delay_alu instid0(VALU_DEP_4)
	v_cvt_i32_f32_e32 v14, v7
	v_cvt_i32_f32_e32 v16, v72
	s_waitcnt vmcnt(0)
	v_dual_add_f32 v8, v76, v9 :: v_dual_lshlrev_b32 v21, 2, v8
	v_cvt_f32_i32_dpp v12, v12 row_shr:4 row_mask:0xf bank_mask:0xf bound_ctrl:1
	v_cvt_f32_i32_dpp v13, v13 row_shr:4 row_mask:0xf bank_mask:0xf bound_ctrl:1
	;; [unrolled: 1-line block ×5, first 2 shown]
	s_delay_alu instid0(VALU_DEP_4) | instskip(SKIP_2) | instid1(VALU_DEP_4)
	v_dual_add_f32 v5, v5, v12 :: v_dual_add_f32 v6, v6, v13
	v_cvt_i32_f32_e32 v22, v8
	v_cvt_i32_f32_e32 v11, v74
	v_add_f32_e32 v17, v72, v16
	s_delay_alu instid0(VALU_DEP_4) | instskip(SKIP_3) | instid1(VALU_DEP_4)
	v_cvt_i32_f32_e32 v12, v5
	v_cvt_i32_f32_e32 v13, v6
	;; [unrolled: 1-line block ×3, first 2 shown]
	v_cvt_f32_i32_dpp v11, v11 row_shr:8 row_mask:0xf bank_mask:0xf bound_ctrl:1
	v_cvt_f32_i32_dpp v12, v12 row_shr:2 row_mask:0xf bank_mask:0xf bound_ctrl:1
	s_delay_alu instid0(VALU_DEP_4) | instskip(SKIP_2) | instid1(VALU_DEP_3)
	v_cvt_f32_i32_dpp v13, v13 row_shr:2 row_mask:0xf bank_mask:0xf bound_ctrl:1
	v_add_f32_e32 v7, v7, v14
	v_cvt_f32_i32_dpp v15, v15 row_shr:8 row_mask:0xf bank_mask:0xf bound_ctrl:1
	v_add_f32_e32 v6, v6, v13
	s_delay_alu instid0(VALU_DEP_3) | instskip(NEXT) | instid1(VALU_DEP_1)
	v_cvt_i32_f32_e32 v14, v7
	v_cvt_f32_i32_dpp v14, v14 row_shr:2 row_mask:0xf bank_mask:0xf bound_ctrl:1
	s_delay_alu instid0(VALU_DEP_1) | instskip(NEXT) | instid1(VALU_DEP_1)
	v_add_f32_e32 v7, v7, v14
	v_cvt_i32_f32_e32 v13, v7
	s_delay_alu instid0(VALU_DEP_1) | instskip(SKIP_2) | instid1(VALU_DEP_1)
	v_cvt_f32_i32_dpp v13, v13 row_shr:1 row_mask:0xf bank_mask:0xf bound_ctrl:1
	v_add_f32_e32 v5, v5, v12
	v_cvt_i32_f32_e32 v12, v6
	v_cvt_f32_i32_dpp v12, v12 row_shr:1 row_mask:0xf bank_mask:0xf bound_ctrl:1
	s_delay_alu instid0(VALU_DEP_1)
	v_add_f32_e32 v16, v6, v12
	v_add_f32_e32 v12, v7, v13
	v_cvt_f32_i32_dpp v13, v22 row_shr:4 row_mask:0xf bank_mask:0xf bound_ctrl:1
	v_add_f32_e32 v9, v75, v10
	v_cvt_i32_f32_e32 v10, v5
	ds_bpermute_b32 v18, v21, v16
	ds_bpermute_b32 v14, v21, v12
	v_add_f32_e32 v8, v8, v13
	v_cvt_f32_i32_dpp v10, v10 row_shr:1 row_mask:0xf bank_mask:0xf bound_ctrl:1
	s_delay_alu instid0(VALU_DEP_1)
	v_add_f32_e32 v19, v5, v10
	v_cvt_i32_f32_e32 v5, v9
	v_cvt_i32_f32_e32 v10, v17
	ds_bpermute_b32 v20, v21, v19
	v_cvt_f32_i32_dpp v5, v5 row_shr:4 row_mask:0xf bank_mask:0xf bound_ctrl:1
	v_cvt_f32_i32_dpp v10, v10 row_shr:4 row_mask:0xf bank_mask:0xf bound_ctrl:1
	s_delay_alu instid0(VALU_DEP_2) | instskip(NEXT) | instid1(VALU_DEP_2)
	v_add_f32_e32 v5, v9, v5
	v_add_f32_e32 v9, v17, v10
	v_cvt_i32_f32_e32 v10, v8
	s_delay_alu instid0(VALU_DEP_2) | instskip(NEXT) | instid1(VALU_DEP_2)
	v_cvt_i32_f32_e32 v17, v9
	v_cvt_f32_i32_dpp v10, v10 row_shr:2 row_mask:0xf bank_mask:0xf bound_ctrl:1
	v_add_f32_e32 v11, v74, v11
	s_delay_alu instid0(VALU_DEP_3) | instskip(NEXT) | instid1(VALU_DEP_3)
	v_cvt_f32_i32_dpp v17, v17 row_shr:2 row_mask:0xf bank_mask:0xf bound_ctrl:1
	v_add_f32_e32 v8, v8, v10
	s_delay_alu instid0(VALU_DEP_3) | instskip(NEXT) | instid1(VALU_DEP_3)
	v_cvt_i32_f32_e32 v6, v11
	v_add_f32_e32 v10, v9, v17
	s_delay_alu instid0(VALU_DEP_3) | instskip(NEXT) | instid1(VALU_DEP_3)
	v_cvt_i32_f32_e32 v9, v8
	v_cvt_f32_i32_dpp v6, v6 row_shr:4 row_mask:0xf bank_mask:0xf bound_ctrl:1
	v_add_f32_e32 v15, v73, v15
	s_delay_alu instid0(VALU_DEP_4) | instskip(NEXT) | instid1(VALU_DEP_4)
	v_cvt_i32_f32_e32 v17, v10
	v_cvt_f32_i32_dpp v9, v9 row_shr:1 row_mask:0xf bank_mask:0xf bound_ctrl:1
	s_delay_alu instid0(VALU_DEP_4) | instskip(NEXT) | instid1(VALU_DEP_4)
	v_add_f32_e32 v6, v11, v6
	v_cvt_i32_f32_e32 v7, v15
	v_cvt_i32_f32_e32 v11, v5
	v_cvt_f32_i32_dpp v17, v17 row_shr:1 row_mask:0xf bank_mask:0xf bound_ctrl:1
	s_delay_alu instid0(VALU_DEP_4) | instskip(NEXT) | instid1(VALU_DEP_4)
	v_cvt_i32_f32_e32 v13, v6
	v_cvt_f32_i32_dpp v7, v7 row_shr:4 row_mask:0xf bank_mask:0xf bound_ctrl:1
	s_delay_alu instid0(VALU_DEP_4) | instskip(NEXT) | instid1(VALU_DEP_3)
	v_cvt_f32_i32_dpp v11, v11 row_shr:2 row_mask:0xf bank_mask:0xf bound_ctrl:1
	v_cvt_f32_i32_dpp v13, v13 row_shr:2 row_mask:0xf bank_mask:0xf bound_ctrl:1
	s_delay_alu instid0(VALU_DEP_3) | instskip(NEXT) | instid1(VALU_DEP_2)
	v_add_f32_e32 v7, v15, v7
	v_dual_add_f32 v5, v5, v11 :: v_dual_add_f32 v6, v6, v13
	s_delay_alu instid0(VALU_DEP_2) | instskip(NEXT) | instid1(VALU_DEP_2)
	v_cvt_i32_f32_e32 v15, v7
	v_cvt_i32_f32_e32 v11, v5
	s_delay_alu instid0(VALU_DEP_3) | instskip(NEXT) | instid1(VALU_DEP_3)
	v_cvt_i32_f32_e32 v13, v6
	v_cvt_f32_i32_dpp v15, v15 row_shr:2 row_mask:0xf bank_mask:0xf bound_ctrl:1
	s_delay_alu instid0(VALU_DEP_3) | instskip(NEXT) | instid1(VALU_DEP_3)
	v_cvt_f32_i32_dpp v11, v11 row_shr:1 row_mask:0xf bank_mask:0xf bound_ctrl:1
	v_cvt_f32_i32_dpp v13, v13 row_shr:1 row_mask:0xf bank_mask:0xf bound_ctrl:1
	s_delay_alu instid0(VALU_DEP_3) | instskip(NEXT) | instid1(VALU_DEP_3)
	v_add_f32_e32 v7, v7, v15
	v_add_f32_e32 v11, v5, v11
	;; [unrolled: 1-line block ×3, first 2 shown]
	s_delay_alu instid0(VALU_DEP_3) | instskip(NEXT) | instid1(VALU_DEP_1)
	v_cvt_i32_f32_e32 v15, v7
	v_cvt_f32_i32_dpp v22, v15 row_shr:1 row_mask:0xf bank_mask:0xf bound_ctrl:1
	v_add_f32_e32 v15, v8, v9
	v_add_f32_e32 v9, v6, v13
	ds_bpermute_b32 v13, v21, v11
	ds_bpermute_b32 v6, v21, v5
	v_add_f32_e32 v7, v7, v22
	ds_bpermute_b32 v17, v21, v15
	ds_bpermute_b32 v10, v21, v9
	;; [unrolled: 1-line block ×3, first 2 shown]
	s_and_saveexec_b32 s5, s0
	s_cbranch_execz .LBB66_48
; %bb.37:                               ;   in Loop: Header=BB66_13 Depth=1
	v_dual_mov_b32 v28, 0 :: v_dual_mov_b32 v27, 0
	v_dual_mov_b32 v26, 0 :: v_dual_mov_b32 v25, 0
	;; [unrolled: 1-line block ×4, first 2 shown]
	s_and_not1_b32 vcc_lo, exec_lo, s25
	s_cbranch_vccnz .LBB66_39
; %bb.38:                               ;   in Loop: Header=BB66_13 Depth=1
	v_mul_hi_u32 v21, v53, v70
	v_mul_hi_u32 v22, v58, v70
	;; [unrolled: 1-line block ×4, first 2 shown]
	s_delay_alu instid0(VALU_DEP_4) | instskip(NEXT) | instid1(VALU_DEP_4)
	v_mul_lo_u32 v21, v21, s16
	v_mul_lo_u32 v25, v22, s16
	s_delay_alu instid0(VALU_DEP_4) | instskip(NEXT) | instid1(VALU_DEP_4)
	v_mul_lo_u32 v23, v23, s16
	v_mul_lo_u32 v24, v24, s16
	s_delay_alu instid0(VALU_DEP_4) | instskip(NEXT) | instid1(VALU_DEP_4)
	v_sub_nc_u32_e32 v21, v53, v21
	v_sub_nc_u32_e32 v25, v58, v25
	s_delay_alu instid0(VALU_DEP_4) | instskip(NEXT) | instid1(VALU_DEP_4)
	v_sub_nc_u32_e32 v23, v57, v23
	v_sub_nc_u32_e32 v26, v56, v24
	s_delay_alu instid0(VALU_DEP_4)
	v_subrev_nc_u32_e32 v27, s16, v21
	v_cmp_le_u32_e32 vcc_lo, s16, v21
	v_mov_b32_e32 v22, v55
	v_subrev_nc_u32_e32 v28, s16, v25
	v_subrev_nc_u32_e32 v29, s16, v23
	;; [unrolled: 1-line block ×3, first 2 shown]
	v_cndmask_b32_e32 v21, v21, v27, vcc_lo
	v_cmp_le_u32_e32 vcc_lo, s16, v25
	v_mov_b32_e32 v24, v55
	s_delay_alu instid0(VALU_DEP_3) | instskip(SKIP_2) | instid1(VALU_DEP_2)
	v_subrev_nc_u32_e32 v27, s16, v21
	v_cndmask_b32_e32 v25, v25, v28, vcc_lo
	v_cmp_le_u32_e32 vcc_lo, s16, v23
	v_subrev_nc_u32_e32 v28, s16, v25
	v_cndmask_b32_e32 v23, v23, v29, vcc_lo
	v_cmp_le_u32_e32 vcc_lo, s16, v26
	v_dual_cndmask_b32 v29, v26, v30 :: v_dual_mov_b32 v26, v55
	v_cmp_le_u32_e32 vcc_lo, s16, v21
	s_delay_alu instid0(VALU_DEP_2)
	v_subrev_nc_u32_e32 v31, s16, v29
	v_cndmask_b32_e32 v54, v21, v27, vcc_lo
	v_cmp_le_u32_e32 vcc_lo, s16, v25
	v_subrev_nc_u32_e32 v30, s16, v23
	v_cndmask_b32_e32 v21, v25, v28, vcc_lo
	v_cmp_le_u32_e32 vcc_lo, s16, v23
	v_lshlrev_b64 v[27:28], 1, v[54:55]
	v_add_nc_u32_e32 v54, s26, v54
	v_cndmask_b32_e32 v23, v23, v30, vcc_lo
	v_cmp_le_u32_e32 vcc_lo, s16, v29
	s_delay_alu instid0(VALU_DEP_3)
	v_lshlrev_b64 v[35:36], 1, v[54:55]
	v_dual_cndmask_b32 v25, v29, v31 :: v_dual_add_nc_u32 v54, s26, v21
	v_lshlrev_b64 v[29:30], 1, v[21:22]
	v_lshlrev_b64 v[31:32], 1, v[23:24]
	v_add_co_u32 v27, vcc_lo, s6, v27
	v_add_co_ci_u32_e32 v28, vcc_lo, s7, v28, vcc_lo
	s_delay_alu instid0(VALU_DEP_4) | instskip(SKIP_4) | instid1(VALU_DEP_4)
	v_add_co_u32 v29, vcc_lo, s6, v29
	v_lshlrev_b64 v[33:34], 1, v[25:26]
	v_add_co_ci_u32_e32 v30, vcc_lo, s7, v30, vcc_lo
	v_add_co_u32 v31, vcc_lo, s6, v31
	v_add_co_ci_u32_e32 v32, vcc_lo, s7, v32, vcc_lo
	v_add_co_u32 v21, vcc_lo, s6, v33
	v_add_co_ci_u32_e32 v22, vcc_lo, s7, v34, vcc_lo
	v_lshlrev_b64 v[33:34], 1, v[54:55]
	v_add_nc_u32_e32 v54, s26, v23
	v_add_co_u32 v23, vcc_lo, s6, v35
	v_add_co_ci_u32_e32 v24, vcc_lo, s7, v36, vcc_lo
	s_delay_alu instid0(VALU_DEP_3) | instskip(SKIP_3) | instid1(VALU_DEP_3)
	v_lshlrev_b64 v[35:36], 1, v[54:55]
	v_add_nc_u32_e32 v54, s26, v25
	v_add_co_u32 v33, vcc_lo, s6, v33
	v_add_co_ci_u32_e32 v34, vcc_lo, s7, v34, vcc_lo
	v_lshlrev_b64 v[25:26], 1, v[54:55]
	v_add_co_u32 v35, vcc_lo, s6, v35
	v_add_co_ci_u32_e32 v36, vcc_lo, s7, v36, vcc_lo
	s_delay_alu instid0(VALU_DEP_3) | instskip(NEXT) | instid1(VALU_DEP_4)
	v_add_co_u32 v37, vcc_lo, s6, v25
	v_add_co_ci_u32_e32 v38, vcc_lo, s7, v26, vcc_lo
	s_clause 0x7
	global_load_u16 v28, v[27:28], off
	global_load_u16 v27, v[29:30], off
	;; [unrolled: 1-line block ×8, first 2 shown]
.LBB66_39:                              ;   in Loop: Header=BB66_13 Depth=1
	v_cmp_ne_u32_e32 vcc_lo, 0, v1
	s_and_saveexec_b32 s2, vcc_lo
	s_cbranch_execnz .LBB66_53
; %bb.40:                               ;   in Loop: Header=BB66_13 Depth=1
	s_or_b32 exec_lo, exec_lo, s2
	v_cmp_ne_u32_e64 s1, 0, v2
	s_delay_alu instid0(VALU_DEP_1)
	s_and_saveexec_b32 s3, s1
	s_cbranch_execnz .LBB66_54
.LBB66_41:                              ;   in Loop: Header=BB66_13 Depth=1
	s_or_b32 exec_lo, exec_lo, s3
	v_cmp_ne_u32_e64 s2, 0, v3
	s_delay_alu instid0(VALU_DEP_1)
	s_and_saveexec_b32 s4, s2
	s_cbranch_execnz .LBB66_55
.LBB66_42:                              ;   in Loop: Header=BB66_13 Depth=1
	s_or_b32 exec_lo, exec_lo, s4
	v_cmp_ne_u32_e64 s3, 0, v4
	s_delay_alu instid0(VALU_DEP_1)
	s_and_saveexec_b32 s27, s3
	s_cbranch_execnz .LBB66_56
.LBB66_43:                              ;   in Loop: Header=BB66_13 Depth=1
	s_or_b32 exec_lo, exec_lo, s27
	v_add_nc_u32_e32 v54, s11, v53
	s_and_saveexec_b32 s4, vcc_lo
	s_cbranch_execnz .LBB66_57
.LBB66_44:                              ;   in Loop: Header=BB66_13 Depth=1
	s_or_b32 exec_lo, exec_lo, s4
	s_and_saveexec_b32 s4, s1
	s_cbranch_execnz .LBB66_58
.LBB66_45:                              ;   in Loop: Header=BB66_13 Depth=1
	s_or_b32 exec_lo, exec_lo, s4
	s_and_saveexec_b32 s1, s2
	s_cbranch_execnz .LBB66_59
.LBB66_46:                              ;   in Loop: Header=BB66_13 Depth=1
	s_or_b32 exec_lo, exec_lo, s1
	s_delay_alu instid0(SALU_CYCLE_1)
	s_and_b32 exec_lo, exec_lo, s3
	s_cbranch_execz .LBB66_48
.LBB66_47:                              ;   in Loop: Header=BB66_13 Depth=1
	s_waitcnt lgkmcnt(0)
	v_add_f32_e32 v5, v5, v6
	s_waitcnt vmcnt(0)
	v_cvt_f32_f16_e32 v6, v21
	v_add_nc_u32_e32 v54, 3, v54
	s_delay_alu instid0(VALU_DEP_2) | instskip(NEXT) | instid1(VALU_DEP_2)
	v_add_f32_e32 v7, v5, v6
	v_lshlrev_b64 v[5:6], 1, v[54:55]
	s_delay_alu instid0(VALU_DEP_2) | instskip(NEXT) | instid1(VALU_DEP_2)
	v_cvt_f16_f32_e32 v7, v7
	v_add_co_u32 v5, vcc_lo, s18, v5
	s_delay_alu instid0(VALU_DEP_3)
	v_add_co_ci_u32_e32 v6, vcc_lo, s19, v6, vcc_lo
	global_store_b16 v[5:6], v7, off
.LBB66_48:                              ;   in Loop: Header=BB66_13 Depth=1
	s_or_b32 exec_lo, exec_lo, s5
	v_add_nc_u32_e32 v53, s20, v53
	s_delay_alu instid0(VALU_DEP_1) | instskip(SKIP_1) | instid1(VALU_DEP_2)
	v_add_nc_u32_e32 v5, 4, v53
	v_cmp_gt_u32_e32 vcc_lo, s11, v53
	v_cmp_le_u32_e64 s1, s11, v5
	s_delay_alu instid0(VALU_DEP_1) | instskip(NEXT) | instid1(SALU_CYCLE_1)
	s_and_b32 s1, vcc_lo, s1
	s_and_saveexec_b32 s27, s1
	s_cbranch_execz .LBB66_12
; %bb.49:                               ;   in Loop: Header=BB66_13 Depth=1
	s_mov_b32 s28, exec_lo
	v_cmpx_ne_u32_e64 s21, v53
	s_cbranch_execz .LBB66_11
; %bb.50:                               ;   in Loop: Header=BB66_13 Depth=1
	v_subrev_nc_u32_e32 v5, s21, v53
	s_mov_b32 s29, 0
	s_mov_b64 s[4:5], 0
	s_delay_alu instid0(VALU_DEP_1)
	v_cmp_lt_u32_e32 vcc_lo, 1, v5
	v_cndmask_b32_e32 v5, 1, v5, vcc_lo
	.p2align	6
.LBB66_51:                              ;   Parent Loop BB66_13 Depth=1
                                        ; =>  This Inner Loop Header: Depth=2
	s_cmp_lg_u32 s4, 3
	s_cselect_b32 vcc_lo, -1, 0
	s_cmp_lg_u32 s4, 2
	v_cndmask_b32_e32 v4, 0, v4, vcc_lo
	s_cselect_b32 s1, -1, 0
	s_cmp_lg_u32 s4, 1
	v_cndmask_b32_e64 v3, 0, v3, s1
	s_cselect_b32 s2, -1, 0
	s_cmp_lg_u32 s4, 0
	v_cndmask_b32_e64 v2, 0, v2, s2
	s_cselect_b32 s3, -1, 0
	s_add_u32 s4, s4, 1
	v_cndmask_b32_e64 v1, 0, v1, s3
	v_cmp_eq_u32_e32 vcc_lo, s4, v5
	s_addc_u32 s5, s5, 0
	s_or_b32 s29, vcc_lo, s29
	s_delay_alu instid0(SALU_CYCLE_1)
	s_and_not1_b32 exec_lo, exec_lo, s29
	s_cbranch_execnz .LBB66_51
; %bb.52:                               ;   in Loop: Header=BB66_13 Depth=1
	s_or_b32 exec_lo, exec_lo, s29
	s_branch .LBB66_11
.LBB66_53:                              ;   in Loop: Header=BB66_13 Depth=1
	s_waitcnt lgkmcnt(0)
	v_add_f32_e32 v19, v19, v20
	s_waitcnt vmcnt(7)
	v_cvt_f32_f16_e32 v20, v28
	v_mov_b32_e32 v54, v55
	s_delay_alu instid0(VALU_DEP_2) | instskip(NEXT) | instid1(VALU_DEP_2)
	v_add_f32_e32 v28, v19, v20
	v_lshlrev_b64 v[19:20], 1, v[53:54]
	s_delay_alu instid0(VALU_DEP_2) | instskip(NEXT) | instid1(VALU_DEP_2)
	v_cvt_f16_f32_e32 v28, v28
	v_add_co_u32 v19, s1, s18, v19
	s_delay_alu instid0(VALU_DEP_1) | instskip(SKIP_3) | instid1(VALU_DEP_1)
	v_add_co_ci_u32_e64 v20, s1, s19, v20, s1
	global_store_b16 v[19:20], v28, off
	s_or_b32 exec_lo, exec_lo, s2
	v_cmp_ne_u32_e64 s1, 0, v2
	s_and_saveexec_b32 s3, s1
	s_cbranch_execz .LBB66_41
.LBB66_54:                              ;   in Loop: Header=BB66_13 Depth=1
	s_waitcnt lgkmcnt(0)
	v_dual_add_f32 v16, v16, v18 :: v_dual_mov_b32 v59, v55
	s_waitcnt vmcnt(6)
	v_cvt_f32_f16_e32 v18, v27
	s_delay_alu instid0(VALU_DEP_1) | instskip(NEXT) | instid1(VALU_DEP_3)
	v_add_f32_e32 v16, v16, v18
	v_lshlrev_b64 v[18:19], 1, v[58:59]
	s_delay_alu instid0(VALU_DEP_2) | instskip(NEXT) | instid1(VALU_DEP_2)
	v_cvt_f16_f32_e32 v16, v16
	v_add_co_u32 v18, s2, s18, v18
	s_delay_alu instid0(VALU_DEP_1) | instskip(SKIP_3) | instid1(VALU_DEP_1)
	v_add_co_ci_u32_e64 v19, s2, s19, v19, s2
	global_store_b16 v[18:19], v16, off
	s_or_b32 exec_lo, exec_lo, s3
	v_cmp_ne_u32_e64 s2, 0, v3
	s_and_saveexec_b32 s4, s2
	s_cbranch_execz .LBB66_42
.LBB66_55:                              ;   in Loop: Header=BB66_13 Depth=1
	v_mov_b32_e32 v58, v55
	s_waitcnt lgkmcnt(0)
	v_add_f32_e32 v12, v12, v14
	s_waitcnt vmcnt(5)
	v_cvt_f32_f16_e32 v14, v26
	v_lshlrev_b64 v[18:19], 1, v[57:58]
	s_delay_alu instid0(VALU_DEP_2) | instskip(NEXT) | instid1(VALU_DEP_2)
	v_add_f32_e32 v12, v12, v14
	v_add_co_u32 v18, s3, s18, v18
	s_delay_alu instid0(VALU_DEP_2) | instskip(NEXT) | instid1(VALU_DEP_4)
	v_cvt_f16_f32_e32 v12, v12
	v_add_co_ci_u32_e64 v19, s3, s19, v19, s3
	global_store_b16 v[18:19], v12, off
	s_or_b32 exec_lo, exec_lo, s4
	v_cmp_ne_u32_e64 s3, 0, v4
	s_delay_alu instid0(VALU_DEP_1)
	s_and_saveexec_b32 s27, s3
	s_cbranch_execz .LBB66_43
.LBB66_56:                              ;   in Loop: Header=BB66_13 Depth=1
	s_waitcnt lgkmcnt(0)
	v_add_f32_e32 v12, v15, v17
	s_waitcnt vmcnt(4)
	v_cvt_f32_f16_e32 v14, v25
	s_delay_alu instid0(VALU_DEP_1) | instskip(NEXT) | instid1(VALU_DEP_1)
	v_dual_mov_b32 v57, v55 :: v_dual_add_f32 v12, v12, v14
	v_lshlrev_b64 v[14:15], 1, v[56:57]
	s_delay_alu instid0(VALU_DEP_2) | instskip(NEXT) | instid1(VALU_DEP_2)
	v_cvt_f16_f32_e32 v12, v12
	v_add_co_u32 v14, s4, s18, v14
	s_delay_alu instid0(VALU_DEP_1)
	v_add_co_ci_u32_e64 v15, s4, s19, v15, s4
	global_store_b16 v[14:15], v12, off
	s_or_b32 exec_lo, exec_lo, s27
	v_add_nc_u32_e32 v54, s11, v53
	s_and_saveexec_b32 s4, vcc_lo
	s_cbranch_execz .LBB66_44
.LBB66_57:                              ;   in Loop: Header=BB66_13 Depth=1
	s_waitcnt lgkmcnt(0)
	v_add_f32_e32 v11, v11, v13
	s_waitcnt vmcnt(3)
	v_cvt_f32_f16_e32 v12, v24
	s_delay_alu instid0(VALU_DEP_1) | instskip(SKIP_1) | instid1(VALU_DEP_2)
	v_add_f32_e32 v13, v11, v12
	v_lshlrev_b64 v[11:12], 1, v[54:55]
	v_cvt_f16_f32_e32 v13, v13
	s_delay_alu instid0(VALU_DEP_2) | instskip(NEXT) | instid1(VALU_DEP_3)
	v_add_co_u32 v11, vcc_lo, s18, v11
	v_add_co_ci_u32_e32 v12, vcc_lo, s19, v12, vcc_lo
	global_store_b16 v[11:12], v13, off
	s_or_b32 exec_lo, exec_lo, s4
	s_and_saveexec_b32 s4, s1
	s_cbranch_execz .LBB66_45
.LBB66_58:                              ;   in Loop: Header=BB66_13 Depth=1
	s_waitcnt lgkmcnt(0)
	v_dual_add_f32 v11, v9, v10 :: v_dual_mov_b32 v10, v55
	v_add_nc_u32_e32 v9, 1, v54
	s_waitcnt vmcnt(2)
	v_cvt_f32_f16_e32 v12, v23
	s_delay_alu instid0(VALU_DEP_2) | instskip(NEXT) | instid1(VALU_DEP_2)
	v_lshlrev_b64 v[9:10], 1, v[9:10]
	v_add_f32_e32 v11, v11, v12
	s_delay_alu instid0(VALU_DEP_1) | instskip(NEXT) | instid1(VALU_DEP_3)
	v_cvt_f16_f32_e32 v11, v11
	v_add_co_u32 v9, vcc_lo, s18, v9
	s_delay_alu instid0(VALU_DEP_4)
	v_add_co_ci_u32_e32 v10, vcc_lo, s19, v10, vcc_lo
	global_store_b16 v[9:10], v11, off
	s_or_b32 exec_lo, exec_lo, s4
	s_and_saveexec_b32 s1, s2
	s_cbranch_execz .LBB66_46
.LBB66_59:                              ;   in Loop: Header=BB66_13 Depth=1
	s_waitcnt lgkmcnt(0)
	v_add_f32_e32 v9, v7, v8
	v_dual_mov_b32 v8, v55 :: v_dual_add_nc_u32 v7, 2, v54
	s_waitcnt vmcnt(1)
	v_cvt_f32_f16_e32 v10, v22
	s_delay_alu instid0(VALU_DEP_2) | instskip(NEXT) | instid1(VALU_DEP_2)
	v_lshlrev_b64 v[7:8], 1, v[7:8]
	v_add_f32_e32 v9, v9, v10
	s_delay_alu instid0(VALU_DEP_1) | instskip(NEXT) | instid1(VALU_DEP_3)
	v_cvt_f16_f32_e32 v9, v9
	v_add_co_u32 v7, vcc_lo, s18, v7
	s_delay_alu instid0(VALU_DEP_4) | instskip(SKIP_2) | instid1(SALU_CYCLE_1)
	v_add_co_ci_u32_e32 v8, vcc_lo, s19, v8, vcc_lo
	global_store_b16 v[7:8], v9, off
	s_or_b32 exec_lo, exec_lo, s1
	s_and_b32 exec_lo, exec_lo, s3
	s_cbranch_execnz .LBB66_47
	s_branch .LBB66_48
.LBB66_60:
	s_nop 0
	s_sendmsg sendmsg(MSG_DEALLOC_VGPRS)
	s_endpgm
	.section	.rodata,"a",@progbits
	.p2align	6, 0x0
	.amdhsa_kernel _Z12wvSplitK_hf_I6__halfLi64ELi4ELi16ELi8ELi2ELi2EEviiiiiiPKT_S3_S3_PS1_ii
		.amdhsa_group_segment_fixed_size 65536
		.amdhsa_private_segment_fixed_size 0
		.amdhsa_kernarg_size 64
		.amdhsa_user_sgpr_count 15
		.amdhsa_user_sgpr_dispatch_ptr 0
		.amdhsa_user_sgpr_queue_ptr 0
		.amdhsa_user_sgpr_kernarg_segment_ptr 1
		.amdhsa_user_sgpr_dispatch_id 0
		.amdhsa_user_sgpr_private_segment_size 0
		.amdhsa_wavefront_size32 1
		.amdhsa_uses_dynamic_stack 0
		.amdhsa_enable_private_segment 0
		.amdhsa_system_sgpr_workgroup_id_x 1
		.amdhsa_system_sgpr_workgroup_id_y 0
		.amdhsa_system_sgpr_workgroup_id_z 0
		.amdhsa_system_sgpr_workgroup_info 0
		.amdhsa_system_vgpr_workitem_id 1
		.amdhsa_next_free_vgpr 80
		.amdhsa_next_free_sgpr 30
		.amdhsa_reserve_vcc 1
		.amdhsa_float_round_mode_32 0
		.amdhsa_float_round_mode_16_64 0
		.amdhsa_float_denorm_mode_32 3
		.amdhsa_float_denorm_mode_16_64 3
		.amdhsa_dx10_clamp 1
		.amdhsa_ieee_mode 1
		.amdhsa_fp16_overflow 0
		.amdhsa_workgroup_processor_mode 1
		.amdhsa_memory_ordered 1
		.amdhsa_forward_progress 0
		.amdhsa_shared_vgpr_count 0
		.amdhsa_exception_fp_ieee_invalid_op 0
		.amdhsa_exception_fp_denorm_src 0
		.amdhsa_exception_fp_ieee_div_zero 0
		.amdhsa_exception_fp_ieee_overflow 0
		.amdhsa_exception_fp_ieee_underflow 0
		.amdhsa_exception_fp_ieee_inexact 0
		.amdhsa_exception_int_div_zero 0
	.end_amdhsa_kernel
	.section	.text._Z12wvSplitK_hf_I6__halfLi64ELi4ELi16ELi8ELi2ELi2EEviiiiiiPKT_S3_S3_PS1_ii,"axG",@progbits,_Z12wvSplitK_hf_I6__halfLi64ELi4ELi16ELi8ELi2ELi2EEviiiiiiPKT_S3_S3_PS1_ii,comdat
.Lfunc_end66:
	.size	_Z12wvSplitK_hf_I6__halfLi64ELi4ELi16ELi8ELi2ELi2EEviiiiiiPKT_S3_S3_PS1_ii, .Lfunc_end66-_Z12wvSplitK_hf_I6__halfLi64ELi4ELi16ELi8ELi2ELi2EEviiiiiiPKT_S3_S3_PS1_ii
                                        ; -- End function
	.section	.AMDGPU.csdata,"",@progbits
; Kernel info:
; codeLenInByte = 5224
; NumSgprs: 32
; NumVgprs: 80
; ScratchSize: 0
; MemoryBound: 0
; FloatMode: 240
; IeeeMode: 1
; LDSByteSize: 65536 bytes/workgroup (compile time only)
; SGPRBlocks: 3
; VGPRBlocks: 9
; NumSGPRsForWavesPerEU: 32
; NumVGPRsForWavesPerEU: 80
; Occupancy: 16
; WaveLimiterHint : 0
; COMPUTE_PGM_RSRC2:SCRATCH_EN: 0
; COMPUTE_PGM_RSRC2:USER_SGPR: 15
; COMPUTE_PGM_RSRC2:TRAP_HANDLER: 0
; COMPUTE_PGM_RSRC2:TGID_X_EN: 1
; COMPUTE_PGM_RSRC2:TGID_Y_EN: 0
; COMPUTE_PGM_RSRC2:TGID_Z_EN: 0
; COMPUTE_PGM_RSRC2:TIDIG_COMP_CNT: 1
	.section	.text._Z16wvSplitK_hf_big_I6__halfLi64ELi4ELi16ELi8ELi2ELi2EEviiiiiiPKT_S3_S3_PS1_ii,"axG",@progbits,_Z16wvSplitK_hf_big_I6__halfLi64ELi4ELi16ELi8ELi2ELi2EEviiiiiiPKT_S3_S3_PS1_ii,comdat
	.protected	_Z16wvSplitK_hf_big_I6__halfLi64ELi4ELi16ELi8ELi2ELi2EEviiiiiiPKT_S3_S3_PS1_ii ; -- Begin function _Z16wvSplitK_hf_big_I6__halfLi64ELi4ELi16ELi8ELi2ELi2EEviiiiiiPKT_S3_S3_PS1_ii
	.globl	_Z16wvSplitK_hf_big_I6__halfLi64ELi4ELi16ELi8ELi2ELi2EEviiiiiiPKT_S3_S3_PS1_ii
	.p2align	8
	.type	_Z16wvSplitK_hf_big_I6__halfLi64ELi4ELi16ELi8ELi2ELi2EEviiiiiiPKT_S3_S3_PS1_ii,@function
_Z16wvSplitK_hf_big_I6__halfLi64ELi4ELi16ELi8ELi2ELi2EEviiiiiiPKT_S3_S3_PS1_ii: ; @_Z16wvSplitK_hf_big_I6__halfLi64ELi4ELi16ELi8ELi2ELi2EEviiiiiiPKT_S3_S3_PS1_ii
; %bb.0:
	s_load_b64 s[20:21], s[0:1], 0x38
	v_bfe_u32 v5, v0, 10, 10
	s_mov_b32 s2, exec_lo
	s_waitcnt lgkmcnt(0)
	s_delay_alu instid0(VALU_DEP_1)
	v_cmpx_gt_u32_e64 s20, v5
	s_cbranch_execz .LBB67_56
; %bb.1:
	s_load_b128 s[16:19], s[0:1], 0x0
	s_mul_i32 s15, s15, s20
	s_mov_b32 s4, 1
	v_add_lshl_u32 v53, s15, v5, 2
	s_mov_b32 s5, s4
	s_mov_b32 s6, s4
	;; [unrolled: 1-line block ×3, first 2 shown]
	s_delay_alu instid0(VALU_DEP_1) | instskip(SKIP_2) | instid1(VALU_DEP_2)
	v_add_nc_u32_e32 v1, 4, v53
	s_waitcnt lgkmcnt(0)
	v_cmp_gt_u32_e32 vcc_lo, s19, v53
	v_cmp_le_u32_e64 s2, s19, v1
	v_dual_mov_b32 v1, s4 :: v_dual_mov_b32 v4, s7
	v_dual_mov_b32 v2, s5 :: v_dual_mov_b32 v3, s6
	s_delay_alu instid0(VALU_DEP_3) | instskip(NEXT) | instid1(SALU_CYCLE_1)
	s_and_b32 s2, vcc_lo, s2
	s_and_saveexec_b32 s8, s2
	s_cbranch_execz .LBB67_7
; %bb.2:
	v_dual_mov_b32 v1, s4 :: v_dual_mov_b32 v2, s5
	v_dual_mov_b32 v3, s6 :: v_dual_mov_b32 v4, s7
	s_add_i32 s9, s19, -4
	s_mov_b32 s10, exec_lo
	v_cmpx_ne_u32_e64 s9, v53
	s_cbranch_execz .LBB67_6
; %bb.3:
	v_subrev_nc_u32_e32 v1, s9, v53
	s_mov_b32 s11, 0
	s_mov_b64 s[2:3], 0
	s_mov_b32 s5, s4
	s_mov_b32 s6, s4
	v_cmp_lt_u32_e32 vcc_lo, 1, v1
	s_mov_b32 s7, s4
	v_cndmask_b32_e32 v6, 1, v1, vcc_lo
	.p2align	6
.LBB67_4:                               ; =>This Inner Loop Header: Depth=1
	s_cmp_lg_u32 s2, 3
	s_cselect_b32 s7, s7, 0
	s_cmp_lg_u32 s2, 2
	s_cselect_b32 s6, s6, 0
	;; [unrolled: 2-line block ×4, first 2 shown]
	s_add_u32 s2, s2, 1
	v_dual_mov_b32 v1, s4 :: v_dual_mov_b32 v2, s5
	v_cmp_eq_u32_e32 vcc_lo, s2, v6
	v_dual_mov_b32 v3, s6 :: v_dual_mov_b32 v4, s7
	s_addc_u32 s3, s3, 0
	s_or_b32 s11, vcc_lo, s11
	s_delay_alu instid0(SALU_CYCLE_1)
	s_and_not1_b32 exec_lo, exec_lo, s11
	s_cbranch_execnz .LBB67_4
; %bb.5:
	s_or_b32 exec_lo, exec_lo, s11
	v_mov_b32_e32 v53, s9
.LBB67_6:
	s_or_b32 exec_lo, exec_lo, s10
.LBB67_7:
	s_delay_alu instid0(SALU_CYCLE_1)
	s_or_b32 exec_lo, exec_lo, s8
	s_lshl_b32 s2, s20, 2
	s_abs_i32 s6, s19
	s_abs_i32 s3, s2
	s_mov_b32 s23, 0
	v_cvt_f32_u32_e32 v6, s3
	s_sub_i32 s5, 0, s3
	s_delay_alu instid0(VALU_DEP_1) | instskip(SKIP_2) | instid1(VALU_DEP_1)
	v_rcp_iflag_f32_e32 v6, v6
	s_waitcnt_depctr 0xfff
	v_mul_f32_e32 v6, 0x4f7ffffe, v6
	v_cvt_u32_f32_e32 v6, v6
	s_delay_alu instid0(VALU_DEP_1) | instskip(NEXT) | instid1(VALU_DEP_1)
	v_readfirstlane_b32 s4, v6
	s_mul_i32 s5, s5, s4
	s_delay_alu instid0(SALU_CYCLE_1) | instskip(NEXT) | instid1(SALU_CYCLE_1)
	s_mul_hi_u32 s5, s4, s5
	s_add_i32 s4, s4, s5
	s_ashr_i32 s5, s19, 31
	s_mul_hi_u32 s4, s6, s4
	s_delay_alu instid0(SALU_CYCLE_1) | instskip(NEXT) | instid1(SALU_CYCLE_1)
	s_mul_i32 s4, s4, s3
	s_sub_i32 s4, s6, s4
	s_delay_alu instid0(SALU_CYCLE_1) | instskip(SKIP_2) | instid1(SALU_CYCLE_1)
	s_sub_i32 s6, s4, s3
	s_cmp_ge_u32 s4, s3
	s_cselect_b32 s4, s6, s4
	s_sub_i32 s6, s4, s3
	s_cmp_ge_u32 s4, s3
	s_cselect_b32 s3, s6, s4
	s_add_i32 s2, s2, s19
	s_xor_b32 s3, s3, s5
	s_delay_alu instid0(SALU_CYCLE_1) | instskip(NEXT) | instid1(SALU_CYCLE_1)
	s_sub_i32 s3, s3, s5
	s_sub_i32 s2, s2, s3
	s_cmp_eq_u32 s3, 0
	s_cselect_b32 s22, s19, s2
	s_delay_alu instid0(SALU_CYCLE_1)
	v_cmp_gt_u32_e32 vcc_lo, s22, v53
	s_and_b32 exec_lo, exec_lo, vcc_lo
	s_cbranch_execz .LBB67_56
; %bb.8:
	s_load_b256 s[8:15], s[0:1], 0x10
	s_min_u32 s24, s18, 0x4000
	v_and_b32_e32 v7, 0x3ff, v0
	s_cmp_lg_u32 s16, 0
	s_load_b64 s[6:7], s[0:1], 0x30
	s_mul_i32 s0, s21, s20
	s_cselect_b32 s21, -1, 0
	s_cmp_lg_u32 s18, 0
	v_dual_mov_b32 v55, 0 :: v_dual_lshlrev_b32 v0, 3, v7
	s_cselect_b32 s25, -1, 0
	s_lshl_b32 s26, s20, 9
	s_add_i32 s27, s16, -8
	s_add_i32 s28, s19, -1
	s_lshl_b32 s29, s0, 2
	v_cmp_eq_u32_e64 s0, 63, v7
	v_lshl_add_u32 v64, v5, 9, v0
	v_mbcnt_lo_u32_b32 v68, -1, 0
	v_lshlrev_b32_e32 v7, 4, v7
	s_waitcnt lgkmcnt(0)
	v_cvt_f32_u32_e32 v6, s8
	s_cmp_lg_u64 s[14:15], 0
	v_add_nc_u32_e32 v66, s18, v64
	s_cselect_b32 s30, -1, 0
	s_sub_i32 s1, 0, s8
	v_rcp_iflag_f32_e32 v6, v6
	v_lshl_add_u32 v65, v5, 10, v7
	s_waitcnt_depctr 0xfff
	v_mul_f32_e32 v6, 0x4f7ffffe, v6
	s_delay_alu instid0(VALU_DEP_1) | instskip(NEXT) | instid1(VALU_DEP_1)
	v_cvt_u32_f32_e32 v6, v6
	v_mul_lo_u32 v8, s1, v6
	s_abs_i32 s1, s9
	s_add_i32 s9, s19, -4
	s_sub_i32 s2, 1, s1
	s_cmp_lt_u32 s1, 2
	s_cselect_b32 s2, s2, 1
	s_delay_alu instid0(SALU_CYCLE_1) | instskip(NEXT) | instid1(VALU_DEP_1)
	s_sub_i32 s3, s2, s1
	v_mul_hi_u32 v8, v6, v8
	s_cmp_ge_u32 s2, s1
	s_cselect_b32 s33, s3, s2
	s_add_u32 s31, s6, 2
	s_mul_i32 s33, s33, s8
	s_addc_u32 s34, s7, 0
	s_lshl_b32 s35, s24, 1
	s_delay_alu instid0(VALU_DEP_1)
	v_add_nc_u32_e32 v67, v6, v8
	s_lshl_b32 s20, s20, 10
	s_branch .LBB67_12
.LBB67_9:                               ;   in Loop: Header=BB67_12 Depth=1
	s_or_b32 exec_lo, exec_lo, s38
	v_mov_b32_e32 v53, s9
.LBB67_10:                              ;   in Loop: Header=BB67_12 Depth=1
	s_or_b32 exec_lo, exec_lo, s37
.LBB67_11:                              ;   in Loop: Header=BB67_12 Depth=1
	s_delay_alu instid0(SALU_CYCLE_1) | instskip(NEXT) | instid1(VALU_DEP_1)
	s_or_b32 exec_lo, exec_lo, s36
	v_cmp_le_u32_e32 vcc_lo, s22, v53
	s_or_b32 s23, vcc_lo, s23
	s_delay_alu instid0(SALU_CYCLE_1)
	s_and_not1_b32 exec_lo, exec_lo, s23
	s_cbranch_execz .LBB67_56
.LBB67_12:                              ; =>This Loop Header: Depth=1
                                        ;     Child Loop BB67_17 Depth 2
                                        ;       Child Loop BB67_22 Depth 3
                                        ;     Child Loop BB67_47 Depth 2
	v_mov_b32_e32 v76, v55
	v_mov_b32_e32 v75, v55
	;; [unrolled: 1-line block ×8, first 2 shown]
	s_and_not1_b32 vcc_lo, exec_lo, s21
	s_mov_b32 s3, 0
	s_cbranch_vccnz .LBB67_29
; %bb.13:                               ;   in Loop: Header=BB67_12 Depth=1
	v_dual_mov_b32 v69, 0 :: v_dual_add_nc_u32 v6, 2, v53
	v_add_nc_u32_e32 v5, 1, v53
	v_add_nc_u32_e32 v7, 3, v53
	v_min_u32_e32 v8, s28, v53
	s_delay_alu instid0(VALU_DEP_4) | instskip(SKIP_2) | instid1(VALU_DEP_4)
	v_min_u32_e32 v6, s28, v6
	v_dual_mov_b32 v10, v55 :: v_dual_mov_b32 v71, 0
	v_cmp_gt_u32_e64 s1, s19, v53
	v_mul_lo_u32 v54, v8, s17
	v_mov_b32_e32 v8, v55
	s_waitcnt lgkmcnt(0)
	v_min_u32_e32 v9, s28, v7
	v_mul_lo_u32 v7, v6, s17
	v_mov_b32_e32 v6, v55
	v_min_u32_e32 v5, s28, v5
	v_dual_mov_b32 v70, 0 :: v_dual_mov_b32 v73, 0
	v_mul_lo_u32 v9, v9, s17
	v_lshlrev_b64 v[56:57], 1, v[54:55]
	s_delay_alu instid0(VALU_DEP_4)
	v_mul_lo_u32 v5, v5, s17
	v_lshlrev_b64 v[60:61], 1, v[7:8]
	v_dual_mov_b32 v72, 0 :: v_dual_mov_b32 v75, 0
	v_mov_b32_e32 v74, 0
	v_mov_b32_e32 v76, 0
	v_lshlrev_b64 v[62:63], 1, v[9:10]
	s_mov_b32 s4, 0
	v_lshlrev_b64 v[58:59], 1, v[5:6]
	s_branch .LBB67_17
.LBB67_14:                              ;   in Loop: Header=BB67_17 Depth=2
	s_or_b32 exec_lo, exec_lo, s36
.LBB67_15:                              ;   in Loop: Header=BB67_17 Depth=2
	s_delay_alu instid0(SALU_CYCLE_1)
	s_or_b32 exec_lo, exec_lo, s5
	s_waitcnt vmcnt(7) lgkmcnt(1)
	;;#ASMSTART
	v_dot2_f32_f16 v76, v49, v45, v76
	;;#ASMEND
	s_waitcnt vmcnt(6)
	;;#ASMSTART
	v_dot2_f32_f16 v75, v49, v33, v75
	;;#ASMEND
	s_waitcnt vmcnt(5)
	;; [unrolled: 4-line block ×3, first 2 shown]
	;;#ASMSTART
	v_dot2_f32_f16 v73, v49, v29, v73
	;;#ASMEND
	s_waitcnt lgkmcnt(0)
	;;#ASMSTART
	v_dot2_f32_f16 v72, v41, v45, v72
	;;#ASMEND
	;;#ASMSTART
	v_dot2_f32_f16 v71, v41, v33, v71
	;;#ASMEND
	;; [unrolled: 3-line block ×28, first 2 shown]
	s_waitcnt vmcnt(3)
	;;#ASMSTART
	v_dot2_f32_f16 v76, v25, v21, v76
	;;#ASMEND
	s_waitcnt vmcnt(2)
	;;#ASMSTART
	v_dot2_f32_f16 v75, v25, v17, v75
	;;#ASMEND
	;; [unrolled: 4-line block ×4, first 2 shown]
	;;#ASMSTART
	v_dot2_f32_f16 v72, v13, v21, v72
	;;#ASMEND
	;;#ASMSTART
	v_dot2_f32_f16 v71, v13, v17, v71
	;;#ASMEND
	;; [unrolled: 3-line block ×28, first 2 shown]
.LBB67_16:                              ;   in Loop: Header=BB67_17 Depth=2
	s_or_b32 exec_lo, exec_lo, s2
	s_addk_i32 s4, 0x400
	s_delay_alu instid0(SALU_CYCLE_1)
	s_cmp_ge_u32 s4, s16
	s_cbranch_scc1 .LBB67_29
.LBB67_17:                              ;   Parent Loop BB67_12 Depth=1
                                        ; =>  This Loop Header: Depth=2
                                        ;       Child Loop BB67_22 Depth 3
	s_cmp_eq_u32 s4, 0
	s_cselect_b32 s5, -1, 0
	s_add_i32 s2, s3, s24
	s_delay_alu instid0(SALU_CYCLE_1) | instskip(SKIP_1) | instid1(SALU_CYCLE_1)
	s_cmp_eq_u32 s4, s2
	s_cselect_b32 s36, -1, 0
	s_or_b32 s36, s5, s36
	s_delay_alu instid0(SALU_CYCLE_1)
	s_and_not1_b32 vcc_lo, exec_lo, s36
	s_cbranch_vccz .LBB67_19
; %bb.18:                               ;   in Loop: Header=BB67_17 Depth=2
	s_and_saveexec_b32 s2, s1
	s_cbranch_execz .LBB67_16
	s_branch .LBB67_26
.LBB67_19:                              ;   in Loop: Header=BB67_17 Depth=2
	s_and_b32 s5, s5, exec_lo
	s_cselect_b32 s3, s3, s2
	s_and_not1_b32 vcc_lo, exec_lo, s25
	s_waitcnt vmcnt(0)
	s_waitcnt_vscnt null, 0x0
	s_barrier
	buffer_gl0_inv
	s_cbranch_vccnz .LBB67_25
; %bb.20:                               ;   in Loop: Header=BB67_17 Depth=2
	v_add_nc_u32_e32 v5, s3, v66
	v_dual_mov_b32 v7, v65 :: v_dual_add_nc_u32 v6, s3, v64
	s_mov_b32 s5, 0
	s_mov_b32 s36, 0
                                        ; implicit-def: $sgpr37
	s_set_inst_prefetch_distance 0x1
	s_branch .LBB67_22
	.p2align	6
.LBB67_21:                              ;   in Loop: Header=BB67_22 Depth=3
	s_or_b32 exec_lo, exec_lo, s2
	s_delay_alu instid0(SALU_CYCLE_1) | instskip(NEXT) | instid1(SALU_CYCLE_1)
	s_and_b32 s2, exec_lo, s37
	s_or_b32 s5, s2, s5
	s_delay_alu instid0(SALU_CYCLE_1)
	s_and_not1_b32 exec_lo, exec_lo, s5
	s_cbranch_execz .LBB67_24
.LBB67_22:                              ;   Parent Loop BB67_12 Depth=1
                                        ;     Parent Loop BB67_17 Depth=2
                                        ; =>    This Inner Loop Header: Depth=3
	v_add_nc_u32_e32 v54, s36, v6
	v_add_nc_u32_e32 v8, s36, v64
	s_or_b32 s37, s37, exec_lo
	s_delay_alu instid0(VALU_DEP_2) | instskip(NEXT) | instid1(VALU_DEP_2)
	v_cmp_gt_u32_e32 vcc_lo, s18, v54
	v_cmp_gt_u32_e64 s2, s24, v8
	s_delay_alu instid0(VALU_DEP_1) | instskip(NEXT) | instid1(SALU_CYCLE_1)
	s_and_b32 s38, s2, vcc_lo
	s_and_saveexec_b32 s2, s38
	s_cbranch_execz .LBB67_21
; %bb.23:                               ;   in Loop: Header=BB67_22 Depth=3
	v_lshlrev_b64 v[8:9], 1, v[54:55]
	v_add_nc_u32_e32 v54, s36, v5
	s_add_i32 s36, s36, s26
	v_add_nc_u32_e32 v16, s35, v7
	s_cmp_ge_u32 s36, s24
	s_delay_alu instid0(VALU_DEP_2) | instskip(SKIP_3) | instid1(VALU_DEP_3)
	v_lshlrev_b64 v[12:13], 1, v[54:55]
	v_add_co_u32 v8, vcc_lo, s12, v8
	v_add_co_ci_u32_e32 v9, vcc_lo, s13, v9, vcc_lo
	s_cselect_b32 s38, -1, 0
	v_add_co_u32 v12, vcc_lo, s12, v12
	global_load_b128 v[8:11], v[8:9], off
	v_add_co_ci_u32_e32 v13, vcc_lo, s13, v13, vcc_lo
	s_and_not1_b32 s37, s37, exec_lo
	s_and_b32 s38, s38, exec_lo
	global_load_b128 v[12:15], v[12:13], off
	s_or_b32 s37, s37, s38
	s_waitcnt vmcnt(1)
	ds_store_b128 v7, v[8:11]
	v_add_nc_u32_e32 v7, s20, v7
	s_waitcnt vmcnt(0)
	ds_store_2addr_b64 v16, v[12:13], v[14:15] offset1:1
	s_branch .LBB67_21
.LBB67_24:                              ;   in Loop: Header=BB67_17 Depth=2
	s_set_inst_prefetch_distance 0x2
	s_or_b32 exec_lo, exec_lo, s5
.LBB67_25:                              ;   in Loop: Header=BB67_17 Depth=2
	s_waitcnt lgkmcnt(0)
	s_barrier
	buffer_gl0_inv
	s_and_saveexec_b32 s2, s1
	s_cbranch_execz .LBB67_16
.LBB67_26:                              ;   in Loop: Header=BB67_17 Depth=2
	v_dual_mov_b32 v50, 0 :: v_dual_add_nc_u32 v77, s4, v0
	v_dual_mov_b32 v51, 0 :: v_dual_mov_b32 v52, 0
	s_waitcnt vmcnt(2)
	v_dual_mov_b32 v25, 0 :: v_dual_mov_b32 v26, 0
	s_delay_alu instid0(VALU_DEP_3) | instskip(SKIP_2) | instid1(VALU_DEP_3)
	v_min_u32_e32 v54, s27, v77
	v_dual_mov_b32 v49, 0 :: v_dual_add_nc_u32 v78, 0x200, v77
	v_dual_mov_b32 v27, 0 :: v_dual_mov_b32 v28, 0
	v_lshlrev_b64 v[5:6], 1, v[54:55]
	s_delay_alu instid0(VALU_DEP_3) | instskip(SKIP_2) | instid1(VALU_DEP_4)
	v_min_u32_e32 v54, s27, v78
	v_dual_mov_b32 v41, 0 :: v_dual_mov_b32 v42, 0
	v_dual_mov_b32 v43, 0 :: v_dual_mov_b32 v44, 0
	v_add_co_u32 v13, vcc_lo, s10, v5
	v_add_co_ci_u32_e32 v14, vcc_lo, s11, v6, vcc_lo
	v_lshlrev_b64 v[5:6], 1, v[54:55]
	s_delay_alu instid0(VALU_DEP_3) | instskip(NEXT) | instid1(VALU_DEP_3)
	v_add_co_u32 v7, vcc_lo, v13, v56
	v_add_co_ci_u32_e32 v8, vcc_lo, v14, v57, vcc_lo
	v_add_co_u32 v9, vcc_lo, v13, v58
	v_add_co_ci_u32_e32 v10, vcc_lo, v14, v59, vcc_lo
	;; [unrolled: 2-line block ×5, first 2 shown]
	s_clause 0x1
	global_load_b128 v[45:48], v[7:8], off slc dlc
	global_load_b128 v[33:36], v[9:10], off slc dlc
	v_add_co_u32 v7, vcc_lo, v15, v56
	v_add_co_ci_u32_e32 v8, vcc_lo, v16, v57, vcc_lo
	v_add_co_u32 v9, vcc_lo, v15, v58
	v_add_co_ci_u32_e32 v10, vcc_lo, v16, v59, vcc_lo
	;; [unrolled: 2-line block ×4, first 2 shown]
	s_clause 0x5
	global_load_b128 v[37:40], v[11:12], off slc dlc
	global_load_b128 v[29:32], v[5:6], off slc dlc
	;; [unrolled: 1-line block ×6, first 2 shown]
	v_dual_mov_b32 v13, 0 :: v_dual_mov_b32 v14, 0
	v_dual_mov_b32 v15, 0 :: v_dual_mov_b32 v16, 0
	s_mov_b32 s5, exec_lo
	v_cmpx_gt_u32_e64 s16, v77
	s_cbranch_execz .LBB67_15
; %bb.27:                               ;   in Loop: Header=BB67_17 Depth=2
	v_subrev_nc_u32_e32 v13, s3, v77
	v_dual_mov_b32 v15, 0 :: v_dual_mov_b32 v14, 0
	v_dual_mov_b32 v27, 0 :: v_dual_mov_b32 v26, 0
	s_delay_alu instid0(VALU_DEP_3) | instskip(SKIP_2) | instid1(VALU_DEP_3)
	v_dual_mov_b32 v16, 0 :: v_dual_lshlrev_b32 v77, 1, v13
	v_dual_mov_b32 v13, 0 :: v_dual_mov_b32 v28, 0
	v_mov_b32_e32 v25, 0
	v_lshl_add_u32 v54, s24, 1, v77
	s_mov_b32 s36, exec_lo
	ds_load_b128 v[49:52], v77
	ds_load_b128 v[41:44], v54
	v_cmpx_gt_u32_e64 s16, v78
	s_cbranch_execz .LBB67_14
; %bb.28:                               ;   in Loop: Header=BB67_17 Depth=2
	ds_load_b128 v[25:28], v77 offset:1024
	ds_load_b128 v[13:16], v54 offset:1024
	s_branch .LBB67_14
.LBB67_29:                              ;   in Loop: Header=BB67_12 Depth=1
	s_mov_b32 s1, exec_lo
	v_cmpx_le_u32_e64 s19, v53
	s_xor_b32 s1, exec_lo, s1
; %bb.30:                               ;   in Loop: Header=BB67_12 Depth=1
	v_add_nc_u32_e32 v53, s29, v53
                                        ; implicit-def: $vgpr76
                                        ; implicit-def: $vgpr75
                                        ; implicit-def: $vgpr74
                                        ; implicit-def: $vgpr73
                                        ; implicit-def: $vgpr72
                                        ; implicit-def: $vgpr71
                                        ; implicit-def: $vgpr70
                                        ; implicit-def: $vgpr69
; %bb.31:                               ;   in Loop: Header=BB67_12 Depth=1
	s_and_not1_saveexec_b32 s36, s1
	s_cbranch_execz .LBB67_11
; %bb.32:                               ;   in Loop: Header=BB67_12 Depth=1
	v_cvt_i32_f32_e32 v5, v76
	v_cvt_i32_f32_e32 v6, v75
	;; [unrolled: 1-line block ×3, first 2 shown]
	v_xor_b32_e32 v8, 16, v68
	s_waitcnt lgkmcnt(3)
	v_cvt_i32_f32_e32 v15, v70
	v_cvt_f32_i32_dpp v5, v5 row_shr:8 row_mask:0xf bank_mask:0xf bound_ctrl:1
	v_cvt_f32_i32_dpp v6, v6 row_shr:8 row_mask:0xf bank_mask:0xf bound_ctrl:1
	;; [unrolled: 1-line block ×3, first 2 shown]
	v_cmp_gt_i32_e32 vcc_lo, 32, v8
	s_waitcnt lgkmcnt(0)
	v_cvt_i32_f32_e32 v9, v73
	v_dual_add_f32 v5, v76, v5 :: v_dual_add_f32 v6, v75, v6
	v_dual_add_f32 v7, v74, v7 :: v_dual_cndmask_b32 v8, v68, v8
	v_cvt_f32_i32_dpp v15, v15 row_shr:8 row_mask:0xf bank_mask:0xf bound_ctrl:1
	s_delay_alu instid0(VALU_DEP_3) | instskip(NEXT) | instid1(VALU_DEP_4)
	v_cvt_i32_f32_e32 v12, v5
	v_cvt_i32_f32_e32 v13, v6
	s_delay_alu instid0(VALU_DEP_4)
	v_cvt_i32_f32_e32 v14, v7
	v_cvt_f32_i32_dpp v9, v9 row_shr:8 row_mask:0xf bank_mask:0xf bound_ctrl:1
	v_cvt_i32_f32_e32 v11, v71
	v_cvt_f32_i32_dpp v12, v12 row_shr:4 row_mask:0xf bank_mask:0xf bound_ctrl:1
	v_cvt_f32_i32_dpp v13, v13 row_shr:4 row_mask:0xf bank_mask:0xf bound_ctrl:1
	;; [unrolled: 1-line block ×3, first 2 shown]
	s_waitcnt vmcnt(0)
	v_dual_add_f32 v8, v73, v9 :: v_dual_lshlrev_b32 v23, 2, v8
	s_delay_alu instid0(VALU_DEP_3) | instskip(SKIP_2) | instid1(VALU_DEP_4)
	v_dual_add_f32 v5, v5, v12 :: v_dual_add_f32 v6, v6, v13
	v_cvt_f32_i32_dpp v11, v11 row_shr:8 row_mask:0xf bank_mask:0xf bound_ctrl:1
	v_cvt_i32_f32_e32 v16, v69
	v_cvt_i32_f32_e32 v17, v8
	s_delay_alu instid0(VALU_DEP_4) | instskip(SKIP_3) | instid1(VALU_DEP_4)
	v_cvt_i32_f32_e32 v12, v5
	v_cvt_i32_f32_e32 v13, v6
	;; [unrolled: 1-line block ×3, first 2 shown]
	v_cvt_f32_i32_dpp v16, v16 row_shr:8 row_mask:0xf bank_mask:0xf bound_ctrl:1
	v_cvt_f32_i32_dpp v12, v12 row_shr:2 row_mask:0xf bank_mask:0xf bound_ctrl:1
	s_delay_alu instid0(VALU_DEP_4) | instskip(SKIP_2) | instid1(VALU_DEP_3)
	v_cvt_f32_i32_dpp v13, v13 row_shr:2 row_mask:0xf bank_mask:0xf bound_ctrl:1
	v_add_f32_e32 v7, v7, v14
	v_cvt_f32_i32_dpp v10, v10 row_shr:8 row_mask:0xf bank_mask:0xf bound_ctrl:1
	v_dual_add_f32 v5, v5, v12 :: v_dual_add_f32 v6, v6, v13
	s_delay_alu instid0(VALU_DEP_3) | instskip(NEXT) | instid1(VALU_DEP_2)
	v_cvt_i32_f32_e32 v14, v7
	v_cvt_i32_f32_e32 v12, v6
	s_delay_alu instid0(VALU_DEP_2) | instskip(NEXT) | instid1(VALU_DEP_2)
	v_cvt_f32_i32_dpp v14, v14 row_shr:2 row_mask:0xf bank_mask:0xf bound_ctrl:1
	v_cvt_f32_i32_dpp v12, v12 row_shr:1 row_mask:0xf bank_mask:0xf bound_ctrl:1
	s_delay_alu instid0(VALU_DEP_2) | instskip(NEXT) | instid1(VALU_DEP_2)
	v_dual_add_f32 v7, v7, v14 :: v_dual_add_f32 v14, v70, v15
	v_add_f32_e32 v18, v6, v12
	s_delay_alu instid0(VALU_DEP_2) | instskip(SKIP_2) | instid1(VALU_DEP_1)
	v_cvt_i32_f32_e32 v13, v7
	ds_bpermute_b32 v20, v23, v18
	v_cvt_f32_i32_dpp v13, v13 row_shr:1 row_mask:0xf bank_mask:0xf bound_ctrl:1
	v_add_f32_e32 v7, v7, v13
	v_cvt_f32_i32_dpp v13, v17 row_shr:4 row_mask:0xf bank_mask:0xf bound_ctrl:1
	s_delay_alu instid0(VALU_DEP_1) | instskip(NEXT) | instid1(VALU_DEP_1)
	v_dual_add_f32 v11, v71, v11 :: v_dual_add_f32 v8, v8, v13
	v_cvt_i32_f32_e32 v6, v11
	s_delay_alu instid0(VALU_DEP_1) | instskip(NEXT) | instid1(VALU_DEP_1)
	v_cvt_f32_i32_dpp v6, v6 row_shr:4 row_mask:0xf bank_mask:0xf bound_ctrl:1
	v_dual_add_f32 v15, v69, v16 :: v_dual_add_f32 v6, v11, v6
	s_delay_alu instid0(VALU_DEP_1) | instskip(SKIP_1) | instid1(VALU_DEP_3)
	v_cvt_i32_f32_e32 v12, v15
	v_cvt_i32_f32_e32 v11, v8
	;; [unrolled: 1-line block ×3, first 2 shown]
	s_delay_alu instid0(VALU_DEP_3) | instskip(SKIP_4) | instid1(VALU_DEP_3)
	v_cvt_f32_i32_dpp v12, v12 row_shr:4 row_mask:0xf bank_mask:0xf bound_ctrl:1
	v_add_f32_e32 v9, v72, v10
	v_cvt_i32_f32_e32 v10, v5
	v_cvt_f32_i32_dpp v11, v11 row_shr:2 row_mask:0xf bank_mask:0xf bound_ctrl:1
	v_cvt_f32_i32_dpp v13, v13 row_shr:2 row_mask:0xf bank_mask:0xf bound_ctrl:1
	v_cvt_f32_i32_dpp v10, v10 row_shr:1 row_mask:0xf bank_mask:0xf bound_ctrl:1
	s_delay_alu instid0(VALU_DEP_3) | instskip(NEXT) | instid1(VALU_DEP_2)
	v_add_f32_e32 v8, v8, v11
	v_dual_add_f32 v6, v6, v13 :: v_dual_add_f32 v21, v5, v10
	v_cvt_i32_f32_e32 v5, v9
	v_cvt_i32_f32_e32 v10, v14
	s_delay_alu instid0(VALU_DEP_3) | instskip(SKIP_4) | instid1(VALU_DEP_3)
	v_cvt_i32_f32_e32 v13, v6
	ds_bpermute_b32 v22, v23, v21
	v_cvt_f32_i32_dpp v5, v5 row_shr:4 row_mask:0xf bank_mask:0xf bound_ctrl:1
	v_cvt_f32_i32_dpp v10, v10 row_shr:4 row_mask:0xf bank_mask:0xf bound_ctrl:1
	;; [unrolled: 1-line block ×3, first 2 shown]
	v_add_f32_e32 v5, v9, v5
	s_delay_alu instid0(VALU_DEP_3) | instskip(NEXT) | instid1(VALU_DEP_1)
	v_dual_add_f32 v9, v14, v10 :: v_dual_add_f32 v10, v15, v12
	v_cvt_i32_f32_e32 v14, v9
	s_delay_alu instid0(VALU_DEP_2) | instskip(NEXT) | instid1(VALU_DEP_2)
	v_cvt_i32_f32_e32 v15, v10
	v_cvt_f32_i32_dpp v14, v14 row_shr:2 row_mask:0xf bank_mask:0xf bound_ctrl:1
	s_delay_alu instid0(VALU_DEP_2) | instskip(NEXT) | instid1(VALU_DEP_2)
	v_cvt_f32_i32_dpp v15, v15 row_shr:2 row_mask:0xf bank_mask:0xf bound_ctrl:1
	v_add_f32_e32 v9, v9, v14
	s_delay_alu instid0(VALU_DEP_2) | instskip(SKIP_1) | instid1(VALU_DEP_3)
	v_add_f32_e32 v11, v10, v15
	v_cvt_i32_f32_e32 v10, v8
	v_cvt_i32_f32_e32 v14, v9
	s_delay_alu instid0(VALU_DEP_3) | instskip(NEXT) | instid1(VALU_DEP_3)
	v_cvt_i32_f32_e32 v15, v11
	v_cvt_f32_i32_dpp v10, v10 row_shr:1 row_mask:0xf bank_mask:0xf bound_ctrl:1
	s_delay_alu instid0(VALU_DEP_3) | instskip(NEXT) | instid1(VALU_DEP_3)
	v_cvt_f32_i32_dpp v19, v14 row_shr:1 row_mask:0xf bank_mask:0xf bound_ctrl:1
	v_cvt_f32_i32_dpp v15, v15 row_shr:1 row_mask:0xf bank_mask:0xf bound_ctrl:1
	s_delay_alu instid0(VALU_DEP_1) | instskip(SKIP_1) | instid1(VALU_DEP_1)
	v_dual_add_f32 v17, v8, v10 :: v_dual_add_f32 v8, v11, v15
	v_cvt_i32_f32_e32 v12, v5
	v_cvt_f32_i32_dpp v12, v12 row_shr:2 row_mask:0xf bank_mask:0xf bound_ctrl:1
	s_delay_alu instid0(VALU_DEP_1) | instskip(NEXT) | instid1(VALU_DEP_1)
	v_add_f32_e32 v5, v5, v12
	v_cvt_i32_f32_e32 v12, v5
	s_delay_alu instid0(VALU_DEP_1) | instskip(NEXT) | instid1(VALU_DEP_1)
	v_cvt_f32_i32_dpp v12, v12 row_shr:1 row_mask:0xf bank_mask:0xf bound_ctrl:1
	v_add_f32_e32 v14, v5, v12
	v_add_f32_e32 v12, v6, v13
	;; [unrolled: 1-line block ×3, first 2 shown]
	ds_bpermute_b32 v16, v23, v7
	ds_bpermute_b32 v19, v23, v17
	;; [unrolled: 1-line block ×6, first 2 shown]
	s_and_saveexec_b32 s5, s0
	s_cbranch_execz .LBB67_44
; %bb.33:                               ;   in Loop: Header=BB67_12 Depth=1
	v_dual_mov_b32 v30, 0 :: v_dual_add_nc_u32 v5, 3, v53
	v_dual_mov_b32 v29, 0 :: v_dual_add_nc_u32 v6, 2, v53
	v_dual_mov_b32 v28, 0 :: v_dual_mov_b32 v27, 0
	v_dual_mov_b32 v26, 0 :: v_dual_mov_b32 v25, 0
	;; [unrolled: 1-line block ×3, first 2 shown]
	s_and_not1_b32 vcc_lo, exec_lo, s30
	s_cbranch_vccnz .LBB67_35
; %bb.34:                               ;   in Loop: Header=BB67_12 Depth=1
	v_mul_hi_u32 v23, v53, v67
	v_mul_hi_u32 v24, v6, v67
	v_add_nc_u32_e32 v25, 1, v53
	v_mul_hi_u32 v26, v5, v67
	s_delay_alu instid0(VALU_DEP_4) | instskip(NEXT) | instid1(VALU_DEP_4)
	v_mul_lo_u32 v23, v23, s8
	v_mul_lo_u32 v28, v24, s8
	v_mov_b32_e32 v24, v55
	v_mul_hi_u32 v27, v25, v67
	v_mul_lo_u32 v29, v26, s8
	v_sub_nc_u32_e32 v23, v53, v23
	v_sub_nc_u32_e32 v30, v6, v28
	s_delay_alu instid0(VALU_DEP_4) | instskip(NEXT) | instid1(VALU_DEP_4)
	v_mul_lo_u32 v27, v27, s8
	v_sub_nc_u32_e32 v29, v5, v29
	s_delay_alu instid0(VALU_DEP_4) | instskip(SKIP_1) | instid1(VALU_DEP_3)
	v_subrev_nc_u32_e32 v31, s8, v23
	v_cmp_le_u32_e32 vcc_lo, s8, v23
	v_subrev_nc_u32_e32 v32, s8, v29
	v_sub_nc_u32_e32 v25, v25, v27
	v_subrev_nc_u32_e32 v27, s8, v30
	v_cndmask_b32_e32 v23, v23, v31, vcc_lo
	v_cmp_le_u32_e32 vcc_lo, s8, v30
	v_mov_b32_e32 v26, v55
	v_subrev_nc_u32_e32 v31, s8, v25
	v_cndmask_b32_e32 v27, v30, v27, vcc_lo
	v_cmp_le_u32_e32 vcc_lo, s8, v29
	v_mov_b32_e32 v28, v55
	v_subrev_nc_u32_e32 v30, s8, v23
	v_cndmask_b32_e32 v29, v29, v32, vcc_lo
	v_cmp_le_u32_e32 vcc_lo, s8, v25
	s_delay_alu instid0(VALU_DEP_2)
	v_subrev_nc_u32_e32 v32, s8, v29
	v_cndmask_b32_e32 v31, v25, v31, vcc_lo
	v_cmp_le_u32_e32 vcc_lo, s8, v23
	v_subrev_nc_u32_e32 v25, s8, v27
	v_cndmask_b32_e32 v54, v23, v30, vcc_lo
	v_cmp_le_u32_e32 vcc_lo, s8, v27
	v_subrev_nc_u32_e32 v23, s8, v31
	s_delay_alu instid0(VALU_DEP_4)
	v_cndmask_b32_e32 v25, v27, v25, vcc_lo
	v_cmp_le_u32_e32 vcc_lo, s8, v29
	v_cndmask_b32_e32 v27, v29, v32, vcc_lo
	v_cmp_le_u32_e32 vcc_lo, s8, v31
	v_lshlrev_b64 v[29:30], 1, v[54:55]
	v_add_nc_u32_e32 v54, s33, v54
	s_delay_alu instid0(VALU_DEP_4) | instskip(SKIP_1) | instid1(VALU_DEP_4)
	v_lshlrev_b64 v[33:34], 1, v[27:28]
	v_cndmask_b32_e32 v23, v31, v23, vcc_lo
	v_add_co_u32 v28, vcc_lo, s14, v29
	s_delay_alu instid0(VALU_DEP_4) | instskip(NEXT) | instid1(VALU_DEP_3)
	v_lshlrev_b64 v[37:38], 1, v[54:55]
	v_lshlrev_b64 v[35:36], 1, v[23:24]
	v_add_nc_u32_e32 v54, s33, v23
	v_lshlrev_b64 v[31:32], 1, v[25:26]
	v_add_co_ci_u32_e32 v29, vcc_lo, s15, v30, vcc_lo
	s_delay_alu instid0(VALU_DEP_4) | instskip(SKIP_1) | instid1(VALU_DEP_4)
	v_add_co_u32 v35, vcc_lo, s14, v35
	v_add_co_ci_u32_e32 v36, vcc_lo, s15, v36, vcc_lo
	v_add_co_u32 v31, vcc_lo, s14, v31
	v_add_co_ci_u32_e32 v32, vcc_lo, s15, v32, vcc_lo
	;; [unrolled: 2-line block ×3, first 2 shown]
	v_lshlrev_b64 v[33:34], 1, v[54:55]
	v_add_nc_u32_e32 v54, s33, v25
	v_add_co_u32 v25, vcc_lo, s14, v37
	v_add_co_ci_u32_e32 v26, vcc_lo, s15, v38, vcc_lo
	s_delay_alu instid0(VALU_DEP_3) | instskip(SKIP_3) | instid1(VALU_DEP_3)
	v_lshlrev_b64 v[37:38], 1, v[54:55]
	v_add_nc_u32_e32 v54, s33, v27
	v_add_co_u32 v33, vcc_lo, s14, v33
	v_add_co_ci_u32_e32 v34, vcc_lo, s15, v34, vcc_lo
	v_lshlrev_b64 v[39:40], 1, v[54:55]
	v_add_co_u32 v37, vcc_lo, s14, v37
	v_add_co_ci_u32_e32 v38, vcc_lo, s15, v38, vcc_lo
	s_delay_alu instid0(VALU_DEP_3) | instskip(NEXT) | instid1(VALU_DEP_4)
	v_add_co_u32 v39, vcc_lo, s14, v39
	v_add_co_ci_u32_e32 v40, vcc_lo, s15, v40, vcc_lo
	s_clause 0x7
	global_load_u16 v30, v[28:29], off
	global_load_u16 v29, v[35:36], off
	;; [unrolled: 1-line block ×8, first 2 shown]
.LBB67_35:                              ;   in Loop: Header=BB67_12 Depth=1
	v_cmp_ne_u32_e32 vcc_lo, 0, v1
	s_and_saveexec_b32 s2, vcc_lo
	s_cbranch_execnz .LBB67_49
; %bb.36:                               ;   in Loop: Header=BB67_12 Depth=1
	s_or_b32 exec_lo, exec_lo, s2
	v_cmp_ne_u32_e64 s1, 0, v2
	s_delay_alu instid0(VALU_DEP_1)
	s_and_saveexec_b32 s3, s1
	s_cbranch_execnz .LBB67_50
.LBB67_37:                              ;   in Loop: Header=BB67_12 Depth=1
	s_or_b32 exec_lo, exec_lo, s3
	v_cmp_ne_u32_e64 s2, 0, v3
	s_delay_alu instid0(VALU_DEP_1)
	s_and_saveexec_b32 s4, s2
	s_cbranch_execnz .LBB67_51
.LBB67_38:                              ;   in Loop: Header=BB67_12 Depth=1
	s_or_b32 exec_lo, exec_lo, s4
	v_cmp_ne_u32_e64 s3, 0, v4
	s_delay_alu instid0(VALU_DEP_1)
	s_and_saveexec_b32 s37, s3
	s_cbranch_execnz .LBB67_52
.LBB67_39:                              ;   in Loop: Header=BB67_12 Depth=1
	s_or_b32 exec_lo, exec_lo, s37
	v_add_nc_u32_e32 v54, s19, v53
	s_and_saveexec_b32 s4, vcc_lo
	s_cbranch_execnz .LBB67_53
.LBB67_40:                              ;   in Loop: Header=BB67_12 Depth=1
	s_or_b32 exec_lo, exec_lo, s4
	s_and_saveexec_b32 s4, s1
	s_cbranch_execnz .LBB67_54
.LBB67_41:                              ;   in Loop: Header=BB67_12 Depth=1
	s_or_b32 exec_lo, exec_lo, s4
	s_and_saveexec_b32 s1, s2
	s_cbranch_execnz .LBB67_55
.LBB67_42:                              ;   in Loop: Header=BB67_12 Depth=1
	s_or_b32 exec_lo, exec_lo, s1
	s_delay_alu instid0(SALU_CYCLE_1)
	s_and_b32 exec_lo, exec_lo, s3
	s_cbranch_execz .LBB67_44
.LBB67_43:                              ;   in Loop: Header=BB67_12 Depth=1
	s_waitcnt lgkmcnt(0)
	v_dual_add_f32 v5, v8, v9 :: v_dual_add_nc_u32 v54, 3, v54
	s_waitcnt vmcnt(0)
	v_cvt_f32_f16_e32 v6, v23
	s_delay_alu instid0(VALU_DEP_1) | instskip(NEXT) | instid1(VALU_DEP_3)
	v_add_f32_e32 v7, v5, v6
	v_lshlrev_b64 v[5:6], 1, v[54:55]
	s_delay_alu instid0(VALU_DEP_2) | instskip(NEXT) | instid1(VALU_DEP_2)
	v_cvt_f16_f32_e32 v7, v7
	v_add_co_u32 v5, vcc_lo, s6, v5
	s_delay_alu instid0(VALU_DEP_3)
	v_add_co_ci_u32_e32 v6, vcc_lo, s7, v6, vcc_lo
	global_store_b16 v[5:6], v7, off
.LBB67_44:                              ;   in Loop: Header=BB67_12 Depth=1
	s_or_b32 exec_lo, exec_lo, s5
	v_add_nc_u32_e32 v53, s29, v53
	s_delay_alu instid0(VALU_DEP_1) | instskip(SKIP_1) | instid1(VALU_DEP_2)
	v_add_nc_u32_e32 v5, 4, v53
	v_cmp_gt_u32_e32 vcc_lo, s19, v53
	v_cmp_le_u32_e64 s1, s19, v5
	s_delay_alu instid0(VALU_DEP_1) | instskip(NEXT) | instid1(SALU_CYCLE_1)
	s_and_b32 s1, vcc_lo, s1
	s_and_saveexec_b32 s37, s1
	s_cbranch_execz .LBB67_10
; %bb.45:                               ;   in Loop: Header=BB67_12 Depth=1
	s_mov_b32 s38, exec_lo
	v_cmpx_ne_u32_e64 s9, v53
	s_cbranch_execz .LBB67_9
; %bb.46:                               ;   in Loop: Header=BB67_12 Depth=1
	v_subrev_nc_u32_e32 v5, s9, v53
	s_mov_b32 s39, 0
	s_mov_b64 s[4:5], 0
	s_delay_alu instid0(VALU_DEP_1)
	v_cmp_lt_u32_e32 vcc_lo, 1, v5
	v_cndmask_b32_e32 v5, 1, v5, vcc_lo
	.p2align	6
.LBB67_47:                              ;   Parent Loop BB67_12 Depth=1
                                        ; =>  This Inner Loop Header: Depth=2
	s_cmp_lg_u32 s4, 3
	s_cselect_b32 vcc_lo, -1, 0
	s_cmp_lg_u32 s4, 2
	v_cndmask_b32_e32 v4, 0, v4, vcc_lo
	s_cselect_b32 s1, -1, 0
	s_cmp_lg_u32 s4, 1
	v_cndmask_b32_e64 v3, 0, v3, s1
	s_cselect_b32 s2, -1, 0
	s_cmp_lg_u32 s4, 0
	v_cndmask_b32_e64 v2, 0, v2, s2
	s_cselect_b32 s3, -1, 0
	s_add_u32 s4, s4, 1
	v_cndmask_b32_e64 v1, 0, v1, s3
	v_cmp_eq_u32_e32 vcc_lo, s4, v5
	s_addc_u32 s5, s5, 0
	s_or_b32 s39, vcc_lo, s39
	s_delay_alu instid0(SALU_CYCLE_1)
	s_and_not1_b32 exec_lo, exec_lo, s39
	s_cbranch_execnz .LBB67_47
; %bb.48:                               ;   in Loop: Header=BB67_12 Depth=1
	s_or_b32 exec_lo, exec_lo, s39
	s_branch .LBB67_9
.LBB67_49:                              ;   in Loop: Header=BB67_12 Depth=1
	s_waitcnt lgkmcnt(6)
	v_dual_add_f32 v21, v21, v22 :: v_dual_mov_b32 v54, v55
	s_waitcnt vmcnt(7)
	v_cvt_f32_f16_e32 v22, v30
	s_delay_alu instid0(VALU_DEP_1) | instskip(NEXT) | instid1(VALU_DEP_3)
	v_add_f32_e32 v30, v21, v22
	v_lshlrev_b64 v[21:22], 1, v[53:54]
	s_delay_alu instid0(VALU_DEP_2) | instskip(NEXT) | instid1(VALU_DEP_2)
	v_cvt_f16_f32_e32 v30, v30
	v_add_co_u32 v21, s1, s6, v21
	s_delay_alu instid0(VALU_DEP_1) | instskip(SKIP_3) | instid1(VALU_DEP_1)
	v_add_co_ci_u32_e64 v22, s1, s7, v22, s1
	global_store_b16 v[21:22], v30, off
	s_or_b32 exec_lo, exec_lo, s2
	v_cmp_ne_u32_e64 s1, 0, v2
	s_and_saveexec_b32 s3, s1
	s_cbranch_execz .LBB67_37
.LBB67_50:                              ;   in Loop: Header=BB67_12 Depth=1
	s_waitcnt lgkmcnt(7)
	v_add_f32_e32 v18, v18, v20
	s_waitcnt vmcnt(6)
	v_cvt_f32_f16_e32 v20, v29
	v_mov_b32_e32 v54, v55
	s_delay_alu instid0(VALU_DEP_2) | instskip(NEXT) | instid1(VALU_DEP_2)
	v_add_f32_e32 v18, v18, v20
	v_lshlrev_b64 v[20:21], 1, v[53:54]
	s_delay_alu instid0(VALU_DEP_2) | instskip(NEXT) | instid1(VALU_DEP_2)
	v_cvt_f16_f32_e32 v18, v18
	v_add_co_u32 v20, s2, s31, v20
	s_delay_alu instid0(VALU_DEP_1) | instskip(SKIP_3) | instid1(VALU_DEP_1)
	v_add_co_ci_u32_e64 v21, s2, s34, v21, s2
	global_store_b16 v[20:21], v18, off
	s_or_b32 exec_lo, exec_lo, s3
	v_cmp_ne_u32_e64 s2, 0, v3
	s_and_saveexec_b32 s4, s2
	s_cbranch_execz .LBB67_38
.LBB67_51:                              ;   in Loop: Header=BB67_12 Depth=1
	s_waitcnt lgkmcnt(5)
	v_add_f32_e32 v16, v7, v16
	s_waitcnt vmcnt(5)
	v_cvt_f32_f16_e32 v18, v28
	s_delay_alu instid0(VALU_DEP_1) | instskip(NEXT) | instid1(VALU_DEP_1)
	v_dual_mov_b32 v7, v55 :: v_dual_add_f32 v16, v16, v18
	v_lshlrev_b64 v[6:7], 1, v[6:7]
	s_delay_alu instid0(VALU_DEP_2) | instskip(NEXT) | instid1(VALU_DEP_2)
	v_cvt_f16_f32_e32 v16, v16
	v_add_co_u32 v6, s3, s6, v6
	s_delay_alu instid0(VALU_DEP_1) | instskip(SKIP_3) | instid1(VALU_DEP_1)
	v_add_co_ci_u32_e64 v7, s3, s7, v7, s3
	global_store_b16 v[6:7], v16, off
	s_or_b32 exec_lo, exec_lo, s4
	v_cmp_ne_u32_e64 s3, 0, v4
	s_and_saveexec_b32 s37, s3
	s_cbranch_execz .LBB67_39
.LBB67_52:                              ;   in Loop: Header=BB67_12 Depth=1
	s_waitcnt lgkmcnt(4)
	v_dual_add_f32 v7, v17, v19 :: v_dual_mov_b32 v6, v55
	s_waitcnt vmcnt(4)
	v_cvt_f32_f16_e32 v16, v27
	s_delay_alu instid0(VALU_DEP_2) | instskip(NEXT) | instid1(VALU_DEP_2)
	v_lshlrev_b64 v[5:6], 1, v[5:6]
	v_add_f32_e32 v7, v7, v16
	s_delay_alu instid0(VALU_DEP_1) | instskip(NEXT) | instid1(VALU_DEP_3)
	v_cvt_f16_f32_e32 v7, v7
	v_add_co_u32 v5, s4, s6, v5
	s_delay_alu instid0(VALU_DEP_1)
	v_add_co_ci_u32_e64 v6, s4, s7, v6, s4
	global_store_b16 v[5:6], v7, off
	s_or_b32 exec_lo, exec_lo, s37
	v_add_nc_u32_e32 v54, s19, v53
	s_and_saveexec_b32 s4, vcc_lo
	s_cbranch_execz .LBB67_40
.LBB67_53:                              ;   in Loop: Header=BB67_12 Depth=1
	s_waitcnt lgkmcnt(3)
	v_add_f32_e32 v5, v14, v15
	s_waitcnt vmcnt(3)
	v_cvt_f32_f16_e32 v6, v26
	s_delay_alu instid0(VALU_DEP_1) | instskip(SKIP_1) | instid1(VALU_DEP_2)
	v_add_f32_e32 v7, v5, v6
	v_lshlrev_b64 v[5:6], 1, v[54:55]
	v_cvt_f16_f32_e32 v7, v7
	s_delay_alu instid0(VALU_DEP_2) | instskip(NEXT) | instid1(VALU_DEP_3)
	v_add_co_u32 v5, vcc_lo, s6, v5
	v_add_co_ci_u32_e32 v6, vcc_lo, s7, v6, vcc_lo
	global_store_b16 v[5:6], v7, off
	s_or_b32 exec_lo, exec_lo, s4
	s_and_saveexec_b32 s4, s1
	s_cbranch_execz .LBB67_41
.LBB67_54:                              ;   in Loop: Header=BB67_12 Depth=1
	s_waitcnt lgkmcnt(2)
	v_dual_add_f32 v7, v12, v13 :: v_dual_mov_b32 v6, v55
	v_add_nc_u32_e32 v5, 1, v54
	s_waitcnt vmcnt(2)
	v_cvt_f32_f16_e32 v12, v25
	s_delay_alu instid0(VALU_DEP_2) | instskip(NEXT) | instid1(VALU_DEP_2)
	v_lshlrev_b64 v[5:6], 1, v[5:6]
	v_add_f32_e32 v7, v7, v12
	s_delay_alu instid0(VALU_DEP_1) | instskip(NEXT) | instid1(VALU_DEP_3)
	v_cvt_f16_f32_e32 v7, v7
	v_add_co_u32 v5, vcc_lo, s6, v5
	s_delay_alu instid0(VALU_DEP_4)
	v_add_co_ci_u32_e32 v6, vcc_lo, s7, v6, vcc_lo
	global_store_b16 v[5:6], v7, off
	s_or_b32 exec_lo, exec_lo, s4
	s_and_saveexec_b32 s1, s2
	s_cbranch_execz .LBB67_42
.LBB67_55:                              ;   in Loop: Header=BB67_12 Depth=1
	s_waitcnt lgkmcnt(1)
	v_dual_add_f32 v7, v10, v11 :: v_dual_mov_b32 v6, v55
	v_add_nc_u32_e32 v5, 2, v54
	s_waitcnt vmcnt(1)
	v_cvt_f32_f16_e32 v10, v24
	s_delay_alu instid0(VALU_DEP_2) | instskip(NEXT) | instid1(VALU_DEP_2)
	v_lshlrev_b64 v[5:6], 1, v[5:6]
	v_add_f32_e32 v7, v7, v10
	s_delay_alu instid0(VALU_DEP_1) | instskip(NEXT) | instid1(VALU_DEP_3)
	v_cvt_f16_f32_e32 v7, v7
	v_add_co_u32 v5, vcc_lo, s6, v5
	s_delay_alu instid0(VALU_DEP_4) | instskip(SKIP_2) | instid1(SALU_CYCLE_1)
	v_add_co_ci_u32_e32 v6, vcc_lo, s7, v6, vcc_lo
	global_store_b16 v[5:6], v7, off
	s_or_b32 exec_lo, exec_lo, s1
	s_and_b32 exec_lo, exec_lo, s3
	s_cbranch_execnz .LBB67_43
	s_branch .LBB67_44
.LBB67_56:
	s_nop 0
	s_sendmsg sendmsg(MSG_DEALLOC_VGPRS)
	s_endpgm
	.section	.rodata,"a",@progbits
	.p2align	6, 0x0
	.amdhsa_kernel _Z16wvSplitK_hf_big_I6__halfLi64ELi4ELi16ELi8ELi2ELi2EEviiiiiiPKT_S3_S3_PS1_ii
		.amdhsa_group_segment_fixed_size 65536
		.amdhsa_private_segment_fixed_size 0
		.amdhsa_kernarg_size 64
		.amdhsa_user_sgpr_count 15
		.amdhsa_user_sgpr_dispatch_ptr 0
		.amdhsa_user_sgpr_queue_ptr 0
		.amdhsa_user_sgpr_kernarg_segment_ptr 1
		.amdhsa_user_sgpr_dispatch_id 0
		.amdhsa_user_sgpr_private_segment_size 0
		.amdhsa_wavefront_size32 1
		.amdhsa_uses_dynamic_stack 0
		.amdhsa_enable_private_segment 0
		.amdhsa_system_sgpr_workgroup_id_x 1
		.amdhsa_system_sgpr_workgroup_id_y 0
		.amdhsa_system_sgpr_workgroup_id_z 0
		.amdhsa_system_sgpr_workgroup_info 0
		.amdhsa_system_vgpr_workitem_id 1
		.amdhsa_next_free_vgpr 79
		.amdhsa_next_free_sgpr 40
		.amdhsa_reserve_vcc 1
		.amdhsa_float_round_mode_32 0
		.amdhsa_float_round_mode_16_64 0
		.amdhsa_float_denorm_mode_32 3
		.amdhsa_float_denorm_mode_16_64 3
		.amdhsa_dx10_clamp 1
		.amdhsa_ieee_mode 1
		.amdhsa_fp16_overflow 0
		.amdhsa_workgroup_processor_mode 1
		.amdhsa_memory_ordered 1
		.amdhsa_forward_progress 0
		.amdhsa_shared_vgpr_count 0
		.amdhsa_exception_fp_ieee_invalid_op 0
		.amdhsa_exception_fp_denorm_src 0
		.amdhsa_exception_fp_ieee_div_zero 0
		.amdhsa_exception_fp_ieee_overflow 0
		.amdhsa_exception_fp_ieee_underflow 0
		.amdhsa_exception_fp_ieee_inexact 0
		.amdhsa_exception_int_div_zero 0
	.end_amdhsa_kernel
	.section	.text._Z16wvSplitK_hf_big_I6__halfLi64ELi4ELi16ELi8ELi2ELi2EEviiiiiiPKT_S3_S3_PS1_ii,"axG",@progbits,_Z16wvSplitK_hf_big_I6__halfLi64ELi4ELi16ELi8ELi2ELi2EEviiiiiiPKT_S3_S3_PS1_ii,comdat
.Lfunc_end67:
	.size	_Z16wvSplitK_hf_big_I6__halfLi64ELi4ELi16ELi8ELi2ELi2EEviiiiiiPKT_S3_S3_PS1_ii, .Lfunc_end67-_Z16wvSplitK_hf_big_I6__halfLi64ELi4ELi16ELi8ELi2ELi2EEviiiiiiPKT_S3_S3_PS1_ii
                                        ; -- End function
	.section	.AMDGPU.csdata,"",@progbits
; Kernel info:
; codeLenInByte = 5340
; NumSgprs: 42
; NumVgprs: 79
; ScratchSize: 0
; MemoryBound: 0
; FloatMode: 240
; IeeeMode: 1
; LDSByteSize: 65536 bytes/workgroup (compile time only)
; SGPRBlocks: 5
; VGPRBlocks: 9
; NumSGPRsForWavesPerEU: 42
; NumVGPRsForWavesPerEU: 79
; Occupancy: 16
; WaveLimiterHint : 0
; COMPUTE_PGM_RSRC2:SCRATCH_EN: 0
; COMPUTE_PGM_RSRC2:USER_SGPR: 15
; COMPUTE_PGM_RSRC2:TRAP_HANDLER: 0
; COMPUTE_PGM_RSRC2:TGID_X_EN: 1
; COMPUTE_PGM_RSRC2:TGID_Y_EN: 0
; COMPUTE_PGM_RSRC2:TGID_Z_EN: 0
; COMPUTE_PGM_RSRC2:TIDIG_COMP_CNT: 1
	.section	.text._Z16wvSplitK_hf_sml_I6__halfLi32ELi1ELi16ELi8ELi4ELi3EEviiiiiiPKT_S3_S3_PS1_ii,"axG",@progbits,_Z16wvSplitK_hf_sml_I6__halfLi32ELi1ELi16ELi8ELi4ELi3EEviiiiiiPKT_S3_S3_PS1_ii,comdat
	.protected	_Z16wvSplitK_hf_sml_I6__halfLi32ELi1ELi16ELi8ELi4ELi3EEviiiiiiPKT_S3_S3_PS1_ii ; -- Begin function _Z16wvSplitK_hf_sml_I6__halfLi32ELi1ELi16ELi8ELi4ELi3EEviiiiiiPKT_S3_S3_PS1_ii
	.globl	_Z16wvSplitK_hf_sml_I6__halfLi32ELi1ELi16ELi8ELi4ELi3EEviiiiiiPKT_S3_S3_PS1_ii
	.p2align	8
	.type	_Z16wvSplitK_hf_sml_I6__halfLi32ELi1ELi16ELi8ELi4ELi3EEviiiiiiPKT_S3_S3_PS1_ii,@function
_Z16wvSplitK_hf_sml_I6__halfLi32ELi1ELi16ELi8ELi4ELi3EEviiiiiiPKT_S3_S3_PS1_ii: ; @_Z16wvSplitK_hf_sml_I6__halfLi32ELi1ELi16ELi8ELi4ELi3EEviiiiiiPKT_S3_S3_PS1_ii
; %bb.0:
	s_load_b128 s[4:7], s[0:1], 0x0
	v_and_b32_e32 v1, 0x3ff, v0
	v_bfe_u32 v0, v0, 10, 10
	s_mov_b32 s8, exec_lo
	s_delay_alu instid0(VALU_DEP_2) | instskip(NEXT) | instid1(VALU_DEP_1)
	v_lshlrev_b32_e32 v66, 3, v1
	v_lshl_add_u32 v3, v0, 8, v66
	s_waitcnt lgkmcnt(0)
	s_mul_i32 s2, s6, 3
	s_delay_alu instid0(SALU_CYCLE_1)
	s_min_u32 s9, s2, 0x8000
	s_delay_alu instid0(VALU_DEP_1) | instid1(SALU_CYCLE_1)
	v_cmpx_gt_u32_e64 s9, v3
	s_cbranch_execz .LBB68_9
; %bb.1:
	s_load_b64 s[2:3], s[0:1], 0x20
	v_lshlrev_b32_e32 v2, 1, v3
	v_add_nc_u32_e32 v8, 0x1000, v3
	s_mov_b32 s10, exec_lo
	s_waitcnt lgkmcnt(0)
	global_load_b128 v[4:7], v2, s[2:3]
	s_waitcnt vmcnt(0)
	ds_store_b128 v2, v[4:7]
	v_cmpx_gt_u32_e64 s9, v8
	s_xor_b32 s10, exec_lo, s10
	s_cbranch_execz .LBB68_9
; %bb.2:
	v_add_co_u32 v4, s2, s2, v2
	s_delay_alu instid0(VALU_DEP_1) | instskip(SKIP_1) | instid1(VALU_DEP_3)
	v_add_co_ci_u32_e64 v5, null, s3, 0, s2
	v_add_nc_u32_e32 v10, 0x2000, v3
	v_add_co_u32 v6, vcc_lo, 0x2000, v4
	s_delay_alu instid0(VALU_DEP_3)
	v_add_co_ci_u32_e32 v7, vcc_lo, 0, v5, vcc_lo
	s_mov_b32 s2, exec_lo
	global_load_b128 v[6:9], v[6:7], off
	s_waitcnt vmcnt(0)
	ds_store_b128 v2, v[6:9] offset:8192
	v_cmpx_gt_u32_e64 s9, v10
	s_xor_b32 s2, exec_lo, s2
	s_cbranch_execz .LBB68_9
; %bb.3:
	v_add_co_u32 v6, vcc_lo, 0x4000, v4
	v_add_co_ci_u32_e32 v7, vcc_lo, 0, v5, vcc_lo
	v_add_nc_u32_e32 v10, 0x3000, v3
	s_mov_b32 s2, exec_lo
	global_load_b128 v[6:9], v[6:7], off
	s_waitcnt vmcnt(0)
	ds_store_b128 v2, v[6:9] offset:16384
	v_cmpx_gt_u32_e64 s9, v10
	s_xor_b32 s2, exec_lo, s2
	s_cbranch_execz .LBB68_9
; %bb.4:
	v_add_co_u32 v6, vcc_lo, 0x6000, v4
	v_add_co_ci_u32_e32 v7, vcc_lo, 0, v5, vcc_lo
	v_add_nc_u32_e32 v10, 0x4000, v3
	;; [unrolled: 11-line block ×5, first 2 shown]
	s_mov_b32 s2, exec_lo
	global_load_b128 v[6:9], v[6:7], off
	s_waitcnt vmcnt(0)
	ds_store_b128 v2, v[6:9] offset:49152
	v_cmpx_gt_u32_e64 s9, v3
	s_xor_b32 s2, exec_lo, s2
	s_cbranch_execz .LBB68_9
; %bb.8:
	v_add_co_u32 v3, vcc_lo, 0xe000, v4
	v_add_co_ci_u32_e32 v4, vcc_lo, 0, v5, vcc_lo
	global_load_b128 v[3:6], v[3:4], off
	s_waitcnt vmcnt(0)
	ds_store_b128 v2, v[3:6] offset:57344
.LBB68_9:
	s_or_b32 exec_lo, exec_lo, s8
	s_load_b64 s[16:17], s[0:1], 0x38
	s_waitcnt lgkmcnt(0)
	s_barrier
	buffer_gl0_inv
	s_mov_b32 s2, exec_lo
	v_cmpx_gt_u32_e64 s16, v0
	s_cbranch_execz .LBB68_30
; %bb.10:
	s_load_b64 s[2:3], s[0:1], 0x10
	v_mad_u64_u32 v[48:49], null, s15, s16, v[0:1]
	s_delay_alu instid0(VALU_DEP_1)
	v_cmp_gt_u32_e32 vcc_lo, s7, v48
	s_and_b32 exec_lo, exec_lo, vcc_lo
	s_cbranch_execz .LBB68_30
; %bb.11:
	s_clause 0x1
	s_load_b128 s[8:11], s[0:1], 0x28
	s_load_b64 s[12:13], s[0:1], 0x18
	s_cmp_lg_u32 s4, 0
	s_waitcnt lgkmcnt(0)
	v_cvt_f32_u32_e32 v2, s2
	s_cselect_b32 s1, -1, 0
	s_add_i32 s14, s4, -8
	s_add_i32 s15, s7, -1
	s_mul_i32 s16, s17, s16
	v_rcp_iflag_f32_e32 v2, v2
	v_cmp_eq_u32_e64 s0, 31, v1
	v_mbcnt_lo_u32_b32 v68, -1, 0
	v_lshlrev_b32_e32 v67, 4, v1
	s_waitcnt_depctr 0xfff
	v_dual_mov_b32 v51, 0 :: v_dual_mul_f32 v2, 0x4f7ffffe, v2
	s_cmp_lg_u64 s[8:9], 0
	s_cselect_b32 s18, -1, 0
	s_abs_i32 s19, s3
	s_sub_i32 s22, 0, s2
	v_cvt_f32_u32_e32 v0, s19
	s_sub_i32 s21, 0, s19
	s_sub_i32 s23, 1, s19
	s_mov_b32 s3, 0
	s_delay_alu instid0(VALU_DEP_1) | instskip(SKIP_2) | instid1(VALU_DEP_1)
	v_rcp_iflag_f32_e32 v0, v0
	s_waitcnt_depctr 0xfff
	v_mul_f32_e32 v0, 0x4f7ffffe, v0
	v_cvt_u32_f32_e32 v0, v0
	s_delay_alu instid0(VALU_DEP_1) | instskip(SKIP_1) | instid1(VALU_DEP_2)
	v_readfirstlane_b32 s20, v0
	v_cvt_u32_f32_e32 v0, v2
	s_mul_i32 s21, s21, s20
	s_delay_alu instid0(VALU_DEP_1) | instskip(SKIP_1) | instid1(SALU_CYCLE_1)
	v_mul_lo_u32 v2, s22, v0
	s_mul_hi_u32 s21, s20, s21
	s_add_i32 s20, s20, s21
	s_cmp_lt_u32 s19, 2
	s_cselect_b32 s21, s23, 1
	s_delay_alu instid0(SALU_CYCLE_1) | instskip(SKIP_1) | instid1(VALU_DEP_1)
	s_sub_i32 s17, s21, s19
	s_cmp_ge_u32 s21, s19
	v_mul_hi_u32 v2, v0, v2
	s_cselect_b32 s17, s17, s21
	s_lshr_b32 s20, s20, 31
	s_mul_i32 s17, s17, s2
	s_mul_i32 s20, s20, s19
	s_delay_alu instid0(SALU_CYCLE_1) | instskip(NEXT) | instid1(SALU_CYCLE_1)
	s_sub_i32 s20, 2, s20
	s_sub_i32 s21, s20, s19
	s_cmp_ge_u32 s20, s19
	v_add_nc_u32_e32 v69, v0, v2
	s_cselect_b32 s20, s21, s20
	s_delay_alu instid0(SALU_CYCLE_1)
	s_sub_i32 s21, s20, s19
	s_cmp_ge_u32 s20, s19
	s_cselect_b32 s20, s21, s20
	s_lshl_b32 s19, s6, 2
	s_mul_i32 s20, s20, s2
	s_lshl_b32 s6, s6, 1
	s_branch .LBB68_14
.LBB68_12:                              ;   in Loop: Header=BB68_14 Depth=1
	s_waitcnt lgkmcnt(1)
	v_add_f32_e32 v2, v2, v3
	s_waitcnt vmcnt(1)
	v_cvt_f32_f16_e32 v3, v7
	v_add_f32_e32 v4, v4, v5
	v_cvt_f32_f16_e32 v5, v8
	s_delay_alu instid0(VALU_DEP_3) | instskip(NEXT) | instid1(VALU_DEP_2)
	v_dual_add_f32 v7, v2, v3 :: v_dual_add_nc_u32 v50, s7, v48
	v_add_f32_e32 v4, v4, v5
	s_waitcnt lgkmcnt(0)
	v_add_f32_e32 v5, v0, v1
	v_lshlrev_b64 v[0:1], 1, v[48:49]
	v_lshlrev_b64 v[2:3], 1, v[50:51]
	v_cvt_f16_f32_e32 v8, v4
	s_waitcnt vmcnt(0)
	v_cvt_f32_f16_e32 v4, v6
	v_add_nc_u32_e32 v50, s7, v50
	v_add_co_u32 v0, vcc_lo, s10, v0
	v_cvt_f16_f32_e32 v6, v7
	s_delay_alu instid0(VALU_DEP_4) | instskip(NEXT) | instid1(VALU_DEP_4)
	v_add_f32_e32 v7, v5, v4
	v_lshlrev_b64 v[4:5], 1, v[50:51]
	v_add_co_ci_u32_e32 v1, vcc_lo, s11, v1, vcc_lo
	v_add_co_u32 v2, vcc_lo, s10, v2
	v_add_co_ci_u32_e32 v3, vcc_lo, s11, v3, vcc_lo
	s_delay_alu instid0(VALU_DEP_4)
	v_add_co_u32 v4, vcc_lo, s10, v4
	v_cvt_f16_f32_e32 v7, v7
	v_add_co_ci_u32_e32 v5, vcc_lo, s11, v5, vcc_lo
	s_clause 0x2
	global_store_b16 v[0:1], v8, off
	global_store_b16 v[2:3], v6, off
	;; [unrolled: 1-line block ×3, first 2 shown]
.LBB68_13:                              ;   in Loop: Header=BB68_14 Depth=1
	s_or_b32 exec_lo, exec_lo, s21
	v_add_nc_u32_e32 v48, s16, v48
	s_delay_alu instid0(VALU_DEP_1) | instskip(SKIP_1) | instid1(SALU_CYCLE_1)
	v_cmp_le_u32_e32 vcc_lo, s7, v48
	s_or_b32 s3, vcc_lo, s3
	s_and_not1_b32 exec_lo, exec_lo, s3
	s_cbranch_execz .LBB68_30
.LBB68_14:                              ; =>This Loop Header: Depth=1
                                        ;     Child Loop BB68_20 Depth 2
	v_mov_b32_e32 v72, v51
	v_mov_b32_e32 v71, v51
	v_mov_b32_e32 v70, v51
	s_and_not1_b32 vcc_lo, exec_lo, s1
	s_cbranch_vccnz .LBB68_25
; %bb.15:                               ;   in Loop: Header=BB68_14 Depth=1
	v_min_u32_e32 v0, s15, v48
	v_dual_mov_b32 v70, 0 :: v_dual_mov_b32 v73, v67
	v_dual_mov_b32 v71, 0 :: v_dual_mov_b32 v72, 0
	s_delay_alu instid0(VALU_DEP_3) | instskip(SKIP_2) | instid1(VALU_DEP_1)
	v_mul_lo_u32 v50, v0, s5
	s_mov_b32 s21, 0
	s_waitcnt lgkmcnt(0)
	v_lshlrev_b64 v[0:1], 1, v[50:51]
	s_delay_alu instid0(VALU_DEP_1) | instskip(NEXT) | instid1(VALU_DEP_2)
	v_add_co_u32 v74, vcc_lo, s12, v0
	v_add_co_ci_u32_e32 v75, vcc_lo, s13, v1, vcc_lo
	s_branch .LBB68_20
.LBB68_16:                              ;   in Loop: Header=BB68_20 Depth=2
	s_or_b32 exec_lo, exec_lo, s25
.LBB68_17:                              ;   in Loop: Header=BB68_20 Depth=2
	s_delay_alu instid0(SALU_CYCLE_1)
	s_or_b32 exec_lo, exec_lo, s24
.LBB68_18:                              ;   in Loop: Header=BB68_20 Depth=2
	s_delay_alu instid0(SALU_CYCLE_1)
	s_or_b32 exec_lo, exec_lo, s23
.LBB68_19:                              ;   in Loop: Header=BB68_20 Depth=2
	s_delay_alu instid0(SALU_CYCLE_1)
	s_or_b32 exec_lo, exec_lo, s22
	s_waitcnt vmcnt(3) lgkmcnt(1)
	;;#ASMSTART
	v_dot2_f32_f16 v72, v24, v12, v72
	;;#ASMEND
	;;#ASMSTART
	v_dot2_f32_f16 v71, v28, v12, v71
	;;#ASMEND
	;;#ASMSTART
	v_dot2_f32_f16 v70, v62, v12, v70
	;;#ASMEND
	;;#ASMSTART
	v_dot2_f32_f16 v72, v25, v13, v72
	;;#ASMEND
	;;#ASMSTART
	v_dot2_f32_f16 v71, v29, v13, v71
	;;#ASMEND
	;;#ASMSTART
	v_dot2_f32_f16 v70, v63, v13, v70
	;;#ASMEND
	;;#ASMSTART
	v_dot2_f32_f16 v72, v26, v14, v72
	;;#ASMEND
	;;#ASMSTART
	v_dot2_f32_f16 v71, v30, v14, v71
	;;#ASMEND
	s_waitcnt lgkmcnt(0)
	;;#ASMSTART
	v_dot2_f32_f16 v70, v64, v14, v70
	;;#ASMEND
	;;#ASMSTART
	v_dot2_f32_f16 v72, v27, v15, v72
	;;#ASMEND
	;; [unrolled: 3-line block ×4, first 2 shown]
	s_waitcnt vmcnt(2)
	;;#ASMSTART
	v_dot2_f32_f16 v72, v40, v8, v72
	;;#ASMEND
	;;#ASMSTART
	v_dot2_f32_f16 v71, v32, v8, v71
	;;#ASMEND
	;; [unrolled: 3-line block ×12, first 2 shown]
	s_waitcnt vmcnt(1)
	;;#ASMSTART
	v_dot2_f32_f16 v72, v44, v4, v72
	;;#ASMEND
	;;#ASMSTART
	v_dot2_f32_f16 v71, v20, v4, v71
	;;#ASMEND
	;; [unrolled: 3-line block ×9, first 2 shown]
	v_add_nc_u32_e32 v73, 0x800, v73
	;;#ASMSTART
	v_dot2_f32_f16 v72, v47, v7, v72
	;;#ASMEND
	;;#ASMSTART
	v_dot2_f32_f16 v71, v23, v7, v71
	;;#ASMEND
	;; [unrolled: 3-line block ×3, first 2 shown]
	s_addk_i32 s21, 0x400
	s_waitcnt vmcnt(0)
	;;#ASMSTART
	v_dot2_f32_f16 v72, v36, v0, v72
	;;#ASMEND
	;;#ASMSTART
	v_dot2_f32_f16 v71, v16, v0, v71
	;;#ASMEND
	;; [unrolled: 3-line block ×6, first 2 shown]
	s_cmp_ge_u32 s21, s4
	;;#ASMSTART
	v_dot2_f32_f16 v72, v38, v2, v72
	;;#ASMEND
	;;#ASMSTART
	v_dot2_f32_f16 v71, v18, v2, v71
	;;#ASMEND
	;; [unrolled: 3-line block ×6, first 2 shown]
	s_cbranch_scc1 .LBB68_25
.LBB68_20:                              ;   Parent Loop BB68_14 Depth=1
                                        ; =>  This Inner Loop Header: Depth=2
	v_dual_mov_b32 v25, 0 :: v_dual_add_nc_u32 v18, s21, v66
	v_dual_mov_b32 v40, 0 :: v_dual_mov_b32 v43, 0
	v_dual_mov_b32 v42, 0 :: v_dual_mov_b32 v45, 0
	s_delay_alu instid0(VALU_DEP_3) | instskip(SKIP_2) | instid1(VALU_DEP_3)
	v_min_u32_e32 v50, s14, v18
	v_dual_mov_b32 v27, 0 :: v_dual_add_nc_u32 v80, 0x100, v18
	v_dual_mov_b32 v26, 0 :: v_dual_add_nc_u32 v77, 0x200, v18
	v_lshlrev_b64 v[0:1], 1, v[50:51]
	s_delay_alu instid0(VALU_DEP_3) | instskip(SKIP_2) | instid1(VALU_DEP_3)
	v_min_u32_e32 v50, s14, v80
	v_dual_mov_b32 v41, 0 :: v_dual_add_nc_u32 v76, 0x300, v18
	v_dual_mov_b32 v44, 0 :: v_dual_mov_b32 v47, 0
	v_lshlrev_b64 v[2:3], 1, v[50:51]
	v_min_u32_e32 v50, s14, v77
	v_add_co_u32 v0, vcc_lo, v74, v0
	v_add_co_ci_u32_e32 v1, vcc_lo, v75, v1, vcc_lo
	s_delay_alu instid0(VALU_DEP_3) | instskip(SKIP_3) | instid1(VALU_DEP_3)
	v_lshlrev_b64 v[4:5], 1, v[50:51]
	v_min_u32_e32 v50, s14, v76
	v_add_co_u32 v2, vcc_lo, v74, v2
	v_add_co_ci_u32_e32 v3, vcc_lo, v75, v3, vcc_lo
	v_lshlrev_b64 v[6:7], 1, v[50:51]
	v_add_co_u32 v4, vcc_lo, v74, v4
	v_add_co_ci_u32_e32 v5, vcc_lo, v75, v5, vcc_lo
	v_dual_mov_b32 v46, 0 :: v_dual_mov_b32 v37, 0
	s_delay_alu instid0(VALU_DEP_4)
	v_add_co_u32 v16, vcc_lo, v74, v6
	v_add_co_ci_u32_e32 v17, vcc_lo, v75, v7, vcc_lo
	s_clause 0x3
	global_load_b128 v[12:15], v[0:1], off slc dlc
	global_load_b128 v[8:11], v[2:3], off slc dlc
	;; [unrolled: 1-line block ×4, first 2 shown]
	v_cmp_gt_u32_e32 vcc_lo, s4, v18
	v_dual_mov_b32 v36, 0 :: v_dual_mov_b32 v39, 0
	v_dual_mov_b32 v38, 0 :: v_dual_mov_b32 v29, 0
	v_dual_mov_b32 v28, 0 :: v_dual_mov_b32 v31, 0
	v_dual_mov_b32 v30, 0 :: v_dual_mov_b32 v33, 0
	v_dual_mov_b32 v32, 0 :: v_dual_mov_b32 v35, 0
	v_dual_mov_b32 v34, 0 :: v_dual_mov_b32 v21, 0
	v_dual_mov_b32 v20, 0 :: v_dual_mov_b32 v23, 0
	v_dual_mov_b32 v22, 0 :: v_dual_mov_b32 v17, 0
	v_dual_mov_b32 v16, 0 :: v_dual_mov_b32 v19, 0
	v_dual_mov_b32 v18, 0 :: v_dual_mov_b32 v63, 0
	v_dual_mov_b32 v62, 0 :: v_dual_mov_b32 v65, 0
	v_dual_mov_b32 v64, 0 :: v_dual_mov_b32 v61, 0
	v_dual_mov_b32 v60, 0 :: v_dual_mov_b32 v59, 0
	v_dual_mov_b32 v58, 0 :: v_dual_mov_b32 v57, 0
	v_dual_mov_b32 v56, 0 :: v_dual_mov_b32 v55, 0
	v_dual_mov_b32 v54, 0 :: v_dual_mov_b32 v53, 0
	v_dual_mov_b32 v52, 0 :: v_dual_mov_b32 v49, 0
	v_mov_b32_e32 v50, 0
	v_mov_b32_e32 v24, 0
	s_and_saveexec_b32 s22, vcc_lo
	s_cbranch_execz .LBB68_19
; %bb.21:                               ;   in Loop: Header=BB68_20 Depth=2
	v_dual_mov_b32 v49, 0 :: v_dual_add_nc_u32 v78, s6, v73
	v_dual_mov_b32 v50, 0 :: v_dual_add_nc_u32 v79, s19, v73
	v_cmp_gt_u32_e32 vcc_lo, s4, v80
	ds_load_b128 v[28:31], v78
	ds_load_2addr_b32 v[62:63], v79 offset1:1
	ds_load_b128 v[24:27], v73
	ds_load_2addr_b32 v[64:65], v79 offset0:2 offset1:3
	v_dual_mov_b32 v53, 0 :: v_dual_mov_b32 v52, 0
	v_dual_mov_b32 v55, 0 :: v_dual_mov_b32 v54, 0
	;; [unrolled: 1-line block ×17, first 2 shown]
	s_and_saveexec_b32 s23, vcc_lo
	s_cbranch_execz .LBB68_18
; %bb.22:                               ;   in Loop: Header=BB68_20 Depth=2
	ds_load_b128 v[32:35], v78 offset:512
	ds_load_2addr_b32 v[60:61], v79 offset0:128 offset1:129
	ds_load_b128 v[40:43], v73 offset:512
	ds_load_2addr_b32 v[58:59], v79 offset0:130 offset1:131
	v_cmp_gt_u32_e32 vcc_lo, s4, v77
	v_dual_mov_b32 v50, 0 :: v_dual_mov_b32 v49, 0
	v_dual_mov_b32 v53, 0 :: v_dual_mov_b32 v52, 0
	;; [unrolled: 1-line block ×12, first 2 shown]
	s_and_saveexec_b32 s24, vcc_lo
	s_cbranch_execz .LBB68_17
; %bb.23:                               ;   in Loop: Header=BB68_20 Depth=2
	v_dual_mov_b32 v49, 0 :: v_dual_add_nc_u32 v16, 0x400, v79
	v_dual_mov_b32 v50, 0 :: v_dual_add_nc_u32 v17, 0x408, v79
	ds_load_b128 v[20:23], v78 offset:1024
	ds_load_2addr_b32 v[56:57], v16 offset1:1
	ds_load_b128 v[44:47], v73 offset:1024
	ds_load_2addr_b32 v[54:55], v17 offset1:1
	v_dual_mov_b32 v53, 0 :: v_dual_mov_b32 v52, 0
	v_dual_mov_b32 v19, 0 :: v_dual_mov_b32 v18, 0
	;; [unrolled: 1-line block ×5, first 2 shown]
	s_mov_b32 s25, exec_lo
	v_cmpx_gt_u32_e64 s4, v76
	s_cbranch_execz .LBB68_16
; %bb.24:                               ;   in Loop: Header=BB68_20 Depth=2
	v_add_nc_u32_e32 v36, 0x600, v79
	v_add_nc_u32_e32 v49, 0x608, v79
	ds_load_b128 v[16:19], v78 offset:1536
	ds_load_2addr_b32 v[52:53], v36 offset1:1
	ds_load_b128 v[36:39], v73 offset:1536
	ds_load_2addr_b32 v[49:50], v49 offset1:1
	s_branch .LBB68_16
.LBB68_25:                              ;   in Loop: Header=BB68_14 Depth=1
	; sched_barrier mask(0x00000000)
	v_cvt_i32_f32_e32 v0, v72
	s_waitcnt lgkmcnt(0)
	v_cvt_i32_f32_e32 v1, v71
	v_cvt_i32_f32_e32 v2, v70
	s_delay_alu instid0(VALU_DEP_3) | instskip(NEXT) | instid1(VALU_DEP_3)
	v_cvt_f32_i32_dpp v0, v0 row_shr:8 row_mask:0xf bank_mask:0xf bound_ctrl:1
	v_cvt_f32_i32_dpp v1, v1 row_shr:8 row_mask:0xf bank_mask:0xf bound_ctrl:1
	s_delay_alu instid0(VALU_DEP_3) | instskip(NEXT) | instid1(VALU_DEP_2)
	v_cvt_f32_i32_dpp v2, v2 row_shr:8 row_mask:0xf bank_mask:0xf bound_ctrl:1
	v_dual_add_f32 v0, v72, v0 :: v_dual_add_f32 v1, v71, v1
	s_delay_alu instid0(VALU_DEP_1) | instskip(NEXT) | instid1(VALU_DEP_2)
	v_cvt_i32_f32_e32 v3, v0
	v_cvt_i32_f32_e32 v4, v1
	s_delay_alu instid0(VALU_DEP_2) | instskip(NEXT) | instid1(VALU_DEP_2)
	v_cvt_f32_i32_dpp v3, v3 row_shr:4 row_mask:0xf bank_mask:0xf bound_ctrl:1
	v_cvt_f32_i32_dpp v4, v4 row_shr:4 row_mask:0xf bank_mask:0xf bound_ctrl:1
	s_delay_alu instid0(VALU_DEP_1) | instskip(NEXT) | instid1(VALU_DEP_1)
	v_dual_add_f32 v2, v70, v2 :: v_dual_add_f32 v1, v1, v4
	v_cvt_i32_f32_e32 v5, v2
	s_delay_alu instid0(VALU_DEP_2) | instskip(NEXT) | instid1(VALU_DEP_2)
	v_cvt_i32_f32_e32 v4, v1
	v_cvt_f32_i32_dpp v5, v5 row_shr:4 row_mask:0xf bank_mask:0xf bound_ctrl:1
	s_delay_alu instid0(VALU_DEP_2) | instskip(SKIP_1) | instid1(VALU_DEP_2)
	v_cvt_f32_i32_dpp v4, v4 row_shr:2 row_mask:0xf bank_mask:0xf bound_ctrl:1
	v_add_f32_e32 v0, v0, v3
	v_dual_add_f32 v2, v2, v5 :: v_dual_add_f32 v1, v1, v4
	s_delay_alu instid0(VALU_DEP_2) | instskip(NEXT) | instid1(VALU_DEP_2)
	v_cvt_i32_f32_e32 v3, v0
	v_cvt_i32_f32_e32 v5, v2
	s_delay_alu instid0(VALU_DEP_2) | instskip(NEXT) | instid1(VALU_DEP_2)
	v_cvt_f32_i32_dpp v3, v3 row_shr:2 row_mask:0xf bank_mask:0xf bound_ctrl:1
	v_cvt_f32_i32_dpp v5, v5 row_shr:2 row_mask:0xf bank_mask:0xf bound_ctrl:1
	s_delay_alu instid0(VALU_DEP_1) | instskip(SKIP_2) | instid1(VALU_DEP_3)
	v_dual_add_f32 v0, v0, v3 :: v_dual_add_f32 v3, v2, v5
	v_xor_b32_e32 v2, 16, v68
	v_cvt_i32_f32_e32 v5, v1
	v_cvt_i32_f32_e32 v4, v0
	s_delay_alu instid0(VALU_DEP_4) | instskip(NEXT) | instid1(VALU_DEP_4)
	v_cvt_i32_f32_e32 v6, v3
	v_cmp_gt_i32_e32 vcc_lo, 32, v2
	s_delay_alu instid0(VALU_DEP_4) | instskip(NEXT) | instid1(VALU_DEP_4)
	v_cvt_f32_i32_dpp v5, v5 row_shr:1 row_mask:0xf bank_mask:0xf bound_ctrl:1
	v_cvt_f32_i32_dpp v4, v4 row_shr:1 row_mask:0xf bank_mask:0xf bound_ctrl:1
	s_delay_alu instid0(VALU_DEP_4) | instskip(SKIP_1) | instid1(VALU_DEP_3)
	v_cvt_f32_i32_dpp v6, v6 row_shr:1 row_mask:0xf bank_mask:0xf bound_ctrl:1
	v_cndmask_b32_e32 v2, v68, v2, vcc_lo
	v_add_f32_e32 v4, v0, v4
	s_delay_alu instid0(VALU_DEP_3) | instskip(NEXT) | instid1(VALU_DEP_3)
	v_add_f32_e32 v0, v3, v6
	v_dual_add_f32 v2, v1, v5 :: v_dual_lshlrev_b32 v7, 2, v2
	ds_bpermute_b32 v5, v7, v4
	ds_bpermute_b32 v3, v7, v2
	;; [unrolled: 1-line block ×3, first 2 shown]
	s_and_saveexec_b32 s21, s0
	s_cbranch_execz .LBB68_13
; %bb.26:                               ;   in Loop: Header=BB68_14 Depth=1
	s_and_b32 vcc_lo, exec_lo, s18
	s_cbranch_vccz .LBB68_28
; %bb.27:                               ;   in Loop: Header=BB68_14 Depth=1
	v_mul_hi_u32 v6, v48, v69
	v_mov_b32_e32 v49, v51
	s_delay_alu instid0(VALU_DEP_2) | instskip(NEXT) | instid1(VALU_DEP_1)
	v_mul_lo_u32 v6, v6, s2
	v_sub_nc_u32_e32 v6, v48, v6
	s_delay_alu instid0(VALU_DEP_1) | instskip(SKIP_1) | instid1(VALU_DEP_2)
	v_subrev_nc_u32_e32 v7, s2, v6
	v_cmp_le_u32_e32 vcc_lo, s2, v6
	v_cndmask_b32_e32 v6, v6, v7, vcc_lo
	s_delay_alu instid0(VALU_DEP_1) | instskip(SKIP_1) | instid1(VALU_DEP_2)
	v_subrev_nc_u32_e32 v7, s2, v6
	v_cmp_le_u32_e32 vcc_lo, s2, v6
	v_dual_cndmask_b32 v50, v6, v7 :: v_dual_mov_b32 v7, v51
	s_delay_alu instid0(VALU_DEP_1) | instskip(SKIP_2) | instid1(VALU_DEP_3)
	v_add_nc_u32_e32 v6, s17, v50
	v_lshlrev_b64 v[8:9], 1, v[50:51]
	v_add_nc_u32_e32 v50, s20, v50
	v_lshlrev_b64 v[6:7], 1, v[6:7]
	s_delay_alu instid0(VALU_DEP_2) | instskip(NEXT) | instid1(VALU_DEP_4)
	v_lshlrev_b64 v[10:11], 1, v[50:51]
	v_add_co_u32 v8, vcc_lo, s8, v8
	v_add_co_ci_u32_e32 v9, vcc_lo, s9, v9, vcc_lo
	s_delay_alu instid0(VALU_DEP_4)
	v_add_co_u32 v6, vcc_lo, s8, v6
	v_add_co_ci_u32_e32 v7, vcc_lo, s9, v7, vcc_lo
	v_add_co_u32 v10, vcc_lo, s8, v10
	v_add_co_ci_u32_e32 v11, vcc_lo, s9, v11, vcc_lo
	s_clause 0x2
	global_load_u16 v8, v[8:9], off
	global_load_u16 v7, v[6:7], off
	;; [unrolled: 1-line block ×3, first 2 shown]
	s_cbranch_execnz .LBB68_12
	s_branch .LBB68_29
.LBB68_28:                              ;   in Loop: Header=BB68_14 Depth=1
                                        ; implicit-def: $vgpr6
                                        ; implicit-def: $vgpr7
                                        ; implicit-def: $vgpr8
.LBB68_29:                              ;   in Loop: Header=BB68_14 Depth=1
	s_waitcnt vmcnt(2)
	v_dual_mov_b32 v49, v51 :: v_dual_mov_b32 v8, 0
	s_waitcnt vmcnt(0)
	v_dual_mov_b32 v7, 0 :: v_dual_mov_b32 v6, 0
	s_branch .LBB68_12
.LBB68_30:
	s_nop 0
	s_sendmsg sendmsg(MSG_DEALLOC_VGPRS)
	s_endpgm
	.section	.rodata,"a",@progbits
	.p2align	6, 0x0
	.amdhsa_kernel _Z16wvSplitK_hf_sml_I6__halfLi32ELi1ELi16ELi8ELi4ELi3EEviiiiiiPKT_S3_S3_PS1_ii
		.amdhsa_group_segment_fixed_size 65536
		.amdhsa_private_segment_fixed_size 0
		.amdhsa_kernarg_size 64
		.amdhsa_user_sgpr_count 15
		.amdhsa_user_sgpr_dispatch_ptr 0
		.amdhsa_user_sgpr_queue_ptr 0
		.amdhsa_user_sgpr_kernarg_segment_ptr 1
		.amdhsa_user_sgpr_dispatch_id 0
		.amdhsa_user_sgpr_private_segment_size 0
		.amdhsa_wavefront_size32 1
		.amdhsa_uses_dynamic_stack 0
		.amdhsa_enable_private_segment 0
		.amdhsa_system_sgpr_workgroup_id_x 1
		.amdhsa_system_sgpr_workgroup_id_y 0
		.amdhsa_system_sgpr_workgroup_id_z 0
		.amdhsa_system_sgpr_workgroup_info 0
		.amdhsa_system_vgpr_workitem_id 1
		.amdhsa_next_free_vgpr 81
		.amdhsa_next_free_sgpr 26
		.amdhsa_reserve_vcc 1
		.amdhsa_float_round_mode_32 0
		.amdhsa_float_round_mode_16_64 0
		.amdhsa_float_denorm_mode_32 3
		.amdhsa_float_denorm_mode_16_64 3
		.amdhsa_dx10_clamp 1
		.amdhsa_ieee_mode 1
		.amdhsa_fp16_overflow 0
		.amdhsa_workgroup_processor_mode 1
		.amdhsa_memory_ordered 1
		.amdhsa_forward_progress 0
		.amdhsa_shared_vgpr_count 0
		.amdhsa_exception_fp_ieee_invalid_op 0
		.amdhsa_exception_fp_denorm_src 0
		.amdhsa_exception_fp_ieee_div_zero 0
		.amdhsa_exception_fp_ieee_overflow 0
		.amdhsa_exception_fp_ieee_underflow 0
		.amdhsa_exception_fp_ieee_inexact 0
		.amdhsa_exception_int_div_zero 0
	.end_amdhsa_kernel
	.section	.text._Z16wvSplitK_hf_sml_I6__halfLi32ELi1ELi16ELi8ELi4ELi3EEviiiiiiPKT_S3_S3_PS1_ii,"axG",@progbits,_Z16wvSplitK_hf_sml_I6__halfLi32ELi1ELi16ELi8ELi4ELi3EEviiiiiiPKT_S3_S3_PS1_ii,comdat
.Lfunc_end68:
	.size	_Z16wvSplitK_hf_sml_I6__halfLi32ELi1ELi16ELi8ELi4ELi3EEviiiiiiPKT_S3_S3_PS1_ii, .Lfunc_end68-_Z16wvSplitK_hf_sml_I6__halfLi32ELi1ELi16ELi8ELi4ELi3EEviiiiiiPKT_S3_S3_PS1_ii
                                        ; -- End function
	.section	.AMDGPU.csdata,"",@progbits
; Kernel info:
; codeLenInByte = 3668
; NumSgprs: 28
; NumVgprs: 81
; ScratchSize: 0
; MemoryBound: 0
; FloatMode: 240
; IeeeMode: 1
; LDSByteSize: 65536 bytes/workgroup (compile time only)
; SGPRBlocks: 3
; VGPRBlocks: 10
; NumSGPRsForWavesPerEU: 28
; NumVGPRsForWavesPerEU: 81
; Occupancy: 8
; WaveLimiterHint : 0
; COMPUTE_PGM_RSRC2:SCRATCH_EN: 0
; COMPUTE_PGM_RSRC2:USER_SGPR: 15
; COMPUTE_PGM_RSRC2:TRAP_HANDLER: 0
; COMPUTE_PGM_RSRC2:TGID_X_EN: 1
; COMPUTE_PGM_RSRC2:TGID_Y_EN: 0
; COMPUTE_PGM_RSRC2:TGID_Z_EN: 0
; COMPUTE_PGM_RSRC2:TIDIG_COMP_CNT: 1
	.section	.text._Z12wvSplitK_hf_I6__halfLi32ELi1ELi16ELi8ELi4ELi3EEviiiiiiPKT_S3_S3_PS1_ii,"axG",@progbits,_Z12wvSplitK_hf_I6__halfLi32ELi1ELi16ELi8ELi4ELi3EEviiiiiiPKT_S3_S3_PS1_ii,comdat
	.protected	_Z12wvSplitK_hf_I6__halfLi32ELi1ELi16ELi8ELi4ELi3EEviiiiiiPKT_S3_S3_PS1_ii ; -- Begin function _Z12wvSplitK_hf_I6__halfLi32ELi1ELi16ELi8ELi4ELi3EEviiiiiiPKT_S3_S3_PS1_ii
	.globl	_Z12wvSplitK_hf_I6__halfLi32ELi1ELi16ELi8ELi4ELi3EEviiiiiiPKT_S3_S3_PS1_ii
	.p2align	8
	.type	_Z12wvSplitK_hf_I6__halfLi32ELi1ELi16ELi8ELi4ELi3EEviiiiiiPKT_S3_S3_PS1_ii,@function
_Z12wvSplitK_hf_I6__halfLi32ELi1ELi16ELi8ELi4ELi3EEviiiiiiPKT_S3_S3_PS1_ii: ; @_Z12wvSplitK_hf_I6__halfLi32ELi1ELi16ELi8ELi4ELi3EEviiiiiiPKT_S3_S3_PS1_ii
; %bb.0:
	s_clause 0x1
	s_load_b64 s[18:19], s[0:1], 0x38
	s_load_b128 s[4:7], s[0:1], 0x0
	v_bfe_u32 v1, v0, 10, 10
	s_clause 0x1
	s_load_b64 s[12:13], s[0:1], 0x20
	s_load_b64 s[16:17], s[0:1], 0x10
	v_mov_b32_e32 v75, 1
	s_waitcnt lgkmcnt(0)
	v_mad_u64_u32 v[64:65], null, s15, s18, v[1:2]
	s_delay_alu instid0(VALU_DEP_1) | instskip(SKIP_1) | instid1(VALU_DEP_2)
	v_add_nc_u32_e32 v2, 1, v64
	v_cmp_gt_u32_e32 vcc_lo, s7, v64
	v_cmp_le_u32_e64 s2, s7, v2
	s_delay_alu instid0(VALU_DEP_1) | instskip(NEXT) | instid1(SALU_CYCLE_1)
	s_and_b32 s3, vcc_lo, s2
	s_and_saveexec_b32 s2, s3
; %bb.1:
	v_subrev_nc_u32_e32 v2, s7, v64
	s_add_i32 s3, s7, -1
	s_delay_alu instid0(SALU_CYCLE_1) | instskip(NEXT) | instid1(VALU_DEP_2)
	v_mov_b32_e32 v64, s3
	v_cmp_eq_u32_e32 vcc_lo, -1, v2
	v_cndmask_b32_e64 v75, 0, 1, vcc_lo
; %bb.2:
	s_or_b32 exec_lo, exec_lo, s2
	v_and_b32_e32 v0, 0x3ff, v0
	s_mul_i32 s2, s6, 3
	s_delay_alu instid0(SALU_CYCLE_1) | instskip(SKIP_1) | instid1(VALU_DEP_1)
	s_min_u32 s3, s2, 0x8000
	s_mov_b32 s2, exec_lo
	v_lshlrev_b32_e32 v76, 3, v0
	s_delay_alu instid0(VALU_DEP_1) | instskip(NEXT) | instid1(VALU_DEP_1)
	v_lshl_add_u32 v3, v1, 8, v76
	v_cmpx_gt_u32_e64 s3, v3
	s_cbranch_execz .LBB69_11
; %bb.3:
	v_lshlrev_b32_e32 v2, 1, v3
	v_add_nc_u32_e32 v8, 0x1000, v3
	s_mov_b32 s8, exec_lo
	global_load_b128 v[4:7], v2, s[12:13]
	s_waitcnt vmcnt(0)
	ds_store_b128 v2, v[4:7]
	v_cmpx_gt_u32_e64 s3, v8
	s_xor_b32 s8, exec_lo, s8
	s_cbranch_execz .LBB69_11
; %bb.4:
	v_add_co_u32 v4, s8, s12, v2
	s_delay_alu instid0(VALU_DEP_1) | instskip(SKIP_1) | instid1(VALU_DEP_3)
	v_add_co_ci_u32_e64 v5, null, s13, 0, s8
	v_add_nc_u32_e32 v10, 0x2000, v3
	v_add_co_u32 v6, vcc_lo, 0x2000, v4
	s_delay_alu instid0(VALU_DEP_3)
	v_add_co_ci_u32_e32 v7, vcc_lo, 0, v5, vcc_lo
	s_mov_b32 s8, exec_lo
	global_load_b128 v[6:9], v[6:7], off
	s_waitcnt vmcnt(0)
	ds_store_b128 v2, v[6:9] offset:8192
	v_cmpx_gt_u32_e64 s3, v10
	s_xor_b32 s8, exec_lo, s8
	s_cbranch_execz .LBB69_11
; %bb.5:
	v_add_co_u32 v6, vcc_lo, 0x4000, v4
	v_add_co_ci_u32_e32 v7, vcc_lo, 0, v5, vcc_lo
	v_add_nc_u32_e32 v10, 0x3000, v3
	s_mov_b32 s8, exec_lo
	global_load_b128 v[6:9], v[6:7], off
	s_waitcnt vmcnt(0)
	ds_store_b128 v2, v[6:9] offset:16384
	v_cmpx_gt_u32_e64 s3, v10
	s_xor_b32 s8, exec_lo, s8
	s_cbranch_execz .LBB69_11
; %bb.6:
	v_add_co_u32 v6, vcc_lo, 0x6000, v4
	v_add_co_ci_u32_e32 v7, vcc_lo, 0, v5, vcc_lo
	v_add_nc_u32_e32 v10, 0x4000, v3
	;; [unrolled: 11-line block ×5, first 2 shown]
	global_load_b128 v[6:9], v[6:7], off
	v_cmp_gt_u32_e32 vcc_lo, s3, v3
	s_waitcnt vmcnt(0)
	ds_store_b128 v2, v[6:9] offset:49152
	s_and_saveexec_b32 s3, vcc_lo
	s_delay_alu instid0(SALU_CYCLE_1)
	s_xor_b32 s3, exec_lo, s3
	s_cbranch_execz .LBB69_11
; %bb.10:
	v_add_co_u32 v3, vcc_lo, 0xe000, v4
	v_add_co_ci_u32_e32 v4, vcc_lo, 0, v5, vcc_lo
	global_load_b128 v[3:6], v[3:4], off
	s_waitcnt vmcnt(0)
	ds_store_b128 v2, v[3:6] offset:57344
.LBB69_11:
	s_or_b32 exec_lo, exec_lo, s2
	v_cmp_gt_u32_e32 vcc_lo, s18, v1
	v_cmp_gt_u32_e64 s2, s7, v64
	s_waitcnt lgkmcnt(0)
	s_barrier
	buffer_gl0_inv
	s_and_b32 s2, vcc_lo, s2
	s_delay_alu instid0(SALU_CYCLE_1)
	s_and_saveexec_b32 s3, s2
	s_cbranch_execz .LBB69_78
; %bb.12:
	s_clause 0x1
	s_load_b128 s[8:11], s[0:1], 0x28
	s_load_b64 s[14:15], s[0:1], 0x18
	s_cmp_lg_u32 s4, 0
	v_cvt_f32_u32_e32 v2, s16
	s_cselect_b32 s3, -1, 0
	s_add_i32 s20, s4, -8
	s_add_i32 s21, s7, -1
	s_mul_i32 s18, s19, s18
	v_rcp_iflag_f32_e32 v2, v2
	v_cmp_eq_u32_e64 s0, 31, v0
	v_lshlrev_b32_e32 v77, 4, v0
	v_dual_mov_b32 v67, 0 :: v_dual_add_nc_u32 v78, s6, v76
	v_mbcnt_lo_u32_b32 v79, -1, 0
	s_waitcnt_depctr 0xfff
	v_mul_f32_e32 v2, 0x4f7ffffe, v2
	s_waitcnt lgkmcnt(0)
	s_cmp_lg_u64 s[8:9], 0
	s_cselect_b32 s22, -1, 0
	s_abs_i32 s1, s17
	s_sub_i32 s23, s18, s7
	v_cvt_f32_u32_e32 v1, s1
	s_sub_i32 s24, 0, s1
	s_lshl_b32 s19, s6, 1
	s_sub_i32 s25, 0, s16
	s_add_i32 s23, s23, 2
	v_rcp_iflag_f32_e32 v1, v1
	s_sub_i32 s26, 1, s1
	v_add_nc_u32_e32 v80, s19, v76
	s_mov_b32 s17, 0
	v_cvt_u32_f32_e32 v2, v2
	s_waitcnt_depctr 0xfff
	v_mul_f32_e32 v1, 0x4f7ffffe, v1
	s_delay_alu instid0(VALU_DEP_1) | instskip(NEXT) | instid1(VALU_DEP_1)
	v_cvt_u32_f32_e32 v1, v1
	v_readfirstlane_b32 s2, v1
	v_mul_lo_u32 v1, s25, v2
	s_delay_alu instid0(VALU_DEP_2) | instskip(NEXT) | instid1(SALU_CYCLE_1)
	s_mul_i32 s24, s24, s2
	s_mul_hi_u32 s24, s2, s24
	s_delay_alu instid0(SALU_CYCLE_1) | instskip(SKIP_1) | instid1(VALU_DEP_1)
	s_add_i32 s2, s2, s24
	s_cmp_lt_u32 s1, 2
	v_mul_hi_u32 v0, v2, v1
	s_cselect_b32 s24, s26, 1
	s_delay_alu instid0(SALU_CYCLE_1) | instskip(SKIP_3) | instid1(VALU_DEP_1)
	s_sub_i32 s25, s24, s1
	s_cmp_ge_u32 s24, s1
	s_cselect_b32 s24, s25, s24
	s_lshr_b32 s2, s2, 31
	v_add_nc_u32_e32 v81, v2, v0
	s_mul_i32 s2, s2, s1
	s_mul_i32 s24, s24, s16
	s_sub_i32 s2, 2, s2
	s_delay_alu instid0(SALU_CYCLE_1) | instskip(SKIP_2) | instid1(SALU_CYCLE_1)
	s_sub_i32 s25, s2, s1
	s_cmp_ge_u32 s2, s1
	s_cselect_b32 s2, s25, s2
	s_sub_i32 s25, s2, s1
	s_cmp_ge_u32 s2, s1
	s_cselect_b32 s25, s25, s2
	s_lshl_b32 s6, s6, 2
	s_mul_i32 s25, s25, s16
	s_branch .LBB69_14
.LBB69_13:                              ;   in Loop: Header=BB69_14 Depth=1
	s_or_b32 exec_lo, exec_lo, s1
	v_add_nc_u32_e32 v0, s18, v64
	s_waitcnt lgkmcnt(0)
	s_delay_alu instid0(VALU_DEP_1) | instskip(SKIP_1) | instid1(VALU_DEP_2)
	v_add_nc_u32_e32 v1, 1, v0
	v_cmp_le_u32_e32 vcc_lo, s7, v0
	v_cmp_gt_u32_e64 s1, s7, v1
	v_add_nc_u32_e32 v1, s23, v64
	s_delay_alu instid0(VALU_DEP_2) | instskip(NEXT) | instid1(VALU_DEP_1)
	s_or_b32 vcc_lo, vcc_lo, s1
	v_cmp_eq_u32_e64 s1, 1, v1
	v_cndmask_b32_e32 v64, s21, v0, vcc_lo
	s_delay_alu instid0(VALU_DEP_2) | instskip(NEXT) | instid1(VALU_DEP_1)
	s_or_b32 vcc_lo, vcc_lo, s1
	v_cmp_le_u32_e64 s2, s7, v64
	v_cndmask_b32_e32 v75, 0, v75, vcc_lo
	s_delay_alu instid0(VALU_DEP_2) | instskip(NEXT) | instid1(SALU_CYCLE_1)
	s_or_b32 s17, s2, s17
	s_and_not1_b32 exec_lo, exec_lo, s17
	s_cbranch_execz .LBB69_78
.LBB69_14:                              ; =>This Loop Header: Depth=1
                                        ;     Child Loop BB69_21 Depth 2
	v_mov_b32_e32 v84, v67
	v_mov_b32_e32 v83, v67
	;; [unrolled: 1-line block ×3, first 2 shown]
	s_and_not1_b32 vcc_lo, exec_lo, s3
	s_cbranch_vccnz .LBB69_73
; %bb.15:                               ;   in Loop: Header=BB69_14 Depth=1
	v_min_u32_e32 v0, s21, v64
	v_dual_mov_b32 v82, 0 :: v_dual_mov_b32 v85, v77
	v_dual_mov_b32 v83, 0 :: v_dual_mov_b32 v84, 0
	s_delay_alu instid0(VALU_DEP_3) | instskip(SKIP_1) | instid1(VALU_DEP_1)
	v_mul_lo_u32 v66, v0, s5
	s_mov_b32 s1, 0
	v_lshlrev_b64 v[0:1], 1, v[66:67]
	s_delay_alu instid0(VALU_DEP_1) | instskip(NEXT) | instid1(VALU_DEP_2)
	v_add_co_u32 v86, vcc_lo, s14, v0
	v_add_co_ci_u32_e32 v87, vcc_lo, s15, v1, vcc_lo
	s_branch .LBB69_21
.LBB69_16:                              ;   in Loop: Header=BB69_21 Depth=2
	s_or_b32 exec_lo, exec_lo, s29
.LBB69_17:                              ;   in Loop: Header=BB69_21 Depth=2
	s_delay_alu instid0(SALU_CYCLE_1)
	s_or_b32 exec_lo, exec_lo, s28
.LBB69_18:                              ;   in Loop: Header=BB69_21 Depth=2
	s_delay_alu instid0(SALU_CYCLE_1)
	s_or_b32 exec_lo, exec_lo, s27
.LBB69_19:                              ;   in Loop: Header=BB69_21 Depth=2
	s_delay_alu instid0(SALU_CYCLE_1)
	s_or_b32 exec_lo, exec_lo, s26
.LBB69_20:                              ;   in Loop: Header=BB69_21 Depth=2
	s_delay_alu instid0(SALU_CYCLE_1)
	s_or_b32 exec_lo, exec_lo, s2
	s_waitcnt vmcnt(0) lgkmcnt(0)
	;;#ASMSTART
	v_dot2_f32_f16 v84, v16, v12, v84
	;;#ASMEND
	;;#ASMSTART
	v_dot2_f32_f16 v83, v24, v12, v83
	;;#ASMEND
	;; [unrolled: 3-line block ×33, first 2 shown]
	v_add_nc_u32_e32 v85, 0x800, v85
	;;#ASMSTART
	v_dot2_f32_f16 v84, v51, v7, v84
	;;#ASMEND
	;;#ASMSTART
	v_dot2_f32_f16 v83, v47, v7, v83
	;;#ASMEND
	;; [unrolled: 3-line block ×3, first 2 shown]
	s_addk_i32 s1, 0x400
	;;#ASMSTART
	v_dot2_f32_f16 v84, v60, v0, v84
	;;#ASMEND
	;;#ASMSTART
	v_dot2_f32_f16 v83, v56, v0, v83
	;;#ASMEND
	;; [unrolled: 3-line block ×6, first 2 shown]
	s_cmp_ge_u32 s1, s4
	;;#ASMSTART
	v_dot2_f32_f16 v84, v62, v2, v84
	;;#ASMEND
	;;#ASMSTART
	v_dot2_f32_f16 v83, v58, v2, v83
	;;#ASMEND
	;; [unrolled: 3-line block ×6, first 2 shown]
	s_cbranch_scc1 .LBB69_73
.LBB69_21:                              ;   Parent Loop BB69_14 Depth=1
                                        ; =>  This Inner Loop Header: Depth=2
	v_dual_mov_b32 v52, 0 :: v_dual_add_nc_u32 v65, s1, v76
	v_dual_mov_b32 v43, 0 :: v_dual_mov_b32 v42, 0
	v_mov_b32_e32 v41, 0
	s_delay_alu instid0(VALU_DEP_3) | instskip(SKIP_2) | instid1(VALU_DEP_3)
	v_min_u32_e32 v66, s20, v65
	v_dual_mov_b32 v54, 0 :: v_dual_add_nc_u32 v73, 0x100, v65
	v_dual_mov_b32 v55, 0 :: v_dual_add_nc_u32 v72, 0x200, v65
	v_lshlrev_b64 v[0:1], 1, v[66:67]
	s_delay_alu instid0(VALU_DEP_3) | instskip(SKIP_2) | instid1(VALU_DEP_3)
	v_min_u32_e32 v66, s20, v73
	v_dual_mov_b32 v53, 0 :: v_dual_add_nc_u32 v68, 0x300, v65
	v_dual_mov_b32 v40, 0 :: v_dual_mov_b32 v31, 0
	v_lshlrev_b64 v[2:3], 1, v[66:67]
	v_min_u32_e32 v66, s20, v72
	v_add_co_u32 v0, vcc_lo, v86, v0
	v_add_co_ci_u32_e32 v1, vcc_lo, v87, v1, vcc_lo
	s_delay_alu instid0(VALU_DEP_3) | instskip(SKIP_4) | instid1(VALU_DEP_3)
	v_lshlrev_b64 v[4:5], 1, v[66:67]
	v_min_u32_e32 v66, s20, v68
	v_add_co_u32 v2, vcc_lo, v86, v2
	v_add_co_ci_u32_e32 v3, vcc_lo, v87, v3, vcc_lo
	s_waitcnt vmcnt(0)
	v_lshlrev_b64 v[6:7], 1, v[66:67]
	v_add_co_u32 v4, vcc_lo, v86, v4
	v_add_co_ci_u32_e32 v5, vcc_lo, v87, v5, vcc_lo
	v_dual_mov_b32 v30, 0 :: v_dual_mov_b32 v29, 0
	s_delay_alu instid0(VALU_DEP_4)
	v_add_co_u32 v16, vcc_lo, v86, v6
	v_add_co_ci_u32_e32 v17, vcc_lo, v87, v7, vcc_lo
	s_clause 0x3
	global_load_b128 v[12:15], v[0:1], off slc dlc
	global_load_b128 v[8:11], v[2:3], off slc dlc
	global_load_b128 v[4:7], v[4:5], off slc dlc
	global_load_b128 v[0:3], v[16:17], off slc dlc
	v_mov_b32_e32 v16, 0
	v_cmp_gt_u32_e32 vcc_lo, s4, v65
	v_dual_mov_b32 v28, 0 :: v_dual_mov_b32 v23, 0
	v_dual_mov_b32 v22, 0 :: v_dual_mov_b32 v21, 0
	;; [unrolled: 1-line block ×18, first 2 shown]
	s_and_saveexec_b32 s2, vcc_lo
	s_cbranch_execz .LBB69_20
; %bb.22:                               ;   in Loop: Header=BB69_21 Depth=2
	s_mov_b32 s26, exec_lo
                                        ; implicit-def: $vgpr16
	v_cmpx_lt_u32_e32 0x7fff, v65
	s_xor_b32 s26, exec_lo, s26
	s_cbranch_execz .LBB69_24
; %bb.23:                               ;   in Loop: Header=BB69_21 Depth=2
	v_mov_b32_e32 v66, v67
	s_delay_alu instid0(VALU_DEP_1) | instskip(NEXT) | instid1(VALU_DEP_1)
	v_lshlrev_b64 v[16:17], 1, v[65:66]
	v_add_co_u32 v16, vcc_lo, s12, v16
	s_delay_alu instid0(VALU_DEP_2)
	v_add_co_ci_u32_e32 v17, vcc_lo, s13, v17, vcc_lo
	global_load_b128 v[16:19], v[16:17], off
.LBB69_24:                              ;   in Loop: Header=BB69_21 Depth=2
	s_and_not1_saveexec_b32 s26, s26
	s_cbranch_execz .LBB69_26
; %bb.25:                               ;   in Loop: Header=BB69_21 Depth=2
	s_waitcnt vmcnt(0)
	ds_load_b128 v[16:19], v85
.LBB69_26:                              ;   in Loop: Header=BB69_21 Depth=2
	s_or_b32 exec_lo, exec_lo, s26
	v_add_nc_u32_e32 v66, s1, v78
	s_mov_b32 s26, exec_lo
                                        ; implicit-def: $vgpr27
	s_delay_alu instid0(VALU_DEP_1)
	v_cmpx_lt_u32_e32 0x7fff, v66
	s_xor_b32 s26, exec_lo, s26
	s_cbranch_execz .LBB69_28
; %bb.27:                               ;   in Loop: Header=BB69_21 Depth=2
	v_lshlrev_b64 v[20:21], 1, v[66:67]
	s_delay_alu instid0(VALU_DEP_1) | instskip(NEXT) | instid1(VALU_DEP_2)
	v_add_co_u32 v20, vcc_lo, s12, v20
	v_add_co_ci_u32_e32 v21, vcc_lo, s13, v21, vcc_lo
	global_load_b128 v[24:27], v[20:21], off
.LBB69_28:                              ;   in Loop: Header=BB69_21 Depth=2
	s_and_not1_saveexec_b32 s26, s26
	s_cbranch_execz .LBB69_30
; %bb.29:                               ;   in Loop: Header=BB69_21 Depth=2
	v_add_nc_u32_e32 v20, s19, v85
	s_waitcnt vmcnt(0)
	ds_load_b128 v[24:27], v20
.LBB69_30:                              ;   in Loop: Header=BB69_21 Depth=2
	s_or_b32 exec_lo, exec_lo, s26
	v_add_nc_u32_e32 v70, s1, v80
	s_mov_b32 s26, exec_lo
                                        ; implicit-def: $vgpr23
	s_delay_alu instid0(VALU_DEP_1)
	v_cmpx_lt_u32_e32 0x7fff, v70
	s_xor_b32 s26, exec_lo, s26
	s_cbranch_execz .LBB69_32
; %bb.31:                               ;   in Loop: Header=BB69_21 Depth=2
	v_mov_b32_e32 v71, v67
	s_delay_alu instid0(VALU_DEP_1) | instskip(NEXT) | instid1(VALU_DEP_1)
	v_lshlrev_b64 v[20:21], 1, v[70:71]
	v_add_co_u32 v20, vcc_lo, s12, v20
	s_delay_alu instid0(VALU_DEP_2)
	v_add_co_ci_u32_e32 v21, vcc_lo, s13, v21, vcc_lo
	global_load_b128 v[20:23], v[20:21], off
.LBB69_32:                              ;   in Loop: Header=BB69_21 Depth=2
	s_and_not1_saveexec_b32 s26, s26
	s_cbranch_execz .LBB69_34
; %bb.33:                               ;   in Loop: Header=BB69_21 Depth=2
	s_waitcnt vmcnt(0)
	v_add_nc_u32_e32 v22, s6, v85
	ds_load_2addr_b32 v[20:21], v22 offset1:1
	ds_load_2addr_b32 v[22:23], v22 offset0:2 offset1:3
.LBB69_34:                              ;   in Loop: Header=BB69_21 Depth=2
	s_or_b32 exec_lo, exec_lo, s26
	v_cmp_gt_u32_e32 vcc_lo, s4, v73
	v_dual_mov_b32 v55, 0 :: v_dual_mov_b32 v54, 0
	v_dual_mov_b32 v53, 0 :: v_dual_mov_b32 v52, 0
	;; [unrolled: 1-line block ×18, first 2 shown]
	s_and_saveexec_b32 s26, vcc_lo
	s_cbranch_execz .LBB69_19
; %bb.35:                               ;   in Loop: Header=BB69_21 Depth=2
	s_mov_b32 s27, exec_lo
                                        ; implicit-def: $vgpr39
	v_cmpx_lt_u32_e32 0x7fff, v73
	s_xor_b32 s27, exec_lo, s27
	s_cbranch_execz .LBB69_37
; %bb.36:                               ;   in Loop: Header=BB69_21 Depth=2
	v_mov_b32_e32 v74, v67
	s_delay_alu instid0(VALU_DEP_1) | instskip(NEXT) | instid1(VALU_DEP_1)
	v_lshlrev_b64 v[28:29], 1, v[73:74]
	v_add_co_u32 v28, vcc_lo, s12, v28
	s_delay_alu instid0(VALU_DEP_2)
	v_add_co_ci_u32_e32 v29, vcc_lo, s13, v29, vcc_lo
	global_load_b128 v[36:39], v[28:29], off
.LBB69_37:                              ;   in Loop: Header=BB69_21 Depth=2
	s_and_not1_saveexec_b32 s27, s27
	s_cbranch_execz .LBB69_39
; %bb.38:                               ;   in Loop: Header=BB69_21 Depth=2
	s_waitcnt vmcnt(0)
	ds_load_b128 v[36:39], v85 offset:512
.LBB69_39:                              ;   in Loop: Header=BB69_21 Depth=2
	s_or_b32 exec_lo, exec_lo, s27
	v_add_nc_u32_e32 v28, 0x100, v66
	s_mov_b32 s27, exec_lo
                                        ; implicit-def: $vgpr35
	s_delay_alu instid0(VALU_DEP_1)
	v_cmpx_lt_u32_e32 0x7fff, v28
	s_xor_b32 s27, exec_lo, s27
	s_cbranch_execz .LBB69_41
; %bb.40:                               ;   in Loop: Header=BB69_21 Depth=2
	v_mov_b32_e32 v29, v67
	s_delay_alu instid0(VALU_DEP_1) | instskip(NEXT) | instid1(VALU_DEP_1)
	v_lshlrev_b64 v[28:29], 1, v[28:29]
	v_add_co_u32 v28, vcc_lo, s12, v28
	s_delay_alu instid0(VALU_DEP_2)
	v_add_co_ci_u32_e32 v29, vcc_lo, s13, v29, vcc_lo
	global_load_b128 v[32:35], v[28:29], off
.LBB69_41:                              ;   in Loop: Header=BB69_21 Depth=2
	s_and_not1_saveexec_b32 s27, s27
	s_cbranch_execz .LBB69_43
; %bb.42:                               ;   in Loop: Header=BB69_21 Depth=2
	v_add_nc_u32_e32 v28, s19, v85
	s_waitcnt vmcnt(0)
	ds_load_b128 v[32:35], v28 offset:512
.LBB69_43:                              ;   in Loop: Header=BB69_21 Depth=2
	s_or_b32 exec_lo, exec_lo, s27
	v_add_nc_u32_e32 v28, 0x100, v70
	s_mov_b32 s27, exec_lo
                                        ; implicit-def: $vgpr31
	s_delay_alu instid0(VALU_DEP_1)
	v_cmpx_lt_u32_e32 0x7fff, v28
	s_xor_b32 s27, exec_lo, s27
	s_cbranch_execz .LBB69_45
; %bb.44:                               ;   in Loop: Header=BB69_21 Depth=2
	v_mov_b32_e32 v29, v67
	s_delay_alu instid0(VALU_DEP_1) | instskip(NEXT) | instid1(VALU_DEP_1)
	v_lshlrev_b64 v[28:29], 1, v[28:29]
	v_add_co_u32 v28, vcc_lo, s12, v28
	s_delay_alu instid0(VALU_DEP_2)
	v_add_co_ci_u32_e32 v29, vcc_lo, s13, v29, vcc_lo
	global_load_b128 v[28:31], v[28:29], off
.LBB69_45:                              ;   in Loop: Header=BB69_21 Depth=2
	s_and_not1_saveexec_b32 s27, s27
	s_cbranch_execz .LBB69_47
; %bb.46:                               ;   in Loop: Header=BB69_21 Depth=2
	s_waitcnt vmcnt(0)
	v_add_nc_u32_e32 v30, s6, v85
	ds_load_2addr_b32 v[28:29], v30 offset0:128 offset1:129
	ds_load_2addr_b32 v[30:31], v30 offset0:130 offset1:131
.LBB69_47:                              ;   in Loop: Header=BB69_21 Depth=2
	s_or_b32 exec_lo, exec_lo, s27
	v_cmp_gt_u32_e32 vcc_lo, s4, v72
	v_dual_mov_b32 v55, 0 :: v_dual_mov_b32 v54, 0
	v_dual_mov_b32 v53, 0 :: v_dual_mov_b32 v52, 0
	;; [unrolled: 1-line block ×12, first 2 shown]
	s_and_saveexec_b32 s27, vcc_lo
	s_cbranch_execz .LBB69_18
; %bb.48:                               ;   in Loop: Header=BB69_21 Depth=2
	s_mov_b32 s28, exec_lo
                                        ; implicit-def: $vgpr51
	v_cmpx_lt_u32_e32 0x7fff, v72
	s_xor_b32 s28, exec_lo, s28
	s_cbranch_execz .LBB69_50
; %bb.49:                               ;   in Loop: Header=BB69_21 Depth=2
	v_mov_b32_e32 v73, v67
	s_delay_alu instid0(VALU_DEP_1) | instskip(NEXT) | instid1(VALU_DEP_1)
	v_lshlrev_b64 v[40:41], 1, v[72:73]
	v_add_co_u32 v40, vcc_lo, s12, v40
	s_delay_alu instid0(VALU_DEP_2)
	v_add_co_ci_u32_e32 v41, vcc_lo, s13, v41, vcc_lo
	global_load_b128 v[48:51], v[40:41], off
.LBB69_50:                              ;   in Loop: Header=BB69_21 Depth=2
	s_and_not1_saveexec_b32 s28, s28
	s_cbranch_execz .LBB69_52
; %bb.51:                               ;   in Loop: Header=BB69_21 Depth=2
	s_waitcnt vmcnt(0)
	ds_load_b128 v[48:51], v85 offset:1024
.LBB69_52:                              ;   in Loop: Header=BB69_21 Depth=2
	s_or_b32 exec_lo, exec_lo, s28
	v_add_nc_u32_e32 v40, 0x200, v66
	s_mov_b32 s28, exec_lo
                                        ; implicit-def: $vgpr47
	s_delay_alu instid0(VALU_DEP_1)
	v_cmpx_lt_u32_e32 0x7fff, v40
	s_xor_b32 s28, exec_lo, s28
	s_cbranch_execz .LBB69_54
; %bb.53:                               ;   in Loop: Header=BB69_21 Depth=2
	v_mov_b32_e32 v41, v67
	s_delay_alu instid0(VALU_DEP_1) | instskip(NEXT) | instid1(VALU_DEP_1)
	v_lshlrev_b64 v[40:41], 1, v[40:41]
	v_add_co_u32 v40, vcc_lo, s12, v40
	s_delay_alu instid0(VALU_DEP_2)
	v_add_co_ci_u32_e32 v41, vcc_lo, s13, v41, vcc_lo
	global_load_b128 v[44:47], v[40:41], off
.LBB69_54:                              ;   in Loop: Header=BB69_21 Depth=2
	s_and_not1_saveexec_b32 s28, s28
	s_cbranch_execz .LBB69_56
; %bb.55:                               ;   in Loop: Header=BB69_21 Depth=2
	v_add_nc_u32_e32 v40, s19, v85
	s_waitcnt vmcnt(0)
	ds_load_b128 v[44:47], v40 offset:1024
.LBB69_56:                              ;   in Loop: Header=BB69_21 Depth=2
	s_or_b32 exec_lo, exec_lo, s28
	v_add_nc_u32_e32 v40, 0x200, v70
	s_mov_b32 s28, exec_lo
                                        ; implicit-def: $vgpr43
	s_delay_alu instid0(VALU_DEP_1)
	v_cmpx_lt_u32_e32 0x7fff, v40
	s_xor_b32 s28, exec_lo, s28
	s_cbranch_execz .LBB69_58
; %bb.57:                               ;   in Loop: Header=BB69_21 Depth=2
	v_mov_b32_e32 v41, v67
	s_delay_alu instid0(VALU_DEP_1) | instskip(NEXT) | instid1(VALU_DEP_1)
	v_lshlrev_b64 v[40:41], 1, v[40:41]
	v_add_co_u32 v40, vcc_lo, s12, v40
	s_delay_alu instid0(VALU_DEP_2)
	v_add_co_ci_u32_e32 v41, vcc_lo, s13, v41, vcc_lo
	global_load_b128 v[40:43], v[40:41], off
.LBB69_58:                              ;   in Loop: Header=BB69_21 Depth=2
	s_and_not1_saveexec_b32 s28, s28
	s_cbranch_execz .LBB69_60
; %bb.59:                               ;   in Loop: Header=BB69_21 Depth=2
	s_waitcnt vmcnt(0)
	v_add_nc_u32_e32 v40, s6, v85
	s_delay_alu instid0(VALU_DEP_1)
	v_add_nc_u32_e32 v41, 0x400, v40
	v_add_nc_u32_e32 v42, 0x408, v40
	ds_load_2addr_b32 v[40:41], v41 offset1:1
	ds_load_2addr_b32 v[42:43], v42 offset1:1
.LBB69_60:                              ;   in Loop: Header=BB69_21 Depth=2
	s_or_b32 exec_lo, exec_lo, s28
	v_dual_mov_b32 v55, 0 :: v_dual_mov_b32 v54, 0
	v_dual_mov_b32 v53, 0 :: v_dual_mov_b32 v52, 0
	;; [unrolled: 1-line block ×6, first 2 shown]
	s_mov_b32 s28, exec_lo
	v_cmpx_gt_u32_e64 s4, v68
	s_cbranch_execz .LBB69_17
; %bb.61:                               ;   in Loop: Header=BB69_21 Depth=2
	s_mov_b32 s29, exec_lo
                                        ; implicit-def: $vgpr63
	v_cmpx_lt_u32_e32 0x7fff, v68
	s_xor_b32 s29, exec_lo, s29
	s_cbranch_execz .LBB69_63
; %bb.62:                               ;   in Loop: Header=BB69_21 Depth=2
	v_mov_b32_e32 v69, v67
	s_delay_alu instid0(VALU_DEP_1) | instskip(NEXT) | instid1(VALU_DEP_1)
	v_lshlrev_b64 v[52:53], 1, v[68:69]
	v_add_co_u32 v52, vcc_lo, s12, v52
	s_delay_alu instid0(VALU_DEP_2)
	v_add_co_ci_u32_e32 v53, vcc_lo, s13, v53, vcc_lo
	global_load_b128 v[60:63], v[52:53], off
.LBB69_63:                              ;   in Loop: Header=BB69_21 Depth=2
	s_and_not1_saveexec_b32 s29, s29
	s_cbranch_execz .LBB69_65
; %bb.64:                               ;   in Loop: Header=BB69_21 Depth=2
	s_waitcnt vmcnt(0)
	ds_load_b128 v[60:63], v85 offset:1536
.LBB69_65:                              ;   in Loop: Header=BB69_21 Depth=2
	s_or_b32 exec_lo, exec_lo, s29
	v_add_nc_u32_e32 v66, 0x300, v66
	s_mov_b32 s29, exec_lo
                                        ; implicit-def: $vgpr59
	s_delay_alu instid0(VALU_DEP_1)
	v_cmpx_lt_u32_e32 0x7fff, v66
	s_xor_b32 s29, exec_lo, s29
	s_cbranch_execz .LBB69_67
; %bb.66:                               ;   in Loop: Header=BB69_21 Depth=2
	v_lshlrev_b64 v[52:53], 1, v[66:67]
	s_delay_alu instid0(VALU_DEP_1) | instskip(NEXT) | instid1(VALU_DEP_2)
	v_add_co_u32 v52, vcc_lo, s12, v52
	v_add_co_ci_u32_e32 v53, vcc_lo, s13, v53, vcc_lo
	global_load_b128 v[56:59], v[52:53], off
.LBB69_67:                              ;   in Loop: Header=BB69_21 Depth=2
	s_and_not1_saveexec_b32 s29, s29
	s_cbranch_execz .LBB69_69
; %bb.68:                               ;   in Loop: Header=BB69_21 Depth=2
	v_add_nc_u32_e32 v52, s19, v85
	s_waitcnt vmcnt(0)
	ds_load_b128 v[56:59], v52 offset:1536
.LBB69_69:                              ;   in Loop: Header=BB69_21 Depth=2
	s_or_b32 exec_lo, exec_lo, s29
	v_add_nc_u32_e32 v66, 0x300, v70
	s_mov_b32 s29, exec_lo
                                        ; implicit-def: $vgpr55
	s_delay_alu instid0(VALU_DEP_1)
	v_cmpx_lt_u32_e32 0x7fff, v66
	s_xor_b32 s29, exec_lo, s29
	s_cbranch_execz .LBB69_71
; %bb.70:                               ;   in Loop: Header=BB69_21 Depth=2
	v_lshlrev_b64 v[52:53], 1, v[66:67]
	s_delay_alu instid0(VALU_DEP_1) | instskip(NEXT) | instid1(VALU_DEP_2)
	v_add_co_u32 v52, vcc_lo, s12, v52
	v_add_co_ci_u32_e32 v53, vcc_lo, s13, v53, vcc_lo
	global_load_b128 v[52:55], v[52:53], off
.LBB69_71:                              ;   in Loop: Header=BB69_21 Depth=2
	s_and_not1_saveexec_b32 s29, s29
	s_cbranch_execz .LBB69_16
; %bb.72:                               ;   in Loop: Header=BB69_21 Depth=2
	s_waitcnt vmcnt(0)
	v_add_nc_u32_e32 v52, s6, v85
	s_delay_alu instid0(VALU_DEP_1)
	v_add_nc_u32_e32 v53, 0x600, v52
	v_add_nc_u32_e32 v54, 0x608, v52
	ds_load_2addr_b32 v[52:53], v53 offset1:1
	ds_load_2addr_b32 v[54:55], v54 offset1:1
	s_branch .LBB69_16
.LBB69_73:                              ;   in Loop: Header=BB69_14 Depth=1
	v_cvt_i32_f32_e32 v0, v84
	v_cvt_i32_f32_e32 v1, v83
	;; [unrolled: 1-line block ×3, first 2 shown]
	s_delay_alu instid0(VALU_DEP_3) | instskip(NEXT) | instid1(VALU_DEP_3)
	v_cvt_f32_i32_dpp v0, v0 row_shr:8 row_mask:0xf bank_mask:0xf bound_ctrl:1
	v_cvt_f32_i32_dpp v1, v1 row_shr:8 row_mask:0xf bank_mask:0xf bound_ctrl:1
	s_delay_alu instid0(VALU_DEP_3) | instskip(NEXT) | instid1(VALU_DEP_2)
	v_cvt_f32_i32_dpp v2, v2 row_shr:8 row_mask:0xf bank_mask:0xf bound_ctrl:1
	v_dual_add_f32 v0, v84, v0 :: v_dual_add_f32 v1, v83, v1
	s_delay_alu instid0(VALU_DEP_1) | instskip(NEXT) | instid1(VALU_DEP_2)
	v_cvt_i32_f32_e32 v3, v0
	v_cvt_i32_f32_e32 v4, v1
	s_delay_alu instid0(VALU_DEP_2) | instskip(NEXT) | instid1(VALU_DEP_2)
	v_cvt_f32_i32_dpp v3, v3 row_shr:4 row_mask:0xf bank_mask:0xf bound_ctrl:1
	v_cvt_f32_i32_dpp v4, v4 row_shr:4 row_mask:0xf bank_mask:0xf bound_ctrl:1
	s_delay_alu instid0(VALU_DEP_1) | instskip(NEXT) | instid1(VALU_DEP_1)
	v_dual_add_f32 v2, v82, v2 :: v_dual_add_f32 v1, v1, v4
	v_cvt_i32_f32_e32 v5, v2
	s_delay_alu instid0(VALU_DEP_2) | instskip(NEXT) | instid1(VALU_DEP_2)
	v_cvt_i32_f32_e32 v4, v1
	v_cvt_f32_i32_dpp v5, v5 row_shr:4 row_mask:0xf bank_mask:0xf bound_ctrl:1
	s_delay_alu instid0(VALU_DEP_2) | instskip(SKIP_1) | instid1(VALU_DEP_2)
	v_cvt_f32_i32_dpp v4, v4 row_shr:2 row_mask:0xf bank_mask:0xf bound_ctrl:1
	v_add_f32_e32 v0, v0, v3
	v_dual_add_f32 v2, v2, v5 :: v_dual_add_f32 v1, v1, v4
	s_delay_alu instid0(VALU_DEP_2) | instskip(NEXT) | instid1(VALU_DEP_2)
	v_cvt_i32_f32_e32 v3, v0
	v_cvt_i32_f32_e32 v5, v2
	s_delay_alu instid0(VALU_DEP_2) | instskip(NEXT) | instid1(VALU_DEP_2)
	v_cvt_f32_i32_dpp v3, v3 row_shr:2 row_mask:0xf bank_mask:0xf bound_ctrl:1
	v_cvt_f32_i32_dpp v5, v5 row_shr:2 row_mask:0xf bank_mask:0xf bound_ctrl:1
	s_delay_alu instid0(VALU_DEP_1) | instskip(SKIP_2) | instid1(VALU_DEP_3)
	v_dual_add_f32 v0, v0, v3 :: v_dual_add_f32 v3, v2, v5
	v_xor_b32_e32 v2, 16, v79
	v_cvt_i32_f32_e32 v5, v1
	v_cvt_i32_f32_e32 v4, v0
	s_waitcnt vmcnt(0)
	v_cvt_i32_f32_e32 v6, v3
	v_cmp_gt_i32_e32 vcc_lo, 32, v2
	v_cvt_f32_i32_dpp v5, v5 row_shr:1 row_mask:0xf bank_mask:0xf bound_ctrl:1
	v_cvt_f32_i32_dpp v4, v4 row_shr:1 row_mask:0xf bank_mask:0xf bound_ctrl:1
	s_delay_alu instid0(VALU_DEP_4) | instskip(SKIP_1) | instid1(VALU_DEP_3)
	v_cvt_f32_i32_dpp v6, v6 row_shr:1 row_mask:0xf bank_mask:0xf bound_ctrl:1
	v_cndmask_b32_e32 v2, v79, v2, vcc_lo
	v_add_f32_e32 v4, v0, v4
	s_delay_alu instid0(VALU_DEP_3) | instskip(NEXT) | instid1(VALU_DEP_3)
	v_add_f32_e32 v0, v3, v6
	v_dual_add_f32 v2, v1, v5 :: v_dual_lshlrev_b32 v7, 2, v2
	ds_bpermute_b32 v5, v7, v4
	ds_bpermute_b32 v3, v7, v2
	;; [unrolled: 1-line block ×3, first 2 shown]
	s_and_saveexec_b32 s1, s0
	s_cbranch_execz .LBB69_13
; %bb.74:                               ;   in Loop: Header=BB69_14 Depth=1
	v_dual_mov_b32 v8, 0 :: v_dual_mov_b32 v7, 0
	v_mov_b32_e32 v6, 0
	s_and_not1_b32 vcc_lo, exec_lo, s22
	s_cbranch_vccnz .LBB69_76
; %bb.75:                               ;   in Loop: Header=BB69_14 Depth=1
	v_mul_hi_u32 v6, v64, v81
	s_delay_alu instid0(VALU_DEP_1) | instskip(NEXT) | instid1(VALU_DEP_1)
	v_mul_lo_u32 v6, v6, s16
	v_sub_nc_u32_e32 v6, v64, v6
	s_delay_alu instid0(VALU_DEP_1) | instskip(SKIP_1) | instid1(VALU_DEP_2)
	v_subrev_nc_u32_e32 v7, s16, v6
	v_cmp_le_u32_e32 vcc_lo, s16, v6
	v_cndmask_b32_e32 v6, v6, v7, vcc_lo
	s_delay_alu instid0(VALU_DEP_1) | instskip(SKIP_1) | instid1(VALU_DEP_2)
	v_subrev_nc_u32_e32 v7, s16, v6
	v_cmp_le_u32_e32 vcc_lo, s16, v6
	v_dual_cndmask_b32 v66, v6, v7 :: v_dual_mov_b32 v7, v67
	s_delay_alu instid0(VALU_DEP_1) | instskip(SKIP_2) | instid1(VALU_DEP_3)
	v_add_nc_u32_e32 v6, s24, v66
	v_lshlrev_b64 v[8:9], 1, v[66:67]
	v_add_nc_u32_e32 v66, s25, v66
	v_lshlrev_b64 v[6:7], 1, v[6:7]
	s_delay_alu instid0(VALU_DEP_2) | instskip(NEXT) | instid1(VALU_DEP_4)
	v_lshlrev_b64 v[10:11], 1, v[66:67]
	v_add_co_u32 v8, vcc_lo, s8, v8
	v_add_co_ci_u32_e32 v9, vcc_lo, s9, v9, vcc_lo
	s_delay_alu instid0(VALU_DEP_4)
	v_add_co_u32 v6, vcc_lo, s8, v6
	v_add_co_ci_u32_e32 v7, vcc_lo, s9, v7, vcc_lo
	v_add_co_u32 v10, vcc_lo, s8, v10
	v_add_co_ci_u32_e32 v11, vcc_lo, s9, v11, vcc_lo
	s_clause 0x2
	global_load_u16 v8, v[8:9], off
	global_load_u16 v7, v[6:7], off
	;; [unrolled: 1-line block ×3, first 2 shown]
.LBB69_76:                              ;   in Loop: Header=BB69_14 Depth=1
	v_cmp_ne_u32_e32 vcc_lo, 0, v75
	s_and_b32 exec_lo, exec_lo, vcc_lo
	s_cbranch_execz .LBB69_13
; %bb.77:                               ;   in Loop: Header=BB69_14 Depth=1
	s_waitcnt lgkmcnt(2)
	v_dual_add_f32 v4, v4, v5 :: v_dual_mov_b32 v65, v67
	s_waitcnt vmcnt(2)
	v_cvt_f32_f16_e32 v5, v8
	s_waitcnt lgkmcnt(1)
	v_add_f32_e32 v2, v2, v3
	s_waitcnt vmcnt(1)
	v_cvt_f32_f16_e32 v3, v7
	v_add_nc_u32_e32 v66, s7, v64
	v_add_f32_e32 v4, v4, v5
	s_waitcnt lgkmcnt(0)
	v_add_f32_e32 v5, v0, v1
	v_add_f32_e32 v7, v2, v3
	v_lshlrev_b64 v[0:1], 1, v[64:65]
	v_lshlrev_b64 v[2:3], 1, v[66:67]
	v_cvt_f16_f32_e32 v8, v4
	s_waitcnt vmcnt(0)
	v_cvt_f32_f16_e32 v4, v6
	v_add_nc_u32_e32 v66, s7, v66
	v_cvt_f16_f32_e32 v6, v7
	v_add_co_u32 v0, vcc_lo, s10, v0
	s_delay_alu instid0(VALU_DEP_4) | instskip(NEXT) | instid1(VALU_DEP_4)
	v_add_f32_e32 v7, v5, v4
	v_lshlrev_b64 v[4:5], 1, v[66:67]
	v_add_co_ci_u32_e32 v1, vcc_lo, s11, v1, vcc_lo
	v_add_co_u32 v2, vcc_lo, s10, v2
	v_add_co_ci_u32_e32 v3, vcc_lo, s11, v3, vcc_lo
	s_delay_alu instid0(VALU_DEP_4)
	v_add_co_u32 v4, vcc_lo, s10, v4
	v_cvt_f16_f32_e32 v7, v7
	v_add_co_ci_u32_e32 v5, vcc_lo, s11, v5, vcc_lo
	s_clause 0x2
	global_store_b16 v[0:1], v8, off
	global_store_b16 v[2:3], v6, off
	;; [unrolled: 1-line block ×3, first 2 shown]
	s_branch .LBB69_13
.LBB69_78:
	s_nop 0
	s_sendmsg sendmsg(MSG_DEALLOC_VGPRS)
	s_endpgm
	.section	.rodata,"a",@progbits
	.p2align	6, 0x0
	.amdhsa_kernel _Z12wvSplitK_hf_I6__halfLi32ELi1ELi16ELi8ELi4ELi3EEviiiiiiPKT_S3_S3_PS1_ii
		.amdhsa_group_segment_fixed_size 65536
		.amdhsa_private_segment_fixed_size 0
		.amdhsa_kernarg_size 64
		.amdhsa_user_sgpr_count 15
		.amdhsa_user_sgpr_dispatch_ptr 0
		.amdhsa_user_sgpr_queue_ptr 0
		.amdhsa_user_sgpr_kernarg_segment_ptr 1
		.amdhsa_user_sgpr_dispatch_id 0
		.amdhsa_user_sgpr_private_segment_size 0
		.amdhsa_wavefront_size32 1
		.amdhsa_uses_dynamic_stack 0
		.amdhsa_enable_private_segment 0
		.amdhsa_system_sgpr_workgroup_id_x 1
		.amdhsa_system_sgpr_workgroup_id_y 0
		.amdhsa_system_sgpr_workgroup_id_z 0
		.amdhsa_system_sgpr_workgroup_info 0
		.amdhsa_system_vgpr_workitem_id 1
		.amdhsa_next_free_vgpr 88
		.amdhsa_next_free_sgpr 30
		.amdhsa_reserve_vcc 1
		.amdhsa_float_round_mode_32 0
		.amdhsa_float_round_mode_16_64 0
		.amdhsa_float_denorm_mode_32 3
		.amdhsa_float_denorm_mode_16_64 3
		.amdhsa_dx10_clamp 1
		.amdhsa_ieee_mode 1
		.amdhsa_fp16_overflow 0
		.amdhsa_workgroup_processor_mode 1
		.amdhsa_memory_ordered 1
		.amdhsa_forward_progress 0
		.amdhsa_shared_vgpr_count 0
		.amdhsa_exception_fp_ieee_invalid_op 0
		.amdhsa_exception_fp_denorm_src 0
		.amdhsa_exception_fp_ieee_div_zero 0
		.amdhsa_exception_fp_ieee_overflow 0
		.amdhsa_exception_fp_ieee_underflow 0
		.amdhsa_exception_fp_ieee_inexact 0
		.amdhsa_exception_int_div_zero 0
	.end_amdhsa_kernel
	.section	.text._Z12wvSplitK_hf_I6__halfLi32ELi1ELi16ELi8ELi4ELi3EEviiiiiiPKT_S3_S3_PS1_ii,"axG",@progbits,_Z12wvSplitK_hf_I6__halfLi32ELi1ELi16ELi8ELi4ELi3EEviiiiiiPKT_S3_S3_PS1_ii,comdat
.Lfunc_end69:
	.size	_Z12wvSplitK_hf_I6__halfLi32ELi1ELi16ELi8ELi4ELi3EEviiiiiiPKT_S3_S3_PS1_ii, .Lfunc_end69-_Z12wvSplitK_hf_I6__halfLi32ELi1ELi16ELi8ELi4ELi3EEviiiiiiPKT_S3_S3_PS1_ii
                                        ; -- End function
	.section	.AMDGPU.csdata,"",@progbits
; Kernel info:
; codeLenInByte = 4792
; NumSgprs: 32
; NumVgprs: 88
; ScratchSize: 0
; MemoryBound: 0
; FloatMode: 240
; IeeeMode: 1
; LDSByteSize: 65536 bytes/workgroup (compile time only)
; SGPRBlocks: 3
; VGPRBlocks: 10
; NumSGPRsForWavesPerEU: 32
; NumVGPRsForWavesPerEU: 88
; Occupancy: 8
; WaveLimiterHint : 0
; COMPUTE_PGM_RSRC2:SCRATCH_EN: 0
; COMPUTE_PGM_RSRC2:USER_SGPR: 15
; COMPUTE_PGM_RSRC2:TRAP_HANDLER: 0
; COMPUTE_PGM_RSRC2:TGID_X_EN: 1
; COMPUTE_PGM_RSRC2:TGID_Y_EN: 0
; COMPUTE_PGM_RSRC2:TGID_Z_EN: 0
; COMPUTE_PGM_RSRC2:TIDIG_COMP_CNT: 1
	.section	.text._Z16wvSplitK_hf_big_I6__halfLi32ELi1ELi16ELi8ELi4ELi3EEviiiiiiPKT_S3_S3_PS1_ii,"axG",@progbits,_Z16wvSplitK_hf_big_I6__halfLi32ELi1ELi16ELi8ELi4ELi3EEviiiiiiPKT_S3_S3_PS1_ii,comdat
	.protected	_Z16wvSplitK_hf_big_I6__halfLi32ELi1ELi16ELi8ELi4ELi3EEviiiiiiPKT_S3_S3_PS1_ii ; -- Begin function _Z16wvSplitK_hf_big_I6__halfLi32ELi1ELi16ELi8ELi4ELi3EEviiiiiiPKT_S3_S3_PS1_ii
	.globl	_Z16wvSplitK_hf_big_I6__halfLi32ELi1ELi16ELi8ELi4ELi3EEviiiiiiPKT_S3_S3_PS1_ii
	.p2align	8
	.type	_Z16wvSplitK_hf_big_I6__halfLi32ELi1ELi16ELi8ELi4ELi3EEviiiiiiPKT_S3_S3_PS1_ii,@function
_Z16wvSplitK_hf_big_I6__halfLi32ELi1ELi16ELi8ELi4ELi3EEviiiiiiPKT_S3_S3_PS1_ii: ; @_Z16wvSplitK_hf_big_I6__halfLi32ELi1ELi16ELi8ELi4ELi3EEviiiiiiPKT_S3_S3_PS1_ii
; %bb.0:
	s_load_b64 s[20:21], s[0:1], 0x38
	v_bfe_u32 v1, v0, 10, 10
	s_mov_b32 s2, exec_lo
	s_waitcnt lgkmcnt(0)
	s_delay_alu instid0(VALU_DEP_1)
	v_cmpx_gt_u32_e64 s20, v1
	s_cbranch_execz .LBB70_38
; %bb.1:
	s_load_b128 s[16:19], s[0:1], 0x0
	v_mad_u64_u32 v[64:65], null, s15, s20, v[1:2]
	v_mov_b32_e32 v68, 1
	s_delay_alu instid0(VALU_DEP_2) | instskip(SKIP_2) | instid1(VALU_DEP_2)
	v_add_nc_u32_e32 v2, 1, v64
	s_waitcnt lgkmcnt(0)
	v_cmp_gt_u32_e32 vcc_lo, s19, v64
	v_cmp_le_u32_e64 s2, s19, v2
	s_delay_alu instid0(VALU_DEP_1) | instskip(NEXT) | instid1(SALU_CYCLE_1)
	s_and_b32 s3, vcc_lo, s2
	s_and_saveexec_b32 s2, s3
; %bb.2:
	v_subrev_nc_u32_e32 v2, s19, v64
	s_add_i32 s3, s19, -1
	s_delay_alu instid0(SALU_CYCLE_1) | instskip(NEXT) | instid1(VALU_DEP_2)
	v_mov_b32_e32 v64, s3
	v_cmp_eq_u32_e32 vcc_lo, -1, v2
	v_cndmask_b32_e64 v68, 0, 1, vcc_lo
; %bb.3:
	s_or_b32 exec_lo, exec_lo, s2
	s_abs_i32 s2, s20
	s_abs_i32 s5, s19
	v_cvt_f32_u32_e32 v2, s2
	s_sub_i32 s4, 0, s2
	s_mov_b32 s14, 0
	s_delay_alu instid0(VALU_DEP_1) | instskip(SKIP_2) | instid1(VALU_DEP_1)
	v_rcp_iflag_f32_e32 v2, v2
	s_waitcnt_depctr 0xfff
	v_mul_f32_e32 v2, 0x4f7ffffe, v2
	v_cvt_u32_f32_e32 v2, v2
	s_delay_alu instid0(VALU_DEP_1) | instskip(NEXT) | instid1(VALU_DEP_1)
	v_readfirstlane_b32 s3, v2
	s_mul_i32 s4, s4, s3
	s_delay_alu instid0(SALU_CYCLE_1) | instskip(NEXT) | instid1(SALU_CYCLE_1)
	s_mul_hi_u32 s4, s3, s4
	s_add_i32 s3, s3, s4
	s_ashr_i32 s4, s19, 31
	s_mul_hi_u32 s3, s5, s3
	s_delay_alu instid0(SALU_CYCLE_1) | instskip(NEXT) | instid1(SALU_CYCLE_1)
	s_mul_i32 s3, s3, s2
	s_sub_i32 s3, s5, s3
	s_delay_alu instid0(SALU_CYCLE_1) | instskip(SKIP_2) | instid1(SALU_CYCLE_1)
	s_sub_i32 s5, s3, s2
	s_cmp_ge_u32 s3, s2
	s_cselect_b32 s3, s5, s3
	s_sub_i32 s5, s3, s2
	s_cmp_ge_u32 s3, s2
	s_cselect_b32 s2, s5, s3
	s_add_i32 s3, s20, s19
	s_xor_b32 s2, s2, s4
	s_delay_alu instid0(SALU_CYCLE_1) | instskip(NEXT) | instid1(SALU_CYCLE_1)
	s_sub_i32 s2, s2, s4
	s_sub_i32 s3, s3, s2
	s_cmp_eq_u32 s2, 0
	s_cselect_b32 s3, s19, s3
	s_delay_alu instid0(SALU_CYCLE_1)
	v_cmp_gt_u32_e32 vcc_lo, s3, v64
	s_and_b32 exec_lo, exec_lo, vcc_lo
	s_cbranch_execz .LBB70_38
; %bb.4:
	s_load_b256 s[4:11], s[0:1], 0x10
	s_min_u32 s15, s18, 0x2800
	s_cmp_lg_u32 s16, 0
	s_load_b64 s[12:13], s[0:1], 0x30
	s_cselect_b32 s22, -1, 0
	s_cmp_lg_u32 s18, 0
	v_dual_mov_b32 v67, 0 :: v_dual_and_b32 v0, 0x3ff, v0
	s_cselect_b32 s23, -1, 0
	s_lshl_b32 s24, s20, 8
	s_add_i32 s25, s16, -8
	s_add_i32 s26, s19, -1
	v_lshlrev_b32_e32 v70, 3, v0
	v_cmp_eq_u32_e64 s0, 31, v0
	v_lshlrev_b32_e32 v0, 4, v0
	v_mbcnt_lo_u32_b32 v69, -1, 0
	s_delay_alu instid0(VALU_DEP_4) | instskip(NEXT) | instid1(VALU_DEP_3)
	v_lshl_add_u32 v71, v1, 8, v70
	v_lshl_add_u32 v72, v1, 9, v0
	s_waitcnt lgkmcnt(0)
	s_cmp_lg_u64 s[10:11], 0
	v_cvt_f32_u32_e32 v3, s4
	s_cselect_b32 s27, -1, 0
	s_abs_i32 s2, s5
	s_mul_i32 s5, s21, s20
	v_cvt_f32_u32_e32 v2, s2
	v_rcp_iflag_f32_e32 v3, v3
	s_sub_i32 s29, 0, s2
	s_sub_i32 s21, s5, s19
	;; [unrolled: 1-line block ×3, first 2 shown]
	v_rcp_iflag_f32_e32 v2, v2
	s_add_i32 s21, s21, 2
	s_sub_i32 s30, 1, s2
	v_lshl_add_u32 v73, s18, 1, v71
	v_add_nc_u32_e32 v74, s18, v71
	s_waitcnt_depctr 0xfff
	v_mul_f32_e32 v2, 0x4f7ffffe, v2
	s_delay_alu instid0(VALU_DEP_1) | instskip(NEXT) | instid1(VALU_DEP_1)
	v_cvt_u32_f32_e32 v2, v2
	v_readfirstlane_b32 s1, v2
	v_mul_f32_e32 v2, 0x4f7ffffe, v3
	s_delay_alu instid0(VALU_DEP_2) | instskip(NEXT) | instid1(VALU_DEP_1)
	s_mul_i32 s29, s29, s1
	v_cvt_u32_f32_e32 v2, v2
	s_mul_hi_u32 s29, s1, s29
	s_delay_alu instid0(SALU_CYCLE_1) | instskip(SKIP_1) | instid1(VALU_DEP_1)
	s_add_i32 s1, s1, s29
	s_cmp_lt_u32 s2, 2
	v_mul_lo_u32 v3, s28, v2
	s_cselect_b32 s28, s30, 1
	s_delay_alu instid0(SALU_CYCLE_1) | instskip(SKIP_3) | instid1(VALU_DEP_1)
	s_sub_i32 s29, s28, s2
	s_cmp_ge_u32 s28, s2
	s_cselect_b32 s28, s29, s28
	s_lshr_b32 s1, s1, 31
	v_mul_hi_u32 v3, v2, v3
	s_mul_i32 s1, s1, s2
	s_mul_i32 s28, s28, s4
	s_sub_i32 s1, 2, s1
	s_delay_alu instid0(SALU_CYCLE_1) | instskip(SKIP_2) | instid1(VALU_DEP_1)
	s_sub_i32 s29, s1, s2
	s_cmp_ge_u32 s1, s2
	s_cselect_b32 s1, s29, s1
	v_add_nc_u32_e32 v75, v2, v3
	s_sub_i32 s29, s1, s2
	s_cmp_ge_u32 s1, s2
	s_cselect_b32 s30, s29, s1
	s_lshl_b32 s29, s15, 2
	s_lshl_b32 s20, s20, 9
	s_mul_i32 s30, s30, s4
	s_lshl_b32 s31, s15, 1
	s_branch .LBB70_7
.LBB70_5:                               ;   in Loop: Header=BB70_7 Depth=1
	s_or_b32 exec_lo, exec_lo, s1
.LBB70_6:                               ;   in Loop: Header=BB70_7 Depth=1
	s_delay_alu instid0(SALU_CYCLE_1) | instskip(NEXT) | instid1(VALU_DEP_1)
	s_or_b32 exec_lo, exec_lo, s2
	v_cmp_le_u32_e32 vcc_lo, s3, v0
	v_mov_b32_e32 v64, v0
	s_or_b32 s14, vcc_lo, s14
	s_delay_alu instid0(SALU_CYCLE_1)
	s_and_not1_b32 exec_lo, exec_lo, s14
	s_cbranch_execz .LBB70_38
.LBB70_7:                               ; =>This Loop Header: Depth=1
                                        ;     Child Loop BB70_14 Depth 2
                                        ;       Child Loop BB70_19 Depth 3
	v_mov_b32_e32 v77, v67
	v_mov_b32_e32 v76, v67
	;; [unrolled: 1-line block ×3, first 2 shown]
	s_and_not1_b32 vcc_lo, exec_lo, s22
	s_mov_b32 s33, 0
	s_cbranch_vccnz .LBB70_28
; %bb.8:                                ;   in Loop: Header=BB70_7 Depth=1
	v_min_u32_e32 v0, s26, v64
	v_cmp_gt_u32_e64 s1, s19, v64
	v_dual_mov_b32 v65, 0 :: v_dual_mov_b32 v76, 0
	v_mov_b32_e32 v77, 0
	s_delay_alu instid0(VALU_DEP_4) | instskip(SKIP_1) | instid1(VALU_DEP_1)
	v_mul_lo_u32 v66, v0, s17
	s_mov_b32 s34, 0
	v_lshlrev_b64 v[0:1], 1, v[66:67]
	s_delay_alu instid0(VALU_DEP_1) | instskip(NEXT) | instid1(VALU_DEP_2)
	v_add_co_u32 v78, vcc_lo, s6, v0
	v_add_co_ci_u32_e32 v79, vcc_lo, s7, v1, vcc_lo
	s_branch .LBB70_14
.LBB70_9:                               ;   in Loop: Header=BB70_14 Depth=2
	s_or_b32 exec_lo, exec_lo, s38
.LBB70_10:                              ;   in Loop: Header=BB70_14 Depth=2
	s_delay_alu instid0(SALU_CYCLE_1)
	s_or_b32 exec_lo, exec_lo, s37
.LBB70_11:                              ;   in Loop: Header=BB70_14 Depth=2
	s_delay_alu instid0(SALU_CYCLE_1)
	s_or_b32 exec_lo, exec_lo, s36
.LBB70_12:                              ;   in Loop: Header=BB70_14 Depth=2
	s_delay_alu instid0(SALU_CYCLE_1)
	s_or_b32 exec_lo, exec_lo, s35
	s_waitcnt vmcnt(3) lgkmcnt(2)
	;;#ASMSTART
	v_dot2_f32_f16 v77, v60, v32, v77
	;;#ASMEND
	s_waitcnt lgkmcnt(1)
	;;#ASMSTART
	v_dot2_f32_f16 v76, v52, v32, v76
	;;#ASMEND
	s_waitcnt lgkmcnt(0)
	;;#ASMSTART
	v_dot2_f32_f16 v65, v56, v32, v65
	;;#ASMEND
	;;#ASMSTART
	v_dot2_f32_f16 v77, v61, v33, v77
	;;#ASMEND
	;;#ASMSTART
	v_dot2_f32_f16 v76, v53, v33, v76
	;;#ASMEND
	;;#ASMSTART
	v_dot2_f32_f16 v65, v57, v33, v65
	;;#ASMEND
	;;#ASMSTART
	v_dot2_f32_f16 v77, v62, v34, v77
	;;#ASMEND
	;;#ASMSTART
	v_dot2_f32_f16 v76, v54, v34, v76
	;;#ASMEND
	;;#ASMSTART
	v_dot2_f32_f16 v65, v58, v34, v65
	;;#ASMEND
	;;#ASMSTART
	v_dot2_f32_f16 v77, v63, v35, v77
	;;#ASMEND
	;;#ASMSTART
	v_dot2_f32_f16 v76, v55, v35, v76
	;;#ASMEND
	;;#ASMSTART
	v_dot2_f32_f16 v65, v59, v35, v65
	;;#ASMEND
	s_waitcnt vmcnt(2)
	;;#ASMSTART
	v_dot2_f32_f16 v77, v48, v16, v77
	;;#ASMEND
	;;#ASMSTART
	v_dot2_f32_f16 v76, v44, v16, v76
	;;#ASMEND
	;;#ASMSTART
	v_dot2_f32_f16 v65, v36, v16, v65
	;;#ASMEND
	;;#ASMSTART
	v_dot2_f32_f16 v77, v49, v17, v77
	;;#ASMEND
	;;#ASMSTART
	v_dot2_f32_f16 v76, v45, v17, v76
	;;#ASMEND
	;;#ASMSTART
	v_dot2_f32_f16 v65, v37, v17, v65
	;;#ASMEND
	;;#ASMSTART
	v_dot2_f32_f16 v77, v50, v18, v77
	;;#ASMEND
	;;#ASMSTART
	v_dot2_f32_f16 v76, v46, v18, v76
	;;#ASMEND
	;;#ASMSTART
	v_dot2_f32_f16 v65, v38, v18, v65
	;;#ASMEND
	;;#ASMSTART
	v_dot2_f32_f16 v77, v51, v19, v77
	;;#ASMEND
	;;#ASMSTART
	v_dot2_f32_f16 v76, v47, v19, v76
	;;#ASMEND
	;;#ASMSTART
	v_dot2_f32_f16 v65, v39, v19, v65
	;;#ASMEND
	s_waitcnt vmcnt(1)
	;;#ASMSTART
	v_dot2_f32_f16 v77, v40, v4, v77
	;;#ASMEND
	;;#ASMSTART
	v_dot2_f32_f16 v76, v28, v4, v76
	;;#ASMEND
	;; [unrolled: 37-line block ×3, first 2 shown]
	;;#ASMSTART
	v_dot2_f32_f16 v65, v8, v0, v65
	;;#ASMEND
	;;#ASMSTART
	v_dot2_f32_f16 v77, v25, v1, v77
	;;#ASMEND
	;; [unrolled: 3-line block ×10, first 2 shown]
.LBB70_13:                              ;   in Loop: Header=BB70_14 Depth=2
	s_or_b32 exec_lo, exec_lo, s2
	s_addk_i32 s34, 0x400
	s_delay_alu instid0(SALU_CYCLE_1)
	s_cmp_ge_u32 s34, s16
	s_cbranch_scc1 .LBB70_28
.LBB70_14:                              ;   Parent Loop BB70_7 Depth=1
                                        ; =>  This Loop Header: Depth=2
                                        ;       Child Loop BB70_19 Depth 3
	s_cmp_eq_u32 s34, 0
	s_cselect_b32 s35, -1, 0
	s_add_i32 s2, s33, s15
	s_delay_alu instid0(SALU_CYCLE_1) | instskip(SKIP_1) | instid1(SALU_CYCLE_1)
	s_cmp_eq_u32 s34, s2
	s_cselect_b32 s36, -1, 0
	s_or_b32 s36, s35, s36
	s_delay_alu instid0(SALU_CYCLE_1)
	s_and_not1_b32 vcc_lo, exec_lo, s36
	s_cbranch_vccz .LBB70_16
; %bb.15:                               ;   in Loop: Header=BB70_14 Depth=2
	s_and_saveexec_b32 s2, s1
	s_cbranch_execz .LBB70_13
	s_branch .LBB70_23
.LBB70_16:                              ;   in Loop: Header=BB70_14 Depth=2
	s_and_b32 s35, s35, exec_lo
	s_cselect_b32 s33, s33, s2
	s_and_not1_b32 vcc_lo, exec_lo, s23
	s_waitcnt vmcnt(0)
	s_waitcnt_vscnt null, 0x0
	s_barrier
	buffer_gl0_inv
	s_cbranch_vccnz .LBB70_22
; %bb.17:                               ;   in Loop: Header=BB70_14 Depth=2
	v_dual_mov_b32 v3, v72 :: v_dual_add_nc_u32 v0, s33, v73
	v_add_nc_u32_e32 v1, s33, v74
	v_add_nc_u32_e32 v2, s33, v71
	s_mov_b32 s35, 0
	s_mov_b32 s36, 0
                                        ; implicit-def: $sgpr37
	s_branch .LBB70_19
.LBB70_18:                              ;   in Loop: Header=BB70_19 Depth=3
	s_or_b32 exec_lo, exec_lo, s2
	s_delay_alu instid0(SALU_CYCLE_1) | instskip(NEXT) | instid1(SALU_CYCLE_1)
	s_and_b32 s2, exec_lo, s37
	s_or_b32 s35, s2, s35
	s_delay_alu instid0(SALU_CYCLE_1)
	s_and_not1_b32 exec_lo, exec_lo, s35
	s_cbranch_execz .LBB70_21
.LBB70_19:                              ;   Parent Loop BB70_7 Depth=1
                                        ;     Parent Loop BB70_14 Depth=2
                                        ; =>    This Inner Loop Header: Depth=3
	s_delay_alu instid0(VALU_DEP_1) | instskip(SKIP_2) | instid1(VALU_DEP_2)
	v_add_nc_u32_e32 v66, s36, v2
	v_add_nc_u32_e32 v4, s36, v71
	s_or_b32 s37, s37, exec_lo
	v_cmp_gt_u32_e32 vcc_lo, s18, v66
	s_delay_alu instid0(VALU_DEP_2) | instskip(NEXT) | instid1(VALU_DEP_1)
	v_cmp_gt_u32_e64 s2, s15, v4
	s_and_b32 s38, s2, vcc_lo
	s_delay_alu instid0(SALU_CYCLE_1)
	s_and_saveexec_b32 s2, s38
	s_cbranch_execz .LBB70_18
; %bb.20:                               ;   in Loop: Header=BB70_19 Depth=3
	v_lshlrev_b64 v[4:5], 1, v[66:67]
	v_add_nc_u32_e32 v66, s36, v1
	v_add_nc_u32_e32 v16, s31, v3
	v_add_nc_u32_e32 v17, s29, v3
	s_delay_alu instid0(VALU_DEP_3) | instskip(SKIP_3) | instid1(VALU_DEP_3)
	v_lshlrev_b64 v[6:7], 1, v[66:67]
	v_add_nc_u32_e32 v66, s36, v0
	v_add_co_u32 v4, vcc_lo, s8, v4
	v_add_co_ci_u32_e32 v5, vcc_lo, s9, v5, vcc_lo
	v_lshlrev_b64 v[8:9], 1, v[66:67]
	v_add_co_u32 v10, vcc_lo, s8, v6
	v_add_co_ci_u32_e32 v11, vcc_lo, s9, v7, vcc_lo
	s_add_i32 s36, s36, s24
	s_delay_alu instid0(VALU_DEP_3) | instskip(NEXT) | instid1(VALU_DEP_4)
	v_add_co_u32 v12, vcc_lo, s8, v8
	v_add_co_ci_u32_e32 v13, vcc_lo, s9, v9, vcc_lo
	s_clause 0x2
	global_load_b128 v[4:7], v[4:5], off
	global_load_b128 v[8:11], v[10:11], off
	;; [unrolled: 1-line block ×3, first 2 shown]
	s_cmp_ge_u32 s36, s15
	s_cselect_b32 s38, -1, 0
	s_and_not1_b32 s37, s37, exec_lo
	s_and_b32 s38, s38, exec_lo
	s_delay_alu instid0(SALU_CYCLE_1)
	s_or_b32 s37, s37, s38
	s_waitcnt vmcnt(2)
	ds_store_b128 v3, v[4:7]
	v_add_nc_u32_e32 v3, s20, v3
	s_waitcnt vmcnt(1)
	ds_store_2addr_b64 v16, v[8:9], v[10:11] offset1:1
	s_waitcnt vmcnt(0)
	ds_store_2addr_b32 v17, v12, v13 offset1:1
	ds_store_2addr_b32 v17, v14, v15 offset0:2 offset1:3
	s_branch .LBB70_18
.LBB70_21:                              ;   in Loop: Header=BB70_14 Depth=2
	s_or_b32 exec_lo, exec_lo, s35
.LBB70_22:                              ;   in Loop: Header=BB70_14 Depth=2
	s_waitcnt lgkmcnt(0)
	s_barrier
	buffer_gl0_inv
	s_and_saveexec_b32 s2, s1
	s_cbranch_execz .LBB70_13
.LBB70_23:                              ;   in Loop: Header=BB70_14 Depth=2
	v_dual_mov_b32 v61, 0 :: v_dual_add_nc_u32 v82, s34, v70
	v_dual_mov_b32 v49, 0 :: v_dual_mov_b32 v50, 0
	v_dual_mov_b32 v51, 0 :: v_dual_mov_b32 v40, 0
	s_delay_alu instid0(VALU_DEP_3) | instskip(SKIP_2) | instid1(VALU_DEP_3)
	v_min_u32_e32 v66, s25, v82
	v_dual_mov_b32 v62, 0 :: v_dual_add_nc_u32 v83, 0x100, v82
	v_dual_mov_b32 v48, 0 :: v_dual_add_nc_u32 v81, 0x200, v82
	v_lshlrev_b64 v[0:1], 1, v[66:67]
	s_delay_alu instid0(VALU_DEP_3) | instskip(SKIP_2) | instid1(VALU_DEP_3)
	v_min_u32_e32 v66, s25, v83
	v_dual_mov_b32 v63, 0 :: v_dual_add_nc_u32 v80, 0x300, v82
	v_dual_mov_b32 v41, 0 :: v_dual_mov_b32 v42, 0
	v_lshlrev_b64 v[2:3], 1, v[66:67]
	v_min_u32_e32 v66, s25, v81
	v_add_co_u32 v0, vcc_lo, v78, v0
	v_add_co_ci_u32_e32 v1, vcc_lo, v79, v1, vcc_lo
	s_delay_alu instid0(VALU_DEP_3) | instskip(SKIP_4) | instid1(VALU_DEP_3)
	v_lshlrev_b64 v[4:5], 1, v[66:67]
	v_min_u32_e32 v66, s25, v80
	v_add_co_u32 v2, vcc_lo, v78, v2
	v_add_co_ci_u32_e32 v3, vcc_lo, v79, v3, vcc_lo
	s_waitcnt vmcnt(0)
	v_lshlrev_b64 v[6:7], 1, v[66:67]
	v_add_co_u32 v4, vcc_lo, v78, v4
	v_add_co_ci_u32_e32 v5, vcc_lo, v79, v5, vcc_lo
	v_dual_mov_b32 v43, 0 :: v_dual_mov_b32 v24, 0
	s_delay_alu instid0(VALU_DEP_4)
	v_add_co_u32 v8, vcc_lo, v78, v6
	v_add_co_ci_u32_e32 v9, vcc_lo, v79, v7, vcc_lo
	s_clause 0x3
	global_load_b128 v[32:35], v[0:1], off slc dlc
	global_load_b128 v[16:19], v[2:3], off slc dlc
	;; [unrolled: 1-line block ×4, first 2 shown]
	v_cmp_gt_u32_e32 vcc_lo, s16, v82
	v_dual_mov_b32 v25, 0 :: v_dual_mov_b32 v26, 0
	v_dual_mov_b32 v27, 0 :: v_dual_mov_b32 v52, 0
	;; [unrolled: 1-line block ×18, first 2 shown]
	s_and_saveexec_b32 s35, vcc_lo
	s_cbranch_execz .LBB70_12
; %bb.24:                               ;   in Loop: Header=BB70_14 Depth=2
	v_subrev_nc_u32_e32 v8, s33, v82
	v_mov_b32_e32 v9, 0
	v_cmp_gt_u32_e32 vcc_lo, s16, v83
	v_dual_mov_b32 v11, 0 :: v_dual_mov_b32 v10, 0
	s_delay_alu instid0(VALU_DEP_4) | instskip(SKIP_2) | instid1(VALU_DEP_3)
	v_lshlrev_b32_e32 v66, 1, v8
	v_dual_mov_b32 v8, 0 :: v_dual_mov_b32 v23, 0
	v_dual_mov_b32 v22, 0 :: v_dual_mov_b32 v21, 0
	v_dual_mov_b32 v39, 0 :: v_dual_add_nc_u32 v82, s31, v66
	v_mov_b32_e32 v38, 0
	v_dual_mov_b32 v20, 0 :: v_dual_mov_b32 v37, 0
	s_delay_alu instid0(VALU_DEP_3)
	v_dual_mov_b32 v36, 0 :: v_dual_add_nc_u32 v83, s31, v82
	v_mov_b32_e32 v15, 0
	ds_load_b128 v[60:63], v66
	ds_load_b128 v[52:55], v82
	;; [unrolled: 1-line block ×3, first 2 shown]
	v_dual_mov_b32 v14, 0 :: v_dual_mov_b32 v13, 0
	v_dual_mov_b32 v12, 0 :: v_dual_mov_b32 v31, 0
	;; [unrolled: 1-line block ×11, first 2 shown]
	v_mov_b32_e32 v48, 0
	s_and_saveexec_b32 s36, vcc_lo
	s_cbranch_execz .LBB70_11
; %bb.25:                               ;   in Loop: Header=BB70_14 Depth=2
	ds_load_b128 v[48:51], v66 offset:512
	ds_load_b128 v[44:47], v82 offset:512
	;; [unrolled: 1-line block ×3, first 2 shown]
	v_cmp_gt_u32_e32 vcc_lo, s16, v81
	v_dual_mov_b32 v11, 0 :: v_dual_mov_b32 v10, 0
	v_dual_mov_b32 v9, 0 :: v_dual_mov_b32 v8, 0
	;; [unrolled: 1-line block ×12, first 2 shown]
	s_and_saveexec_b32 s37, vcc_lo
	s_cbranch_execz .LBB70_10
; %bb.26:                               ;   in Loop: Header=BB70_14 Depth=2
	ds_load_b128 v[40:43], v66 offset:1024
	ds_load_b128 v[28:31], v82 offset:1024
	;; [unrolled: 1-line block ×3, first 2 shown]
	v_dual_mov_b32 v11, 0 :: v_dual_mov_b32 v10, 0
	v_dual_mov_b32 v9, 0 :: v_dual_mov_b32 v8, 0
	;; [unrolled: 1-line block ×6, first 2 shown]
	s_mov_b32 s38, exec_lo
	v_cmpx_gt_u32_e64 s16, v80
	s_cbranch_execz .LBB70_9
; %bb.27:                               ;   in Loop: Header=BB70_14 Depth=2
	ds_load_b128 v[24:27], v66 offset:1536
	ds_load_b128 v[12:15], v82 offset:1536
	;; [unrolled: 1-line block ×3, first 2 shown]
	s_branch .LBB70_9
.LBB70_28:                              ;   in Loop: Header=BB70_7 Depth=1
	s_mov_b32 s1, exec_lo
                                        ; implicit-def: $vgpr0
	v_cmpx_le_u32_e64 s19, v64
	s_xor_b32 s1, exec_lo, s1
; %bb.29:                               ;   in Loop: Header=BB70_7 Depth=1
	v_add_nc_u32_e32 v0, s5, v64
                                        ; implicit-def: $vgpr64
                                        ; implicit-def: $vgpr77
                                        ; implicit-def: $vgpr76
                                        ; implicit-def: $vgpr65
; %bb.30:                               ;   in Loop: Header=BB70_7 Depth=1
	s_and_not1_saveexec_b32 s2, s1
	s_cbranch_execz .LBB70_6
; %bb.31:                               ;   in Loop: Header=BB70_7 Depth=1
	v_cvt_i32_f32_e32 v0, v77
	v_cvt_i32_f32_e32 v1, v76
	;; [unrolled: 1-line block ×3, first 2 shown]
	s_delay_alu instid0(VALU_DEP_3) | instskip(NEXT) | instid1(VALU_DEP_3)
	v_cvt_f32_i32_dpp v0, v0 row_shr:8 row_mask:0xf bank_mask:0xf bound_ctrl:1
	v_cvt_f32_i32_dpp v1, v1 row_shr:8 row_mask:0xf bank_mask:0xf bound_ctrl:1
	s_delay_alu instid0(VALU_DEP_3) | instskip(NEXT) | instid1(VALU_DEP_2)
	v_cvt_f32_i32_dpp v2, v2 row_shr:8 row_mask:0xf bank_mask:0xf bound_ctrl:1
	v_dual_add_f32 v0, v77, v0 :: v_dual_add_f32 v1, v76, v1
	s_delay_alu instid0(VALU_DEP_2) | instskip(NEXT) | instid1(VALU_DEP_2)
	v_add_f32_e32 v2, v65, v2
	v_cvt_i32_f32_e32 v3, v0
	s_delay_alu instid0(VALU_DEP_3) | instskip(NEXT) | instid1(VALU_DEP_3)
	v_cvt_i32_f32_e32 v4, v1
	v_cvt_i32_f32_e32 v5, v2
	s_delay_alu instid0(VALU_DEP_3) | instskip(NEXT) | instid1(VALU_DEP_3)
	v_cvt_f32_i32_dpp v3, v3 row_shr:4 row_mask:0xf bank_mask:0xf bound_ctrl:1
	v_cvt_f32_i32_dpp v4, v4 row_shr:4 row_mask:0xf bank_mask:0xf bound_ctrl:1
	s_delay_alu instid0(VALU_DEP_3) | instskip(NEXT) | instid1(VALU_DEP_2)
	v_cvt_f32_i32_dpp v5, v5 row_shr:4 row_mask:0xf bank_mask:0xf bound_ctrl:1
	v_dual_add_f32 v0, v0, v3 :: v_dual_add_f32 v1, v1, v4
	s_delay_alu instid0(VALU_DEP_1) | instskip(NEXT) | instid1(VALU_DEP_2)
	v_cvt_i32_f32_e32 v3, v0
	v_cvt_i32_f32_e32 v4, v1
	s_delay_alu instid0(VALU_DEP_2) | instskip(NEXT) | instid1(VALU_DEP_2)
	v_cvt_f32_i32_dpp v3, v3 row_shr:2 row_mask:0xf bank_mask:0xf bound_ctrl:1
	v_cvt_f32_i32_dpp v4, v4 row_shr:2 row_mask:0xf bank_mask:0xf bound_ctrl:1
	s_delay_alu instid0(VALU_DEP_1) | instskip(NEXT) | instid1(VALU_DEP_1)
	v_dual_add_f32 v2, v2, v5 :: v_dual_add_f32 v1, v1, v4
	v_cvt_i32_f32_e32 v5, v2
	s_delay_alu instid0(VALU_DEP_1) | instskip(NEXT) | instid1(VALU_DEP_1)
	v_cvt_f32_i32_dpp v5, v5 row_shr:2 row_mask:0xf bank_mask:0xf bound_ctrl:1
	v_dual_add_f32 v0, v0, v3 :: v_dual_add_f32 v3, v2, v5
	v_xor_b32_e32 v2, 16, v69
	s_delay_alu instid0(VALU_DEP_2)
	v_cvt_i32_f32_e32 v4, v0
	v_cvt_i32_f32_e32 v5, v1
	s_waitcnt vmcnt(0)
	v_cvt_i32_f32_e32 v6, v3
	v_cmp_gt_i32_e32 vcc_lo, 32, v2
	v_cvt_f32_i32_dpp v4, v4 row_shr:1 row_mask:0xf bank_mask:0xf bound_ctrl:1
	v_cvt_f32_i32_dpp v5, v5 row_shr:1 row_mask:0xf bank_mask:0xf bound_ctrl:1
	s_delay_alu instid0(VALU_DEP_4) | instskip(SKIP_1) | instid1(VALU_DEP_4)
	v_cvt_f32_i32_dpp v6, v6 row_shr:1 row_mask:0xf bank_mask:0xf bound_ctrl:1
	v_cndmask_b32_e32 v2, v69, v2, vcc_lo
	v_add_f32_e32 v4, v0, v4
	s_delay_alu instid0(VALU_DEP_3) | instskip(NEXT) | instid1(VALU_DEP_3)
	v_add_f32_e32 v0, v3, v6
	v_dual_add_f32 v2, v1, v5 :: v_dual_lshlrev_b32 v7, 2, v2
	ds_bpermute_b32 v5, v7, v4
	ds_bpermute_b32 v3, v7, v2
	;; [unrolled: 1-line block ×3, first 2 shown]
	s_and_saveexec_b32 s1, s0
	s_cbranch_execz .LBB70_36
; %bb.32:                               ;   in Loop: Header=BB70_7 Depth=1
	v_dual_mov_b32 v8, 0 :: v_dual_mov_b32 v7, 0
	v_mov_b32_e32 v6, 0
	s_and_not1_b32 vcc_lo, exec_lo, s27
	s_cbranch_vccnz .LBB70_34
; %bb.33:                               ;   in Loop: Header=BB70_7 Depth=1
	v_mul_hi_u32 v6, v64, v75
	s_delay_alu instid0(VALU_DEP_1) | instskip(NEXT) | instid1(VALU_DEP_1)
	v_mul_lo_u32 v6, v6, s4
	v_sub_nc_u32_e32 v6, v64, v6
	s_delay_alu instid0(VALU_DEP_1) | instskip(SKIP_1) | instid1(VALU_DEP_2)
	v_subrev_nc_u32_e32 v7, s4, v6
	v_cmp_le_u32_e32 vcc_lo, s4, v6
	v_cndmask_b32_e32 v6, v6, v7, vcc_lo
	s_delay_alu instid0(VALU_DEP_1) | instskip(SKIP_1) | instid1(VALU_DEP_2)
	v_subrev_nc_u32_e32 v7, s4, v6
	v_cmp_le_u32_e32 vcc_lo, s4, v6
	v_dual_cndmask_b32 v66, v6, v7 :: v_dual_mov_b32 v7, v67
	s_delay_alu instid0(VALU_DEP_1) | instskip(SKIP_2) | instid1(VALU_DEP_3)
	v_add_nc_u32_e32 v6, s28, v66
	v_lshlrev_b64 v[8:9], 1, v[66:67]
	v_add_nc_u32_e32 v66, s30, v66
	v_lshlrev_b64 v[6:7], 1, v[6:7]
	s_delay_alu instid0(VALU_DEP_2) | instskip(NEXT) | instid1(VALU_DEP_4)
	v_lshlrev_b64 v[10:11], 1, v[66:67]
	v_add_co_u32 v8, vcc_lo, s10, v8
	v_add_co_ci_u32_e32 v9, vcc_lo, s11, v9, vcc_lo
	s_delay_alu instid0(VALU_DEP_4)
	v_add_co_u32 v6, vcc_lo, s10, v6
	v_add_co_ci_u32_e32 v7, vcc_lo, s11, v7, vcc_lo
	v_add_co_u32 v10, vcc_lo, s10, v10
	v_add_co_ci_u32_e32 v11, vcc_lo, s11, v11, vcc_lo
	s_clause 0x2
	global_load_u16 v8, v[8:9], off
	global_load_u16 v7, v[6:7], off
	;; [unrolled: 1-line block ×3, first 2 shown]
.LBB70_34:                              ;   in Loop: Header=BB70_7 Depth=1
	v_cmp_ne_u32_e32 vcc_lo, 0, v68
	s_and_b32 exec_lo, exec_lo, vcc_lo
	s_cbranch_execz .LBB70_36
; %bb.35:                               ;   in Loop: Header=BB70_7 Depth=1
	s_waitcnt lgkmcnt(2)
	v_dual_add_f32 v4, v4, v5 :: v_dual_mov_b32 v65, v67
	s_waitcnt vmcnt(2)
	v_cvt_f32_f16_e32 v5, v8
	s_waitcnt lgkmcnt(1)
	v_add_f32_e32 v2, v2, v3
	s_waitcnt vmcnt(1)
	v_cvt_f32_f16_e32 v3, v7
	v_add_nc_u32_e32 v66, s19, v64
	v_add_f32_e32 v4, v4, v5
	s_waitcnt lgkmcnt(0)
	v_add_f32_e32 v5, v0, v1
	v_add_f32_e32 v7, v2, v3
	v_lshlrev_b64 v[0:1], 1, v[64:65]
	v_lshlrev_b64 v[2:3], 1, v[66:67]
	v_cvt_f16_f32_e32 v8, v4
	s_waitcnt vmcnt(0)
	v_cvt_f32_f16_e32 v4, v6
	v_add_nc_u32_e32 v66, s19, v66
	v_cvt_f16_f32_e32 v6, v7
	v_add_co_u32 v0, vcc_lo, s12, v0
	s_delay_alu instid0(VALU_DEP_4) | instskip(NEXT) | instid1(VALU_DEP_4)
	v_add_f32_e32 v7, v5, v4
	v_lshlrev_b64 v[4:5], 1, v[66:67]
	v_add_co_ci_u32_e32 v1, vcc_lo, s13, v1, vcc_lo
	v_add_co_u32 v2, vcc_lo, s12, v2
	v_add_co_ci_u32_e32 v3, vcc_lo, s13, v3, vcc_lo
	s_delay_alu instid0(VALU_DEP_4)
	v_add_co_u32 v4, vcc_lo, s12, v4
	v_cvt_f16_f32_e32 v7, v7
	v_add_co_ci_u32_e32 v5, vcc_lo, s13, v5, vcc_lo
	s_clause 0x2
	global_store_b16 v[0:1], v8, off
	global_store_b16 v[2:3], v6, off
	;; [unrolled: 1-line block ×3, first 2 shown]
.LBB70_36:                              ;   in Loop: Header=BB70_7 Depth=1
	s_or_b32 exec_lo, exec_lo, s1
	v_add_nc_u32_e32 v0, s5, v64
	s_waitcnt lgkmcnt(0)
	s_delay_alu instid0(VALU_DEP_1) | instskip(SKIP_1) | instid1(VALU_DEP_2)
	v_add_nc_u32_e32 v1, 1, v0
	v_cmp_gt_u32_e32 vcc_lo, s19, v0
	v_cmp_le_u32_e64 s1, s19, v1
	s_delay_alu instid0(VALU_DEP_1) | instskip(NEXT) | instid1(SALU_CYCLE_1)
	s_and_b32 s33, vcc_lo, s1
	s_and_saveexec_b32 s1, s33
	s_cbranch_execz .LBB70_5
; %bb.37:                               ;   in Loop: Header=BB70_7 Depth=1
	v_add_nc_u32_e32 v0, s21, v64
	s_delay_alu instid0(VALU_DEP_1)
	v_cmp_eq_u32_e32 vcc_lo, 1, v0
	v_mov_b32_e32 v0, s26
	v_cndmask_b32_e32 v68, 0, v68, vcc_lo
	s_branch .LBB70_5
.LBB70_38:
	s_nop 0
	s_sendmsg sendmsg(MSG_DEALLOC_VGPRS)
	s_endpgm
	.section	.rodata,"a",@progbits
	.p2align	6, 0x0
	.amdhsa_kernel _Z16wvSplitK_hf_big_I6__halfLi32ELi1ELi16ELi8ELi4ELi3EEviiiiiiPKT_S3_S3_PS1_ii
		.amdhsa_group_segment_fixed_size 65536
		.amdhsa_private_segment_fixed_size 0
		.amdhsa_kernarg_size 64
		.amdhsa_user_sgpr_count 15
		.amdhsa_user_sgpr_dispatch_ptr 0
		.amdhsa_user_sgpr_queue_ptr 0
		.amdhsa_user_sgpr_kernarg_segment_ptr 1
		.amdhsa_user_sgpr_dispatch_id 0
		.amdhsa_user_sgpr_private_segment_size 0
		.amdhsa_wavefront_size32 1
		.amdhsa_uses_dynamic_stack 0
		.amdhsa_enable_private_segment 0
		.amdhsa_system_sgpr_workgroup_id_x 1
		.amdhsa_system_sgpr_workgroup_id_y 0
		.amdhsa_system_sgpr_workgroup_id_z 0
		.amdhsa_system_sgpr_workgroup_info 0
		.amdhsa_system_vgpr_workitem_id 1
		.amdhsa_next_free_vgpr 84
		.amdhsa_next_free_sgpr 39
		.amdhsa_reserve_vcc 1
		.amdhsa_float_round_mode_32 0
		.amdhsa_float_round_mode_16_64 0
		.amdhsa_float_denorm_mode_32 3
		.amdhsa_float_denorm_mode_16_64 3
		.amdhsa_dx10_clamp 1
		.amdhsa_ieee_mode 1
		.amdhsa_fp16_overflow 0
		.amdhsa_workgroup_processor_mode 1
		.amdhsa_memory_ordered 1
		.amdhsa_forward_progress 0
		.amdhsa_shared_vgpr_count 0
		.amdhsa_exception_fp_ieee_invalid_op 0
		.amdhsa_exception_fp_denorm_src 0
		.amdhsa_exception_fp_ieee_div_zero 0
		.amdhsa_exception_fp_ieee_overflow 0
		.amdhsa_exception_fp_ieee_underflow 0
		.amdhsa_exception_fp_ieee_inexact 0
		.amdhsa_exception_int_div_zero 0
	.end_amdhsa_kernel
	.section	.text._Z16wvSplitK_hf_big_I6__halfLi32ELi1ELi16ELi8ELi4ELi3EEviiiiiiPKT_S3_S3_PS1_ii,"axG",@progbits,_Z16wvSplitK_hf_big_I6__halfLi32ELi1ELi16ELi8ELi4ELi3EEviiiiiiPKT_S3_S3_PS1_ii,comdat
.Lfunc_end70:
	.size	_Z16wvSplitK_hf_big_I6__halfLi32ELi1ELi16ELi8ELi4ELi3EEviiiiiiPKT_S3_S3_PS1_ii, .Lfunc_end70-_Z16wvSplitK_hf_big_I6__halfLi32ELi1ELi16ELi8ELi4ELi3EEviiiiiiPKT_S3_S3_PS1_ii
                                        ; -- End function
	.section	.AMDGPU.csdata,"",@progbits
; Kernel info:
; codeLenInByte = 3824
; NumSgprs: 41
; NumVgprs: 84
; ScratchSize: 0
; MemoryBound: 0
; FloatMode: 240
; IeeeMode: 1
; LDSByteSize: 65536 bytes/workgroup (compile time only)
; SGPRBlocks: 5
; VGPRBlocks: 10
; NumSGPRsForWavesPerEU: 41
; NumVGPRsForWavesPerEU: 84
; Occupancy: 8
; WaveLimiterHint : 0
; COMPUTE_PGM_RSRC2:SCRATCH_EN: 0
; COMPUTE_PGM_RSRC2:USER_SGPR: 15
; COMPUTE_PGM_RSRC2:TRAP_HANDLER: 0
; COMPUTE_PGM_RSRC2:TGID_X_EN: 1
; COMPUTE_PGM_RSRC2:TGID_Y_EN: 0
; COMPUTE_PGM_RSRC2:TGID_Z_EN: 0
; COMPUTE_PGM_RSRC2:TIDIG_COMP_CNT: 1
	.section	.text._Z16wvSplitK_hf_sml_I6__halfLi32ELi2ELi16ELi8ELi2ELi3EEviiiiiiPKT_S3_S3_PS1_ii,"axG",@progbits,_Z16wvSplitK_hf_sml_I6__halfLi32ELi2ELi16ELi8ELi2ELi3EEviiiiiiPKT_S3_S3_PS1_ii,comdat
	.protected	_Z16wvSplitK_hf_sml_I6__halfLi32ELi2ELi16ELi8ELi2ELi3EEviiiiiiPKT_S3_S3_PS1_ii ; -- Begin function _Z16wvSplitK_hf_sml_I6__halfLi32ELi2ELi16ELi8ELi2ELi3EEviiiiiiPKT_S3_S3_PS1_ii
	.globl	_Z16wvSplitK_hf_sml_I6__halfLi32ELi2ELi16ELi8ELi2ELi3EEviiiiiiPKT_S3_S3_PS1_ii
	.p2align	8
	.type	_Z16wvSplitK_hf_sml_I6__halfLi32ELi2ELi16ELi8ELi2ELi3EEviiiiiiPKT_S3_S3_PS1_ii,@function
_Z16wvSplitK_hf_sml_I6__halfLi32ELi2ELi16ELi8ELi2ELi3EEviiiiiiPKT_S3_S3_PS1_ii: ; @_Z16wvSplitK_hf_sml_I6__halfLi32ELi2ELi16ELi8ELi2ELi3EEviiiiiiPKT_S3_S3_PS1_ii
; %bb.0:
	s_load_b128 s[4:7], s[0:1], 0x0
	v_and_b32_e32 v1, 0x3ff, v0
	v_bfe_u32 v0, v0, 10, 10
	s_mov_b32 s8, exec_lo
	s_delay_alu instid0(VALU_DEP_2) | instskip(NEXT) | instid1(VALU_DEP_1)
	v_lshlrev_b32_e32 v46, 3, v1
	v_lshl_add_u32 v3, v0, 8, v46
	s_waitcnt lgkmcnt(0)
	s_mul_i32 s2, s6, 3
	s_delay_alu instid0(SALU_CYCLE_1)
	s_min_u32 s9, s2, 0x8000
	s_delay_alu instid0(VALU_DEP_1) | instid1(SALU_CYCLE_1)
	v_cmpx_gt_u32_e64 s9, v3
	s_cbranch_execz .LBB71_9
; %bb.1:
	s_load_b64 s[2:3], s[0:1], 0x20
	v_lshlrev_b32_e32 v2, 1, v3
	v_add_nc_u32_e32 v8, 0x1000, v3
	s_mov_b32 s10, exec_lo
	s_waitcnt lgkmcnt(0)
	global_load_b128 v[4:7], v2, s[2:3]
	s_waitcnt vmcnt(0)
	ds_store_b128 v2, v[4:7]
	v_cmpx_gt_u32_e64 s9, v8
	s_xor_b32 s10, exec_lo, s10
	s_cbranch_execz .LBB71_9
; %bb.2:
	v_add_co_u32 v4, s2, s2, v2
	s_delay_alu instid0(VALU_DEP_1) | instskip(SKIP_1) | instid1(VALU_DEP_3)
	v_add_co_ci_u32_e64 v5, null, s3, 0, s2
	v_add_nc_u32_e32 v10, 0x2000, v3
	v_add_co_u32 v6, vcc_lo, 0x2000, v4
	s_delay_alu instid0(VALU_DEP_3)
	v_add_co_ci_u32_e32 v7, vcc_lo, 0, v5, vcc_lo
	s_mov_b32 s2, exec_lo
	global_load_b128 v[6:9], v[6:7], off
	s_waitcnt vmcnt(0)
	ds_store_b128 v2, v[6:9] offset:8192
	v_cmpx_gt_u32_e64 s9, v10
	s_xor_b32 s2, exec_lo, s2
	s_cbranch_execz .LBB71_9
; %bb.3:
	v_add_co_u32 v6, vcc_lo, 0x4000, v4
	v_add_co_ci_u32_e32 v7, vcc_lo, 0, v5, vcc_lo
	v_add_nc_u32_e32 v10, 0x3000, v3
	s_mov_b32 s2, exec_lo
	global_load_b128 v[6:9], v[6:7], off
	s_waitcnt vmcnt(0)
	ds_store_b128 v2, v[6:9] offset:16384
	v_cmpx_gt_u32_e64 s9, v10
	s_xor_b32 s2, exec_lo, s2
	s_cbranch_execz .LBB71_9
; %bb.4:
	v_add_co_u32 v6, vcc_lo, 0x6000, v4
	v_add_co_ci_u32_e32 v7, vcc_lo, 0, v5, vcc_lo
	v_add_nc_u32_e32 v10, 0x4000, v3
	;; [unrolled: 11-line block ×5, first 2 shown]
	s_mov_b32 s2, exec_lo
	global_load_b128 v[6:9], v[6:7], off
	s_waitcnt vmcnt(0)
	ds_store_b128 v2, v[6:9] offset:49152
	v_cmpx_gt_u32_e64 s9, v3
	s_xor_b32 s2, exec_lo, s2
	s_cbranch_execz .LBB71_9
; %bb.8:
	v_add_co_u32 v3, vcc_lo, 0xe000, v4
	v_add_co_ci_u32_e32 v4, vcc_lo, 0, v5, vcc_lo
	global_load_b128 v[3:6], v[3:4], off
	s_waitcnt vmcnt(0)
	ds_store_b128 v2, v[3:6] offset:57344
.LBB71_9:
	s_or_b32 exec_lo, exec_lo, s8
	s_load_b64 s[16:17], s[0:1], 0x38
	s_waitcnt lgkmcnt(0)
	s_barrier
	buffer_gl0_inv
	s_mov_b32 s2, exec_lo
	v_cmpx_gt_u32_e64 s16, v0
	s_cbranch_execz .LBB71_26
; %bb.10:
	s_load_b64 s[2:3], s[0:1], 0x10
	s_mul_i32 s15, s15, s16
	s_delay_alu instid0(SALU_CYCLE_1) | instskip(NEXT) | instid1(VALU_DEP_1)
	v_add_lshl_u32 v32, s15, v0, 1
	v_cmp_gt_u32_e32 vcc_lo, s7, v32
	s_and_b32 exec_lo, exec_lo, vcc_lo
	s_cbranch_execz .LBB71_26
; %bb.11:
	s_clause 0x1
	s_load_b128 s[8:11], s[0:1], 0x28
	s_load_b64 s[12:13], s[0:1], 0x18
	s_cmp_lg_u32 s4, 0
	s_waitcnt lgkmcnt(0)
	v_cvt_f32_u32_e32 v2, s2
	s_cselect_b32 s1, -1, 0
	s_add_i32 s14, s4, -8
	s_add_i32 s15, s7, -1
	s_mul_i32 s16, s16, s17
	v_rcp_iflag_f32_e32 v2, v2
	v_cmp_eq_u32_e64 s0, 31, v1
	v_mbcnt_lo_u32_b32 v48, -1, 0
	v_lshlrev_b32_e32 v47, 4, v1
	v_mov_b32_e32 v35, 0
	s_delay_alu instid0(VALU_DEP_3)
	v_xor_b32_e32 v49, 16, v48
	s_waitcnt_depctr 0xfff
	v_mul_f32_e32 v2, 0x4f7ffffe, v2
	s_cmp_lg_u64 s[8:9], 0
	s_cselect_b32 s18, -1, 0
	s_abs_i32 s19, s3
	s_lshl_b32 s16, s16, 1
	v_cvt_f32_u32_e32 v0, s19
	s_sub_i32 s20, 0, s19
	s_sub_i32 s21, 0, s2
	;; [unrolled: 1-line block ×3, first 2 shown]
	s_mov_b32 s3, 0
	v_rcp_iflag_f32_e32 v0, v0
	s_waitcnt_depctr 0xfff
	v_mul_f32_e32 v0, 0x4f7ffffe, v0
	s_delay_alu instid0(VALU_DEP_1) | instskip(NEXT) | instid1(VALU_DEP_1)
	v_cvt_u32_f32_e32 v0, v0
	v_readfirstlane_b32 s17, v0
	v_cvt_u32_f32_e32 v0, v2
	s_delay_alu instid0(VALU_DEP_2) | instskip(NEXT) | instid1(VALU_DEP_1)
	s_mul_i32 s20, s20, s17
	v_mul_lo_u32 v2, s21, v0
	s_mul_hi_u32 s20, s17, s20
	s_delay_alu instid0(SALU_CYCLE_1) | instskip(SKIP_2) | instid1(SALU_CYCLE_1)
	s_add_i32 s17, s17, s20
	s_cmp_lt_u32 s19, 2
	s_cselect_b32 s20, s22, 1
	s_sub_i32 s21, s20, s19
	s_cmp_ge_u32 s20, s19
	s_delay_alu instid0(VALU_DEP_1) | instskip(SKIP_2) | instid1(SALU_CYCLE_1)
	v_mul_hi_u32 v1, v0, v2
	s_cselect_b32 s20, s21, s20
	s_lshr_b32 s17, s17, 31
	s_mul_i32 s17, s17, s19
	s_delay_alu instid0(SALU_CYCLE_1) | instskip(NEXT) | instid1(SALU_CYCLE_1)
	s_sub_i32 s17, 2, s17
	s_sub_i32 s21, s17, s19
	s_cmp_ge_u32 s17, s19
	s_delay_alu instid0(VALU_DEP_1)
	v_add_nc_u32_e32 v50, v0, v1
	s_cselect_b32 s21, s21, s17
	s_mul_i32 s17, s20, s2
	s_sub_i32 s22, s21, s19
	s_cmp_ge_u32 s21, s19
	s_cselect_b32 s20, s22, s21
	s_lshl_b32 s19, s6, 2
	s_mul_i32 s20, s20, s2
	s_lshl_b32 s6, s6, 1
	s_branch .LBB71_14
.LBB71_12:                              ;   in Loop: Header=BB71_14 Depth=1
	s_waitcnt lgkmcnt(5)
	v_add_f32_e32 v0, v0, v4
	s_waitcnt lgkmcnt(3)
	v_add_f32_e32 v4, v8, v10
	s_waitcnt vmcnt(4)
	v_cvt_f32_f16_e32 v10, v16
	s_waitcnt lgkmcnt(2)
	v_add_f32_e32 v8, v9, v11
	v_cvt_f32_f16_e32 v9, v17
	s_waitcnt lgkmcnt(1)
	v_dual_add_f32 v11, v1, v5 :: v_dual_add_f32 v6, v2, v6
	s_waitcnt lgkmcnt(0)
	v_dual_add_f32 v16, v3, v7 :: v_dual_add_f32 v3, v4, v10
	v_add_f32_e32 v2, v0, v9
	s_waitcnt vmcnt(3)
	v_cvt_f32_f16_e32 v4, v15
	v_lshlrev_b64 v[0:1], 1, v[32:33]
	s_waitcnt vmcnt(1)
	v_cvt_f32_f16_e32 v10, v13
	v_cvt_f16_f32_e32 v7, v3
	v_cvt_f16_f32_e32 v5, v2
	v_add_f32_e32 v4, v8, v4
	v_add_co_u32 v0, vcc_lo, s10, v0
	s_delay_alu instid0(VALU_DEP_3) | instskip(SKIP_1) | instid1(VALU_DEP_4)
	v_pack_b32_f16 v8, v5, v7
	v_cvt_f32_f16_e32 v7, v14
	v_cvt_f16_f32_e32 v9, v4
	v_mov_b32_e32 v5, v35
	v_add_co_ci_u32_e32 v1, vcc_lo, s11, v1, vcc_lo
	s_delay_alu instid0(VALU_DEP_4)
	v_add_f32_e32 v7, v11, v7
	s_waitcnt vmcnt(0)
	v_cvt_f32_f16_e32 v11, v12
	v_add_nc_u32_e32 v34, s7, v32
	v_add_f32_e32 v10, v6, v10
	v_cvt_f16_f32_e32 v12, v7
	s_delay_alu instid0(VALU_DEP_3) | instskip(SKIP_3) | instid1(VALU_DEP_4)
	v_dual_add_f32 v11, v16, v11 :: v_dual_add_nc_u32 v4, 1, v34
	v_lshlrev_b64 v[2:3], 1, v[34:35]
	v_add_nc_u32_e32 v34, s7, v34
	v_cvt_f16_f32_e32 v10, v10
	v_cvt_f16_f32_e32 v11, v11
	v_lshlrev_b64 v[4:5], 1, v[4:5]
	v_add_co_u32 v2, vcc_lo, s10, v2
	v_lshlrev_b64 v[6:7], 1, v[34:35]
	v_add_co_ci_u32_e32 v3, vcc_lo, s11, v3, vcc_lo
	s_delay_alu instid0(VALU_DEP_4) | instskip(SKIP_1) | instid1(VALU_DEP_4)
	v_add_co_u32 v4, vcc_lo, s10, v4
	v_add_co_ci_u32_e32 v5, vcc_lo, s11, v5, vcc_lo
	v_add_co_u32 v6, vcc_lo, s10, v6
	v_add_co_ci_u32_e32 v7, vcc_lo, s11, v7, vcc_lo
	v_pack_b32_f16 v10, v10, v11
	s_clause 0x3
	global_store_b32 v[0:1], v8, off
	global_store_b16 v[2:3], v9, off
	global_store_b16 v[4:5], v12, off
	global_store_b32 v[6:7], v10, off
.LBB71_13:                              ;   in Loop: Header=BB71_14 Depth=1
	s_or_b32 exec_lo, exec_lo, s21
	v_add_nc_u32_e32 v32, s16, v32
	s_delay_alu instid0(VALU_DEP_1) | instskip(SKIP_1) | instid1(SALU_CYCLE_1)
	v_cmp_le_u32_e32 vcc_lo, s7, v32
	s_or_b32 s3, vcc_lo, s3
	s_and_not1_b32 exec_lo, exec_lo, s3
	s_cbranch_execz .LBB71_26
.LBB71_14:                              ; =>This Loop Header: Depth=1
                                        ;     Child Loop BB71_18 Depth 2
	v_mov_b32_e32 v56, v35
	v_mov_b32_e32 v55, v35
	;; [unrolled: 1-line block ×6, first 2 shown]
	s_and_not1_b32 vcc_lo, exec_lo, s1
	s_cbranch_vccnz .LBB71_21
; %bb.15:                               ;   in Loop: Header=BB71_14 Depth=1
	v_or_b32_e32 v0, 1, v32
	v_min_u32_e32 v1, s15, v32
	v_dual_mov_b32 v51, 0 :: v_dual_mov_b32 v54, 0
	v_dual_mov_b32 v57, v47 :: v_dual_mov_b32 v56, 0
	s_delay_alu instid0(VALU_DEP_4) | instskip(NEXT) | instid1(VALU_DEP_4)
	v_min_u32_e32 v0, s15, v0
	v_mul_lo_u32 v34, v1, s5
	v_dual_mov_b32 v1, v35 :: v_dual_mov_b32 v52, 0
	v_mov_b32_e32 v53, 0
	s_delay_alu instid0(VALU_DEP_4) | instskip(SKIP_3) | instid1(VALU_DEP_3)
	v_mul_lo_u32 v0, v0, s5
	v_mov_b32_e32 v55, 0
	s_mov_b32 s21, 0
	v_lshlrev_b64 v[36:37], 1, v[34:35]
	v_lshlrev_b64 v[38:39], 1, v[0:1]
	s_branch .LBB71_18
.LBB71_16:                              ;   in Loop: Header=BB71_18 Depth=2
	s_or_b32 exec_lo, exec_lo, s23
.LBB71_17:                              ;   in Loop: Header=BB71_18 Depth=2
	s_delay_alu instid0(SALU_CYCLE_1)
	s_or_b32 exec_lo, exec_lo, s22
	s_waitcnt vmcnt(3) lgkmcnt(1)
	;;#ASMSTART
	v_dot2_f32_f16 v56, v28, v16, v56
	;;#ASMEND
	s_waitcnt vmcnt(2)
	;;#ASMSTART
	v_dot2_f32_f16 v55, v28, v12, v55
	;;#ASMEND
	;;#ASMSTART
	v_dot2_f32_f16 v54, v24, v16, v54
	;;#ASMEND
	;; [unrolled: 3-line block ×15, first 2 shown]
	s_waitcnt lgkmcnt(0)
	;;#ASMSTART
	v_dot2_f32_f16 v51, v44, v18, v51
	;;#ASMEND
	;;#ASMSTART
	v_dot2_f32_f16 v52, v44, v14, v52
	;;#ASMEND
	v_add_nc_u32_e32 v57, 0x400, v57
	;;#ASMSTART
	v_dot2_f32_f16 v56, v31, v19, v56
	;;#ASMEND
	;;#ASMSTART
	v_dot2_f32_f16 v55, v31, v15, v55
	;;#ASMEND
	;; [unrolled: 3-line block ×6, first 2 shown]
	s_addk_i32 s21, 0x200
	s_waitcnt vmcnt(1)
	;;#ASMSTART
	v_dot2_f32_f16 v56, v20, v4, v56
	;;#ASMEND
	s_waitcnt vmcnt(0)
	;;#ASMSTART
	v_dot2_f32_f16 v55, v20, v0, v55
	;;#ASMEND
	;;#ASMSTART
	v_dot2_f32_f16 v54, v8, v4, v54
	;;#ASMEND
	;; [unrolled: 3-line block ×11, first 2 shown]
	s_cmp_ge_u32 s21, s4
	;;#ASMSTART
	v_dot2_f32_f16 v56, v22, v6, v56
	;;#ASMEND
	;;#ASMSTART
	v_dot2_f32_f16 v55, v22, v2, v55
	;;#ASMEND
	;; [unrolled: 3-line block ×12, first 2 shown]
	s_cbranch_scc1 .LBB71_21
.LBB71_18:                              ;   Parent Loop BB71_14 Depth=1
                                        ; =>  This Inner Loop Header: Depth=2
	s_waitcnt lgkmcnt(3)
	v_dual_mov_b32 v29, 0 :: v_dual_add_nc_u32 v10, s21, v46
	v_dual_mov_b32 v28, 0 :: v_dual_mov_b32 v21, 0
	v_dual_mov_b32 v30, 0 :: v_dual_mov_b32 v23, 0
	s_delay_alu instid0(VALU_DEP_3) | instskip(SKIP_2) | instid1(VALU_DEP_3)
	v_min_u32_e32 v34, s14, v10
	v_dual_mov_b32 v31, 0 :: v_dual_add_nc_u32 v58, 0x100, v10
	v_dual_mov_b32 v20, 0 :: v_dual_mov_b32 v25, 0
	v_lshlrev_b64 v[0:1], 1, v[34:35]
	s_delay_alu instid0(VALU_DEP_3)
	v_min_u32_e32 v34, s14, v58
	v_dual_mov_b32 v22, 0 :: v_dual_mov_b32 v27, 0
	v_mov_b32_e32 v24, 0
	s_waitcnt lgkmcnt(2)
	v_dual_mov_b32 v26, 0 :: v_dual_mov_b32 v11, 0
	v_add_co_u32 v4, vcc_lo, s12, v0
	v_add_co_ci_u32_e32 v5, vcc_lo, s13, v1, vcc_lo
	v_lshlrev_b64 v[0:1], 1, v[34:35]
	s_delay_alu instid0(VALU_DEP_3) | instskip(NEXT) | instid1(VALU_DEP_3)
	v_add_co_u32 v2, vcc_lo, v4, v36
	v_add_co_ci_u32_e32 v3, vcc_lo, v5, v37, vcc_lo
	v_dual_mov_b32 v42, 0 :: v_dual_mov_b32 v33, 0
	s_waitcnt lgkmcnt(1)
	s_delay_alu instid0(VALU_DEP_4)
	v_add_co_u32 v6, vcc_lo, s12, v0
	s_waitcnt lgkmcnt(0)
	v_add_co_ci_u32_e32 v7, vcc_lo, s13, v1, vcc_lo
	v_add_co_u32 v0, vcc_lo, v4, v38
	v_add_co_ci_u32_e32 v1, vcc_lo, v5, v39, vcc_lo
	v_add_co_u32 v4, vcc_lo, v6, v36
	s_delay_alu instid0(VALU_DEP_4)
	v_add_co_ci_u32_e32 v5, vcc_lo, v7, v37, vcc_lo
	v_add_co_u32 v8, vcc_lo, v6, v38
	v_add_co_ci_u32_e32 v9, vcc_lo, v7, v39, vcc_lo
	s_clause 0x3
	global_load_b128 v[16:19], v[2:3], off slc dlc
	global_load_b128 v[12:15], v[0:1], off slc dlc
	;; [unrolled: 1-line block ×4, first 2 shown]
	v_cmp_gt_u32_e32 vcc_lo, s4, v10
	v_dual_mov_b32 v8, 0 :: v_dual_mov_b32 v43, 0
	v_dual_mov_b32 v9, 0 :: v_dual_mov_b32 v10, 0
	v_dual_mov_b32 v45, 0 :: v_dual_mov_b32 v44, 0
	v_dual_mov_b32 v41, 0 :: v_dual_mov_b32 v34, 0
	v_mov_b32_e32 v40, 0
	s_and_saveexec_b32 s22, vcc_lo
	s_cbranch_execz .LBB71_17
; %bb.19:                               ;   in Loop: Header=BB71_18 Depth=2
	v_dual_mov_b32 v41, 0 :: v_dual_add_nc_u32 v60, s6, v57
	v_dual_mov_b32 v40, 0 :: v_dual_add_nc_u32 v59, s19, v57
	v_dual_mov_b32 v34, 0 :: v_dual_mov_b32 v33, 0
	ds_load_b128 v[24:27], v60
	ds_load_2addr_b32 v[42:43], v59 offset1:1
	ds_load_b128 v[28:31], v57
	ds_load_2addr_b32 v[44:45], v59 offset0:2 offset1:3
	v_dual_mov_b32 v11, 0 :: v_dual_mov_b32 v10, 0
	v_dual_mov_b32 v9, 0 :: v_dual_mov_b32 v8, 0
	;; [unrolled: 1-line block ×4, first 2 shown]
	s_mov_b32 s23, exec_lo
	v_cmpx_gt_u32_e64 s4, v58
	s_cbranch_execz .LBB71_16
; %bb.20:                               ;   in Loop: Header=BB71_18 Depth=2
	ds_load_b128 v[8:11], v60 offset:512
	ds_load_2addr_b32 v[33:34], v59 offset0:128 offset1:129
	ds_load_b128 v[20:23], v57 offset:512
	ds_load_2addr_b32 v[40:41], v59 offset0:130 offset1:131
	s_branch .LBB71_16
.LBB71_21:                              ;   in Loop: Header=BB71_14 Depth=1
	; sched_barrier mask(0x00000000)
	v_cvt_i32_f32_e32 v0, v56
	v_cmp_gt_i32_e32 vcc_lo, 32, v49
	v_cvt_i32_f32_e32 v2, v55
	v_cvt_i32_f32_e32 v3, v54
	s_waitcnt lgkmcnt(5)
	v_cvt_i32_f32_e32 v4, v53
	v_cvt_f32_i32_dpp v0, v0 row_shr:8 row_mask:0xf bank_mask:0xf bound_ctrl:1
	v_cndmask_b32_e32 v1, v48, v49, vcc_lo
	s_waitcnt lgkmcnt(4)
	v_cvt_i32_f32_e32 v5, v51
	s_waitcnt lgkmcnt(1)
	v_cvt_i32_f32_e32 v6, v52
	s_waitcnt lgkmcnt(0)
	v_dual_add_f32 v0, v56, v0 :: v_dual_lshlrev_b32 v7, 2, v1
	v_cvt_f32_i32_dpp v1, v2 row_shr:8 row_mask:0xf bank_mask:0xf bound_ctrl:1
	v_cvt_f32_i32_dpp v2, v3 row_shr:8 row_mask:0xf bank_mask:0xf bound_ctrl:1
	;; [unrolled: 1-line block ×4, first 2 shown]
	v_cvt_i32_f32_e32 v5, v0
	v_cvt_f32_i32_dpp v6, v6 row_shr:8 row_mask:0xf bank_mask:0xf bound_ctrl:1
	v_add_f32_e32 v1, v55, v1
	s_delay_alu instid0(VALU_DEP_4) | instskip(NEXT) | instid1(VALU_DEP_4)
	v_dual_add_f32 v3, v53, v3 :: v_dual_add_f32 v4, v51, v4
	v_cvt_f32_i32_dpp v5, v5 row_shr:4 row_mask:0xf bank_mask:0xf bound_ctrl:1
	s_delay_alu instid0(VALU_DEP_4) | instskip(NEXT) | instid1(VALU_DEP_4)
	v_add_f32_e32 v6, v52, v6
	v_cvt_i32_f32_e32 v8, v1
	v_add_f32_e32 v2, v54, v2
	v_cvt_i32_f32_e32 v10, v4
	s_delay_alu instid0(VALU_DEP_4) | instskip(NEXT) | instid1(VALU_DEP_4)
	v_cvt_i32_f32_e32 v11, v6
	v_cvt_f32_i32_dpp v8, v8 row_shr:4 row_mask:0xf bank_mask:0xf bound_ctrl:1
	v_add_f32_e32 v0, v0, v5
	v_cvt_i32_f32_e32 v5, v3
	v_cvt_i32_f32_e32 v9, v2
	v_cvt_f32_i32_dpp v11, v11 row_shr:4 row_mask:0xf bank_mask:0xf bound_ctrl:1
	v_add_f32_e32 v1, v1, v8
	v_cvt_i32_f32_e32 v12, v0
	v_cvt_f32_i32_dpp v5, v5 row_shr:4 row_mask:0xf bank_mask:0xf bound_ctrl:1
	v_cvt_f32_i32_dpp v9, v9 row_shr:4 row_mask:0xf bank_mask:0xf bound_ctrl:1
	;; [unrolled: 1-line block ×3, first 2 shown]
	s_delay_alu instid0(VALU_DEP_4) | instskip(NEXT) | instid1(VALU_DEP_4)
	v_cvt_f32_i32_dpp v12, v12 row_shr:2 row_mask:0xf bank_mask:0xf bound_ctrl:1
	v_add_f32_e32 v3, v3, v5
	s_delay_alu instid0(VALU_DEP_3) | instskip(SKIP_1) | instid1(VALU_DEP_4)
	v_dual_add_f32 v5, v6, v11 :: v_dual_add_f32 v4, v4, v10
	v_cvt_i32_f32_e32 v6, v1
	v_add_f32_e32 v0, v0, v12
	s_delay_alu instid0(VALU_DEP_3) | instskip(NEXT) | instid1(VALU_DEP_4)
	v_cvt_i32_f32_e32 v12, v5
	v_cvt_i32_f32_e32 v11, v4
	s_delay_alu instid0(VALU_DEP_4)
	v_cvt_f32_i32_dpp v6, v6 row_shr:2 row_mask:0xf bank_mask:0xf bound_ctrl:1
	v_add_f32_e32 v2, v2, v9
	v_cvt_i32_f32_e32 v9, v3
	v_cvt_i32_f32_e32 v10, v0
	v_cvt_f32_i32_dpp v11, v11 row_shr:2 row_mask:0xf bank_mask:0xf bound_ctrl:1
	v_add_f32_e32 v1, v1, v6
	v_cvt_i32_f32_e32 v8, v2
	v_cvt_f32_i32_dpp v9, v9 row_shr:2 row_mask:0xf bank_mask:0xf bound_ctrl:1
	v_cvt_f32_i32_dpp v10, v10 row_shr:1 row_mask:0xf bank_mask:0xf bound_ctrl:1
	;; [unrolled: 1-line block ×3, first 2 shown]
	v_add_f32_e32 v6, v4, v11
	v_cvt_f32_i32_dpp v8, v8 row_shr:2 row_mask:0xf bank_mask:0xf bound_ctrl:1
	s_delay_alu instid0(VALU_DEP_4) | instskip(NEXT) | instid1(VALU_DEP_4)
	v_dual_add_f32 v3, v3, v9 :: v_dual_add_f32 v0, v0, v10
	v_add_f32_e32 v5, v5, v12
	s_delay_alu instid0(VALU_DEP_4) | instskip(NEXT) | instid1(VALU_DEP_3)
	v_cvt_i32_f32_e32 v11, v6
	v_cvt_i32_f32_e32 v10, v3
	ds_bpermute_b32 v4, v7, v0
	v_cvt_i32_f32_e32 v12, v5
	v_cvt_f32_i32_dpp v11, v11 row_shr:1 row_mask:0xf bank_mask:0xf bound_ctrl:1
	v_cvt_f32_i32_dpp v10, v10 row_shr:1 row_mask:0xf bank_mask:0xf bound_ctrl:1
	v_add_f32_e32 v2, v2, v8
	v_cvt_i32_f32_e32 v8, v1
	v_cvt_f32_i32_dpp v12, v12 row_shr:1 row_mask:0xf bank_mask:0xf bound_ctrl:1
	s_delay_alu instid0(VALU_DEP_2) | instskip(NEXT) | instid1(VALU_DEP_1)
	v_cvt_f32_i32_dpp v8, v8 row_shr:1 row_mask:0xf bank_mask:0xf bound_ctrl:1
	v_dual_add_f32 v8, v1, v8 :: v_dual_add_f32 v1, v3, v10
	v_cvt_i32_f32_e32 v9, v2
	s_delay_alu instid0(VALU_DEP_4) | instskip(SKIP_2) | instid1(VALU_DEP_1)
	v_add_f32_e32 v3, v5, v12
	ds_bpermute_b32 v5, v7, v1
	v_cvt_f32_i32_dpp v9, v9 row_shr:1 row_mask:0xf bank_mask:0xf bound_ctrl:1
	v_add_f32_e32 v9, v2, v9
	v_add_f32_e32 v2, v6, v11
	ds_bpermute_b32 v10, v7, v8
	ds_bpermute_b32 v11, v7, v9
	;; [unrolled: 1-line block ×4, first 2 shown]
	s_and_saveexec_b32 s21, s0
	s_cbranch_execz .LBB71_13
; %bb.22:                               ;   in Loop: Header=BB71_14 Depth=1
	s_and_b32 vcc_lo, exec_lo, s18
	s_cbranch_vccz .LBB71_24
; %bb.23:                               ;   in Loop: Header=BB71_14 Depth=1
	v_or_b32_e32 v12, 1, v32
	v_mul_hi_u32 v13, v32, v50
	v_mov_b32_e32 v19, v35
	v_mov_b32_e32 v33, v35
	s_delay_alu instid0(VALU_DEP_4) | instskip(NEXT) | instid1(VALU_DEP_4)
	v_mul_hi_u32 v14, v12, v50
	v_mul_lo_u32 v13, v13, s2
	s_delay_alu instid0(VALU_DEP_2) | instskip(NEXT) | instid1(VALU_DEP_2)
	v_mul_lo_u32 v14, v14, s2
	v_sub_nc_u32_e32 v13, v32, v13
	s_delay_alu instid0(VALU_DEP_2) | instskip(NEXT) | instid1(VALU_DEP_2)
	v_sub_nc_u32_e32 v12, v12, v14
	v_subrev_nc_u32_e32 v14, s2, v13
	v_cmp_le_u32_e32 vcc_lo, s2, v13
	s_delay_alu instid0(VALU_DEP_3) | instskip(NEXT) | instid1(VALU_DEP_3)
	v_subrev_nc_u32_e32 v15, s2, v12
	v_cndmask_b32_e32 v13, v13, v14, vcc_lo
	v_cmp_le_u32_e32 vcc_lo, s2, v12
	s_delay_alu instid0(VALU_DEP_3) | instskip(NEXT) | instid1(VALU_DEP_3)
	v_cndmask_b32_e32 v12, v12, v15, vcc_lo
	v_subrev_nc_u32_e32 v14, s2, v13
	v_cmp_le_u32_e32 vcc_lo, s2, v13
	s_delay_alu instid0(VALU_DEP_3) | instskip(NEXT) | instid1(VALU_DEP_3)
	v_subrev_nc_u32_e32 v16, s2, v12
	v_dual_cndmask_b32 v34, v13, v14 :: v_dual_mov_b32 v13, v35
	v_cmp_le_u32_e32 vcc_lo, s2, v12
	s_delay_alu instid0(VALU_DEP_2) | instskip(NEXT) | instid1(VALU_DEP_4)
	v_dual_mov_b32 v15, v35 :: v_dual_add_nc_u32 v14, s17, v34
	v_cndmask_b32_e32 v12, v12, v16, vcc_lo
	v_lshlrev_b64 v[16:17], 1, v[34:35]
	v_add_nc_u32_e32 v34, s20, v34
	s_delay_alu instid0(VALU_DEP_3)
	v_lshlrev_b64 v[20:21], 1, v[12:13]
	v_add_nc_u32_e32 v18, s17, v12
	v_lshlrev_b64 v[13:14], 1, v[14:15]
	v_add_co_u32 v15, vcc_lo, s8, v16
	v_add_co_ci_u32_e32 v16, vcc_lo, s9, v17, vcc_lo
	v_lshlrev_b64 v[22:23], 1, v[34:35]
	v_lshlrev_b64 v[17:18], 1, v[18:19]
	v_add_co_u32 v19, vcc_lo, s8, v20
	v_add_nc_u32_e32 v34, s20, v12
	v_add_co_ci_u32_e32 v20, vcc_lo, s9, v21, vcc_lo
	v_add_co_u32 v12, vcc_lo, s8, v13
	v_add_co_ci_u32_e32 v13, vcc_lo, s9, v14, vcc_lo
	s_delay_alu instid0(VALU_DEP_4)
	v_lshlrev_b64 v[24:25], 1, v[34:35]
	v_add_co_u32 v21, vcc_lo, s8, v22
	v_add_co_ci_u32_e32 v22, vcc_lo, s9, v23, vcc_lo
	v_add_co_u32 v26, vcc_lo, s8, v17
	v_add_co_ci_u32_e32 v27, vcc_lo, s9, v18, vcc_lo
	;; [unrolled: 2-line block ×3, first 2 shown]
	s_clause 0x5
	global_load_u16 v17, v[15:16], off
	global_load_u16 v16, v[19:20], off
	;; [unrolled: 1-line block ×6, first 2 shown]
	s_cbranch_execnz .LBB71_12
	s_branch .LBB71_25
.LBB71_24:                              ;   in Loop: Header=BB71_14 Depth=1
                                        ; implicit-def: $vgpr12
                                        ; implicit-def: $vgpr13
                                        ; implicit-def: $vgpr14
                                        ; implicit-def: $vgpr15
                                        ; implicit-def: $vgpr16
                                        ; implicit-def: $vgpr17
.LBB71_25:                              ;   in Loop: Header=BB71_14 Depth=1
	s_waitcnt vmcnt(4)
	v_dual_mov_b32 v33, v35 :: v_dual_mov_b32 v16, 0
	s_waitcnt vmcnt(2)
	v_dual_mov_b32 v17, 0 :: v_dual_mov_b32 v14, 0
	;; [unrolled: 2-line block ×3, first 2 shown]
	v_mov_b32_e32 v13, 0
	s_branch .LBB71_12
.LBB71_26:
	s_nop 0
	s_sendmsg sendmsg(MSG_DEALLOC_VGPRS)
	s_endpgm
	.section	.rodata,"a",@progbits
	.p2align	6, 0x0
	.amdhsa_kernel _Z16wvSplitK_hf_sml_I6__halfLi32ELi2ELi16ELi8ELi2ELi3EEviiiiiiPKT_S3_S3_PS1_ii
		.amdhsa_group_segment_fixed_size 65536
		.amdhsa_private_segment_fixed_size 0
		.amdhsa_kernarg_size 64
		.amdhsa_user_sgpr_count 15
		.amdhsa_user_sgpr_dispatch_ptr 0
		.amdhsa_user_sgpr_queue_ptr 0
		.amdhsa_user_sgpr_kernarg_segment_ptr 1
		.amdhsa_user_sgpr_dispatch_id 0
		.amdhsa_user_sgpr_private_segment_size 0
		.amdhsa_wavefront_size32 1
		.amdhsa_uses_dynamic_stack 0
		.amdhsa_enable_private_segment 0
		.amdhsa_system_sgpr_workgroup_id_x 1
		.amdhsa_system_sgpr_workgroup_id_y 0
		.amdhsa_system_sgpr_workgroup_id_z 0
		.amdhsa_system_sgpr_workgroup_info 0
		.amdhsa_system_vgpr_workitem_id 1
		.amdhsa_next_free_vgpr 61
		.amdhsa_next_free_sgpr 24
		.amdhsa_reserve_vcc 1
		.amdhsa_float_round_mode_32 0
		.amdhsa_float_round_mode_16_64 0
		.amdhsa_float_denorm_mode_32 3
		.amdhsa_float_denorm_mode_16_64 3
		.amdhsa_dx10_clamp 1
		.amdhsa_ieee_mode 1
		.amdhsa_fp16_overflow 0
		.amdhsa_workgroup_processor_mode 1
		.amdhsa_memory_ordered 1
		.amdhsa_forward_progress 0
		.amdhsa_shared_vgpr_count 0
		.amdhsa_exception_fp_ieee_invalid_op 0
		.amdhsa_exception_fp_denorm_src 0
		.amdhsa_exception_fp_ieee_div_zero 0
		.amdhsa_exception_fp_ieee_overflow 0
		.amdhsa_exception_fp_ieee_underflow 0
		.amdhsa_exception_fp_ieee_inexact 0
		.amdhsa_exception_int_div_zero 0
	.end_amdhsa_kernel
	.section	.text._Z16wvSplitK_hf_sml_I6__halfLi32ELi2ELi16ELi8ELi2ELi3EEviiiiiiPKT_S3_S3_PS1_ii,"axG",@progbits,_Z16wvSplitK_hf_sml_I6__halfLi32ELi2ELi16ELi8ELi2ELi3EEviiiiiiPKT_S3_S3_PS1_ii,comdat
.Lfunc_end71:
	.size	_Z16wvSplitK_hf_sml_I6__halfLi32ELi2ELi16ELi8ELi2ELi3EEviiiiiiPKT_S3_S3_PS1_ii, .Lfunc_end71-_Z16wvSplitK_hf_sml_I6__halfLi32ELi2ELi16ELi8ELi2ELi3EEviiiiiiPKT_S3_S3_PS1_ii
                                        ; -- End function
	.section	.AMDGPU.csdata,"",@progbits
; Kernel info:
; codeLenInByte = 3764
; NumSgprs: 26
; NumVgprs: 61
; ScratchSize: 0
; MemoryBound: 0
; FloatMode: 240
; IeeeMode: 1
; LDSByteSize: 65536 bytes/workgroup (compile time only)
; SGPRBlocks: 3
; VGPRBlocks: 7
; NumSGPRsForWavesPerEU: 26
; NumVGPRsForWavesPerEU: 61
; Occupancy: 8
; WaveLimiterHint : 0
; COMPUTE_PGM_RSRC2:SCRATCH_EN: 0
; COMPUTE_PGM_RSRC2:USER_SGPR: 15
; COMPUTE_PGM_RSRC2:TRAP_HANDLER: 0
; COMPUTE_PGM_RSRC2:TGID_X_EN: 1
; COMPUTE_PGM_RSRC2:TGID_Y_EN: 0
; COMPUTE_PGM_RSRC2:TGID_Z_EN: 0
; COMPUTE_PGM_RSRC2:TIDIG_COMP_CNT: 1
	.section	.text._Z12wvSplitK_hf_I6__halfLi32ELi2ELi16ELi8ELi2ELi3EEviiiiiiPKT_S3_S3_PS1_ii,"axG",@progbits,_Z12wvSplitK_hf_I6__halfLi32ELi2ELi16ELi8ELi2ELi3EEviiiiiiPKT_S3_S3_PS1_ii,comdat
	.protected	_Z12wvSplitK_hf_I6__halfLi32ELi2ELi16ELi8ELi2ELi3EEviiiiiiPKT_S3_S3_PS1_ii ; -- Begin function _Z12wvSplitK_hf_I6__halfLi32ELi2ELi16ELi8ELi2ELi3EEviiiiiiPKT_S3_S3_PS1_ii
	.globl	_Z12wvSplitK_hf_I6__halfLi32ELi2ELi16ELi8ELi2ELi3EEviiiiiiPKT_S3_S3_PS1_ii
	.p2align	8
	.type	_Z12wvSplitK_hf_I6__halfLi32ELi2ELi16ELi8ELi2ELi3EEviiiiiiPKT_S3_S3_PS1_ii,@function
_Z12wvSplitK_hf_I6__halfLi32ELi2ELi16ELi8ELi2ELi3EEviiiiiiPKT_S3_S3_PS1_ii: ; @_Z12wvSplitK_hf_I6__halfLi32ELi2ELi16ELi8ELi2ELi3EEviiiiiiPKT_S3_S3_PS1_ii
; %bb.0:
	s_clause 0x1
	s_load_b64 s[18:19], s[0:1], 0x38
	s_load_b128 s[4:7], s[0:1], 0x0
	v_bfe_u32 v1, v0, 10, 10
	s_clause 0x1
	s_load_b64 s[12:13], s[0:1], 0x20
	s_load_b64 s[16:17], s[0:1], 0x10
	s_mov_b32 s8, 1
	s_delay_alu instid0(SALU_CYCLE_1) | instskip(NEXT) | instid1(SALU_CYCLE_1)
	s_mov_b32 s9, s8
	v_dual_mov_b32 v41, s9 :: v_dual_mov_b32 v40, s8
	s_waitcnt lgkmcnt(0)
	s_mul_i32 s15, s15, s18
	s_delay_alu instid0(SALU_CYCLE_1) | instskip(NEXT) | instid1(VALU_DEP_1)
	v_add_lshl_u32 v42, s15, v1, 1
	v_add_nc_u32_e32 v2, 2, v42
	v_cmp_gt_u32_e32 vcc_lo, s7, v42
	s_delay_alu instid0(VALU_DEP_2) | instskip(NEXT) | instid1(VALU_DEP_1)
	v_cmp_le_u32_e64 s2, s7, v2
	s_and_b32 s2, vcc_lo, s2
	s_delay_alu instid0(SALU_CYCLE_1)
	s_and_saveexec_b32 s10, s2
	s_cbranch_execz .LBB72_6
; %bb.1:
	v_dual_mov_b32 v41, s9 :: v_dual_mov_b32 v40, s8
	s_add_i32 s11, s7, -2
	s_mov_b32 s14, exec_lo
	v_cmpx_ne_u32_e64 s11, v42
	s_cbranch_execz .LBB72_5
; %bb.2:
	v_subrev_nc_u32_e32 v2, s11, v42
	s_mov_b32 s2, 1
	s_mov_b32 s15, 0
	s_mov_b64 s[8:9], 0
	s_mov_b32 s3, s2
	v_cmp_lt_u32_e32 vcc_lo, 1, v2
	v_cndmask_b32_e32 v2, 1, v2, vcc_lo
.LBB72_3:                               ; =>This Inner Loop Header: Depth=1
	s_cmp_lg_u32 s8, 1
	s_cselect_b32 s3, s3, 0
	s_cmp_lg_u32 s8, 0
	s_cselect_b32 s2, s2, 0
	s_add_u32 s8, s8, 1
	v_dual_mov_b32 v41, s3 :: v_dual_mov_b32 v40, s2
	v_cmp_eq_u32_e32 vcc_lo, s8, v2
	s_addc_u32 s9, s9, 0
	s_or_b32 s15, vcc_lo, s15
	s_delay_alu instid0(SALU_CYCLE_1)
	s_and_not1_b32 exec_lo, exec_lo, s15
	s_cbranch_execnz .LBB72_3
; %bb.4:
	s_or_b32 exec_lo, exec_lo, s15
	v_mov_b32_e32 v42, s11
.LBB72_5:
	s_or_b32 exec_lo, exec_lo, s14
.LBB72_6:
	s_delay_alu instid0(SALU_CYCLE_1) | instskip(SKIP_2) | instid1(SALU_CYCLE_1)
	s_or_b32 exec_lo, exec_lo, s10
	v_and_b32_e32 v0, 0x3ff, v0
	s_mul_i32 s2, s6, 3
	s_min_u32 s3, s2, 0x8000
	s_mov_b32 s2, exec_lo
	s_delay_alu instid0(VALU_DEP_1) | instskip(NEXT) | instid1(VALU_DEP_1)
	v_lshlrev_b32_e32 v54, 3, v0
	v_lshl_add_u32 v3, v1, 8, v54
	s_delay_alu instid0(VALU_DEP_1)
	v_cmpx_gt_u32_e64 s3, v3
	s_cbranch_execz .LBB72_15
; %bb.7:
	v_lshlrev_b32_e32 v2, 1, v3
	v_add_nc_u32_e32 v8, 0x1000, v3
	s_mov_b32 s8, exec_lo
	global_load_b128 v[4:7], v2, s[12:13]
	s_waitcnt vmcnt(0)
	ds_store_b128 v2, v[4:7]
	v_cmpx_gt_u32_e64 s3, v8
	s_xor_b32 s8, exec_lo, s8
	s_cbranch_execz .LBB72_15
; %bb.8:
	v_add_co_u32 v4, s8, s12, v2
	s_delay_alu instid0(VALU_DEP_1) | instskip(SKIP_1) | instid1(VALU_DEP_3)
	v_add_co_ci_u32_e64 v5, null, s13, 0, s8
	v_add_nc_u32_e32 v10, 0x2000, v3
	v_add_co_u32 v6, vcc_lo, 0x2000, v4
	s_delay_alu instid0(VALU_DEP_3)
	v_add_co_ci_u32_e32 v7, vcc_lo, 0, v5, vcc_lo
	s_mov_b32 s8, exec_lo
	global_load_b128 v[6:9], v[6:7], off
	s_waitcnt vmcnt(0)
	ds_store_b128 v2, v[6:9] offset:8192
	v_cmpx_gt_u32_e64 s3, v10
	s_xor_b32 s8, exec_lo, s8
	s_cbranch_execz .LBB72_15
; %bb.9:
	v_add_co_u32 v6, vcc_lo, 0x4000, v4
	v_add_co_ci_u32_e32 v7, vcc_lo, 0, v5, vcc_lo
	v_add_nc_u32_e32 v10, 0x3000, v3
	s_mov_b32 s8, exec_lo
	global_load_b128 v[6:9], v[6:7], off
	s_waitcnt vmcnt(0)
	ds_store_b128 v2, v[6:9] offset:16384
	v_cmpx_gt_u32_e64 s3, v10
	s_xor_b32 s8, exec_lo, s8
	s_cbranch_execz .LBB72_15
; %bb.10:
	v_add_co_u32 v6, vcc_lo, 0x6000, v4
	v_add_co_ci_u32_e32 v7, vcc_lo, 0, v5, vcc_lo
	v_add_nc_u32_e32 v10, 0x4000, v3
	;; [unrolled: 11-line block ×5, first 2 shown]
	global_load_b128 v[6:9], v[6:7], off
	v_cmp_gt_u32_e32 vcc_lo, s3, v3
	s_waitcnt vmcnt(0)
	ds_store_b128 v2, v[6:9] offset:49152
	s_and_saveexec_b32 s3, vcc_lo
	s_delay_alu instid0(SALU_CYCLE_1)
	s_xor_b32 s3, exec_lo, s3
	s_cbranch_execz .LBB72_15
; %bb.14:
	v_add_co_u32 v3, vcc_lo, 0xe000, v4
	v_add_co_ci_u32_e32 v4, vcc_lo, 0, v5, vcc_lo
	global_load_b128 v[3:6], v[3:4], off
	s_waitcnt vmcnt(0)
	ds_store_b128 v2, v[3:6] offset:57344
.LBB72_15:
	s_or_b32 exec_lo, exec_lo, s2
	v_cmp_gt_u32_e32 vcc_lo, s18, v1
	v_cmp_gt_u32_e64 s2, s7, v42
	s_waitcnt lgkmcnt(0)
	s_barrier
	buffer_gl0_inv
	s_and_b32 s2, vcc_lo, s2
	s_delay_alu instid0(SALU_CYCLE_1)
	s_and_saveexec_b32 s3, s2
	s_cbranch_execz .LBB72_70
; %bb.16:
	s_clause 0x1
	s_load_b128 s[8:11], s[0:1], 0x28
	s_load_b64 s[14:15], s[0:1], 0x18
	s_cmp_lg_u32 s4, 0
	v_cvt_f32_u32_e32 v2, s16
	s_cselect_b32 s3, -1, 0
	s_add_i32 s20, s4, -8
	s_add_i32 s21, s7, -1
	s_mul_i32 s0, s18, s19
	v_rcp_iflag_f32_e32 v2, v2
	v_lshlrev_b32_e32 v55, 4, v0
	v_add_nc_u32_e32 v56, s6, v54
	v_mbcnt_lo_u32_b32 v59, -1, 0
	s_mov_b32 s24, 0
	v_mov_b32_e32 v44, 0
	s_waitcnt lgkmcnt(0)
	s_cmp_lg_u64 s[8:9], 0
	s_cselect_b32 s22, -1, 0
	s_abs_i32 s1, s17
	s_lshl_b32 s17, s0, 1
	v_cvt_f32_u32_e32 v1, s1
	s_sub_i32 s0, 0, s1
	s_add_i32 s23, s7, -2
	s_sub_i32 s18, 0, s16
	s_sub_i32 s19, 1, s1
	v_rcp_iflag_f32_e32 v1, v1
	s_waitcnt_depctr 0xfff
	v_mul_f32_e32 v1, 0x4f7ffffe, v1
	s_delay_alu instid0(VALU_DEP_1) | instskip(NEXT) | instid1(VALU_DEP_1)
	v_cvt_u32_f32_e32 v1, v1
	v_readfirstlane_b32 s2, v1
	v_mul_f32_e32 v1, 0x4f7ffffe, v2
	s_delay_alu instid0(VALU_DEP_2) | instskip(NEXT) | instid1(VALU_DEP_1)
	s_mul_i32 s0, s0, s2
	v_cvt_u32_f32_e32 v1, v1
	s_mul_hi_u32 s0, s2, s0
	s_delay_alu instid0(SALU_CYCLE_1) | instskip(SKIP_1) | instid1(VALU_DEP_1)
	s_add_i32 s2, s2, s0
	s_cmp_lt_u32 s1, 2
	v_mul_lo_u32 v2, s18, v1
	s_cselect_b32 s0, s19, 1
	s_delay_alu instid0(SALU_CYCLE_1)
	s_sub_i32 s19, s0, s1
	s_cmp_ge_u32 s0, s1
	s_cselect_b32 s26, s19, s0
	s_lshr_b32 s2, s2, 31
	v_cmp_eq_u32_e64 s0, 31, v0
	s_mul_i32 s2, s2, s1
	v_mul_hi_u32 v0, v1, v2
	s_sub_i32 s2, 2, s2
	s_mul_i32 s26, s26, s16
	s_sub_i32 s18, s2, s1
	s_cmp_ge_u32 s2, s1
	s_cselect_b32 s2, s18, s2
	s_delay_alu instid0(SALU_CYCLE_1)
	s_sub_i32 s18, s2, s1
	s_cmp_ge_u32 s2, s1
	v_add_nc_u32_e32 v57, v1, v0
	s_cselect_b32 s27, s18, s2
	s_lshl_b32 s25, s6, 1
	s_mul_i32 s27, s27, s16
	v_add_nc_u32_e32 v58, s25, v54
	s_lshl_b32 s6, s6, 2
	s_branch .LBB72_19
.LBB72_17:                              ;   in Loop: Header=BB72_19 Depth=1
	s_or_b32 exec_lo, exec_lo, s29
	v_mov_b32_e32 v42, s23
.LBB72_18:                              ;   in Loop: Header=BB72_19 Depth=1
	s_or_b32 exec_lo, exec_lo, s28
	s_delay_alu instid0(VALU_DEP_1) | instskip(SKIP_1) | instid1(SALU_CYCLE_1)
	v_cmp_le_u32_e32 vcc_lo, s7, v42
	s_or_b32 s24, vcc_lo, s24
	s_and_not1_b32 exec_lo, exec_lo, s24
	s_cbranch_execz .LBB72_70
.LBB72_19:                              ; =>This Loop Header: Depth=1
                                        ;     Child Loop BB72_24 Depth 2
                                        ;     Child Loop BB72_63 Depth 2
	v_dual_mov_b32 v64, v44 :: v_dual_add_nc_u32 v45, 1, v42
	v_mov_b32_e32 v65, v44
	v_mov_b32_e32 v63, v44
	;; [unrolled: 1-line block ×5, first 2 shown]
	s_and_not1_b32 vcc_lo, exec_lo, s3
	s_cbranch_vccnz .LBB72_50
; %bb.20:                               ;   in Loop: Header=BB72_19 Depth=1
	v_min_u32_e32 v0, s21, v42
	s_waitcnt lgkmcnt(0)
	v_min_u32_e32 v1, s21, v45
	v_dual_mov_b32 v66, v55 :: v_dual_mov_b32 v61, 0
	v_dual_mov_b32 v62, 0 :: v_dual_mov_b32 v63, 0
	v_mul_lo_u32 v43, v0, s5
	s_delay_alu instid0(VALU_DEP_4) | instskip(SKIP_3) | instid1(VALU_DEP_4)
	v_mul_lo_u32 v0, v1, s5
	v_dual_mov_b32 v1, v44 :: v_dual_mov_b32 v60, 0
	v_dual_mov_b32 v64, 0 :: v_dual_mov_b32 v65, 0
	s_mov_b32 s1, 0
	v_lshlrev_b64 v[46:47], 1, v[43:44]
	s_delay_alu instid0(VALU_DEP_3)
	v_lshlrev_b64 v[48:49], 1, v[0:1]
	s_branch .LBB72_24
.LBB72_21:                              ;   in Loop: Header=BB72_24 Depth=2
	s_or_b32 exec_lo, exec_lo, s19
.LBB72_22:                              ;   in Loop: Header=BB72_24 Depth=2
	s_delay_alu instid0(SALU_CYCLE_1)
	s_or_b32 exec_lo, exec_lo, s18
.LBB72_23:                              ;   in Loop: Header=BB72_24 Depth=2
	s_delay_alu instid0(SALU_CYCLE_1)
	s_or_b32 exec_lo, exec_lo, s2
	s_waitcnt vmcnt(0) lgkmcnt(0)
	;;#ASMSTART
	v_dot2_f32_f16 v65, v24, v12, v65
	;;#ASMEND
	;;#ASMSTART
	v_dot2_f32_f16 v64, v24, v8, v64
	;;#ASMEND
	;; [unrolled: 3-line block ×18, first 2 shown]
	v_add_nc_u32_e32 v66, 0x400, v66
	;;#ASMSTART
	v_dot2_f32_f16 v65, v27, v15, v65
	;;#ASMEND
	;;#ASMSTART
	v_dot2_f32_f16 v64, v27, v11, v64
	;;#ASMEND
	;; [unrolled: 3-line block ×6, first 2 shown]
	s_addk_i32 s1, 0x200
	;;#ASMSTART
	v_dot2_f32_f16 v65, v36, v4, v65
	;;#ASMEND
	;;#ASMSTART
	v_dot2_f32_f16 v64, v36, v0, v64
	;;#ASMEND
	;; [unrolled: 3-line block ×12, first 2 shown]
	s_cmp_ge_u32 s1, s4
	;;#ASMSTART
	v_dot2_f32_f16 v65, v38, v6, v65
	;;#ASMEND
	;;#ASMSTART
	v_dot2_f32_f16 v64, v38, v2, v64
	;;#ASMEND
	;; [unrolled: 3-line block ×12, first 2 shown]
	s_cbranch_scc1 .LBB72_50
.LBB72_24:                              ;   Parent Loop BB72_19 Depth=1
                                        ; =>  This Inner Loop Header: Depth=2
	v_dual_mov_b32 v30, 0 :: v_dual_add_nc_u32 v51, s1, v54
	v_dual_mov_b32 v29, 0 :: v_dual_mov_b32 v28, 0
	v_dual_mov_b32 v23, 0 :: v_dual_mov_b32 v22, 0
	s_delay_alu instid0(VALU_DEP_3) | instskip(SKIP_2) | instid1(VALU_DEP_3)
	v_min_u32_e32 v43, s20, v51
	v_dual_mov_b32 v31, 0 :: v_dual_add_nc_u32 v50, 0x100, v51
	v_dual_mov_b32 v21, 0 :: v_dual_mov_b32 v20, 0
	v_lshlrev_b64 v[0:1], 1, v[43:44]
	s_delay_alu instid0(VALU_DEP_3) | instskip(SKIP_2) | instid1(VALU_DEP_4)
	v_min_u32_e32 v43, s20, v50
	v_dual_mov_b32 v35, 0 :: v_dual_mov_b32 v34, 0
	v_dual_mov_b32 v33, 0 :: v_dual_mov_b32 v32, 0
	v_add_co_u32 v4, vcc_lo, s14, v0
	v_add_co_ci_u32_e32 v5, vcc_lo, s15, v1, vcc_lo
	v_lshlrev_b64 v[0:1], 1, v[43:44]
	s_delay_alu instid0(VALU_DEP_3) | instskip(NEXT) | instid1(VALU_DEP_3)
	v_add_co_u32 v2, vcc_lo, v4, v46
	v_add_co_ci_u32_e32 v3, vcc_lo, v5, v47, vcc_lo
	v_dual_mov_b32 v19, 0 :: v_dual_mov_b32 v18, 0
	s_delay_alu instid0(VALU_DEP_4) | instskip(SKIP_3) | instid1(VALU_DEP_4)
	v_add_co_u32 v6, vcc_lo, s14, v0
	v_add_co_ci_u32_e32 v7, vcc_lo, s15, v1, vcc_lo
	v_add_co_u32 v0, vcc_lo, v4, v48
	v_add_co_ci_u32_e32 v1, vcc_lo, v5, v49, vcc_lo
	v_add_co_u32 v4, vcc_lo, v6, v46
	s_delay_alu instid0(VALU_DEP_4)
	v_add_co_ci_u32_e32 v5, vcc_lo, v7, v47, vcc_lo
	s_waitcnt vmcnt(4)
	v_add_co_u32 v16, vcc_lo, v6, v48
	v_add_co_ci_u32_e32 v17, vcc_lo, v7, v49, vcc_lo
	s_clause 0x3
	global_load_b128 v[12:15], v[2:3], off slc dlc
	global_load_b128 v[8:11], v[0:1], off slc dlc
	global_load_b128 v[4:7], v[4:5], off slc dlc
	global_load_b128 v[0:3], v[16:17], off slc dlc
	v_cmp_gt_u32_e32 vcc_lo, s4, v51
	v_dual_mov_b32 v17, 0 :: v_dual_mov_b32 v16, 0
	v_dual_mov_b32 v39, 0 :: v_dual_mov_b32 v38, 0
	;; [unrolled: 1-line block ×5, first 2 shown]
	s_and_saveexec_b32 s2, vcc_lo
	s_cbranch_execz .LBB72_23
; %bb.25:                               ;   in Loop: Header=BB72_24 Depth=2
	s_mov_b32 s18, exec_lo
                                        ; implicit-def: $vgpr27
	v_cmpx_lt_u32_e32 0x7fff, v51
	s_xor_b32 s18, exec_lo, s18
	s_cbranch_execz .LBB72_27
; %bb.26:                               ;   in Loop: Header=BB72_24 Depth=2
	v_mov_b32_e32 v52, v44
	s_delay_alu instid0(VALU_DEP_1) | instskip(NEXT) | instid1(VALU_DEP_1)
	v_lshlrev_b64 v[16:17], 1, v[51:52]
	v_add_co_u32 v16, vcc_lo, s12, v16
	s_delay_alu instid0(VALU_DEP_2)
	v_add_co_ci_u32_e32 v17, vcc_lo, s13, v17, vcc_lo
	global_load_b128 v[24:27], v[16:17], off
.LBB72_27:                              ;   in Loop: Header=BB72_24 Depth=2
	s_and_not1_saveexec_b32 s18, s18
	s_cbranch_execz .LBB72_29
; %bb.28:                               ;   in Loop: Header=BB72_24 Depth=2
	s_waitcnt vmcnt(0)
	ds_load_b128 v[24:27], v66
.LBB72_29:                              ;   in Loop: Header=BB72_24 Depth=2
	s_or_b32 exec_lo, exec_lo, s18
	v_add_nc_u32_e32 v43, s1, v56
	s_mov_b32 s18, exec_lo
                                        ; implicit-def: $vgpr19
	s_delay_alu instid0(VALU_DEP_1)
	v_cmpx_lt_u32_e32 0x7fff, v43
	s_xor_b32 s18, exec_lo, s18
	s_cbranch_execz .LBB72_31
; %bb.30:                               ;   in Loop: Header=BB72_24 Depth=2
	v_lshlrev_b64 v[16:17], 1, v[43:44]
	s_delay_alu instid0(VALU_DEP_1) | instskip(NEXT) | instid1(VALU_DEP_2)
	v_add_co_u32 v16, vcc_lo, s12, v16
	v_add_co_ci_u32_e32 v17, vcc_lo, s13, v17, vcc_lo
	global_load_b128 v[16:19], v[16:17], off
.LBB72_31:                              ;   in Loop: Header=BB72_24 Depth=2
	s_and_not1_saveexec_b32 s18, s18
	s_cbranch_execz .LBB72_33
; %bb.32:                               ;   in Loop: Header=BB72_24 Depth=2
	s_waitcnt vmcnt(0)
	v_add_nc_u32_e32 v16, s25, v66
	ds_load_b128 v[16:19], v16
.LBB72_33:                              ;   in Loop: Header=BB72_24 Depth=2
	s_or_b32 exec_lo, exec_lo, s18
	v_add_nc_u32_e32 v52, s1, v58
	s_mov_b32 s18, exec_lo
                                        ; implicit-def: $vgpr23
	s_delay_alu instid0(VALU_DEP_1)
	v_cmpx_lt_u32_e32 0x7fff, v52
	s_xor_b32 s18, exec_lo, s18
	s_cbranch_execz .LBB72_35
; %bb.34:                               ;   in Loop: Header=BB72_24 Depth=2
	v_mov_b32_e32 v53, v44
	s_delay_alu instid0(VALU_DEP_1) | instskip(NEXT) | instid1(VALU_DEP_1)
	v_lshlrev_b64 v[20:21], 1, v[52:53]
	v_add_co_u32 v20, vcc_lo, s12, v20
	s_delay_alu instid0(VALU_DEP_2)
	v_add_co_ci_u32_e32 v21, vcc_lo, s13, v21, vcc_lo
	global_load_b128 v[20:23], v[20:21], off
.LBB72_35:                              ;   in Loop: Header=BB72_24 Depth=2
	s_and_not1_saveexec_b32 s18, s18
	s_cbranch_execz .LBB72_37
; %bb.36:                               ;   in Loop: Header=BB72_24 Depth=2
	s_waitcnt vmcnt(0)
	v_add_nc_u32_e32 v22, s6, v66
	ds_load_2addr_b32 v[20:21], v22 offset1:1
	ds_load_2addr_b32 v[22:23], v22 offset0:2 offset1:3
.LBB72_37:                              ;   in Loop: Header=BB72_24 Depth=2
	s_or_b32 exec_lo, exec_lo, s18
	v_dual_mov_b32 v31, 0 :: v_dual_mov_b32 v30, 0
	v_dual_mov_b32 v29, 0 :: v_dual_mov_b32 v28, 0
	;; [unrolled: 1-line block ×6, first 2 shown]
	s_mov_b32 s18, exec_lo
	v_cmpx_gt_u32_e64 s4, v50
	s_cbranch_execz .LBB72_22
; %bb.38:                               ;   in Loop: Header=BB72_24 Depth=2
	s_mov_b32 s19, exec_lo
                                        ; implicit-def: $vgpr39
	v_cmpx_lt_u32_e32 0x7fff, v50
	s_xor_b32 s19, exec_lo, s19
	s_cbranch_execz .LBB72_40
; %bb.39:                               ;   in Loop: Header=BB72_24 Depth=2
	v_mov_b32_e32 v51, v44
	s_delay_alu instid0(VALU_DEP_1) | instskip(NEXT) | instid1(VALU_DEP_1)
	v_lshlrev_b64 v[28:29], 1, v[50:51]
	v_add_co_u32 v28, vcc_lo, s12, v28
	s_delay_alu instid0(VALU_DEP_2)
	v_add_co_ci_u32_e32 v29, vcc_lo, s13, v29, vcc_lo
	global_load_b128 v[36:39], v[28:29], off
.LBB72_40:                              ;   in Loop: Header=BB72_24 Depth=2
	s_and_not1_saveexec_b32 s19, s19
	s_cbranch_execz .LBB72_42
; %bb.41:                               ;   in Loop: Header=BB72_24 Depth=2
	s_waitcnt vmcnt(0)
	ds_load_b128 v[36:39], v66 offset:512
.LBB72_42:                              ;   in Loop: Header=BB72_24 Depth=2
	s_or_b32 exec_lo, exec_lo, s19
	v_add_nc_u32_e32 v43, 0x100, v43
	s_mov_b32 s19, exec_lo
                                        ; implicit-def: $vgpr35
	s_delay_alu instid0(VALU_DEP_1)
	v_cmpx_lt_u32_e32 0x7fff, v43
	s_xor_b32 s19, exec_lo, s19
	s_cbranch_execz .LBB72_44
; %bb.43:                               ;   in Loop: Header=BB72_24 Depth=2
	v_lshlrev_b64 v[28:29], 1, v[43:44]
	s_delay_alu instid0(VALU_DEP_1) | instskip(NEXT) | instid1(VALU_DEP_2)
	v_add_co_u32 v28, vcc_lo, s12, v28
	v_add_co_ci_u32_e32 v29, vcc_lo, s13, v29, vcc_lo
	global_load_b128 v[32:35], v[28:29], off
.LBB72_44:                              ;   in Loop: Header=BB72_24 Depth=2
	s_and_not1_saveexec_b32 s19, s19
	s_cbranch_execz .LBB72_46
; %bb.45:                               ;   in Loop: Header=BB72_24 Depth=2
	v_add_nc_u32_e32 v28, s25, v66
	s_waitcnt vmcnt(0)
	ds_load_b128 v[32:35], v28 offset:512
.LBB72_46:                              ;   in Loop: Header=BB72_24 Depth=2
	s_or_b32 exec_lo, exec_lo, s19
	v_add_nc_u32_e32 v43, 0x100, v52
	s_mov_b32 s19, exec_lo
                                        ; implicit-def: $vgpr31
	s_delay_alu instid0(VALU_DEP_1)
	v_cmpx_lt_u32_e32 0x7fff, v43
	s_xor_b32 s19, exec_lo, s19
	s_cbranch_execz .LBB72_48
; %bb.47:                               ;   in Loop: Header=BB72_24 Depth=2
	v_lshlrev_b64 v[28:29], 1, v[43:44]
	s_delay_alu instid0(VALU_DEP_1) | instskip(NEXT) | instid1(VALU_DEP_2)
	v_add_co_u32 v28, vcc_lo, s12, v28
	v_add_co_ci_u32_e32 v29, vcc_lo, s13, v29, vcc_lo
	global_load_b128 v[28:31], v[28:29], off
.LBB72_48:                              ;   in Loop: Header=BB72_24 Depth=2
	s_and_not1_saveexec_b32 s19, s19
	s_cbranch_execz .LBB72_21
; %bb.49:                               ;   in Loop: Header=BB72_24 Depth=2
	s_waitcnt vmcnt(0)
	v_add_nc_u32_e32 v30, s6, v66
	ds_load_2addr_b32 v[28:29], v30 offset0:128 offset1:129
	ds_load_2addr_b32 v[30:31], v30 offset0:130 offset1:131
	s_branch .LBB72_21
.LBB72_50:                              ;   in Loop: Header=BB72_19 Depth=1
	v_cvt_i32_f32_e32 v0, v65
	s_waitcnt lgkmcnt(0)
	v_xor_b32_e32 v1, 16, v59
	v_cvt_i32_f32_e32 v5, v60
	v_cvt_i32_f32_e32 v6, v61
	;; [unrolled: 1-line block ×3, first 2 shown]
	v_cvt_f32_i32_dpp v0, v0 row_shr:8 row_mask:0xf bank_mask:0xf bound_ctrl:1
	v_cmp_gt_i32_e32 vcc_lo, 32, v1
	v_cvt_f32_i32_dpp v5, v5 row_shr:8 row_mask:0xf bank_mask:0xf bound_ctrl:1
	v_cvt_i32_f32_e32 v3, v63
	v_cvt_i32_f32_e32 v4, v62
	v_dual_add_f32 v0, v65, v0 :: v_dual_cndmask_b32 v1, v59, v1
	v_cvt_f32_i32_dpp v6, v6 row_shr:8 row_mask:0xf bank_mask:0xf bound_ctrl:1
	v_add_f32_e32 v5, v60, v5
	v_cvt_f32_i32_dpp v2, v2 row_shr:8 row_mask:0xf bank_mask:0xf bound_ctrl:1
	s_delay_alu instid0(VALU_DEP_4)
	v_cvt_i32_f32_e32 v7, v0
	v_cvt_f32_i32_dpp v3, v3 row_shr:8 row_mask:0xf bank_mask:0xf bound_ctrl:1
	v_add_f32_e32 v6, v61, v6
	v_cvt_f32_i32_dpp v4, v4 row_shr:8 row_mask:0xf bank_mask:0xf bound_ctrl:1
	v_cvt_i32_f32_e32 v10, v5
	v_cvt_f32_i32_dpp v7, v7 row_shr:4 row_mask:0xf bank_mask:0xf bound_ctrl:1
	v_dual_add_f32 v2, v64, v2 :: v_dual_lshlrev_b32 v1, 2, v1
	s_delay_alu instid0(VALU_DEP_4)
	v_dual_add_f32 v3, v63, v3 :: v_dual_add_f32 v4, v62, v4
	v_cvt_i32_f32_e32 v11, v6
	v_cvt_f32_i32_dpp v10, v10 row_shr:4 row_mask:0xf bank_mask:0xf bound_ctrl:1
	v_add_f32_e32 v0, v0, v7
	v_cvt_i32_f32_e32 v8, v2
	v_cvt_i32_f32_e32 v7, v3
	;; [unrolled: 1-line block ×3, first 2 shown]
	v_add_f32_e32 v5, v5, v10
	s_waitcnt vmcnt(0)
	v_cvt_i32_f32_e32 v12, v0
	v_cvt_f32_i32_dpp v11, v11 row_shr:4 row_mask:0xf bank_mask:0xf bound_ctrl:1
	v_cvt_f32_i32_dpp v8, v8 row_shr:4 row_mask:0xf bank_mask:0xf bound_ctrl:1
	;; [unrolled: 1-line block ×5, first 2 shown]
	v_add_f32_e32 v6, v6, v11
	v_cvt_i32_f32_e32 v11, v5
	v_dual_add_f32 v2, v2, v8 :: v_dual_add_f32 v3, v3, v7
	s_delay_alu instid0(VALU_DEP_4) | instskip(NEXT) | instid1(VALU_DEP_3)
	v_add_f32_e32 v0, v0, v12
	v_cvt_f32_i32_dpp v11, v11 row_shr:2 row_mask:0xf bank_mask:0xf bound_ctrl:1
	v_add_f32_e32 v4, v4, v9
	s_delay_alu instid0(VALU_DEP_4)
	v_cvt_i32_f32_e32 v7, v2
	v_cvt_i32_f32_e32 v8, v3
	;; [unrolled: 1-line block ×3, first 2 shown]
	v_add_f32_e32 v5, v5, v11
	v_cvt_i32_f32_e32 v10, v4
	v_cvt_f32_i32_dpp v7, v7 row_shr:2 row_mask:0xf bank_mask:0xf bound_ctrl:1
	v_cvt_f32_i32_dpp v8, v8 row_shr:2 row_mask:0xf bank_mask:0xf bound_ctrl:1
	;; [unrolled: 1-line block ×3, first 2 shown]
	s_delay_alu instid0(VALU_DEP_4) | instskip(NEXT) | instid1(VALU_DEP_2)
	v_cvt_f32_i32_dpp v13, v10 row_shr:2 row_mask:0xf bank_mask:0xf bound_ctrl:1
	v_add_f32_e32 v10, v0, v9
	v_add_f32_e32 v0, v2, v7
	s_delay_alu instid0(VALU_DEP_3) | instskip(SKIP_2) | instid1(VALU_DEP_4)
	v_dual_add_f32 v2, v3, v8 :: v_dual_add_f32 v3, v4, v13
	v_cvt_i32_f32_e32 v12, v6
	v_cvt_i32_f32_e32 v9, v5
	;; [unrolled: 1-line block ×3, first 2 shown]
	s_delay_alu instid0(VALU_DEP_4) | instskip(NEXT) | instid1(VALU_DEP_4)
	v_cvt_i32_f32_e32 v8, v3
	v_cvt_f32_i32_dpp v12, v12 row_shr:2 row_mask:0xf bank_mask:0xf bound_ctrl:1
	s_delay_alu instid0(VALU_DEP_4) | instskip(NEXT) | instid1(VALU_DEP_4)
	v_cvt_f32_i32_dpp v9, v9 row_shr:1 row_mask:0xf bank_mask:0xf bound_ctrl:1
	v_cvt_f32_i32_dpp v4, v4 row_shr:1 row_mask:0xf bank_mask:0xf bound_ctrl:1
	s_delay_alu instid0(VALU_DEP_4) | instskip(NEXT) | instid1(VALU_DEP_4)
	v_cvt_f32_i32_dpp v13, v8 row_shr:1 row_mask:0xf bank_mask:0xf bound_ctrl:1
	v_add_f32_e32 v7, v6, v12
	v_cvt_i32_f32_e32 v6, v2
	s_delay_alu instid0(VALU_DEP_4) | instskip(SKIP_4) | instid1(VALU_DEP_2)
	v_add_f32_e32 v8, v0, v4
	ds_bpermute_b32 v11, v1, v10
	v_add_f32_e32 v4, v3, v13
	v_cvt_i32_f32_e32 v12, v7
	v_cvt_f32_i32_dpp v6, v6 row_shr:1 row_mask:0xf bank_mask:0xf bound_ctrl:1
	v_cvt_f32_i32_dpp v12, v12 row_shr:1 row_mask:0xf bank_mask:0xf bound_ctrl:1
	s_delay_alu instid0(VALU_DEP_2)
	v_add_f32_e32 v6, v2, v6
	v_add_f32_e32 v2, v5, v9
	ds_bpermute_b32 v9, v1, v8
	ds_bpermute_b32 v5, v1, v4
	v_add_f32_e32 v0, v7, v12
	ds_bpermute_b32 v7, v1, v6
	ds_bpermute_b32 v3, v1, v2
	;; [unrolled: 1-line block ×3, first 2 shown]
	s_and_saveexec_b32 s18, s0
	s_cbranch_execz .LBB72_60
; %bb.51:                               ;   in Loop: Header=BB72_19 Depth=1
	v_dual_mov_b32 v17, 0 :: v_dual_mov_b32 v16, 0
	v_dual_mov_b32 v15, 0 :: v_dual_mov_b32 v14, 0
	;; [unrolled: 1-line block ×3, first 2 shown]
	s_and_not1_b32 vcc_lo, exec_lo, s22
	s_cbranch_vccnz .LBB72_53
; %bb.52:                               ;   in Loop: Header=BB72_19 Depth=1
	v_mul_hi_u32 v12, v42, v57
	v_mul_hi_u32 v13, v45, v57
	s_delay_alu instid0(VALU_DEP_2) | instskip(NEXT) | instid1(VALU_DEP_2)
	v_mul_lo_u32 v12, v12, s16
	v_mul_lo_u32 v13, v13, s16
	s_delay_alu instid0(VALU_DEP_2) | instskip(NEXT) | instid1(VALU_DEP_2)
	v_sub_nc_u32_e32 v12, v42, v12
	v_sub_nc_u32_e32 v13, v45, v13
	s_delay_alu instid0(VALU_DEP_2) | instskip(SKIP_1) | instid1(VALU_DEP_3)
	v_subrev_nc_u32_e32 v14, s16, v12
	v_cmp_le_u32_e32 vcc_lo, s16, v12
	v_subrev_nc_u32_e32 v15, s16, v13
	s_delay_alu instid0(VALU_DEP_3) | instskip(SKIP_1) | instid1(VALU_DEP_3)
	v_cndmask_b32_e32 v12, v12, v14, vcc_lo
	v_cmp_le_u32_e32 vcc_lo, s16, v13
	v_dual_cndmask_b32 v14, v13, v15 :: v_dual_mov_b32 v13, v44
	s_delay_alu instid0(VALU_DEP_3) | instskip(SKIP_1) | instid1(VALU_DEP_3)
	v_subrev_nc_u32_e32 v15, s16, v12
	v_cmp_le_u32_e32 vcc_lo, s16, v12
	v_subrev_nc_u32_e32 v16, s16, v14
	s_delay_alu instid0(VALU_DEP_3) | instskip(SKIP_1) | instid1(VALU_DEP_3)
	v_cndmask_b32_e32 v43, v12, v15, vcc_lo
	v_cmp_le_u32_e32 vcc_lo, s16, v14
	v_dual_mov_b32 v15, v44 :: v_dual_cndmask_b32 v12, v14, v16
	s_delay_alu instid0(VALU_DEP_3)
	v_add_nc_u32_e32 v14, s26, v43
	v_lshlrev_b64 v[18:19], 1, v[43:44]
	v_mov_b32_e32 v17, v44
	v_add_nc_u32_e32 v43, s27, v43
	v_add_nc_u32_e32 v16, s26, v12
	v_lshlrev_b64 v[20:21], 1, v[12:13]
	v_lshlrev_b64 v[13:14], 1, v[14:15]
	s_delay_alu instid0(VALU_DEP_4) | instskip(NEXT) | instid1(VALU_DEP_4)
	v_lshlrev_b64 v[22:23], 1, v[43:44]
	v_lshlrev_b64 v[15:16], 1, v[16:17]
	v_add_co_u32 v17, vcc_lo, s8, v18
	v_add_co_ci_u32_e32 v18, vcc_lo, s9, v19, vcc_lo
	v_add_co_u32 v19, vcc_lo, s8, v20
	v_add_nc_u32_e32 v43, s27, v12
	v_add_co_ci_u32_e32 v20, vcc_lo, s9, v21, vcc_lo
	v_add_co_u32 v12, vcc_lo, s8, v13
	v_add_co_ci_u32_e32 v13, vcc_lo, s9, v14, vcc_lo
	s_delay_alu instid0(VALU_DEP_4)
	v_lshlrev_b64 v[24:25], 1, v[43:44]
	v_add_co_u32 v26, vcc_lo, s8, v15
	v_add_co_ci_u32_e32 v27, vcc_lo, s9, v16, vcc_lo
	v_add_co_u32 v21, vcc_lo, s8, v22
	v_add_co_ci_u32_e32 v22, vcc_lo, s9, v23, vcc_lo
	;; [unrolled: 2-line block ×3, first 2 shown]
	s_clause 0x5
	global_load_u16 v17, v[17:18], off
	global_load_u16 v16, v[19:20], off
	;; [unrolled: 1-line block ×6, first 2 shown]
.LBB72_53:                              ;   in Loop: Header=BB72_19 Depth=1
	v_cmp_ne_u32_e32 vcc_lo, 0, v40
	s_and_saveexec_b32 s2, vcc_lo
	s_cbranch_execnz .LBB72_65
; %bb.54:                               ;   in Loop: Header=BB72_19 Depth=1
	s_or_b32 exec_lo, exec_lo, s2
	v_cmp_ne_u32_e64 s1, 0, v41
	s_delay_alu instid0(VALU_DEP_1)
	s_and_saveexec_b32 s19, s1
	s_cbranch_execnz .LBB72_66
.LBB72_55:                              ;   in Loop: Header=BB72_19 Depth=1
	s_or_b32 exec_lo, exec_lo, s19
	v_add_nc_u32_e32 v43, s7, v42
	s_and_saveexec_b32 s19, vcc_lo
	s_cbranch_execnz .LBB72_67
.LBB72_56:                              ;   in Loop: Header=BB72_19 Depth=1
	s_or_b32 exec_lo, exec_lo, s19
	s_and_saveexec_b32 s19, s1
	s_cbranch_execnz .LBB72_68
.LBB72_57:                              ;   in Loop: Header=BB72_19 Depth=1
	s_or_b32 exec_lo, exec_lo, s19
	v_add_nc_u32_e32 v43, s7, v43
	s_and_saveexec_b32 s2, vcc_lo
	s_cbranch_execnz .LBB72_69
.LBB72_58:                              ;   in Loop: Header=BB72_19 Depth=1
	s_or_b32 exec_lo, exec_lo, s2
	s_delay_alu instid0(SALU_CYCLE_1)
	s_and_b32 exec_lo, exec_lo, s1
	s_cbranch_execz .LBB72_60
.LBB72_59:                              ;   in Loop: Header=BB72_19 Depth=1
	s_waitcnt lgkmcnt(0)
	v_dual_add_f32 v0, v0, v1 :: v_dual_add_nc_u32 v43, 1, v43
	s_waitcnt vmcnt(0)
	v_cvt_f32_f16_e32 v1, v12
	s_delay_alu instid0(VALU_DEP_1) | instskip(NEXT) | instid1(VALU_DEP_3)
	v_add_f32_e32 v2, v0, v1
	v_lshlrev_b64 v[0:1], 1, v[43:44]
	s_delay_alu instid0(VALU_DEP_2) | instskip(NEXT) | instid1(VALU_DEP_2)
	v_cvt_f16_f32_e32 v2, v2
	v_add_co_u32 v0, vcc_lo, s10, v0
	s_delay_alu instid0(VALU_DEP_3)
	v_add_co_ci_u32_e32 v1, vcc_lo, s11, v1, vcc_lo
	global_store_b16 v[0:1], v2, off
.LBB72_60:                              ;   in Loop: Header=BB72_19 Depth=1
	s_or_b32 exec_lo, exec_lo, s18
	v_add_nc_u32_e32 v42, s17, v42
	s_delay_alu instid0(VALU_DEP_1) | instskip(SKIP_1) | instid1(VALU_DEP_2)
	v_add_nc_u32_e32 v0, 2, v42
	v_cmp_gt_u32_e32 vcc_lo, s7, v42
	v_cmp_le_u32_e64 s1, s7, v0
	s_delay_alu instid0(VALU_DEP_1) | instskip(NEXT) | instid1(SALU_CYCLE_1)
	s_and_b32 s1, vcc_lo, s1
	s_and_saveexec_b32 s28, s1
	s_cbranch_execz .LBB72_18
; %bb.61:                               ;   in Loop: Header=BB72_19 Depth=1
	s_mov_b32 s29, exec_lo
	v_cmpx_ne_u32_e64 s23, v42
	s_cbranch_execz .LBB72_17
; %bb.62:                               ;   in Loop: Header=BB72_19 Depth=1
	v_subrev_nc_u32_e32 v0, s23, v42
	s_mov_b32 s30, 0
	s_mov_b64 s[18:19], 0
	s_delay_alu instid0(VALU_DEP_1)
	v_cmp_lt_u32_e32 vcc_lo, 1, v0
	v_cndmask_b32_e32 v0, 1, v0, vcc_lo
.LBB72_63:                              ;   Parent Loop BB72_19 Depth=1
                                        ; =>  This Inner Loop Header: Depth=2
	s_cmp_lg_u32 s18, 1
	s_cselect_b32 vcc_lo, -1, 0
	s_cmp_lg_u32 s18, 0
	v_cndmask_b32_e32 v41, 0, v41, vcc_lo
	s_cselect_b32 s1, -1, 0
	s_add_u32 s18, s18, 1
	v_cndmask_b32_e64 v40, 0, v40, s1
	v_cmp_eq_u32_e64 s2, s18, v0
	s_addc_u32 s19, s19, 0
	s_delay_alu instid0(VALU_DEP_1) | instskip(NEXT) | instid1(SALU_CYCLE_1)
	s_or_b32 s30, s2, s30
	s_and_not1_b32 exec_lo, exec_lo, s30
	s_cbranch_execnz .LBB72_63
; %bb.64:                               ;   in Loop: Header=BB72_19 Depth=1
	s_or_b32 exec_lo, exec_lo, s30
	s_branch .LBB72_17
.LBB72_65:                              ;   in Loop: Header=BB72_19 Depth=1
	s_waitcnt lgkmcnt(5)
	v_dual_add_f32 v10, v10, v11 :: v_dual_mov_b32 v43, v44
	s_waitcnt vmcnt(5)
	v_cvt_f32_f16_e32 v11, v17
	s_delay_alu instid0(VALU_DEP_1) | instskip(NEXT) | instid1(VALU_DEP_3)
	v_add_f32_e32 v17, v10, v11
	v_lshlrev_b64 v[10:11], 1, v[42:43]
	s_delay_alu instid0(VALU_DEP_2) | instskip(NEXT) | instid1(VALU_DEP_2)
	v_cvt_f16_f32_e32 v17, v17
	v_add_co_u32 v10, s1, s10, v10
	s_delay_alu instid0(VALU_DEP_1) | instskip(SKIP_3) | instid1(VALU_DEP_1)
	v_add_co_ci_u32_e64 v11, s1, s11, v11, s1
	global_store_b16 v[10:11], v17, off
	s_or_b32 exec_lo, exec_lo, s2
	v_cmp_ne_u32_e64 s1, 0, v41
	s_and_saveexec_b32 s19, s1
	s_cbranch_execz .LBB72_55
.LBB72_66:                              ;   in Loop: Header=BB72_19 Depth=1
	s_waitcnt lgkmcnt(4)
	v_add_f32_e32 v8, v8, v9
	s_waitcnt vmcnt(4)
	v_cvt_f32_f16_e32 v9, v16
	v_mov_b32_e32 v46, v44
	s_delay_alu instid0(VALU_DEP_2) | instskip(NEXT) | instid1(VALU_DEP_2)
	v_add_f32_e32 v10, v8, v9
	v_lshlrev_b64 v[8:9], 1, v[45:46]
	s_delay_alu instid0(VALU_DEP_2) | instskip(NEXT) | instid1(VALU_DEP_2)
	v_cvt_f16_f32_e32 v10, v10
	v_add_co_u32 v8, s2, s10, v8
	s_delay_alu instid0(VALU_DEP_1)
	v_add_co_ci_u32_e64 v9, s2, s11, v9, s2
	global_store_b16 v[8:9], v10, off
	s_or_b32 exec_lo, exec_lo, s19
	v_add_nc_u32_e32 v43, s7, v42
	s_and_saveexec_b32 s19, vcc_lo
	s_cbranch_execz .LBB72_56
.LBB72_67:                              ;   in Loop: Header=BB72_19 Depth=1
	s_waitcnt lgkmcnt(2)
	v_add_f32_e32 v6, v6, v7
	s_waitcnt vmcnt(3)
	v_cvt_f32_f16_e32 v7, v15
	s_delay_alu instid0(VALU_DEP_1) | instskip(SKIP_1) | instid1(VALU_DEP_2)
	v_add_f32_e32 v8, v6, v7
	v_lshlrev_b64 v[6:7], 1, v[43:44]
	v_cvt_f16_f32_e32 v8, v8
	s_delay_alu instid0(VALU_DEP_2) | instskip(NEXT) | instid1(VALU_DEP_1)
	v_add_co_u32 v6, s2, s10, v6
	v_add_co_ci_u32_e64 v7, s2, s11, v7, s2
	global_store_b16 v[6:7], v8, off
	s_or_b32 exec_lo, exec_lo, s19
	s_and_saveexec_b32 s19, s1
	s_cbranch_execz .LBB72_57
.LBB72_68:                              ;   in Loop: Header=BB72_19 Depth=1
	s_waitcnt lgkmcnt(3)
	v_add_f32_e32 v6, v4, v5
	v_dual_mov_b32 v5, v44 :: v_dual_add_nc_u32 v4, 1, v43
	s_waitcnt vmcnt(2) lgkmcnt(2)
	v_cvt_f32_f16_e32 v7, v14
	s_delay_alu instid0(VALU_DEP_2) | instskip(NEXT) | instid1(VALU_DEP_2)
	v_lshlrev_b64 v[4:5], 1, v[4:5]
	v_add_f32_e32 v6, v6, v7
	s_delay_alu instid0(VALU_DEP_1) | instskip(NEXT) | instid1(VALU_DEP_3)
	v_cvt_f16_f32_e32 v6, v6
	v_add_co_u32 v4, s2, s10, v4
	s_delay_alu instid0(VALU_DEP_1)
	v_add_co_ci_u32_e64 v5, s2, s11, v5, s2
	global_store_b16 v[4:5], v6, off
	s_or_b32 exec_lo, exec_lo, s19
	v_add_nc_u32_e32 v43, s7, v43
	s_and_saveexec_b32 s2, vcc_lo
	s_cbranch_execz .LBB72_58
.LBB72_69:                              ;   in Loop: Header=BB72_19 Depth=1
	s_waitcnt lgkmcnt(1)
	v_add_f32_e32 v2, v2, v3
	s_waitcnt vmcnt(1)
	v_cvt_f32_f16_e32 v3, v13
	s_delay_alu instid0(VALU_DEP_1) | instskip(SKIP_1) | instid1(VALU_DEP_2)
	v_add_f32_e32 v4, v2, v3
	v_lshlrev_b64 v[2:3], 1, v[43:44]
	v_cvt_f16_f32_e32 v4, v4
	s_delay_alu instid0(VALU_DEP_2) | instskip(NEXT) | instid1(VALU_DEP_3)
	v_add_co_u32 v2, vcc_lo, s10, v2
	v_add_co_ci_u32_e32 v3, vcc_lo, s11, v3, vcc_lo
	global_store_b16 v[2:3], v4, off
	s_or_b32 exec_lo, exec_lo, s2
	s_delay_alu instid0(SALU_CYCLE_1)
	s_and_b32 exec_lo, exec_lo, s1
	s_cbranch_execnz .LBB72_59
	s_branch .LBB72_60
.LBB72_70:
	s_nop 0
	s_sendmsg sendmsg(MSG_DEALLOC_VGPRS)
	s_endpgm
	.section	.rodata,"a",@progbits
	.p2align	6, 0x0
	.amdhsa_kernel _Z12wvSplitK_hf_I6__halfLi32ELi2ELi16ELi8ELi2ELi3EEviiiiiiPKT_S3_S3_PS1_ii
		.amdhsa_group_segment_fixed_size 65536
		.amdhsa_private_segment_fixed_size 0
		.amdhsa_kernarg_size 64
		.amdhsa_user_sgpr_count 15
		.amdhsa_user_sgpr_dispatch_ptr 0
		.amdhsa_user_sgpr_queue_ptr 0
		.amdhsa_user_sgpr_kernarg_segment_ptr 1
		.amdhsa_user_sgpr_dispatch_id 0
		.amdhsa_user_sgpr_private_segment_size 0
		.amdhsa_wavefront_size32 1
		.amdhsa_uses_dynamic_stack 0
		.amdhsa_enable_private_segment 0
		.amdhsa_system_sgpr_workgroup_id_x 1
		.amdhsa_system_sgpr_workgroup_id_y 0
		.amdhsa_system_sgpr_workgroup_id_z 0
		.amdhsa_system_sgpr_workgroup_info 0
		.amdhsa_system_vgpr_workitem_id 1
		.amdhsa_next_free_vgpr 67
		.amdhsa_next_free_sgpr 31
		.amdhsa_reserve_vcc 1
		.amdhsa_float_round_mode_32 0
		.amdhsa_float_round_mode_16_64 0
		.amdhsa_float_denorm_mode_32 3
		.amdhsa_float_denorm_mode_16_64 3
		.amdhsa_dx10_clamp 1
		.amdhsa_ieee_mode 1
		.amdhsa_fp16_overflow 0
		.amdhsa_workgroup_processor_mode 1
		.amdhsa_memory_ordered 1
		.amdhsa_forward_progress 0
		.amdhsa_shared_vgpr_count 0
		.amdhsa_exception_fp_ieee_invalid_op 0
		.amdhsa_exception_fp_denorm_src 0
		.amdhsa_exception_fp_ieee_div_zero 0
		.amdhsa_exception_fp_ieee_overflow 0
		.amdhsa_exception_fp_ieee_underflow 0
		.amdhsa_exception_fp_ieee_inexact 0
		.amdhsa_exception_int_div_zero 0
	.end_amdhsa_kernel
	.section	.text._Z12wvSplitK_hf_I6__halfLi32ELi2ELi16ELi8ELi2ELi3EEviiiiiiPKT_S3_S3_PS1_ii,"axG",@progbits,_Z12wvSplitK_hf_I6__halfLi32ELi2ELi16ELi8ELi2ELi3EEviiiiiiPKT_S3_S3_PS1_ii,comdat
.Lfunc_end72:
	.size	_Z12wvSplitK_hf_I6__halfLi32ELi2ELi16ELi8ELi2ELi3EEviiiiiiPKT_S3_S3_PS1_ii, .Lfunc_end72-_Z12wvSplitK_hf_I6__halfLi32ELi2ELi16ELi8ELi2ELi3EEviiiiiiPKT_S3_S3_PS1_ii
                                        ; -- End function
	.section	.AMDGPU.csdata,"",@progbits
; Kernel info:
; codeLenInByte = 4816
; NumSgprs: 33
; NumVgprs: 67
; ScratchSize: 0
; MemoryBound: 0
; FloatMode: 240
; IeeeMode: 1
; LDSByteSize: 65536 bytes/workgroup (compile time only)
; SGPRBlocks: 4
; VGPRBlocks: 8
; NumSGPRsForWavesPerEU: 33
; NumVGPRsForWavesPerEU: 67
; Occupancy: 8
; WaveLimiterHint : 0
; COMPUTE_PGM_RSRC2:SCRATCH_EN: 0
; COMPUTE_PGM_RSRC2:USER_SGPR: 15
; COMPUTE_PGM_RSRC2:TRAP_HANDLER: 0
; COMPUTE_PGM_RSRC2:TGID_X_EN: 1
; COMPUTE_PGM_RSRC2:TGID_Y_EN: 0
; COMPUTE_PGM_RSRC2:TGID_Z_EN: 0
; COMPUTE_PGM_RSRC2:TIDIG_COMP_CNT: 1
	.section	.text._Z16wvSplitK_hf_big_I6__halfLi32ELi2ELi16ELi8ELi2ELi3EEviiiiiiPKT_S3_S3_PS1_ii,"axG",@progbits,_Z16wvSplitK_hf_big_I6__halfLi32ELi2ELi16ELi8ELi2ELi3EEviiiiiiPKT_S3_S3_PS1_ii,comdat
	.protected	_Z16wvSplitK_hf_big_I6__halfLi32ELi2ELi16ELi8ELi2ELi3EEviiiiiiPKT_S3_S3_PS1_ii ; -- Begin function _Z16wvSplitK_hf_big_I6__halfLi32ELi2ELi16ELi8ELi2ELi3EEviiiiiiPKT_S3_S3_PS1_ii
	.globl	_Z16wvSplitK_hf_big_I6__halfLi32ELi2ELi16ELi8ELi2ELi3EEviiiiiiPKT_S3_S3_PS1_ii
	.p2align	8
	.type	_Z16wvSplitK_hf_big_I6__halfLi32ELi2ELi16ELi8ELi2ELi3EEviiiiiiPKT_S3_S3_PS1_ii,@function
_Z16wvSplitK_hf_big_I6__halfLi32ELi2ELi16ELi8ELi2ELi3EEviiiiiiPKT_S3_S3_PS1_ii: ; @_Z16wvSplitK_hf_big_I6__halfLi32ELi2ELi16ELi8ELi2ELi3EEviiiiiiPKT_S3_S3_PS1_ii
; %bb.0:
	s_load_b64 s[20:21], s[0:1], 0x38
	v_bfe_u32 v1, v0, 10, 10
	s_mov_b32 s2, exec_lo
	s_waitcnt lgkmcnt(0)
	s_delay_alu instid0(VALU_DEP_1)
	v_cmpx_gt_u32_e64 s20, v1
	s_cbranch_execz .LBB73_52
; %bb.1:
	s_load_b128 s[16:19], s[0:1], 0x0
	s_mul_i32 s15, s15, s20
	s_mov_b32 s4, 1
	v_add_lshl_u32 v42, s15, v1, 1
	s_mov_b32 s5, s4
	s_delay_alu instid0(SALU_CYCLE_1) | instskip(NEXT) | instid1(VALU_DEP_2)
	v_dual_mov_b32 v41, s5 :: v_dual_mov_b32 v40, s4
	v_add_nc_u32_e32 v2, 2, v42
	s_waitcnt lgkmcnt(0)
	v_cmp_gt_u32_e32 vcc_lo, s19, v42
	s_delay_alu instid0(VALU_DEP_2) | instskip(NEXT) | instid1(VALU_DEP_1)
	v_cmp_le_u32_e64 s2, s19, v2
	s_and_b32 s2, vcc_lo, s2
	s_delay_alu instid0(SALU_CYCLE_1)
	s_and_saveexec_b32 s6, s2
	s_cbranch_execz .LBB73_7
; %bb.2:
	v_dual_mov_b32 v41, s5 :: v_dual_mov_b32 v40, s4
	s_add_i32 s7, s19, -2
	s_mov_b32 s8, exec_lo
	v_cmpx_ne_u32_e64 s7, v42
	s_cbranch_execz .LBB73_6
; %bb.3:
	v_subrev_nc_u32_e32 v2, s7, v42
	s_mov_b32 s2, 1
	s_mov_b32 s9, 0
	s_mov_b64 s[4:5], 0
	s_mov_b32 s3, s2
	v_cmp_lt_u32_e32 vcc_lo, 1, v2
	v_cndmask_b32_e32 v2, 1, v2, vcc_lo
.LBB73_4:                               ; =>This Inner Loop Header: Depth=1
	s_cmp_lg_u32 s4, 1
	s_cselect_b32 s3, s3, 0
	s_cmp_lg_u32 s4, 0
	s_cselect_b32 s2, s2, 0
	s_add_u32 s4, s4, 1
	v_dual_mov_b32 v41, s3 :: v_dual_mov_b32 v40, s2
	v_cmp_eq_u32_e32 vcc_lo, s4, v2
	s_addc_u32 s5, s5, 0
	s_or_b32 s9, vcc_lo, s9
	s_delay_alu instid0(SALU_CYCLE_1)
	s_and_not1_b32 exec_lo, exec_lo, s9
	s_cbranch_execnz .LBB73_4
; %bb.5:
	s_or_b32 exec_lo, exec_lo, s9
	v_mov_b32_e32 v42, s7
.LBB73_6:
	s_or_b32 exec_lo, exec_lo, s8
.LBB73_7:
	s_delay_alu instid0(SALU_CYCLE_1)
	s_or_b32 exec_lo, exec_lo, s6
	s_lshl_b32 s2, s20, 1
	s_abs_i32 s6, s19
	s_abs_i32 s3, s2
	s_mov_b32 s22, 0
	v_cvt_f32_u32_e32 v2, s3
	s_sub_i32 s5, 0, s3
	s_delay_alu instid0(VALU_DEP_1) | instskip(SKIP_2) | instid1(VALU_DEP_1)
	v_rcp_iflag_f32_e32 v2, v2
	s_waitcnt_depctr 0xfff
	v_mul_f32_e32 v2, 0x4f7ffffe, v2
	v_cvt_u32_f32_e32 v2, v2
	s_delay_alu instid0(VALU_DEP_1) | instskip(NEXT) | instid1(VALU_DEP_1)
	v_readfirstlane_b32 s4, v2
	s_mul_i32 s5, s5, s4
	s_delay_alu instid0(SALU_CYCLE_1) | instskip(NEXT) | instid1(SALU_CYCLE_1)
	s_mul_hi_u32 s5, s4, s5
	s_add_i32 s4, s4, s5
	s_ashr_i32 s5, s19, 31
	s_mul_hi_u32 s4, s6, s4
	s_delay_alu instid0(SALU_CYCLE_1) | instskip(NEXT) | instid1(SALU_CYCLE_1)
	s_mul_i32 s4, s4, s3
	s_sub_i32 s4, s6, s4
	s_delay_alu instid0(SALU_CYCLE_1) | instskip(SKIP_2) | instid1(SALU_CYCLE_1)
	s_sub_i32 s6, s4, s3
	s_cmp_ge_u32 s4, s3
	s_cselect_b32 s4, s6, s4
	s_sub_i32 s6, s4, s3
	s_cmp_ge_u32 s4, s3
	s_cselect_b32 s3, s6, s4
	s_add_i32 s2, s2, s19
	s_xor_b32 s3, s3, s5
	s_delay_alu instid0(SALU_CYCLE_1) | instskip(NEXT) | instid1(SALU_CYCLE_1)
	s_sub_i32 s3, s3, s5
	s_sub_i32 s2, s2, s3
	s_cmp_eq_u32 s3, 0
	s_cselect_b32 s3, s19, s2
	s_delay_alu instid0(SALU_CYCLE_1)
	v_cmp_gt_u32_e32 vcc_lo, s3, v42
	s_and_b32 exec_lo, exec_lo, vcc_lo
	s_cbranch_execz .LBB73_52
; %bb.8:
	s_load_b256 s[4:11], s[0:1], 0x10
	s_min_u32 s23, s18, 0x2a00
	s_cmp_lg_u32 s16, 0
	s_mul_i32 s2, s21, s20
	s_cselect_b32 s24, -1, 0
	s_cmp_lg_u32 s18, 0
	s_load_b64 s[12:13], s[0:1], 0x30
	s_cselect_b32 s21, -1, 0
	s_lshl_b32 s25, s20, 8
	s_add_i32 s26, s16, -8
	s_add_i32 s27, s19, -1
	s_lshl_b32 s28, s2, 1
	v_and_b32_e32 v0, 0x3ff, v0
	v_mbcnt_lo_u32_b32 v49, -1, 0
	s_delay_alu instid0(VALU_DEP_2)
	v_lshlrev_b32_e32 v50, 3, v0
	v_cmp_eq_u32_e64 s0, 31, v0
	v_lshlrev_b32_e32 v0, 4, v0
	s_waitcnt lgkmcnt(0)
	s_cmp_lg_u64 s[10:11], 0
	v_cvt_f32_u32_e32 v3, s4
	s_cselect_b32 s29, -1, 0
	s_abs_i32 s2, s5
	s_add_i32 s5, s19, -2
	v_cvt_f32_u32_e32 v2, s2
	v_rcp_iflag_f32_e32 v3, v3
	s_sub_i32 s14, 0, s2
	s_sub_i32 s15, 0, s4
	;; [unrolled: 1-line block ×3, first 2 shown]
	v_rcp_iflag_f32_e32 v2, v2
	v_lshl_add_u32 v51, v1, 8, v50
	v_lshl_add_u32 v52, v1, 9, v0
	s_delay_alu instid0(VALU_DEP_2) | instskip(SKIP_3) | instid1(VALU_DEP_1)
	v_lshl_add_u32 v53, s18, 1, v51
	v_add_nc_u32_e32 v54, s18, v51
	s_waitcnt_depctr 0xfff
	v_mul_f32_e32 v2, 0x4f7ffffe, v2
	v_cvt_u32_f32_e32 v2, v2
	s_delay_alu instid0(VALU_DEP_1) | instskip(SKIP_1) | instid1(VALU_DEP_2)
	v_readfirstlane_b32 s1, v2
	v_mul_f32_e32 v2, 0x4f7ffffe, v3
	s_mul_i32 s14, s14, s1
	s_delay_alu instid0(VALU_DEP_1) | instskip(SKIP_1) | instid1(SALU_CYCLE_1)
	v_cvt_u32_f32_e32 v2, v2
	s_mul_hi_u32 s14, s1, s14
	s_add_i32 s1, s1, s14
	s_cmp_lt_u32 s2, 2
	s_delay_alu instid0(VALU_DEP_1) | instskip(SKIP_1) | instid1(SALU_CYCLE_1)
	v_mul_lo_u32 v3, s15, v2
	s_cselect_b32 s14, s30, 1
	s_sub_i32 s15, s14, s2
	s_cmp_ge_u32 s14, s2
	s_cselect_b32 s30, s15, s14
	s_lshr_b32 s1, s1, 31
	s_delay_alu instid0(VALU_DEP_1)
	v_mul_hi_u32 v3, v2, v3
	s_mul_i32 s1, s1, s2
	v_mov_b32_e32 v44, 0
	s_sub_i32 s1, 2, s1
	s_mul_i32 s30, s30, s4
	s_sub_i32 s14, s1, s2
	s_cmp_ge_u32 s1, s2
	s_delay_alu instid0(VALU_DEP_2) | instskip(SKIP_1) | instid1(SALU_CYCLE_1)
	v_add_nc_u32_e32 v55, v2, v3
	s_cselect_b32 s1, s14, s1
	s_sub_i32 s14, s1, s2
	s_cmp_ge_u32 s1, s2
	s_cselect_b32 s35, s14, s1
	s_add_u32 s31, s12, 2
	s_addc_u32 s33, s13, 0
	s_lshl_b32 s34, s23, 2
	s_lshl_b32 s20, s20, 9
	s_mul_i32 s35, s35, s4
	s_lshl_b32 s36, s23, 1
	s_branch .LBB73_12
.LBB73_9:                               ;   in Loop: Header=BB73_12 Depth=1
	s_or_b32 exec_lo, exec_lo, s39
	v_mov_b32_e32 v42, s5
.LBB73_10:                              ;   in Loop: Header=BB73_12 Depth=1
	s_or_b32 exec_lo, exec_lo, s38
.LBB73_11:                              ;   in Loop: Header=BB73_12 Depth=1
	s_delay_alu instid0(SALU_CYCLE_1) | instskip(NEXT) | instid1(VALU_DEP_1)
	s_or_b32 exec_lo, exec_lo, s37
	v_cmp_le_u32_e32 vcc_lo, s3, v42
	s_or_b32 s22, vcc_lo, s22
	s_delay_alu instid0(SALU_CYCLE_1)
	s_and_not1_b32 exec_lo, exec_lo, s22
	s_cbranch_execz .LBB73_52
.LBB73_12:                              ; =>This Loop Header: Depth=1
                                        ;     Child Loop BB73_17 Depth 2
                                        ;       Child Loop BB73_22 Depth 3
                                        ;     Child Loop BB73_45 Depth 2
	v_mov_b32_e32 v61, v44
	v_mov_b32_e32 v60, v44
	;; [unrolled: 1-line block ×6, first 2 shown]
	s_and_not1_b32 vcc_lo, exec_lo, s24
	s_mov_b32 s14, 0
	s_cbranch_vccnz .LBB73_29
; %bb.13:                               ;   in Loop: Header=BB73_12 Depth=1
	v_add_nc_u32_e32 v0, 1, v42
	s_waitcnt lgkmcnt(0)
	v_min_u32_e32 v1, s27, v42
	v_cmp_gt_u32_e64 s1, s19, v42
	v_dual_mov_b32 v56, 0 :: v_dual_mov_b32 v57, 0
	v_dual_mov_b32 v58, 0 :: v_dual_mov_b32 v59, 0
	s_delay_alu instid0(VALU_DEP_4) | instskip(SKIP_4) | instid1(VALU_DEP_2)
	v_mul_lo_u32 v43, v1, s17
	v_mov_b32_e32 v1, v44
	v_min_u32_e32 v0, s27, v0
	v_dual_mov_b32 v60, 0 :: v_dual_mov_b32 v61, 0
	s_mov_b32 s15, 0
	v_mul_lo_u32 v0, v0, s17
	v_lshlrev_b64 v[45:46], 1, v[43:44]
	s_delay_alu instid0(VALU_DEP_2)
	v_lshlrev_b64 v[47:48], 1, v[0:1]
	s_branch .LBB73_17
.LBB73_14:                              ;   in Loop: Header=BB73_17 Depth=2
	s_or_b32 exec_lo, exec_lo, s38
.LBB73_15:                              ;   in Loop: Header=BB73_17 Depth=2
	s_delay_alu instid0(SALU_CYCLE_1)
	s_or_b32 exec_lo, exec_lo, s37
	s_waitcnt vmcnt(3) lgkmcnt(2)
	;;#ASMSTART
	v_dot2_f32_f16 v61, v36, v24, v61
	;;#ASMEND
	s_waitcnt vmcnt(2)
	;;#ASMSTART
	v_dot2_f32_f16 v60, v36, v20, v60
	;;#ASMEND
	s_waitcnt lgkmcnt(1)
	;;#ASMSTART
	v_dot2_f32_f16 v59, v32, v24, v59
	;;#ASMEND
	;;#ASMSTART
	v_dot2_f32_f16 v58, v32, v20, v58
	;;#ASMEND
	s_waitcnt lgkmcnt(0)
	;;#ASMSTART
	v_dot2_f32_f16 v56, v28, v24, v56
	;;#ASMEND
	;;#ASMSTART
	v_dot2_f32_f16 v57, v28, v20, v57
	;;#ASMEND
	;; [unrolled: 3-line block ×20, first 2 shown]
	s_waitcnt vmcnt(1)
	;;#ASMSTART
	v_dot2_f32_f16 v61, v16, v4, v61
	;;#ASMEND
	s_waitcnt vmcnt(0)
	;;#ASMSTART
	v_dot2_f32_f16 v60, v16, v0, v60
	;;#ASMEND
	;;#ASMSTART
	v_dot2_f32_f16 v59, v12, v4, v59
	;;#ASMEND
	;;#ASMSTART
	v_dot2_f32_f16 v58, v12, v0, v58
	;;#ASMEND
	;;#ASMSTART
	v_dot2_f32_f16 v56, v8, v4, v56
	;;#ASMEND
	;;#ASMSTART
	v_dot2_f32_f16 v57, v8, v0, v57
	;;#ASMEND
	;;#ASMSTART
	v_dot2_f32_f16 v61, v17, v5, v61
	;;#ASMEND
	;;#ASMSTART
	v_dot2_f32_f16 v60, v17, v1, v60
	;;#ASMEND
	;;#ASMSTART
	v_dot2_f32_f16 v59, v13, v5, v59
	;;#ASMEND
	;;#ASMSTART
	v_dot2_f32_f16 v58, v13, v1, v58
	;;#ASMEND
	;;#ASMSTART
	v_dot2_f32_f16 v56, v9, v5, v56
	;;#ASMEND
	;;#ASMSTART
	v_dot2_f32_f16 v57, v9, v1, v57
	;;#ASMEND
	;;#ASMSTART
	v_dot2_f32_f16 v61, v18, v6, v61
	;;#ASMEND
	;;#ASMSTART
	v_dot2_f32_f16 v60, v18, v2, v60
	;;#ASMEND
	;;#ASMSTART
	v_dot2_f32_f16 v59, v14, v6, v59
	;;#ASMEND
	;;#ASMSTART
	v_dot2_f32_f16 v58, v14, v2, v58
	;;#ASMEND
	;;#ASMSTART
	v_dot2_f32_f16 v56, v10, v6, v56
	;;#ASMEND
	;;#ASMSTART
	v_dot2_f32_f16 v57, v10, v2, v57
	;;#ASMEND
	;;#ASMSTART
	v_dot2_f32_f16 v61, v19, v7, v61
	;;#ASMEND
	;;#ASMSTART
	v_dot2_f32_f16 v60, v19, v3, v60
	;;#ASMEND
	;;#ASMSTART
	v_dot2_f32_f16 v59, v15, v7, v59
	;;#ASMEND
	;;#ASMSTART
	v_dot2_f32_f16 v58, v15, v3, v58
	;;#ASMEND
	;;#ASMSTART
	v_dot2_f32_f16 v56, v11, v7, v56
	;;#ASMEND
	;;#ASMSTART
	v_dot2_f32_f16 v57, v11, v3, v57
	;;#ASMEND
.LBB73_16:                              ;   in Loop: Header=BB73_17 Depth=2
	s_or_b32 exec_lo, exec_lo, s2
	s_addk_i32 s15, 0x200
	s_delay_alu instid0(SALU_CYCLE_1)
	s_cmp_ge_u32 s15, s16
	s_cbranch_scc1 .LBB73_29
.LBB73_17:                              ;   Parent Loop BB73_12 Depth=1
                                        ; =>  This Loop Header: Depth=2
                                        ;       Child Loop BB73_22 Depth 3
	s_cmp_eq_u32 s15, 0
	s_cselect_b32 s37, -1, 0
	s_add_i32 s2, s14, s23
	s_delay_alu instid0(SALU_CYCLE_1) | instskip(SKIP_1) | instid1(SALU_CYCLE_1)
	s_cmp_eq_u32 s15, s2
	s_cselect_b32 s38, -1, 0
	s_or_b32 s38, s37, s38
	s_delay_alu instid0(SALU_CYCLE_1)
	s_and_not1_b32 vcc_lo, exec_lo, s38
	s_cbranch_vccz .LBB73_19
; %bb.18:                               ;   in Loop: Header=BB73_17 Depth=2
	s_and_saveexec_b32 s2, s1
	s_cbranch_execz .LBB73_16
	s_branch .LBB73_26
.LBB73_19:                              ;   in Loop: Header=BB73_17 Depth=2
	s_and_b32 s37, s37, exec_lo
	s_cselect_b32 s14, s14, s2
	s_and_not1_b32 vcc_lo, exec_lo, s21
	s_waitcnt vmcnt(0)
	s_waitcnt_vscnt null, 0x0
	s_barrier
	buffer_gl0_inv
	s_cbranch_vccnz .LBB73_25
; %bb.20:                               ;   in Loop: Header=BB73_17 Depth=2
	v_dual_mov_b32 v3, v52 :: v_dual_add_nc_u32 v0, s14, v53
	v_add_nc_u32_e32 v1, s14, v54
	v_add_nc_u32_e32 v2, s14, v51
	s_mov_b32 s37, 0
	s_mov_b32 s38, 0
                                        ; implicit-def: $sgpr39
	s_branch .LBB73_22
.LBB73_21:                              ;   in Loop: Header=BB73_22 Depth=3
	s_or_b32 exec_lo, exec_lo, s2
	s_delay_alu instid0(SALU_CYCLE_1) | instskip(NEXT) | instid1(SALU_CYCLE_1)
	s_and_b32 s2, exec_lo, s39
	s_or_b32 s37, s2, s37
	s_delay_alu instid0(SALU_CYCLE_1)
	s_and_not1_b32 exec_lo, exec_lo, s37
	s_cbranch_execz .LBB73_24
.LBB73_22:                              ;   Parent Loop BB73_12 Depth=1
                                        ;     Parent Loop BB73_17 Depth=2
                                        ; =>    This Inner Loop Header: Depth=3
	s_delay_alu instid0(VALU_DEP_1) | instskip(SKIP_2) | instid1(VALU_DEP_2)
	v_add_nc_u32_e32 v43, s38, v2
	v_add_nc_u32_e32 v4, s38, v51
	s_or_b32 s39, s39, exec_lo
	v_cmp_gt_u32_e32 vcc_lo, s18, v43
	s_delay_alu instid0(VALU_DEP_2) | instskip(NEXT) | instid1(VALU_DEP_1)
	v_cmp_gt_u32_e64 s2, s23, v4
	s_and_b32 s40, s2, vcc_lo
	s_delay_alu instid0(SALU_CYCLE_1)
	s_and_saveexec_b32 s2, s40
	s_cbranch_execz .LBB73_21
; %bb.23:                               ;   in Loop: Header=BB73_22 Depth=3
	v_lshlrev_b64 v[4:5], 1, v[43:44]
	v_add_nc_u32_e32 v43, s38, v1
	v_add_nc_u32_e32 v16, s36, v3
	;; [unrolled: 1-line block ×3, first 2 shown]
	s_delay_alu instid0(VALU_DEP_3) | instskip(SKIP_3) | instid1(VALU_DEP_3)
	v_lshlrev_b64 v[6:7], 1, v[43:44]
	v_add_nc_u32_e32 v43, s38, v0
	v_add_co_u32 v4, vcc_lo, s8, v4
	v_add_co_ci_u32_e32 v5, vcc_lo, s9, v5, vcc_lo
	v_lshlrev_b64 v[8:9], 1, v[43:44]
	v_add_co_u32 v10, vcc_lo, s8, v6
	v_add_co_ci_u32_e32 v11, vcc_lo, s9, v7, vcc_lo
	s_add_i32 s38, s38, s25
	s_delay_alu instid0(VALU_DEP_3) | instskip(NEXT) | instid1(VALU_DEP_4)
	v_add_co_u32 v12, vcc_lo, s8, v8
	v_add_co_ci_u32_e32 v13, vcc_lo, s9, v9, vcc_lo
	s_clause 0x2
	global_load_b128 v[4:7], v[4:5], off
	global_load_b128 v[8:11], v[10:11], off
	;; [unrolled: 1-line block ×3, first 2 shown]
	s_cmp_ge_u32 s38, s23
	s_cselect_b32 s40, -1, 0
	s_and_not1_b32 s39, s39, exec_lo
	s_and_b32 s40, s40, exec_lo
	s_delay_alu instid0(SALU_CYCLE_1)
	s_or_b32 s39, s39, s40
	s_waitcnt vmcnt(2)
	ds_store_b128 v3, v[4:7]
	v_add_nc_u32_e32 v3, s20, v3
	s_waitcnt vmcnt(1)
	ds_store_2addr_b64 v16, v[8:9], v[10:11] offset1:1
	s_waitcnt vmcnt(0)
	ds_store_2addr_b32 v17, v12, v13 offset1:1
	ds_store_2addr_b32 v17, v14, v15 offset0:2 offset1:3
	s_branch .LBB73_21
.LBB73_24:                              ;   in Loop: Header=BB73_17 Depth=2
	s_or_b32 exec_lo, exec_lo, s37
.LBB73_25:                              ;   in Loop: Header=BB73_17 Depth=2
	s_waitcnt lgkmcnt(0)
	s_barrier
	buffer_gl0_inv
	s_and_saveexec_b32 s2, s1
	s_cbranch_execz .LBB73_16
.LBB73_26:                              ;   in Loop: Header=BB73_17 Depth=2
	v_dual_mov_b32 v37, 0 :: v_dual_add_nc_u32 v62, s15, v50
	v_dual_mov_b32 v38, 0 :: v_dual_mov_b32 v39, 0
	s_waitcnt vmcnt(4)
	v_dual_mov_b32 v16, 0 :: v_dual_mov_b32 v17, 0
	s_delay_alu instid0(VALU_DEP_3) | instskip(SKIP_2) | instid1(VALU_DEP_3)
	v_min_u32_e32 v43, s26, v62
	v_dual_mov_b32 v36, 0 :: v_dual_add_nc_u32 v63, 0x100, v62
	v_dual_mov_b32 v18, 0 :: v_dual_mov_b32 v19, 0
	v_lshlrev_b64 v[0:1], 1, v[43:44]
	s_delay_alu instid0(VALU_DEP_3) | instskip(SKIP_2) | instid1(VALU_DEP_4)
	v_min_u32_e32 v43, s26, v63
	v_dual_mov_b32 v32, 0 :: v_dual_mov_b32 v33, 0
	v_dual_mov_b32 v34, 0 :: v_dual_mov_b32 v35, 0
	v_add_co_u32 v4, vcc_lo, s6, v0
	v_add_co_ci_u32_e32 v5, vcc_lo, s7, v1, vcc_lo
	v_lshlrev_b64 v[0:1], 1, v[43:44]
	s_delay_alu instid0(VALU_DEP_3) | instskip(NEXT) | instid1(VALU_DEP_3)
	v_add_co_u32 v2, vcc_lo, v4, v45
	v_add_co_ci_u32_e32 v3, vcc_lo, v5, v46, vcc_lo
	s_waitcnt vmcnt(0)
	v_dual_mov_b32 v12, 0 :: v_dual_mov_b32 v13, 0
	s_delay_alu instid0(VALU_DEP_4) | instskip(SKIP_3) | instid1(VALU_DEP_4)
	v_add_co_u32 v6, vcc_lo, s6, v0
	v_add_co_ci_u32_e32 v7, vcc_lo, s7, v1, vcc_lo
	v_add_co_u32 v0, vcc_lo, v4, v47
	v_add_co_ci_u32_e32 v1, vcc_lo, v5, v48, vcc_lo
	v_add_co_u32 v4, vcc_lo, v6, v45
	s_delay_alu instid0(VALU_DEP_4)
	v_add_co_ci_u32_e32 v5, vcc_lo, v7, v46, vcc_lo
	v_add_co_u32 v8, vcc_lo, v6, v47
	v_add_co_ci_u32_e32 v9, vcc_lo, v7, v48, vcc_lo
	s_clause 0x3
	global_load_b128 v[24:27], v[2:3], off slc dlc
	global_load_b128 v[20:23], v[0:1], off slc dlc
	global_load_b128 v[4:7], v[4:5], off slc dlc
	global_load_b128 v[0:3], v[8:9], off slc dlc
	v_cmp_gt_u32_e32 vcc_lo, s16, v62
	v_dual_mov_b32 v14, 0 :: v_dual_mov_b32 v15, 0
	v_dual_mov_b32 v28, 0 :: v_dual_mov_b32 v29, 0
	;; [unrolled: 1-line block ×5, first 2 shown]
	s_and_saveexec_b32 s37, vcc_lo
	s_cbranch_execz .LBB73_15
; %bb.27:                               ;   in Loop: Header=BB73_17 Depth=2
	v_subrev_nc_u32_e32 v8, s14, v62
	v_dual_mov_b32 v14, 0 :: v_dual_mov_b32 v13, 0
	v_dual_mov_b32 v12, 0 :: v_dual_mov_b32 v19, 0
	s_delay_alu instid0(VALU_DEP_3) | instskip(SKIP_2) | instid1(VALU_DEP_3)
	v_dual_mov_b32 v11, 0 :: v_dual_lshlrev_b32 v64, 1, v8
	v_dual_mov_b32 v8, 0 :: v_dual_mov_b32 v15, 0
	v_dual_mov_b32 v18, 0 :: v_dual_mov_b32 v17, 0
	v_dual_mov_b32 v9, 0 :: v_dual_add_nc_u32 v62, s36, v64
	v_mov_b32_e32 v16, 0
	s_mov_b32 s38, exec_lo
	s_delay_alu instid0(VALU_DEP_2)
	v_dual_mov_b32 v10, 0 :: v_dual_add_nc_u32 v43, s36, v62
	ds_load_b128 v[36:39], v64
	ds_load_b128 v[32:35], v62
	;; [unrolled: 1-line block ×3, first 2 shown]
	v_cmpx_gt_u32_e64 s16, v63
	s_cbranch_execz .LBB73_14
; %bb.28:                               ;   in Loop: Header=BB73_17 Depth=2
	ds_load_b128 v[16:19], v64 offset:512
	ds_load_b128 v[12:15], v62 offset:512
	;; [unrolled: 1-line block ×3, first 2 shown]
	s_branch .LBB73_14
.LBB73_29:                              ;   in Loop: Header=BB73_12 Depth=1
	s_mov_b32 s1, exec_lo
	v_cmpx_le_u32_e64 s19, v42
	s_xor_b32 s1, exec_lo, s1
; %bb.30:                               ;   in Loop: Header=BB73_12 Depth=1
	v_add_nc_u32_e32 v42, s28, v42
                                        ; implicit-def: $vgpr61
                                        ; implicit-def: $vgpr60
                                        ; implicit-def: $vgpr59
                                        ; implicit-def: $vgpr58
                                        ; implicit-def: $vgpr56
                                        ; implicit-def: $vgpr57
; %bb.31:                               ;   in Loop: Header=BB73_12 Depth=1
	s_and_not1_saveexec_b32 s37, s1
	s_cbranch_execz .LBB73_11
; %bb.32:                               ;   in Loop: Header=BB73_12 Depth=1
	v_cvt_i32_f32_e32 v0, v61
	s_waitcnt lgkmcnt(0)
	v_xor_b32_e32 v1, 16, v49
	v_cvt_i32_f32_e32 v2, v60
	v_cvt_i32_f32_e32 v5, v56
	;; [unrolled: 1-line block ×3, first 2 shown]
	v_cvt_f32_i32_dpp v0, v0 row_shr:8 row_mask:0xf bank_mask:0xf bound_ctrl:1
	v_cmp_gt_i32_e32 vcc_lo, 32, v1
	v_cvt_f32_i32_dpp v2, v2 row_shr:8 row_mask:0xf bank_mask:0xf bound_ctrl:1
	v_cvt_f32_i32_dpp v5, v5 row_shr:8 row_mask:0xf bank_mask:0xf bound_ctrl:1
	v_cvt_i32_f32_e32 v3, v59
	v_cvt_i32_f32_e32 v4, v58
	s_delay_alu instid0(VALU_DEP_4) | instskip(SKIP_3) | instid1(VALU_DEP_4)
	v_dual_cndmask_b32 v1, v49, v1 :: v_dual_add_f32 v2, v60, v2
	v_add_f32_e32 v0, v61, v0
	v_cvt_f32_i32_dpp v6, v6 row_shr:8 row_mask:0xf bank_mask:0xf bound_ctrl:1
	v_add_f32_e32 v5, v56, v5
	v_lshlrev_b32_e32 v1, 2, v1
	v_cvt_f32_i32_dpp v3, v3 row_shr:8 row_mask:0xf bank_mask:0xf bound_ctrl:1
	v_cvt_i32_f32_e32 v7, v0
	v_add_f32_e32 v6, v57, v6
	v_cvt_f32_i32_dpp v4, v4 row_shr:8 row_mask:0xf bank_mask:0xf bound_ctrl:1
	v_cvt_i32_f32_e32 v10, v5
	v_add_f32_e32 v3, v59, v3
	;; [unrolled: 3-line block ×4, first 2 shown]
	v_cvt_i32_f32_e32 v7, v3
	v_cvt_i32_f32_e32 v9, v4
	v_add_f32_e32 v5, v5, v10
	v_cvt_f32_i32_dpp v11, v11 row_shr:4 row_mask:0xf bank_mask:0xf bound_ctrl:1
	s_waitcnt vmcnt(0)
	v_cvt_i32_f32_e32 v12, v0
	v_cvt_f32_i32_dpp v8, v8 row_shr:4 row_mask:0xf bank_mask:0xf bound_ctrl:1
	v_cvt_f32_i32_dpp v7, v7 row_shr:4 row_mask:0xf bank_mask:0xf bound_ctrl:1
	;; [unrolled: 1-line block ×3, first 2 shown]
	v_add_f32_e32 v6, v6, v11
	v_cvt_f32_i32_dpp v12, v12 row_shr:2 row_mask:0xf bank_mask:0xf bound_ctrl:1
	v_cvt_i32_f32_e32 v11, v5
	v_dual_add_f32 v2, v2, v8 :: v_dual_add_f32 v3, v3, v7
	s_delay_alu instid0(VALU_DEP_3) | instskip(NEXT) | instid1(VALU_DEP_3)
	v_add_f32_e32 v0, v0, v12
	v_cvt_f32_i32_dpp v11, v11 row_shr:2 row_mask:0xf bank_mask:0xf bound_ctrl:1
	v_add_f32_e32 v4, v4, v9
	s_delay_alu instid0(VALU_DEP_4)
	v_cvt_i32_f32_e32 v7, v2
	v_cvt_i32_f32_e32 v8, v3
	;; [unrolled: 1-line block ×3, first 2 shown]
	v_add_f32_e32 v5, v5, v11
	v_cvt_i32_f32_e32 v10, v4
	v_cvt_f32_i32_dpp v7, v7 row_shr:2 row_mask:0xf bank_mask:0xf bound_ctrl:1
	v_cvt_f32_i32_dpp v8, v8 row_shr:2 row_mask:0xf bank_mask:0xf bound_ctrl:1
	;; [unrolled: 1-line block ×3, first 2 shown]
	s_delay_alu instid0(VALU_DEP_4) | instskip(NEXT) | instid1(VALU_DEP_2)
	v_cvt_f32_i32_dpp v13, v10 row_shr:2 row_mask:0xf bank_mask:0xf bound_ctrl:1
	v_add_f32_e32 v10, v0, v9
	v_add_f32_e32 v0, v2, v7
	s_delay_alu instid0(VALU_DEP_3) | instskip(SKIP_2) | instid1(VALU_DEP_4)
	v_dual_add_f32 v2, v3, v8 :: v_dual_add_f32 v3, v4, v13
	v_cvt_i32_f32_e32 v12, v6
	v_cvt_i32_f32_e32 v9, v5
	;; [unrolled: 1-line block ×3, first 2 shown]
	s_delay_alu instid0(VALU_DEP_4) | instskip(NEXT) | instid1(VALU_DEP_4)
	v_cvt_i32_f32_e32 v8, v3
	v_cvt_f32_i32_dpp v12, v12 row_shr:2 row_mask:0xf bank_mask:0xf bound_ctrl:1
	s_delay_alu instid0(VALU_DEP_4) | instskip(NEXT) | instid1(VALU_DEP_4)
	v_cvt_f32_i32_dpp v9, v9 row_shr:1 row_mask:0xf bank_mask:0xf bound_ctrl:1
	v_cvt_f32_i32_dpp v4, v4 row_shr:1 row_mask:0xf bank_mask:0xf bound_ctrl:1
	s_delay_alu instid0(VALU_DEP_4) | instskip(NEXT) | instid1(VALU_DEP_4)
	v_cvt_f32_i32_dpp v13, v8 row_shr:1 row_mask:0xf bank_mask:0xf bound_ctrl:1
	v_add_f32_e32 v7, v6, v12
	v_cvt_i32_f32_e32 v6, v2
	s_delay_alu instid0(VALU_DEP_4) | instskip(SKIP_4) | instid1(VALU_DEP_2)
	v_add_f32_e32 v8, v0, v4
	ds_bpermute_b32 v11, v1, v10
	v_add_f32_e32 v4, v3, v13
	v_cvt_i32_f32_e32 v12, v7
	v_cvt_f32_i32_dpp v6, v6 row_shr:1 row_mask:0xf bank_mask:0xf bound_ctrl:1
	v_cvt_f32_i32_dpp v12, v12 row_shr:1 row_mask:0xf bank_mask:0xf bound_ctrl:1
	s_delay_alu instid0(VALU_DEP_2)
	v_add_f32_e32 v6, v2, v6
	v_add_f32_e32 v2, v5, v9
	ds_bpermute_b32 v9, v1, v8
	ds_bpermute_b32 v5, v1, v4
	v_add_f32_e32 v0, v7, v12
	ds_bpermute_b32 v7, v1, v6
	ds_bpermute_b32 v3, v1, v2
	;; [unrolled: 1-line block ×3, first 2 shown]
	s_and_saveexec_b32 s14, s0
	s_cbranch_execz .LBB73_42
; %bb.33:                               ;   in Loop: Header=BB73_12 Depth=1
	v_dual_mov_b32 v17, 0 :: v_dual_mov_b32 v16, 0
	v_dual_mov_b32 v15, 0 :: v_dual_mov_b32 v14, 0
	;; [unrolled: 1-line block ×3, first 2 shown]
	s_and_not1_b32 vcc_lo, exec_lo, s29
	s_cbranch_vccnz .LBB73_35
; %bb.34:                               ;   in Loop: Header=BB73_12 Depth=1
	v_add_nc_u32_e32 v12, 1, v42
	v_mul_hi_u32 v13, v42, v55
	s_delay_alu instid0(VALU_DEP_2) | instskip(NEXT) | instid1(VALU_DEP_2)
	v_mul_hi_u32 v14, v12, v55
	v_mul_lo_u32 v13, v13, s4
	s_delay_alu instid0(VALU_DEP_2) | instskip(NEXT) | instid1(VALU_DEP_2)
	v_mul_lo_u32 v14, v14, s4
	v_sub_nc_u32_e32 v13, v42, v13
	s_delay_alu instid0(VALU_DEP_2) | instskip(NEXT) | instid1(VALU_DEP_2)
	v_sub_nc_u32_e32 v12, v12, v14
	v_subrev_nc_u32_e32 v14, s4, v13
	v_cmp_le_u32_e32 vcc_lo, s4, v13
	s_delay_alu instid0(VALU_DEP_3) | instskip(NEXT) | instid1(VALU_DEP_3)
	v_subrev_nc_u32_e32 v15, s4, v12
	v_cndmask_b32_e32 v13, v13, v14, vcc_lo
	v_cmp_le_u32_e32 vcc_lo, s4, v12
	s_delay_alu instid0(VALU_DEP_3) | instskip(NEXT) | instid1(VALU_DEP_3)
	v_cndmask_b32_e32 v12, v12, v15, vcc_lo
	v_subrev_nc_u32_e32 v14, s4, v13
	v_cmp_le_u32_e32 vcc_lo, s4, v13
	s_delay_alu instid0(VALU_DEP_3) | instskip(NEXT) | instid1(VALU_DEP_3)
	v_subrev_nc_u32_e32 v16, s4, v12
	v_cndmask_b32_e32 v43, v13, v14, vcc_lo
	v_cmp_le_u32_e32 vcc_lo, s4, v12
	v_mov_b32_e32 v13, v44
	s_delay_alu instid0(VALU_DEP_4) | instskip(NEXT) | instid1(VALU_DEP_4)
	v_cndmask_b32_e32 v12, v12, v16, vcc_lo
	v_lshlrev_b64 v[16:17], 1, v[43:44]
	v_dual_mov_b32 v15, v44 :: v_dual_add_nc_u32 v14, s30, v43
	v_add_nc_u32_e32 v43, s35, v43
	s_delay_alu instid0(VALU_DEP_4) | instskip(SKIP_1) | instid1(VALU_DEP_4)
	v_lshlrev_b64 v[20:21], 1, v[12:13]
	v_dual_mov_b32 v19, v44 :: v_dual_add_nc_u32 v18, s30, v12
	v_lshlrev_b64 v[13:14], 1, v[14:15]
	v_add_co_u32 v15, vcc_lo, s10, v16
	v_add_co_ci_u32_e32 v16, vcc_lo, s11, v17, vcc_lo
	v_lshlrev_b64 v[22:23], 1, v[43:44]
	v_lshlrev_b64 v[17:18], 1, v[18:19]
	v_add_co_u32 v19, vcc_lo, s10, v20
	v_add_nc_u32_e32 v43, s35, v12
	v_add_co_ci_u32_e32 v20, vcc_lo, s11, v21, vcc_lo
	v_add_co_u32 v12, vcc_lo, s10, v13
	v_add_co_ci_u32_e32 v13, vcc_lo, s11, v14, vcc_lo
	s_delay_alu instid0(VALU_DEP_4)
	v_lshlrev_b64 v[24:25], 1, v[43:44]
	v_add_co_u32 v21, vcc_lo, s10, v22
	v_add_co_ci_u32_e32 v22, vcc_lo, s11, v23, vcc_lo
	v_add_co_u32 v26, vcc_lo, s10, v17
	v_add_co_ci_u32_e32 v27, vcc_lo, s11, v18, vcc_lo
	;; [unrolled: 2-line block ×3, first 2 shown]
	s_clause 0x5
	global_load_u16 v17, v[15:16], off
	global_load_u16 v16, v[19:20], off
	;; [unrolled: 1-line block ×6, first 2 shown]
.LBB73_35:                              ;   in Loop: Header=BB73_12 Depth=1
	v_cmp_ne_u32_e32 vcc_lo, 0, v40
	s_and_saveexec_b32 s2, vcc_lo
	s_cbranch_execnz .LBB73_47
; %bb.36:                               ;   in Loop: Header=BB73_12 Depth=1
	s_or_b32 exec_lo, exec_lo, s2
	v_cmp_ne_u32_e64 s1, 0, v41
	s_delay_alu instid0(VALU_DEP_1)
	s_and_saveexec_b32 s15, s1
	s_cbranch_execnz .LBB73_48
.LBB73_37:                              ;   in Loop: Header=BB73_12 Depth=1
	s_or_b32 exec_lo, exec_lo, s15
	v_add_nc_u32_e32 v43, s19, v42
	s_and_saveexec_b32 s15, vcc_lo
	s_cbranch_execnz .LBB73_49
.LBB73_38:                              ;   in Loop: Header=BB73_12 Depth=1
	s_or_b32 exec_lo, exec_lo, s15
	s_and_saveexec_b32 s15, s1
	s_cbranch_execnz .LBB73_50
.LBB73_39:                              ;   in Loop: Header=BB73_12 Depth=1
	s_or_b32 exec_lo, exec_lo, s15
	v_add_nc_u32_e32 v43, s19, v43
	s_and_saveexec_b32 s2, vcc_lo
	s_cbranch_execnz .LBB73_51
.LBB73_40:                              ;   in Loop: Header=BB73_12 Depth=1
	s_or_b32 exec_lo, exec_lo, s2
	s_delay_alu instid0(SALU_CYCLE_1)
	s_and_b32 exec_lo, exec_lo, s1
	s_cbranch_execz .LBB73_42
.LBB73_41:                              ;   in Loop: Header=BB73_12 Depth=1
	s_waitcnt lgkmcnt(0)
	v_dual_add_f32 v0, v0, v1 :: v_dual_add_nc_u32 v43, 1, v43
	s_waitcnt vmcnt(0)
	v_cvt_f32_f16_e32 v1, v12
	s_delay_alu instid0(VALU_DEP_1) | instskip(NEXT) | instid1(VALU_DEP_3)
	v_add_f32_e32 v2, v0, v1
	v_lshlrev_b64 v[0:1], 1, v[43:44]
	s_delay_alu instid0(VALU_DEP_2) | instskip(NEXT) | instid1(VALU_DEP_2)
	v_cvt_f16_f32_e32 v2, v2
	v_add_co_u32 v0, vcc_lo, s12, v0
	s_delay_alu instid0(VALU_DEP_3)
	v_add_co_ci_u32_e32 v1, vcc_lo, s13, v1, vcc_lo
	global_store_b16 v[0:1], v2, off
.LBB73_42:                              ;   in Loop: Header=BB73_12 Depth=1
	s_or_b32 exec_lo, exec_lo, s14
	v_add_nc_u32_e32 v42, s28, v42
	s_delay_alu instid0(VALU_DEP_1) | instskip(SKIP_1) | instid1(VALU_DEP_2)
	v_add_nc_u32_e32 v0, 2, v42
	v_cmp_gt_u32_e32 vcc_lo, s19, v42
	v_cmp_le_u32_e64 s1, s19, v0
	s_delay_alu instid0(VALU_DEP_1) | instskip(NEXT) | instid1(SALU_CYCLE_1)
	s_and_b32 s1, vcc_lo, s1
	s_and_saveexec_b32 s38, s1
	s_cbranch_execz .LBB73_10
; %bb.43:                               ;   in Loop: Header=BB73_12 Depth=1
	s_mov_b32 s39, exec_lo
	v_cmpx_ne_u32_e64 s5, v42
	s_cbranch_execz .LBB73_9
; %bb.44:                               ;   in Loop: Header=BB73_12 Depth=1
	v_subrev_nc_u32_e32 v0, s5, v42
	s_mov_b32 s40, 0
	s_mov_b64 s[14:15], 0
	s_delay_alu instid0(VALU_DEP_1)
	v_cmp_lt_u32_e32 vcc_lo, 1, v0
	v_cndmask_b32_e32 v0, 1, v0, vcc_lo
.LBB73_45:                              ;   Parent Loop BB73_12 Depth=1
                                        ; =>  This Inner Loop Header: Depth=2
	s_cmp_lg_u32 s14, 1
	s_cselect_b32 vcc_lo, -1, 0
	s_cmp_lg_u32 s14, 0
	v_cndmask_b32_e32 v41, 0, v41, vcc_lo
	s_cselect_b32 s1, -1, 0
	s_add_u32 s14, s14, 1
	v_cndmask_b32_e64 v40, 0, v40, s1
	v_cmp_eq_u32_e64 s2, s14, v0
	s_addc_u32 s15, s15, 0
	s_delay_alu instid0(VALU_DEP_1) | instskip(NEXT) | instid1(SALU_CYCLE_1)
	s_or_b32 s40, s2, s40
	s_and_not1_b32 exec_lo, exec_lo, s40
	s_cbranch_execnz .LBB73_45
; %bb.46:                               ;   in Loop: Header=BB73_12 Depth=1
	s_or_b32 exec_lo, exec_lo, s40
	s_branch .LBB73_9
.LBB73_47:                              ;   in Loop: Header=BB73_12 Depth=1
	s_waitcnt lgkmcnt(5)
	v_dual_add_f32 v10, v10, v11 :: v_dual_mov_b32 v43, v44
	s_waitcnt vmcnt(5)
	v_cvt_f32_f16_e32 v11, v17
	s_delay_alu instid0(VALU_DEP_1) | instskip(NEXT) | instid1(VALU_DEP_3)
	v_add_f32_e32 v17, v10, v11
	v_lshlrev_b64 v[10:11], 1, v[42:43]
	s_delay_alu instid0(VALU_DEP_2) | instskip(NEXT) | instid1(VALU_DEP_2)
	v_cvt_f16_f32_e32 v17, v17
	v_add_co_u32 v10, s1, s12, v10
	s_delay_alu instid0(VALU_DEP_1) | instskip(SKIP_3) | instid1(VALU_DEP_1)
	v_add_co_ci_u32_e64 v11, s1, s13, v11, s1
	global_store_b16 v[10:11], v17, off
	s_or_b32 exec_lo, exec_lo, s2
	v_cmp_ne_u32_e64 s1, 0, v41
	s_and_saveexec_b32 s15, s1
	s_cbranch_execz .LBB73_37
.LBB73_48:                              ;   in Loop: Header=BB73_12 Depth=1
	s_waitcnt lgkmcnt(4)
	v_add_f32_e32 v8, v8, v9
	s_waitcnt vmcnt(4)
	v_cvt_f32_f16_e32 v9, v16
	v_mov_b32_e32 v43, v44
	s_delay_alu instid0(VALU_DEP_2) | instskip(NEXT) | instid1(VALU_DEP_2)
	v_add_f32_e32 v10, v8, v9
	v_lshlrev_b64 v[8:9], 1, v[42:43]
	s_delay_alu instid0(VALU_DEP_2) | instskip(NEXT) | instid1(VALU_DEP_2)
	v_cvt_f16_f32_e32 v10, v10
	v_add_co_u32 v8, s2, s31, v8
	s_delay_alu instid0(VALU_DEP_1)
	v_add_co_ci_u32_e64 v9, s2, s33, v9, s2
	global_store_b16 v[8:9], v10, off
	s_or_b32 exec_lo, exec_lo, s15
	v_add_nc_u32_e32 v43, s19, v42
	s_and_saveexec_b32 s15, vcc_lo
	s_cbranch_execz .LBB73_38
.LBB73_49:                              ;   in Loop: Header=BB73_12 Depth=1
	s_waitcnt lgkmcnt(2)
	v_add_f32_e32 v6, v6, v7
	s_waitcnt vmcnt(3)
	v_cvt_f32_f16_e32 v7, v15
	s_delay_alu instid0(VALU_DEP_1) | instskip(SKIP_1) | instid1(VALU_DEP_2)
	v_add_f32_e32 v8, v6, v7
	v_lshlrev_b64 v[6:7], 1, v[43:44]
	v_cvt_f16_f32_e32 v8, v8
	s_delay_alu instid0(VALU_DEP_2) | instskip(NEXT) | instid1(VALU_DEP_1)
	v_add_co_u32 v6, s2, s12, v6
	v_add_co_ci_u32_e64 v7, s2, s13, v7, s2
	global_store_b16 v[6:7], v8, off
	s_or_b32 exec_lo, exec_lo, s15
	s_and_saveexec_b32 s15, s1
	s_cbranch_execz .LBB73_39
.LBB73_50:                              ;   in Loop: Header=BB73_12 Depth=1
	s_waitcnt lgkmcnt(3)
	v_add_f32_e32 v6, v4, v5
	v_dual_mov_b32 v5, v44 :: v_dual_add_nc_u32 v4, 1, v43
	s_waitcnt vmcnt(2) lgkmcnt(2)
	v_cvt_f32_f16_e32 v7, v14
	s_delay_alu instid0(VALU_DEP_2) | instskip(NEXT) | instid1(VALU_DEP_2)
	v_lshlrev_b64 v[4:5], 1, v[4:5]
	v_add_f32_e32 v6, v6, v7
	s_delay_alu instid0(VALU_DEP_1) | instskip(NEXT) | instid1(VALU_DEP_3)
	v_cvt_f16_f32_e32 v6, v6
	v_add_co_u32 v4, s2, s12, v4
	s_delay_alu instid0(VALU_DEP_1)
	v_add_co_ci_u32_e64 v5, s2, s13, v5, s2
	global_store_b16 v[4:5], v6, off
	s_or_b32 exec_lo, exec_lo, s15
	v_add_nc_u32_e32 v43, s19, v43
	s_and_saveexec_b32 s2, vcc_lo
	s_cbranch_execz .LBB73_40
.LBB73_51:                              ;   in Loop: Header=BB73_12 Depth=1
	s_waitcnt lgkmcnt(1)
	v_add_f32_e32 v2, v2, v3
	s_waitcnt vmcnt(1)
	v_cvt_f32_f16_e32 v3, v13
	s_delay_alu instid0(VALU_DEP_1) | instskip(SKIP_1) | instid1(VALU_DEP_2)
	v_add_f32_e32 v4, v2, v3
	v_lshlrev_b64 v[2:3], 1, v[43:44]
	v_cvt_f16_f32_e32 v4, v4
	s_delay_alu instid0(VALU_DEP_2) | instskip(NEXT) | instid1(VALU_DEP_3)
	v_add_co_u32 v2, vcc_lo, s12, v2
	v_add_co_ci_u32_e32 v3, vcc_lo, s13, v3, vcc_lo
	global_store_b16 v[2:3], v4, off
	s_or_b32 exec_lo, exec_lo, s2
	s_delay_alu instid0(SALU_CYCLE_1)
	s_and_b32 exec_lo, exec_lo, s1
	s_cbranch_execnz .LBB73_41
	s_branch .LBB73_42
.LBB73_52:
	s_nop 0
	s_sendmsg sendmsg(MSG_DEALLOC_VGPRS)
	s_endpgm
	.section	.rodata,"a",@progbits
	.p2align	6, 0x0
	.amdhsa_kernel _Z16wvSplitK_hf_big_I6__halfLi32ELi2ELi16ELi8ELi2ELi3EEviiiiiiPKT_S3_S3_PS1_ii
		.amdhsa_group_segment_fixed_size 65536
		.amdhsa_private_segment_fixed_size 0
		.amdhsa_kernarg_size 64
		.amdhsa_user_sgpr_count 15
		.amdhsa_user_sgpr_dispatch_ptr 0
		.amdhsa_user_sgpr_queue_ptr 0
		.amdhsa_user_sgpr_kernarg_segment_ptr 1
		.amdhsa_user_sgpr_dispatch_id 0
		.amdhsa_user_sgpr_private_segment_size 0
		.amdhsa_wavefront_size32 1
		.amdhsa_uses_dynamic_stack 0
		.amdhsa_enable_private_segment 0
		.amdhsa_system_sgpr_workgroup_id_x 1
		.amdhsa_system_sgpr_workgroup_id_y 0
		.amdhsa_system_sgpr_workgroup_id_z 0
		.amdhsa_system_sgpr_workgroup_info 0
		.amdhsa_system_vgpr_workitem_id 1
		.amdhsa_next_free_vgpr 65
		.amdhsa_next_free_sgpr 41
		.amdhsa_reserve_vcc 1
		.amdhsa_float_round_mode_32 0
		.amdhsa_float_round_mode_16_64 0
		.amdhsa_float_denorm_mode_32 3
		.amdhsa_float_denorm_mode_16_64 3
		.amdhsa_dx10_clamp 1
		.amdhsa_ieee_mode 1
		.amdhsa_fp16_overflow 0
		.amdhsa_workgroup_processor_mode 1
		.amdhsa_memory_ordered 1
		.amdhsa_forward_progress 0
		.amdhsa_shared_vgpr_count 0
		.amdhsa_exception_fp_ieee_invalid_op 0
		.amdhsa_exception_fp_denorm_src 0
		.amdhsa_exception_fp_ieee_div_zero 0
		.amdhsa_exception_fp_ieee_overflow 0
		.amdhsa_exception_fp_ieee_underflow 0
		.amdhsa_exception_fp_ieee_inexact 0
		.amdhsa_exception_int_div_zero 0
	.end_amdhsa_kernel
	.section	.text._Z16wvSplitK_hf_big_I6__halfLi32ELi2ELi16ELi8ELi2ELi3EEviiiiiiPKT_S3_S3_PS1_ii,"axG",@progbits,_Z16wvSplitK_hf_big_I6__halfLi32ELi2ELi16ELi8ELi2ELi3EEviiiiiiPKT_S3_S3_PS1_ii,comdat
.Lfunc_end73:
	.size	_Z16wvSplitK_hf_big_I6__halfLi32ELi2ELi16ELi8ELi2ELi3EEviiiiiiPKT_S3_S3_PS1_ii, .Lfunc_end73-_Z16wvSplitK_hf_big_I6__halfLi32ELi2ELi16ELi8ELi2ELi3EEviiiiiiPKT_S3_S3_PS1_ii
                                        ; -- End function
	.section	.AMDGPU.csdata,"",@progbits
; Kernel info:
; codeLenInByte = 4436
; NumSgprs: 43
; NumVgprs: 65
; ScratchSize: 0
; MemoryBound: 0
; FloatMode: 240
; IeeeMode: 1
; LDSByteSize: 65536 bytes/workgroup (compile time only)
; SGPRBlocks: 5
; VGPRBlocks: 8
; NumSGPRsForWavesPerEU: 43
; NumVGPRsForWavesPerEU: 65
; Occupancy: 8
; WaveLimiterHint : 0
; COMPUTE_PGM_RSRC2:SCRATCH_EN: 0
; COMPUTE_PGM_RSRC2:USER_SGPR: 15
; COMPUTE_PGM_RSRC2:TRAP_HANDLER: 0
; COMPUTE_PGM_RSRC2:TGID_X_EN: 1
; COMPUTE_PGM_RSRC2:TGID_Y_EN: 0
; COMPUTE_PGM_RSRC2:TGID_Z_EN: 0
; COMPUTE_PGM_RSRC2:TIDIG_COMP_CNT: 1
	.section	.text._Z16wvSplitK_hf_sml_I6__halfLi32ELi3ELi16ELi8ELi2ELi3EEviiiiiiPKT_S3_S3_PS1_ii,"axG",@progbits,_Z16wvSplitK_hf_sml_I6__halfLi32ELi3ELi16ELi8ELi2ELi3EEviiiiiiPKT_S3_S3_PS1_ii,comdat
	.protected	_Z16wvSplitK_hf_sml_I6__halfLi32ELi3ELi16ELi8ELi2ELi3EEviiiiiiPKT_S3_S3_PS1_ii ; -- Begin function _Z16wvSplitK_hf_sml_I6__halfLi32ELi3ELi16ELi8ELi2ELi3EEviiiiiiPKT_S3_S3_PS1_ii
	.globl	_Z16wvSplitK_hf_sml_I6__halfLi32ELi3ELi16ELi8ELi2ELi3EEviiiiiiPKT_S3_S3_PS1_ii
	.p2align	8
	.type	_Z16wvSplitK_hf_sml_I6__halfLi32ELi3ELi16ELi8ELi2ELi3EEviiiiiiPKT_S3_S3_PS1_ii,@function
_Z16wvSplitK_hf_sml_I6__halfLi32ELi3ELi16ELi8ELi2ELi3EEviiiiiiPKT_S3_S3_PS1_ii: ; @_Z16wvSplitK_hf_sml_I6__halfLi32ELi3ELi16ELi8ELi2ELi3EEviiiiiiPKT_S3_S3_PS1_ii
; %bb.0:
	s_load_b128 s[4:7], s[0:1], 0x0
	v_and_b32_e32 v1, 0x3ff, v0
	v_bfe_u32 v0, v0, 10, 10
	s_mov_b32 s8, exec_lo
	s_delay_alu instid0(VALU_DEP_2) | instskip(NEXT) | instid1(VALU_DEP_1)
	v_lshlrev_b32_e32 v60, 3, v1
	v_lshl_add_u32 v3, v0, 8, v60
	s_waitcnt lgkmcnt(0)
	s_mul_i32 s2, s6, 3
	s_delay_alu instid0(SALU_CYCLE_1)
	s_min_u32 s9, s2, 0x8000
	s_delay_alu instid0(VALU_DEP_1) | instid1(SALU_CYCLE_1)
	v_cmpx_gt_u32_e64 s9, v3
	s_cbranch_execz .LBB74_9
; %bb.1:
	s_load_b64 s[2:3], s[0:1], 0x20
	v_lshlrev_b32_e32 v2, 1, v3
	v_add_nc_u32_e32 v8, 0x1000, v3
	s_mov_b32 s10, exec_lo
	s_waitcnt lgkmcnt(0)
	global_load_b128 v[4:7], v2, s[2:3]
	s_waitcnt vmcnt(0)
	ds_store_b128 v2, v[4:7]
	v_cmpx_gt_u32_e64 s9, v8
	s_xor_b32 s10, exec_lo, s10
	s_cbranch_execz .LBB74_9
; %bb.2:
	v_add_co_u32 v4, s2, s2, v2
	s_delay_alu instid0(VALU_DEP_1) | instskip(SKIP_1) | instid1(VALU_DEP_3)
	v_add_co_ci_u32_e64 v5, null, s3, 0, s2
	v_add_nc_u32_e32 v10, 0x2000, v3
	v_add_co_u32 v6, vcc_lo, 0x2000, v4
	s_delay_alu instid0(VALU_DEP_3)
	v_add_co_ci_u32_e32 v7, vcc_lo, 0, v5, vcc_lo
	s_mov_b32 s2, exec_lo
	global_load_b128 v[6:9], v[6:7], off
	s_waitcnt vmcnt(0)
	ds_store_b128 v2, v[6:9] offset:8192
	v_cmpx_gt_u32_e64 s9, v10
	s_xor_b32 s2, exec_lo, s2
	s_cbranch_execz .LBB74_9
; %bb.3:
	v_add_co_u32 v6, vcc_lo, 0x4000, v4
	v_add_co_ci_u32_e32 v7, vcc_lo, 0, v5, vcc_lo
	v_add_nc_u32_e32 v10, 0x3000, v3
	s_mov_b32 s2, exec_lo
	global_load_b128 v[6:9], v[6:7], off
	s_waitcnt vmcnt(0)
	ds_store_b128 v2, v[6:9] offset:16384
	v_cmpx_gt_u32_e64 s9, v10
	s_xor_b32 s2, exec_lo, s2
	s_cbranch_execz .LBB74_9
; %bb.4:
	v_add_co_u32 v6, vcc_lo, 0x6000, v4
	v_add_co_ci_u32_e32 v7, vcc_lo, 0, v5, vcc_lo
	v_add_nc_u32_e32 v10, 0x4000, v3
	;; [unrolled: 11-line block ×5, first 2 shown]
	s_mov_b32 s2, exec_lo
	global_load_b128 v[6:9], v[6:7], off
	s_waitcnt vmcnt(0)
	ds_store_b128 v2, v[6:9] offset:49152
	v_cmpx_gt_u32_e64 s9, v3
	s_xor_b32 s2, exec_lo, s2
	s_cbranch_execz .LBB74_9
; %bb.8:
	v_add_co_u32 v3, vcc_lo, 0xe000, v4
	v_add_co_ci_u32_e32 v4, vcc_lo, 0, v5, vcc_lo
	global_load_b128 v[3:6], v[3:4], off
	s_waitcnt vmcnt(0)
	ds_store_b128 v2, v[3:6] offset:57344
.LBB74_9:
	s_or_b32 exec_lo, exec_lo, s8
	s_load_b64 s[16:17], s[0:1], 0x38
	s_waitcnt lgkmcnt(0)
	s_barrier
	buffer_gl0_inv
	s_mov_b32 s2, exec_lo
	v_cmpx_gt_u32_e64 s16, v0
	s_cbranch_execz .LBB74_26
; %bb.10:
	s_load_b64 s[2:3], s[0:1], 0x10
	v_mad_u64_u32 v[2:3], null, s15, s16, v[0:1]
	s_delay_alu instid0(VALU_DEP_1) | instskip(NEXT) | instid1(VALU_DEP_1)
	v_lshl_add_u32 v40, v2, 1, v2
	v_cmp_gt_u32_e32 vcc_lo, s7, v40
	s_and_b32 exec_lo, exec_lo, vcc_lo
	s_cbranch_execz .LBB74_26
; %bb.11:
	s_clause 0x1
	s_load_b128 s[8:11], s[0:1], 0x28
	s_load_b64 s[12:13], s[0:1], 0x18
	s_cmp_lg_u32 s4, 0
	s_waitcnt lgkmcnt(0)
	v_cvt_f32_u32_e32 v2, s2
	s_cselect_b32 s1, -1, 0
	s_add_i32 s14, s4, -8
	s_add_i32 s15, s7, -1
	s_mul_i32 s16, s16, s17
	v_rcp_iflag_f32_e32 v2, v2
	v_cmp_eq_u32_e64 s0, 31, v1
	v_mov_b32_e32 v42, 0
	v_mbcnt_lo_u32_b32 v62, -1, 0
	s_mul_i32 s16, s16, 3
	s_waitcnt_depctr 0xfff
	v_dual_mul_f32 v2, 0x4f7ffffe, v2 :: v_dual_lshlrev_b32 v61, 4, v1
	s_cmp_lg_u64 s[8:9], 0
	s_cselect_b32 s18, -1, 0
	s_abs_i32 s19, s3
	s_sub_i32 s21, 0, s2
	v_cvt_f32_u32_e32 v0, s19
	s_sub_i32 s20, 0, s19
	s_sub_i32 s22, 1, s19
	s_mov_b32 s3, 0
	s_delay_alu instid0(VALU_DEP_1) | instskip(SKIP_2) | instid1(VALU_DEP_1)
	v_rcp_iflag_f32_e32 v0, v0
	s_waitcnt_depctr 0xfff
	v_mul_f32_e32 v0, 0x4f7ffffe, v0
	v_cvt_u32_f32_e32 v0, v0
	s_delay_alu instid0(VALU_DEP_1) | instskip(SKIP_1) | instid1(VALU_DEP_2)
	v_readfirstlane_b32 s17, v0
	v_cvt_u32_f32_e32 v0, v2
	s_mul_i32 s20, s20, s17
	s_delay_alu instid0(VALU_DEP_1) | instskip(SKIP_1) | instid1(SALU_CYCLE_1)
	v_mul_lo_u32 v2, s21, v0
	s_mul_hi_u32 s20, s17, s20
	s_add_i32 s17, s17, s20
	s_cmp_lt_u32 s19, 2
	s_cselect_b32 s20, s22, 1
	s_delay_alu instid0(SALU_CYCLE_1) | instskip(SKIP_1) | instid1(VALU_DEP_1)
	s_sub_i32 s21, s20, s19
	s_cmp_ge_u32 s20, s19
	v_mul_hi_u32 v1, v0, v2
	s_cselect_b32 s20, s21, s20
	s_lshr_b32 s17, s17, 31
	s_delay_alu instid0(SALU_CYCLE_1) | instskip(NEXT) | instid1(SALU_CYCLE_1)
	s_mul_i32 s17, s17, s19
	s_sub_i32 s17, 2, s17
	s_delay_alu instid0(SALU_CYCLE_1) | instskip(SKIP_1) | instid1(VALU_DEP_1)
	s_sub_i32 s21, s17, s19
	s_cmp_ge_u32 s17, s19
	v_add_nc_u32_e32 v63, v0, v1
	s_cselect_b32 s21, s21, s17
	s_mul_i32 s17, s20, s2
	s_sub_i32 s22, s21, s19
	s_cmp_ge_u32 s21, s19
	s_cselect_b32 s20, s22, s21
	s_lshl_b32 s19, s6, 2
	s_mul_i32 s20, s20, s2
	s_lshl_b32 s6, s6, 1
	s_branch .LBB74_14
.LBB74_12:                              ;   in Loop: Header=BB74_14 Depth=1
	s_waitcnt lgkmcnt(6)
	v_dual_add_f32 v3, v3, v7 :: v_dual_add_f32 v4, v0, v4
	s_waitcnt vmcnt(8)
	v_cvt_f32_f16_e32 v7, v26
	s_waitcnt lgkmcnt(5)
	v_dual_add_f32 v5, v1, v5 :: v_dual_add_f32 v6, v2, v6
	s_waitcnt lgkmcnt(1)
	v_add_f32_e32 v13, v13, v17
	v_lshlrev_b64 v[0:1], 1, v[40:41]
	v_dual_add_f32 v2, v3, v7 :: v_dual_add_f32 v7, v12, v16
	v_add_f32_e32 v10, v10, v14
	s_waitcnt vmcnt(6)
	v_cvt_f32_f16_e32 v14, v24
	v_add_nc_u32_e32 v41, s7, v40
	v_cvt_f16_f32_e32 v12, v2
	v_cvt_f32_f16_e32 v2, v25
	v_add_co_u32 v0, vcc_lo, s10, v0
	v_add_co_ci_u32_e32 v1, vcc_lo, s11, v1, vcc_lo
	s_delay_alu instid0(VALU_DEP_3)
	v_dual_add_f32 v11, v11, v15 :: v_dual_add_f32 v4, v4, v2
	v_lshlrev_b64 v[2:3], 1, v[45:46]
	global_store_b16 v[0:1], v12, off
	v_lshlrev_b64 v[0:1], 1, v[43:44]
	v_add_f32_e32 v5, v5, v14
	s_waitcnt lgkmcnt(0)
	v_add_f32_e32 v15, v8, v9
	s_waitcnt vmcnt(5)
	v_cvt_f32_f16_e32 v8, v23
	v_add_co_u32 v2, vcc_lo, s10, v2
	v_add_co_ci_u32_e32 v3, vcc_lo, s11, v3, vcc_lo
	s_delay_alu instid0(VALU_DEP_3)
	v_add_f32_e32 v6, v6, v8
	v_add_co_u32 v0, vcc_lo, s10, v0
	v_cvt_f16_f32_e32 v4, v4
	v_cvt_f16_f32_e32 v5, v5
	v_add_co_ci_u32_e32 v1, vcc_lo, s11, v1, vcc_lo
	s_waitcnt vmcnt(4)
	v_cvt_f32_f16_e32 v8, v22
	s_clause 0x1
	global_store_b16 v[2:3], v4, off
	global_store_b16 v[0:1], v5, off
	s_waitcnt vmcnt(3)
	v_cvt_f32_f16_e32 v5, v21
	v_cvt_f16_f32_e32 v12, v6
	v_dual_add_f32 v4, v13, v8 :: v_dual_mov_b32 v3, v42
	s_delay_alu instid0(VALU_DEP_3)
	v_add_f32_e32 v6, v7, v5
	v_add_nc_u32_e32 v2, 1, v41
	s_waitcnt vmcnt(2)
	v_cvt_f32_f16_e32 v7, v20
	v_lshlrev_b64 v[0:1], 1, v[41:42]
	v_cvt_f16_f32_e32 v13, v4
	v_dual_mov_b32 v5, v42 :: v_dual_add_nc_u32 v4, 2, v41
	s_delay_alu instid0(VALU_DEP_4)
	v_dual_add_f32 v8, v10, v7 :: v_dual_add_nc_u32 v41, s7, v41
	v_lshlrev_b64 v[2:3], 1, v[2:3]
	s_waitcnt vmcnt(1)
	v_cvt_f32_f16_e32 v10, v19
	v_add_co_u32 v0, vcc_lo, s10, v0
	v_lshlrev_b64 v[4:5], 1, v[4:5]
	v_cvt_f16_f32_e32 v14, v6
	v_dual_mov_b32 v7, v42 :: v_dual_add_nc_u32 v6, 1, v41
	v_add_co_ci_u32_e32 v1, vcc_lo, s11, v1, vcc_lo
	v_add_co_u32 v2, vcc_lo, s10, v2
	v_cvt_f16_f32_e32 v16, v8
	v_lshlrev_b64 v[8:9], 1, v[41:42]
	v_dual_add_f32 v10, v11, v10 :: v_dual_add_nc_u32 v41, 2, v41
	s_waitcnt vmcnt(0)
	v_cvt_f32_f16_e32 v11, v18
	v_add_co_ci_u32_e32 v3, vcc_lo, s11, v3, vcc_lo
	v_add_co_u32 v4, vcc_lo, s10, v4
	v_lshlrev_b64 v[6:7], 1, v[6:7]
	v_add_co_ci_u32_e32 v5, vcc_lo, s11, v5, vcc_lo
	v_add_co_u32 v8, vcc_lo, s10, v8
	v_cvt_f16_f32_e32 v17, v10
	v_add_f32_e32 v15, v15, v11
	v_lshlrev_b64 v[10:11], 1, v[41:42]
	v_add_co_ci_u32_e32 v9, vcc_lo, s11, v9, vcc_lo
	v_add_co_u32 v6, vcc_lo, s10, v6
	v_add_co_ci_u32_e32 v7, vcc_lo, s11, v7, vcc_lo
	s_delay_alu instid0(VALU_DEP_4)
	v_add_co_u32 v10, vcc_lo, s10, v10
	v_cvt_f16_f32_e32 v15, v15
	v_add_co_ci_u32_e32 v11, vcc_lo, s11, v11, vcc_lo
	s_clause 0x5
	global_store_b16 v[0:1], v12, off
	global_store_b16 v[2:3], v13, off
	;; [unrolled: 1-line block ×6, first 2 shown]
.LBB74_13:                              ;   in Loop: Header=BB74_14 Depth=1
	s_or_b32 exec_lo, exec_lo, s21
	v_add_nc_u32_e32 v40, s16, v40
	s_delay_alu instid0(VALU_DEP_1) | instskip(SKIP_1) | instid1(SALU_CYCLE_1)
	v_cmp_le_u32_e32 vcc_lo, s7, v40
	s_or_b32 s3, vcc_lo, s3
	s_and_not1_b32 exec_lo, exec_lo, s3
	s_cbranch_execz .LBB74_26
.LBB74_14:                              ; =>This Loop Header: Depth=1
                                        ;     Child Loop BB74_18 Depth 2
	v_dual_mov_b32 v70, v42 :: v_dual_add_nc_u32 v45, 1, v40
	v_dual_mov_b32 v68, v42 :: v_dual_add_nc_u32 v43, 2, v40
	v_mov_b32_e32 v71, v42
	v_mov_b32_e32 v69, v42
	;; [unrolled: 1-line block ×7, first 2 shown]
	s_and_not1_b32 vcc_lo, exec_lo, s1
	s_cbranch_vccnz .LBB74_21
; %bb.15:                               ;   in Loop: Header=BB74_14 Depth=1
	v_min_u32_e32 v0, s15, v40
	v_min_u32_e32 v1, s15, v45
	;; [unrolled: 1-line block ×3, first 2 shown]
	v_dual_mov_b32 v3, v42 :: v_dual_mov_b32 v72, v61
	s_delay_alu instid0(VALU_DEP_4) | instskip(NEXT) | instid1(VALU_DEP_4)
	v_mul_lo_u32 v41, v0, s5
	v_mul_lo_u32 v0, v1, s5
	s_delay_alu instid0(VALU_DEP_4) | instskip(SKIP_4) | instid1(VALU_DEP_4)
	v_mul_lo_u32 v2, v2, s5
	v_dual_mov_b32 v1, v42 :: v_dual_mov_b32 v44, 0
	v_dual_mov_b32 v64, 0 :: v_dual_mov_b32 v65, 0
	;; [unrolled: 1-line block ×3, first 2 shown]
	v_lshlrev_b64 v[46:47], 1, v[41:42]
	v_lshlrev_b64 v[48:49], 1, v[0:1]
	;; [unrolled: 1-line block ×3, first 2 shown]
	v_dual_mov_b32 v68, 0 :: v_dual_mov_b32 v69, 0
	v_dual_mov_b32 v70, 0 :: v_dual_mov_b32 v71, 0
	s_mov_b32 s21, 0
	s_branch .LBB74_18
.LBB74_16:                              ;   in Loop: Header=BB74_18 Depth=2
	s_or_b32 exec_lo, exec_lo, s23
.LBB74_17:                              ;   in Loop: Header=BB74_18 Depth=2
	s_delay_alu instid0(SALU_CYCLE_1)
	s_or_b32 exec_lo, exec_lo, s22
	s_waitcnt vmcnt(5) lgkmcnt(1)
	;;#ASMSTART
	v_dot2_f32_f16 v71, v36, v28, v71
	;;#ASMEND
	s_waitcnt vmcnt(4)
	;;#ASMSTART
	v_dot2_f32_f16 v70, v36, v24, v70
	;;#ASMEND
	s_waitcnt vmcnt(3)
	;;#ASMSTART
	v_dot2_f32_f16 v69, v36, v16, v69
	;;#ASMEND
	;;#ASMSTART
	v_dot2_f32_f16 v68, v32, v28, v68
	;;#ASMEND
	;;#ASMSTART
	v_dot2_f32_f16 v67, v32, v24, v67
	;;#ASMEND
	;;#ASMSTART
	v_dot2_f32_f16 v66, v32, v16, v66
	;;#ASMEND
	;;#ASMSTART
	v_dot2_f32_f16 v44, v56, v28, v44
	;;#ASMEND
	;;#ASMSTART
	v_dot2_f32_f16 v64, v56, v24, v64
	;;#ASMEND
	;;#ASMSTART
	v_dot2_f32_f16 v65, v56, v16, v65
	;;#ASMEND
	;;#ASMSTART
	v_dot2_f32_f16 v71, v37, v29, v71
	;;#ASMEND
	;;#ASMSTART
	v_dot2_f32_f16 v70, v37, v25, v70
	;;#ASMEND
	;;#ASMSTART
	v_dot2_f32_f16 v69, v37, v17, v69
	;;#ASMEND
	;;#ASMSTART
	v_dot2_f32_f16 v68, v33, v29, v68
	;;#ASMEND
	;;#ASMSTART
	v_dot2_f32_f16 v67, v33, v25, v67
	;;#ASMEND
	;;#ASMSTART
	v_dot2_f32_f16 v66, v33, v17, v66
	;;#ASMEND
	;;#ASMSTART
	v_dot2_f32_f16 v44, v57, v29, v44
	;;#ASMEND
	;;#ASMSTART
	v_dot2_f32_f16 v64, v57, v25, v64
	;;#ASMEND
	;;#ASMSTART
	v_dot2_f32_f16 v65, v57, v17, v65
	;;#ASMEND
	;;#ASMSTART
	v_dot2_f32_f16 v71, v38, v30, v71
	;;#ASMEND
	;;#ASMSTART
	v_dot2_f32_f16 v70, v38, v26, v70
	;;#ASMEND
	;;#ASMSTART
	v_dot2_f32_f16 v69, v38, v18, v69
	;;#ASMEND
	;;#ASMSTART
	v_dot2_f32_f16 v68, v34, v30, v68
	;;#ASMEND
	;;#ASMSTART
	v_dot2_f32_f16 v67, v34, v26, v67
	;;#ASMEND
	;;#ASMSTART
	v_dot2_f32_f16 v66, v34, v18, v66
	;;#ASMEND
	s_waitcnt lgkmcnt(0)
	;;#ASMSTART
	v_dot2_f32_f16 v44, v58, v30, v44
	;;#ASMEND
	;;#ASMSTART
	v_dot2_f32_f16 v64, v58, v26, v64
	;;#ASMEND
	;; [unrolled: 3-line block ×3, first 2 shown]
	v_add_nc_u32_e32 v72, 0x400, v72
	;;#ASMSTART
	v_dot2_f32_f16 v71, v39, v31, v71
	;;#ASMEND
	;;#ASMSTART
	v_dot2_f32_f16 v70, v39, v27, v70
	;;#ASMEND
	;; [unrolled: 3-line block ×9, first 2 shown]
	s_addk_i32 s21, 0x200
	s_waitcnt vmcnt(2)
	;;#ASMSTART
	v_dot2_f32_f16 v71, v20, v8, v71
	;;#ASMEND
	s_waitcnt vmcnt(1)
	;;#ASMSTART
	v_dot2_f32_f16 v70, v20, v4, v70
	;;#ASMEND
	;; [unrolled: 4-line block ×3, first 2 shown]
	;;#ASMSTART
	v_dot2_f32_f16 v68, v12, v8, v68
	;;#ASMEND
	;;#ASMSTART
	v_dot2_f32_f16 v67, v12, v4, v67
	;;#ASMEND
	;; [unrolled: 3-line block ×15, first 2 shown]
	s_cmp_ge_u32 s21, s4
	;;#ASMSTART
	v_dot2_f32_f16 v71, v22, v10, v71
	;;#ASMEND
	;;#ASMSTART
	v_dot2_f32_f16 v70, v22, v6, v70
	;;#ASMEND
	;; [unrolled: 3-line block ×18, first 2 shown]
	s_cbranch_scc1 .LBB74_21
.LBB74_18:                              ;   Parent Loop BB74_14 Depth=1
                                        ; =>  This Inner Loop Header: Depth=2
	v_dual_mov_b32 v37, 0 :: v_dual_add_nc_u32 v20, s21, v60
	v_dual_mov_b32 v38, 0 :: v_dual_mov_b32 v39, 0
	v_dual_mov_b32 v22, 0 :: v_dual_mov_b32 v23, 0
	s_delay_alu instid0(VALU_DEP_3) | instskip(SKIP_2) | instid1(VALU_DEP_3)
	v_min_u32_e32 v41, s14, v20
	v_dual_mov_b32 v36, 0 :: v_dual_add_nc_u32 v73, 0x100, v20
	v_dual_mov_b32 v32, 0 :: v_dual_mov_b32 v33, 0
	v_lshlrev_b64 v[0:1], 1, v[41:42]
	s_delay_alu instid0(VALU_DEP_3) | instskip(SKIP_3) | instid1(VALU_DEP_4)
	v_min_u32_e32 v41, s14, v73
	v_dual_mov_b32 v34, 0 :: v_dual_mov_b32 v35, 0
	v_dual_mov_b32 v56, 0 :: v_dual_mov_b32 v57, 0
	s_waitcnt lgkmcnt(5)
	v_add_co_u32 v6, vcc_lo, s12, v0
	v_add_co_ci_u32_e32 v7, vcc_lo, s13, v1, vcc_lo
	v_lshlrev_b64 v[0:1], 1, v[41:42]
	s_delay_alu instid0(VALU_DEP_3) | instskip(NEXT) | instid1(VALU_DEP_3)
	v_add_co_u32 v2, vcc_lo, v6, v46
	v_add_co_ci_u32_e32 v3, vcc_lo, v7, v47, vcc_lo
	v_add_co_u32 v4, vcc_lo, v6, v48
	v_add_co_ci_u32_e32 v5, vcc_lo, v7, v49, vcc_lo
	v_add_co_u32 v8, vcc_lo, s12, v0
	s_waitcnt lgkmcnt(0)
	v_add_co_ci_u32_e32 v9, vcc_lo, s13, v1, vcc_lo
	v_add_co_u32 v0, vcc_lo, v6, v50
	v_add_co_ci_u32_e32 v1, vcc_lo, v7, v51, vcc_lo
	v_add_co_u32 v6, vcc_lo, v8, v46
	s_delay_alu instid0(VALU_DEP_4)
	v_add_co_ci_u32_e32 v7, vcc_lo, v9, v47, vcc_lo
	v_add_co_u32 v12, vcc_lo, v8, v48
	v_add_co_ci_u32_e32 v13, vcc_lo, v9, v49, vcc_lo
	v_add_co_u32 v14, vcc_lo, v8, v50
	v_add_co_ci_u32_e32 v15, vcc_lo, v9, v51, vcc_lo
	s_clause 0x5
	global_load_b128 v[28:31], v[2:3], off slc dlc
	global_load_b128 v[24:27], v[4:5], off slc dlc
	;; [unrolled: 1-line block ×6, first 2 shown]
	v_cmp_gt_u32_e32 vcc_lo, s4, v20
	v_dual_mov_b32 v20, 0 :: v_dual_mov_b32 v21, 0
	v_dual_mov_b32 v12, 0 :: v_dual_mov_b32 v13, 0
	;; [unrolled: 1-line block ×6, first 2 shown]
	s_and_saveexec_b32 s22, vcc_lo
	s_cbranch_execz .LBB74_17
; %bb.19:                               ;   in Loop: Header=BB74_18 Depth=2
	v_dual_mov_b32 v55, 0 :: v_dual_add_nc_u32 v74, s6, v72
	v_dual_mov_b32 v54, 0 :: v_dual_add_nc_u32 v41, s19, v72
	v_dual_mov_b32 v53, 0 :: v_dual_mov_b32 v52, 0
	ds_load_b128 v[32:35], v74
	ds_load_2addr_b32 v[56:57], v41 offset1:1
	ds_load_b128 v[36:39], v72
	ds_load_2addr_b32 v[58:59], v41 offset0:2 offset1:3
	v_dual_mov_b32 v15, 0 :: v_dual_mov_b32 v14, 0
	v_dual_mov_b32 v13, 0 :: v_dual_mov_b32 v12, 0
	;; [unrolled: 1-line block ×4, first 2 shown]
	s_mov_b32 s23, exec_lo
	v_cmpx_gt_u32_e64 s4, v73
	s_cbranch_execz .LBB74_16
; %bb.20:                               ;   in Loop: Header=BB74_18 Depth=2
	ds_load_b128 v[12:15], v74 offset:512
	ds_load_2addr_b32 v[52:53], v41 offset0:128 offset1:129
	ds_load_b128 v[20:23], v72 offset:512
	ds_load_2addr_b32 v[54:55], v41 offset0:130 offset1:131
	s_branch .LBB74_16
.LBB74_21:                              ;   in Loop: Header=BB74_14 Depth=1
	; sched_barrier mask(0x00000000)
	v_cvt_i32_f32_e32 v0, v71
	v_cvt_i32_f32_e32 v1, v70
	;; [unrolled: 1-line block ×4, first 2 shown]
	v_xor_b32_e32 v8, 16, v62
	v_cvt_f32_i32_dpp v0, v0 row_shr:8 row_mask:0xf bank_mask:0xf bound_ctrl:1
	v_cvt_f32_i32_dpp v1, v1 row_shr:8 row_mask:0xf bank_mask:0xf bound_ctrl:1
	v_cvt_f32_i32_dpp v2, v2 row_shr:8 row_mask:0xf bank_mask:0xf bound_ctrl:1
	v_cvt_f32_i32_dpp v3, v3 row_shr:8 row_mask:0xf bank_mask:0xf bound_ctrl:1
	s_waitcnt lgkmcnt(0)
	v_cvt_i32_f32_e32 v9, v67
	v_dual_add_f32 v0, v71, v0 :: v_dual_add_f32 v1, v70, v1
	s_delay_alu instid0(VALU_DEP_3) | instskip(SKIP_1) | instid1(VALU_DEP_3)
	v_dual_add_f32 v2, v69, v2 :: v_dual_add_f32 v3, v68, v3
	v_cvt_i32_f32_e32 v11, v44
	v_cvt_i32_f32_e32 v4, v0
	s_delay_alu instid0(VALU_DEP_4) | instskip(NEXT) | instid1(VALU_DEP_4)
	v_cvt_i32_f32_e32 v5, v1
	v_cvt_i32_f32_e32 v6, v2
	v_cvt_i32_f32_e32 v7, v3
	v_cmp_gt_i32_e32 vcc_lo, 32, v8
	v_cvt_f32_i32_dpp v4, v4 row_shr:4 row_mask:0xf bank_mask:0xf bound_ctrl:1
	v_cvt_f32_i32_dpp v5, v5 row_shr:4 row_mask:0xf bank_mask:0xf bound_ctrl:1
	;; [unrolled: 1-line block ×5, first 2 shown]
	s_delay_alu instid0(VALU_DEP_4) | instskip(NEXT) | instid1(VALU_DEP_3)
	v_dual_add_f32 v0, v0, v4 :: v_dual_add_f32 v1, v1, v5
	v_dual_add_f32 v2, v2, v6 :: v_dual_add_f32 v3, v3, v7
	s_delay_alu instid0(VALU_DEP_3) | instskip(NEXT) | instid1(VALU_DEP_3)
	v_dual_cndmask_b32 v8, v62, v8 :: v_dual_add_f32 v9, v67, v9
	v_cvt_i32_f32_e32 v4, v0
	s_delay_alu instid0(VALU_DEP_4) | instskip(NEXT) | instid1(VALU_DEP_4)
	v_cvt_i32_f32_e32 v5, v1
	v_cvt_i32_f32_e32 v7, v3
	;; [unrolled: 1-line block ×3, first 2 shown]
	v_cvt_f32_i32_dpp v11, v11 row_shr:8 row_mask:0xf bank_mask:0xf bound_ctrl:1
	v_cvt_f32_i32_dpp v4, v4 row_shr:2 row_mask:0xf bank_mask:0xf bound_ctrl:1
	v_cvt_f32_i32_dpp v5, v5 row_shr:2 row_mask:0xf bank_mask:0xf bound_ctrl:1
	v_cvt_f32_i32_dpp v7, v7 row_shr:2 row_mask:0xf bank_mask:0xf bound_ctrl:1
	v_cvt_f32_i32_dpp v6, v6 row_shr:2 row_mask:0xf bank_mask:0xf bound_ctrl:1
	v_dual_add_f32 v11, v44, v11 :: v_dual_lshlrev_b32 v18, 2, v8
	s_delay_alu instid0(VALU_DEP_4) | instskip(NEXT) | instid1(VALU_DEP_4)
	v_dual_add_f32 v0, v0, v4 :: v_dual_add_f32 v1, v1, v5
	v_add_f32_e32 v4, v3, v7
	v_cvt_i32_f32_e32 v13, v9
	s_delay_alu instid0(VALU_DEP_4) | instskip(NEXT) | instid1(VALU_DEP_4)
	v_cvt_i32_f32_e32 v15, v11
	v_cvt_i32_f32_e32 v3, v0
	;; [unrolled: 1-line block ×4, first 2 shown]
	v_cvt_f32_i32_dpp v13, v13 row_shr:4 row_mask:0xf bank_mask:0xf bound_ctrl:1
	v_cvt_f32_i32_dpp v15, v15 row_shr:4 row_mask:0xf bank_mask:0xf bound_ctrl:1
	;; [unrolled: 1-line block ×3, first 2 shown]
	v_add_f32_e32 v2, v2, v6
	v_cvt_f32_i32_dpp v5, v5 row_shr:1 row_mask:0xf bank_mask:0xf bound_ctrl:1
	v_cvt_i32_f32_e32 v12, v64
	v_add_f32_e32 v11, v11, v15
	v_add_f32_e32 v3, v0, v3
	v_cvt_i32_f32_e32 v6, v2
	v_add_f32_e32 v0, v1, v5
	v_cvt_f32_i32_dpp v10, v10 row_shr:8 row_mask:0xf bank_mask:0xf bound_ctrl:1
	v_cvt_f32_i32_dpp v12, v12 row_shr:8 row_mask:0xf bank_mask:0xf bound_ctrl:1
	v_cvt_i32_f32_e32 v15, v11
	v_cvt_f32_i32_dpp v6, v6 row_shr:1 row_mask:0xf bank_mask:0xf bound_ctrl:1
	v_cvt_i32_f32_e32 v8, v65
	v_add_f32_e32 v9, v9, v13
	s_delay_alu instid0(VALU_DEP_4) | instskip(NEXT) | instid1(VALU_DEP_4)
	v_cvt_f32_i32_dpp v15, v15 row_shr:2 row_mask:0xf bank_mask:0xf bound_ctrl:1
	v_add_f32_e32 v1, v2, v6
	v_cvt_i32_f32_e32 v7, v4
	v_add_f32_e32 v12, v64, v12
	v_cvt_f32_i32_dpp v8, v8 row_shr:8 row_mask:0xf bank_mask:0xf bound_ctrl:1
	v_add_f32_e32 v11, v11, v15
	ds_bpermute_b32 v5, v18, v1
	v_cvt_f32_i32_dpp v7, v7 row_shr:1 row_mask:0xf bank_mask:0xf bound_ctrl:1
	v_cvt_i32_f32_e32 v16, v12
	v_add_f32_e32 v8, v65, v8
	v_cvt_i32_f32_e32 v15, v11
	v_cvt_i32_f32_e32 v13, v9
	v_add_f32_e32 v2, v4, v7
	v_cvt_f32_i32_dpp v16, v16 row_shr:4 row_mask:0xf bank_mask:0xf bound_ctrl:1
	v_cvt_i32_f32_e32 v17, v8
	v_cvt_f32_i32_dpp v15, v15 row_shr:1 row_mask:0xf bank_mask:0xf bound_ctrl:1
	ds_bpermute_b32 v7, v18, v3
	ds_bpermute_b32 v4, v18, v0
	v_cvt_f32_i32_dpp v13, v13 row_shr:2 row_mask:0xf bank_mask:0xf bound_ctrl:1
	v_add_f32_e32 v10, v66, v10
	v_add_f32_e32 v12, v12, v16
	v_cvt_f32_i32_dpp v17, v17 row_shr:4 row_mask:0xf bank_mask:0xf bound_ctrl:1
	ds_bpermute_b32 v6, v18, v2
	v_add_f32_e32 v9, v9, v13
	v_cvt_i32_f32_e32 v14, v10
	v_cvt_i32_f32_e32 v16, v12
	s_delay_alu instid0(VALU_DEP_2) | instskip(NEXT) | instid1(VALU_DEP_2)
	v_cvt_f32_i32_dpp v14, v14 row_shr:4 row_mask:0xf bank_mask:0xf bound_ctrl:1
	v_cvt_f32_i32_dpp v16, v16 row_shr:2 row_mask:0xf bank_mask:0xf bound_ctrl:1
	s_delay_alu instid0(VALU_DEP_2) | instskip(NEXT) | instid1(VALU_DEP_1)
	v_add_f32_e32 v10, v10, v14
	v_cvt_i32_f32_e32 v14, v10
	s_delay_alu instid0(VALU_DEP_1) | instskip(NEXT) | instid1(VALU_DEP_1)
	v_cvt_f32_i32_dpp v14, v14 row_shr:2 row_mask:0xf bank_mask:0xf bound_ctrl:1
	v_add_f32_e32 v10, v10, v14
	v_add_f32_e32 v14, v12, v16
	v_cvt_i32_f32_e32 v12, v9
	s_delay_alu instid0(VALU_DEP_3) | instskip(NEXT) | instid1(VALU_DEP_3)
	v_cvt_i32_f32_e32 v13, v10
	v_cvt_i32_f32_e32 v16, v14
	s_delay_alu instid0(VALU_DEP_3) | instskip(NEXT) | instid1(VALU_DEP_3)
	v_cvt_f32_i32_dpp v12, v12 row_shr:1 row_mask:0xf bank_mask:0xf bound_ctrl:1
	v_cvt_f32_i32_dpp v19, v13 row_shr:1 row_mask:0xf bank_mask:0xf bound_ctrl:1
	s_delay_alu instid0(VALU_DEP_3) | instskip(NEXT) | instid1(VALU_DEP_3)
	v_cvt_f32_i32_dpp v16, v16 row_shr:1 row_mask:0xf bank_mask:0xf bound_ctrl:1
	v_dual_add_f32 v13, v9, v12 :: v_dual_add_f32 v8, v8, v17
	s_delay_alu instid0(VALU_DEP_3) | instskip(NEXT) | instid1(VALU_DEP_3)
	v_add_f32_e32 v12, v10, v19
	v_dual_add_f32 v10, v11, v15 :: v_dual_add_f32 v11, v14, v16
	s_delay_alu instid0(VALU_DEP_3) | instskip(SKIP_4) | instid1(VALU_DEP_1)
	v_cvt_i32_f32_e32 v17, v8
	ds_bpermute_b32 v16, v18, v12
	ds_bpermute_b32 v14, v18, v10
	;; [unrolled: 1-line block ×3, first 2 shown]
	v_cvt_f32_i32_dpp v17, v17 row_shr:2 row_mask:0xf bank_mask:0xf bound_ctrl:1
	v_add_f32_e32 v8, v8, v17
	s_delay_alu instid0(VALU_DEP_1) | instskip(NEXT) | instid1(VALU_DEP_1)
	v_cvt_i32_f32_e32 v17, v8
	v_cvt_f32_i32_dpp v17, v17 row_shr:1 row_mask:0xf bank_mask:0xf bound_ctrl:1
	s_delay_alu instid0(VALU_DEP_1)
	v_add_f32_e32 v8, v8, v17
	ds_bpermute_b32 v17, v18, v13
	ds_bpermute_b32 v9, v18, v8
	s_and_saveexec_b32 s21, s0
	s_cbranch_execz .LBB74_13
; %bb.22:                               ;   in Loop: Header=BB74_14 Depth=1
	s_and_b32 vcc_lo, exec_lo, s18
	s_cbranch_vccz .LBB74_24
; %bb.23:                               ;   in Loop: Header=BB74_14 Depth=1
	v_mul_hi_u32 v18, v40, v63
	v_mul_hi_u32 v19, v45, v63
	;; [unrolled: 1-line block ×3, first 2 shown]
	v_mov_b32_e32 v44, v42
	v_mov_b32_e32 v33, v42
	;; [unrolled: 1-line block ×3, first 2 shown]
	v_mul_lo_u32 v18, v18, s2
	v_mul_lo_u32 v19, v19, s2
	v_mul_lo_u32 v20, v20, s2
	s_delay_alu instid0(VALU_DEP_3) | instskip(NEXT) | instid1(VALU_DEP_3)
	v_sub_nc_u32_e32 v18, v40, v18
	v_sub_nc_u32_e32 v21, v45, v19
	s_delay_alu instid0(VALU_DEP_3) | instskip(NEXT) | instid1(VALU_DEP_3)
	v_sub_nc_u32_e32 v20, v43, v20
	v_subrev_nc_u32_e32 v22, s2, v18
	v_cmp_le_u32_e32 vcc_lo, s2, v18
	s_delay_alu instid0(VALU_DEP_4) | instskip(NEXT) | instid1(VALU_DEP_4)
	v_subrev_nc_u32_e32 v23, s2, v21
	v_subrev_nc_u32_e32 v24, s2, v20
	s_delay_alu instid0(VALU_DEP_4) | instskip(SKIP_1) | instid1(VALU_DEP_4)
	v_cndmask_b32_e32 v18, v18, v22, vcc_lo
	v_cmp_le_u32_e32 vcc_lo, s2, v21
	v_dual_mov_b32 v19, v42 :: v_dual_cndmask_b32 v22, v21, v23
	v_cmp_le_u32_e32 vcc_lo, s2, v20
	v_mov_b32_e32 v21, v42
	s_delay_alu instid0(VALU_DEP_3) | instskip(SKIP_3) | instid1(VALU_DEP_3)
	v_subrev_nc_u32_e32 v25, s2, v22
	v_cndmask_b32_e32 v20, v20, v24, vcc_lo
	v_subrev_nc_u32_e32 v24, s2, v18
	v_cmp_le_u32_e32 vcc_lo, s2, v18
	v_subrev_nc_u32_e32 v26, s2, v20
	s_delay_alu instid0(VALU_DEP_3) | instskip(SKIP_3) | instid1(VALU_DEP_2)
	v_cndmask_b32_e32 v41, v18, v24, vcc_lo
	v_cmp_le_u32_e32 vcc_lo, s2, v22
	v_cndmask_b32_e32 v18, v22, v25, vcc_lo
	v_cmp_le_u32_e32 vcc_lo, s2, v20
	v_dual_mov_b32 v23, v42 :: v_dual_add_nc_u32 v24, s17, v18
	v_cndmask_b32_e32 v20, v20, v26, vcc_lo
	v_lshlrev_b64 v[26:27], 1, v[41:42]
	v_lshlrev_b64 v[28:29], 1, v[18:19]
	v_dual_mov_b32 v25, v42 :: v_dual_add_nc_u32 v22, s17, v41
	s_delay_alu instid0(VALU_DEP_4)
	v_lshlrev_b64 v[30:31], 1, v[20:21]
	v_add_nc_u32_e32 v32, s17, v20
	v_add_co_u32 v26, vcc_lo, s8, v26
	v_add_co_ci_u32_e32 v27, vcc_lo, s9, v27, vcc_lo
	v_lshlrev_b64 v[21:22], 1, v[22:23]
	v_add_co_u32 v28, vcc_lo, s8, v28
	v_add_co_ci_u32_e32 v29, vcc_lo, s9, v29, vcc_lo
	v_add_co_u32 v30, vcc_lo, s8, v30
	v_lshlrev_b64 v[23:24], 1, v[24:25]
	v_add_co_ci_u32_e32 v31, vcc_lo, s9, v31, vcc_lo
	v_add_co_u32 v21, vcc_lo, s8, v21
	v_add_nc_u32_e32 v41, s20, v41
	v_add_co_ci_u32_e32 v22, vcc_lo, s9, v22, vcc_lo
	v_lshlrev_b64 v[32:33], 1, v[32:33]
	v_add_co_u32 v34, vcc_lo, s8, v23
	v_add_co_ci_u32_e32 v35, vcc_lo, s9, v24, vcc_lo
	v_lshlrev_b64 v[23:24], 1, v[41:42]
	v_add_nc_u32_e32 v41, s20, v18
	v_add_co_u32 v18, vcc_lo, s8, v32
	v_add_co_ci_u32_e32 v19, vcc_lo, s9, v33, vcc_lo
	s_delay_alu instid0(VALU_DEP_3) | instskip(SKIP_3) | instid1(VALU_DEP_3)
	v_lshlrev_b64 v[32:33], 1, v[41:42]
	v_add_nc_u32_e32 v41, s20, v20
	v_add_co_u32 v36, vcc_lo, s8, v23
	v_add_co_ci_u32_e32 v37, vcc_lo, s9, v24, vcc_lo
	v_lshlrev_b64 v[23:24], 1, v[41:42]
	v_add_co_u32 v32, vcc_lo, s8, v32
	v_add_co_ci_u32_e32 v33, vcc_lo, s9, v33, vcc_lo
	v_mov_b32_e32 v41, v42
	s_delay_alu instid0(VALU_DEP_4)
	v_add_co_u32 v38, vcc_lo, s8, v23
	v_add_co_ci_u32_e32 v39, vcc_lo, s9, v24, vcc_lo
	s_clause 0x8
	global_load_u16 v26, v[26:27], off
	global_load_u16 v25, v[28:29], off
	;; [unrolled: 1-line block ×9, first 2 shown]
	s_cbranch_execnz .LBB74_12
	s_branch .LBB74_25
.LBB74_24:                              ;   in Loop: Header=BB74_14 Depth=1
                                        ; implicit-def: $vgpr18
                                        ; implicit-def: $vgpr19
                                        ; implicit-def: $vgpr20
                                        ; implicit-def: $vgpr21
                                        ; implicit-def: $vgpr22
                                        ; implicit-def: $vgpr23
                                        ; implicit-def: $vgpr24
                                        ; implicit-def: $vgpr25
                                        ; implicit-def: $vgpr26
.LBB74_25:                              ;   in Loop: Header=BB74_14 Depth=1
	s_waitcnt vmcnt(8)
	v_dual_mov_b32 v41, v42 :: v_dual_mov_b32 v26, 0
	s_waitcnt vmcnt(7)
	v_dual_mov_b32 v46, v42 :: v_dual_mov_b32 v25, 0
	s_waitcnt vmcnt(5)
	v_dual_mov_b32 v44, v42 :: v_dual_mov_b32 v23, 0
	s_waitcnt vmcnt(3)
	v_dual_mov_b32 v24, 0 :: v_dual_mov_b32 v21, 0
	s_waitcnt vmcnt(1)
	v_dual_mov_b32 v22, 0 :: v_dual_mov_b32 v19, 0
	v_mov_b32_e32 v20, 0
	s_waitcnt vmcnt(0)
	v_mov_b32_e32 v18, 0
	s_branch .LBB74_12
.LBB74_26:
	s_nop 0
	s_sendmsg sendmsg(MSG_DEALLOC_VGPRS)
	s_endpgm
	.section	.rodata,"a",@progbits
	.p2align	6, 0x0
	.amdhsa_kernel _Z16wvSplitK_hf_sml_I6__halfLi32ELi3ELi16ELi8ELi2ELi3EEviiiiiiPKT_S3_S3_PS1_ii
		.amdhsa_group_segment_fixed_size 65536
		.amdhsa_private_segment_fixed_size 0
		.amdhsa_kernarg_size 64
		.amdhsa_user_sgpr_count 15
		.amdhsa_user_sgpr_dispatch_ptr 0
		.amdhsa_user_sgpr_queue_ptr 0
		.amdhsa_user_sgpr_kernarg_segment_ptr 1
		.amdhsa_user_sgpr_dispatch_id 0
		.amdhsa_user_sgpr_private_segment_size 0
		.amdhsa_wavefront_size32 1
		.amdhsa_uses_dynamic_stack 0
		.amdhsa_enable_private_segment 0
		.amdhsa_system_sgpr_workgroup_id_x 1
		.amdhsa_system_sgpr_workgroup_id_y 0
		.amdhsa_system_sgpr_workgroup_id_z 0
		.amdhsa_system_sgpr_workgroup_info 0
		.amdhsa_system_vgpr_workitem_id 1
		.amdhsa_next_free_vgpr 75
		.amdhsa_next_free_sgpr 24
		.amdhsa_reserve_vcc 1
		.amdhsa_float_round_mode_32 0
		.amdhsa_float_round_mode_16_64 0
		.amdhsa_float_denorm_mode_32 3
		.amdhsa_float_denorm_mode_16_64 3
		.amdhsa_dx10_clamp 1
		.amdhsa_ieee_mode 1
		.amdhsa_fp16_overflow 0
		.amdhsa_workgroup_processor_mode 1
		.amdhsa_memory_ordered 1
		.amdhsa_forward_progress 0
		.amdhsa_shared_vgpr_count 0
		.amdhsa_exception_fp_ieee_invalid_op 0
		.amdhsa_exception_fp_denorm_src 0
		.amdhsa_exception_fp_ieee_div_zero 0
		.amdhsa_exception_fp_ieee_overflow 0
		.amdhsa_exception_fp_ieee_underflow 0
		.amdhsa_exception_fp_ieee_inexact 0
		.amdhsa_exception_int_div_zero 0
	.end_amdhsa_kernel
	.section	.text._Z16wvSplitK_hf_sml_I6__halfLi32ELi3ELi16ELi8ELi2ELi3EEviiiiiiPKT_S3_S3_PS1_ii,"axG",@progbits,_Z16wvSplitK_hf_sml_I6__halfLi32ELi3ELi16ELi8ELi2ELi3EEviiiiiiPKT_S3_S3_PS1_ii,comdat
.Lfunc_end74:
	.size	_Z16wvSplitK_hf_sml_I6__halfLi32ELi3ELi16ELi8ELi2ELi3EEviiiiiiPKT_S3_S3_PS1_ii, .Lfunc_end74-_Z16wvSplitK_hf_sml_I6__halfLi32ELi3ELi16ELi8ELi2ELi3EEviiiiiiPKT_S3_S3_PS1_ii
                                        ; -- End function
	.section	.AMDGPU.csdata,"",@progbits
; Kernel info:
; codeLenInByte = 4956
; NumSgprs: 26
; NumVgprs: 75
; ScratchSize: 0
; MemoryBound: 0
; FloatMode: 240
; IeeeMode: 1
; LDSByteSize: 65536 bytes/workgroup (compile time only)
; SGPRBlocks: 3
; VGPRBlocks: 9
; NumSGPRsForWavesPerEU: 26
; NumVGPRsForWavesPerEU: 75
; Occupancy: 8
; WaveLimiterHint : 0
; COMPUTE_PGM_RSRC2:SCRATCH_EN: 0
; COMPUTE_PGM_RSRC2:USER_SGPR: 15
; COMPUTE_PGM_RSRC2:TRAP_HANDLER: 0
; COMPUTE_PGM_RSRC2:TGID_X_EN: 1
; COMPUTE_PGM_RSRC2:TGID_Y_EN: 0
; COMPUTE_PGM_RSRC2:TGID_Z_EN: 0
; COMPUTE_PGM_RSRC2:TIDIG_COMP_CNT: 1
	.section	.text._Z12wvSplitK_hf_I6__halfLi32ELi3ELi16ELi8ELi2ELi3EEviiiiiiPKT_S3_S3_PS1_ii,"axG",@progbits,_Z12wvSplitK_hf_I6__halfLi32ELi3ELi16ELi8ELi2ELi3EEviiiiiiPKT_S3_S3_PS1_ii,comdat
	.protected	_Z12wvSplitK_hf_I6__halfLi32ELi3ELi16ELi8ELi2ELi3EEviiiiiiPKT_S3_S3_PS1_ii ; -- Begin function _Z12wvSplitK_hf_I6__halfLi32ELi3ELi16ELi8ELi2ELi3EEviiiiiiPKT_S3_S3_PS1_ii
	.globl	_Z12wvSplitK_hf_I6__halfLi32ELi3ELi16ELi8ELi2ELi3EEviiiiiiPKT_S3_S3_PS1_ii
	.p2align	8
	.type	_Z12wvSplitK_hf_I6__halfLi32ELi3ELi16ELi8ELi2ELi3EEviiiiiiPKT_S3_S3_PS1_ii,@function
_Z12wvSplitK_hf_I6__halfLi32ELi3ELi16ELi8ELi2ELi3EEviiiiiiPKT_S3_S3_PS1_ii: ; @_Z12wvSplitK_hf_I6__halfLi32ELi3ELi16ELi8ELi2ELi3EEviiiiiiPKT_S3_S3_PS1_ii
; %bb.0:
	s_clause 0x1
	s_load_b64 s[18:19], s[0:1], 0x38
	s_load_b128 s[4:7], s[0:1], 0x0
	v_bfe_u32 v1, v0, 10, 10
	s_mov_b32 s8, 1
	s_delay_alu instid0(SALU_CYCLE_1) | instskip(SKIP_1) | instid1(SALU_CYCLE_1)
	s_mov_b32 s9, s8
	s_mov_b32 s10, s8
	v_mov_b32_e32 v50, s10
	v_dual_mov_b32 v48, s8 :: v_dual_mov_b32 v49, s9
	s_waitcnt lgkmcnt(0)
	v_mad_u64_u32 v[2:3], null, s15, s18, v[1:2]
	s_clause 0x1
	s_load_b64 s[12:13], s[0:1], 0x20
	s_load_b64 s[14:15], s[0:1], 0x10
	s_delay_alu instid0(VALU_DEP_1) | instskip(NEXT) | instid1(VALU_DEP_1)
	v_lshl_add_u32 v51, v2, 1, v2
	v_add_nc_u32_e32 v2, 3, v51
	v_cmp_gt_u32_e32 vcc_lo, s7, v51
	s_delay_alu instid0(VALU_DEP_2) | instskip(NEXT) | instid1(VALU_DEP_1)
	v_cmp_le_u32_e64 s2, s7, v2
	s_and_b32 s2, vcc_lo, s2
	s_delay_alu instid0(SALU_CYCLE_1)
	s_and_saveexec_b32 s11, s2
	s_cbranch_execz .LBB75_6
; %bb.1:
	v_dual_mov_b32 v50, s10 :: v_dual_mov_b32 v49, s9
	v_mov_b32_e32 v48, s8
	s_add_i32 s16, s7, -3
	s_mov_b32 s17, exec_lo
	v_cmpx_ne_u32_e64 s16, v51
	s_cbranch_execz .LBB75_5
; %bb.2:
	v_subrev_nc_u32_e32 v2, s16, v51
	s_mov_b32 s20, 0
	s_mov_b64 s[2:3], 0
	s_mov_b32 s9, s8
	s_mov_b32 s10, s8
	v_cmp_lt_u32_e32 vcc_lo, 1, v2
	v_cndmask_b32_e32 v2, 1, v2, vcc_lo
.LBB75_3:                               ; =>This Inner Loop Header: Depth=1
	s_cmp_lg_u32 s2, 2
	s_cselect_b32 s10, s10, 0
	s_cmp_lg_u32 s2, 1
	s_cselect_b32 s9, s9, 0
	;; [unrolled: 2-line block ×3, first 2 shown]
	s_add_u32 s2, s2, 1
	v_dual_mov_b32 v50, s10 :: v_dual_mov_b32 v49, s9
	v_cmp_eq_u32_e32 vcc_lo, s2, v2
	v_mov_b32_e32 v48, s8
	s_addc_u32 s3, s3, 0
	s_or_b32 s20, vcc_lo, s20
	s_delay_alu instid0(SALU_CYCLE_1)
	s_and_not1_b32 exec_lo, exec_lo, s20
	s_cbranch_execnz .LBB75_3
; %bb.4:
	s_or_b32 exec_lo, exec_lo, s20
	v_mov_b32_e32 v51, s16
.LBB75_5:
	s_or_b32 exec_lo, exec_lo, s17
.LBB75_6:
	s_delay_alu instid0(SALU_CYCLE_1) | instskip(SKIP_2) | instid1(SALU_CYCLE_1)
	s_or_b32 exec_lo, exec_lo, s11
	v_and_b32_e32 v0, 0x3ff, v0
	s_mul_i32 s2, s6, 3
	s_min_u32 s3, s2, 0x8000
	s_mov_b32 s2, exec_lo
	s_delay_alu instid0(VALU_DEP_1) | instskip(NEXT) | instid1(VALU_DEP_1)
	v_lshlrev_b32_e32 v66, 3, v0
	v_lshl_add_u32 v3, v1, 8, v66
	s_delay_alu instid0(VALU_DEP_1)
	v_cmpx_gt_u32_e64 s3, v3
	s_cbranch_execz .LBB75_15
; %bb.7:
	v_lshlrev_b32_e32 v2, 1, v3
	v_add_nc_u32_e32 v8, 0x1000, v3
	s_mov_b32 s8, exec_lo
	s_waitcnt lgkmcnt(0)
	global_load_b128 v[4:7], v2, s[12:13]
	s_waitcnt vmcnt(0)
	ds_store_b128 v2, v[4:7]
	v_cmpx_gt_u32_e64 s3, v8
	s_xor_b32 s8, exec_lo, s8
	s_cbranch_execz .LBB75_15
; %bb.8:
	v_add_co_u32 v4, s8, s12, v2
	s_delay_alu instid0(VALU_DEP_1) | instskip(SKIP_1) | instid1(VALU_DEP_3)
	v_add_co_ci_u32_e64 v5, null, s13, 0, s8
	v_add_nc_u32_e32 v10, 0x2000, v3
	v_add_co_u32 v6, vcc_lo, 0x2000, v4
	s_delay_alu instid0(VALU_DEP_3)
	v_add_co_ci_u32_e32 v7, vcc_lo, 0, v5, vcc_lo
	s_mov_b32 s8, exec_lo
	global_load_b128 v[6:9], v[6:7], off
	s_waitcnt vmcnt(0)
	ds_store_b128 v2, v[6:9] offset:8192
	v_cmpx_gt_u32_e64 s3, v10
	s_xor_b32 s8, exec_lo, s8
	s_cbranch_execz .LBB75_15
; %bb.9:
	v_add_co_u32 v6, vcc_lo, 0x4000, v4
	v_add_co_ci_u32_e32 v7, vcc_lo, 0, v5, vcc_lo
	v_add_nc_u32_e32 v10, 0x3000, v3
	s_mov_b32 s8, exec_lo
	global_load_b128 v[6:9], v[6:7], off
	s_waitcnt vmcnt(0)
	ds_store_b128 v2, v[6:9] offset:16384
	v_cmpx_gt_u32_e64 s3, v10
	s_xor_b32 s8, exec_lo, s8
	s_cbranch_execz .LBB75_15
; %bb.10:
	v_add_co_u32 v6, vcc_lo, 0x6000, v4
	v_add_co_ci_u32_e32 v7, vcc_lo, 0, v5, vcc_lo
	v_add_nc_u32_e32 v10, 0x4000, v3
	;; [unrolled: 11-line block ×5, first 2 shown]
	global_load_b128 v[6:9], v[6:7], off
	v_cmp_gt_u32_e32 vcc_lo, s3, v3
	s_waitcnt vmcnt(0)
	ds_store_b128 v2, v[6:9] offset:49152
	s_and_saveexec_b32 s3, vcc_lo
	s_delay_alu instid0(SALU_CYCLE_1)
	s_xor_b32 s3, exec_lo, s3
	s_cbranch_execz .LBB75_15
; %bb.14:
	v_add_co_u32 v3, vcc_lo, 0xe000, v4
	v_add_co_ci_u32_e32 v4, vcc_lo, 0, v5, vcc_lo
	global_load_b128 v[3:6], v[3:4], off
	s_waitcnt vmcnt(0)
	ds_store_b128 v2, v[3:6] offset:57344
.LBB75_15:
	s_or_b32 exec_lo, exec_lo, s2
	v_cmp_gt_u32_e32 vcc_lo, s18, v1
	v_cmp_gt_u32_e64 s2, s7, v51
	s_waitcnt lgkmcnt(0)
	s_barrier
	buffer_gl0_inv
	s_and_b32 s2, vcc_lo, s2
	s_delay_alu instid0(SALU_CYCLE_1)
	s_and_saveexec_b32 s3, s2
	s_cbranch_execz .LBB75_76
; %bb.16:
	s_clause 0x1
	s_load_b128 s[8:11], s[0:1], 0x28
	s_load_b64 s[16:17], s[0:1], 0x18
	s_cmp_lg_u32 s4, 0
	v_cvt_f32_u32_e32 v2, s14
	s_cselect_b32 s20, -1, 0
	s_add_i32 s21, s4, -8
	s_add_i32 s22, s7, -1
	s_mul_i32 s25, s18, s19
	v_rcp_iflag_f32_e32 v2, v2
	v_lshlrev_b32_e32 v67, 4, v0
	v_mbcnt_lo_u32_b32 v71, -1, 0
	s_mul_i32 s25, s25, 3
	v_add_nc_u32_e32 v68, s6, v66
	s_waitcnt lgkmcnt(0)
	s_cmp_lg_u64 s[8:9], 0
	s_cselect_b32 s23, -1, 0
	s_abs_i32 s1, s15
	s_add_i32 s24, s7, -3
	v_cvt_f32_u32_e32 v1, s1
	s_sub_i32 s2, 0, s1
	s_sub_i32 s3, 0, s14
	;; [unrolled: 1-line block ×3, first 2 shown]
	s_mov_b32 s15, 0
	v_rcp_iflag_f32_e32 v1, v1
	s_waitcnt_depctr 0xfff
	v_mul_f32_e32 v1, 0x4f7ffffe, v1
	s_delay_alu instid0(VALU_DEP_1) | instskip(NEXT) | instid1(VALU_DEP_1)
	v_cvt_u32_f32_e32 v1, v1
	v_readfirstlane_b32 s0, v1
	v_mul_f32_e32 v1, 0x4f7ffffe, v2
	s_delay_alu instid0(VALU_DEP_2) | instskip(NEXT) | instid1(VALU_DEP_1)
	s_mul_i32 s2, s2, s0
	v_cvt_u32_f32_e32 v1, v1
	s_mul_hi_u32 s2, s0, s2
	s_delay_alu instid0(SALU_CYCLE_1) | instskip(SKIP_1) | instid1(VALU_DEP_1)
	s_add_i32 s2, s0, s2
	s_cmp_lt_u32 s1, 2
	v_mul_lo_u32 v2, s3, v1
	s_cselect_b32 s18, s18, 1
	v_cmp_eq_u32_e64 s0, 31, v0
	s_sub_i32 s19, s18, s1
	s_cmp_ge_u32 s18, s1
	s_cselect_b32 s27, s19, s18
	s_lshr_b32 s2, s2, 31
	s_delay_alu instid0(VALU_DEP_2) | instskip(SKIP_3) | instid1(SALU_CYCLE_1)
	v_mul_hi_u32 v0, v1, v2
	s_mul_i32 s2, s2, s1
	s_mul_i32 s27, s27, s14
	s_sub_i32 s2, 2, s2
	s_sub_i32 s3, s2, s1
	s_cmp_ge_u32 s2, s1
	s_cselect_b32 s2, s3, s2
	s_delay_alu instid0(VALU_DEP_1) | instskip(SKIP_4) | instid1(SALU_CYCLE_1)
	v_add_nc_u32_e32 v69, v1, v0
	s_sub_i32 s3, s2, s1
	s_cmp_ge_u32 s2, s1
	s_cselect_b32 s28, s3, s2
	s_lshl_b32 s26, s6, 1
	v_dual_mov_b32 v53, 0 :: v_dual_add_nc_u32 v70, s26, v66
	s_mul_i32 s28, s28, s14
	s_lshl_b32 s6, s6, 2
	s_branch .LBB75_19
.LBB75_17:                              ;   in Loop: Header=BB75_19 Depth=1
	s_or_b32 exec_lo, exec_lo, s30
	v_mov_b32_e32 v51, s24
.LBB75_18:                              ;   in Loop: Header=BB75_19 Depth=1
	s_or_b32 exec_lo, exec_lo, s29
	s_delay_alu instid0(VALU_DEP_1) | instskip(SKIP_1) | instid1(SALU_CYCLE_1)
	v_cmp_le_u32_e32 vcc_lo, s7, v51
	s_or_b32 s15, vcc_lo, s15
	s_and_not1_b32 exec_lo, exec_lo, s15
	s_cbranch_execz .LBB75_76
.LBB75_19:                              ; =>This Loop Header: Depth=1
                                        ;     Child Loop BB75_24 Depth 2
                                        ;     Child Loop BB75_66 Depth 2
	s_delay_alu instid0(VALU_DEP_1)
	v_dual_mov_b32 v80, v53 :: v_dual_add_nc_u32 v55, 1, v51
	v_dual_mov_b32 v79, v53 :: v_dual_add_nc_u32 v54, 2, v51
	v_mov_b32_e32 v78, v53
	v_mov_b32_e32 v77, v53
	;; [unrolled: 1-line block ×7, first 2 shown]
	s_and_not1_b32 vcc_lo, exec_lo, s20
	s_cbranch_vccnz .LBB75_50
; %bb.20:                               ;   in Loop: Header=BB75_19 Depth=1
	v_min_u32_e32 v0, s22, v51
	s_waitcnt lgkmcnt(0)
	v_min_u32_e32 v1, s22, v55
	v_min_u32_e32 v2, s22, v54
	v_dual_mov_b32 v3, v53 :: v_dual_mov_b32 v74, 0
	v_mul_lo_u32 v52, v0, s5
	s_delay_alu instid0(VALU_DEP_4) | instskip(NEXT) | instid1(VALU_DEP_4)
	v_mul_lo_u32 v0, v1, s5
	v_mul_lo_u32 v2, v2, s5
	v_dual_mov_b32 v1, v53 :: v_dual_mov_b32 v72, 0
	v_dual_mov_b32 v81, v67 :: v_dual_mov_b32 v76, 0
	;; [unrolled: 1-line block ×3, first 2 shown]
	v_lshlrev_b64 v[56:57], 1, v[52:53]
	s_delay_alu instid0(VALU_DEP_4)
	v_lshlrev_b64 v[58:59], 1, v[0:1]
	v_lshlrev_b64 v[60:61], 1, v[2:3]
	v_dual_mov_b32 v75, 0 :: v_dual_mov_b32 v80, 0
	v_mov_b32_e32 v77, 0
	v_mov_b32_e32 v79, 0
	s_mov_b32 s1, 0
	s_branch .LBB75_24
.LBB75_21:                              ;   in Loop: Header=BB75_24 Depth=2
	s_or_b32 exec_lo, exec_lo, s18
.LBB75_22:                              ;   in Loop: Header=BB75_24 Depth=2
	s_delay_alu instid0(SALU_CYCLE_1)
	s_or_b32 exec_lo, exec_lo, s3
.LBB75_23:                              ;   in Loop: Header=BB75_24 Depth=2
	s_delay_alu instid0(SALU_CYCLE_1)
	s_or_b32 exec_lo, exec_lo, s2
	s_waitcnt vmcnt(0) lgkmcnt(0)
	;;#ASMSTART
	v_dot2_f32_f16 v80, v32, v20, v80
	;;#ASMEND
	;;#ASMSTART
	v_dot2_f32_f16 v79, v32, v16, v79
	;;#ASMEND
	;; [unrolled: 3-line block ×27, first 2 shown]
	v_add_nc_u32_e32 v81, 0x400, v81
	;;#ASMSTART
	v_dot2_f32_f16 v80, v35, v23, v80
	;;#ASMEND
	;;#ASMSTART
	v_dot2_f32_f16 v79, v35, v19, v79
	;;#ASMEND
	;; [unrolled: 3-line block ×9, first 2 shown]
	s_addk_i32 s1, 0x200
	;;#ASMSTART
	v_dot2_f32_f16 v80, v44, v8, v80
	;;#ASMEND
	;;#ASMSTART
	v_dot2_f32_f16 v79, v44, v4, v79
	;;#ASMEND
	;; [unrolled: 3-line block ×18, first 2 shown]
	s_cmp_ge_u32 s1, s4
	;;#ASMSTART
	v_dot2_f32_f16 v80, v46, v10, v80
	;;#ASMEND
	;;#ASMSTART
	v_dot2_f32_f16 v79, v46, v6, v79
	;;#ASMEND
	;; [unrolled: 3-line block ×18, first 2 shown]
	s_cbranch_scc1 .LBB75_50
.LBB75_24:                              ;   Parent Loop BB75_19 Depth=1
                                        ; =>  This Inner Loop Header: Depth=2
	v_dual_mov_b32 v38, 0 :: v_dual_add_nc_u32 v63, s1, v66
	v_dual_mov_b32 v37, 0 :: v_dual_mov_b32 v36, 0
	v_dual_mov_b32 v43, 0 :: v_dual_mov_b32 v42, 0
	s_delay_alu instid0(VALU_DEP_3) | instskip(SKIP_2) | instid1(VALU_DEP_3)
	v_min_u32_e32 v52, s21, v63
	v_dual_mov_b32 v39, 0 :: v_dual_add_nc_u32 v62, 0x100, v63
	v_dual_mov_b32 v41, 0 :: v_dual_mov_b32 v40, 0
	v_lshlrev_b64 v[0:1], 1, v[52:53]
	s_delay_alu instid0(VALU_DEP_3) | instskip(SKIP_2) | instid1(VALU_DEP_4)
	v_min_u32_e32 v52, s21, v62
	v_dual_mov_b32 v31, 0 :: v_dual_mov_b32 v30, 0
	v_dual_mov_b32 v29, 0 :: v_dual_mov_b32 v28, 0
	v_add_co_u32 v6, vcc_lo, s16, v0
	v_add_co_ci_u32_e32 v7, vcc_lo, s17, v1, vcc_lo
	v_lshlrev_b64 v[0:1], 1, v[52:53]
	s_delay_alu instid0(VALU_DEP_3) | instskip(NEXT) | instid1(VALU_DEP_3)
	v_add_co_u32 v2, vcc_lo, v6, v56
	v_add_co_ci_u32_e32 v3, vcc_lo, v7, v57, vcc_lo
	v_add_co_u32 v4, vcc_lo, v6, v58
	v_add_co_ci_u32_e32 v5, vcc_lo, v7, v59, vcc_lo
	;; [unrolled: 2-line block ×4, first 2 shown]
	s_delay_alu instid0(VALU_DEP_4) | instskip(NEXT) | instid1(VALU_DEP_4)
	v_add_co_u32 v6, vcc_lo, v8, v56
	v_add_co_ci_u32_e32 v7, vcc_lo, v9, v57, vcc_lo
	s_waitcnt vmcnt(6)
	v_add_co_u32 v24, vcc_lo, v8, v58
	v_add_co_ci_u32_e32 v25, vcc_lo, v9, v59, vcc_lo
	v_add_co_u32 v26, vcc_lo, v8, v60
	v_add_co_ci_u32_e32 v27, vcc_lo, v9, v61, vcc_lo
	s_clause 0x5
	global_load_b128 v[20:23], v[2:3], off slc dlc
	global_load_b128 v[16:19], v[4:5], off slc dlc
	;; [unrolled: 1-line block ×6, first 2 shown]
	v_cmp_gt_u32_e32 vcc_lo, s4, v63
	v_dual_mov_b32 v27, 0 :: v_dual_mov_b32 v26, 0
	v_dual_mov_b32 v25, 0 :: v_dual_mov_b32 v24, 0
	;; [unrolled: 1-line block ×6, first 2 shown]
	s_and_saveexec_b32 s2, vcc_lo
	s_cbranch_execz .LBB75_23
; %bb.25:                               ;   in Loop: Header=BB75_24 Depth=2
	s_mov_b32 s3, exec_lo
                                        ; implicit-def: $vgpr35
	v_cmpx_lt_u32_e32 0x7fff, v63
	s_xor_b32 s3, exec_lo, s3
	s_cbranch_execz .LBB75_27
; %bb.26:                               ;   in Loop: Header=BB75_24 Depth=2
	v_mov_b32_e32 v64, v53
	s_delay_alu instid0(VALU_DEP_1) | instskip(NEXT) | instid1(VALU_DEP_1)
	v_lshlrev_b64 v[24:25], 1, v[63:64]
	v_add_co_u32 v24, vcc_lo, s12, v24
	s_delay_alu instid0(VALU_DEP_2)
	v_add_co_ci_u32_e32 v25, vcc_lo, s13, v25, vcc_lo
	global_load_b128 v[32:35], v[24:25], off
.LBB75_27:                              ;   in Loop: Header=BB75_24 Depth=2
	s_and_not1_saveexec_b32 s3, s3
	s_cbranch_execz .LBB75_29
; %bb.28:                               ;   in Loop: Header=BB75_24 Depth=2
	s_waitcnt vmcnt(0)
	ds_load_b128 v[32:35], v81
.LBB75_29:                              ;   in Loop: Header=BB75_24 Depth=2
	s_or_b32 exec_lo, exec_lo, s3
	v_add_nc_u32_e32 v52, s1, v68
	s_mov_b32 s3, exec_lo
                                        ; implicit-def: $vgpr31
	s_delay_alu instid0(VALU_DEP_1)
	v_cmpx_lt_u32_e32 0x7fff, v52
	s_xor_b32 s3, exec_lo, s3
	s_cbranch_execz .LBB75_31
; %bb.30:                               ;   in Loop: Header=BB75_24 Depth=2
	v_lshlrev_b64 v[24:25], 1, v[52:53]
	s_delay_alu instid0(VALU_DEP_1) | instskip(NEXT) | instid1(VALU_DEP_2)
	v_add_co_u32 v24, vcc_lo, s12, v24
	v_add_co_ci_u32_e32 v25, vcc_lo, s13, v25, vcc_lo
	global_load_b128 v[28:31], v[24:25], off
.LBB75_31:                              ;   in Loop: Header=BB75_24 Depth=2
	s_and_not1_saveexec_b32 s3, s3
	s_cbranch_execz .LBB75_33
; %bb.32:                               ;   in Loop: Header=BB75_24 Depth=2
	v_add_nc_u32_e32 v24, s26, v81
	s_waitcnt vmcnt(0)
	ds_load_b128 v[28:31], v24
.LBB75_33:                              ;   in Loop: Header=BB75_24 Depth=2
	s_or_b32 exec_lo, exec_lo, s3
	v_add_nc_u32_e32 v64, s1, v70
	s_mov_b32 s3, exec_lo
                                        ; implicit-def: $vgpr27
	s_delay_alu instid0(VALU_DEP_1)
	v_cmpx_lt_u32_e32 0x7fff, v64
	s_xor_b32 s3, exec_lo, s3
	s_cbranch_execz .LBB75_35
; %bb.34:                               ;   in Loop: Header=BB75_24 Depth=2
	v_mov_b32_e32 v65, v53
	s_delay_alu instid0(VALU_DEP_1) | instskip(NEXT) | instid1(VALU_DEP_1)
	v_lshlrev_b64 v[24:25], 1, v[64:65]
	v_add_co_u32 v24, vcc_lo, s12, v24
	s_delay_alu instid0(VALU_DEP_2)
	v_add_co_ci_u32_e32 v25, vcc_lo, s13, v25, vcc_lo
	global_load_b128 v[24:27], v[24:25], off
.LBB75_35:                              ;   in Loop: Header=BB75_24 Depth=2
	s_and_not1_saveexec_b32 s3, s3
	s_cbranch_execz .LBB75_37
; %bb.36:                               ;   in Loop: Header=BB75_24 Depth=2
	s_waitcnt vmcnt(0)
	v_add_nc_u32_e32 v26, s6, v81
	ds_load_2addr_b32 v[24:25], v26 offset1:1
	ds_load_2addr_b32 v[26:27], v26 offset0:2 offset1:3
.LBB75_37:                              ;   in Loop: Header=BB75_24 Depth=2
	s_or_b32 exec_lo, exec_lo, s3
	v_dual_mov_b32 v39, 0 :: v_dual_mov_b32 v38, 0
	v_dual_mov_b32 v37, 0 :: v_dual_mov_b32 v36, 0
	;; [unrolled: 1-line block ×6, first 2 shown]
	s_mov_b32 s3, exec_lo
	v_cmpx_gt_u32_e64 s4, v62
	s_cbranch_execz .LBB75_22
; %bb.38:                               ;   in Loop: Header=BB75_24 Depth=2
	s_mov_b32 s18, exec_lo
                                        ; implicit-def: $vgpr47
	v_cmpx_lt_u32_e32 0x7fff, v62
	s_xor_b32 s18, exec_lo, s18
	s_cbranch_execz .LBB75_40
; %bb.39:                               ;   in Loop: Header=BB75_24 Depth=2
	v_mov_b32_e32 v63, v53
	s_delay_alu instid0(VALU_DEP_1) | instskip(NEXT) | instid1(VALU_DEP_1)
	v_lshlrev_b64 v[36:37], 1, v[62:63]
	v_add_co_u32 v36, vcc_lo, s12, v36
	s_delay_alu instid0(VALU_DEP_2)
	v_add_co_ci_u32_e32 v37, vcc_lo, s13, v37, vcc_lo
	global_load_b128 v[44:47], v[36:37], off
.LBB75_40:                              ;   in Loop: Header=BB75_24 Depth=2
	s_and_not1_saveexec_b32 s18, s18
	s_cbranch_execz .LBB75_42
; %bb.41:                               ;   in Loop: Header=BB75_24 Depth=2
	s_waitcnt vmcnt(0)
	ds_load_b128 v[44:47], v81 offset:512
.LBB75_42:                              ;   in Loop: Header=BB75_24 Depth=2
	s_or_b32 exec_lo, exec_lo, s18
	v_add_nc_u32_e32 v52, 0x100, v52
	s_mov_b32 s18, exec_lo
                                        ; implicit-def: $vgpr43
	s_delay_alu instid0(VALU_DEP_1)
	v_cmpx_lt_u32_e32 0x7fff, v52
	s_xor_b32 s18, exec_lo, s18
	s_cbranch_execz .LBB75_44
; %bb.43:                               ;   in Loop: Header=BB75_24 Depth=2
	v_lshlrev_b64 v[36:37], 1, v[52:53]
	s_delay_alu instid0(VALU_DEP_1) | instskip(NEXT) | instid1(VALU_DEP_2)
	v_add_co_u32 v36, vcc_lo, s12, v36
	v_add_co_ci_u32_e32 v37, vcc_lo, s13, v37, vcc_lo
	global_load_b128 v[40:43], v[36:37], off
.LBB75_44:                              ;   in Loop: Header=BB75_24 Depth=2
	s_and_not1_saveexec_b32 s18, s18
	s_cbranch_execz .LBB75_46
; %bb.45:                               ;   in Loop: Header=BB75_24 Depth=2
	v_add_nc_u32_e32 v36, s26, v81
	s_waitcnt vmcnt(0)
	ds_load_b128 v[40:43], v36 offset:512
.LBB75_46:                              ;   in Loop: Header=BB75_24 Depth=2
	s_or_b32 exec_lo, exec_lo, s18
	v_add_nc_u32_e32 v52, 0x100, v64
	s_mov_b32 s18, exec_lo
                                        ; implicit-def: $vgpr39
	s_delay_alu instid0(VALU_DEP_1)
	v_cmpx_lt_u32_e32 0x7fff, v52
	s_xor_b32 s18, exec_lo, s18
	s_cbranch_execz .LBB75_48
; %bb.47:                               ;   in Loop: Header=BB75_24 Depth=2
	v_lshlrev_b64 v[36:37], 1, v[52:53]
	s_delay_alu instid0(VALU_DEP_1) | instskip(NEXT) | instid1(VALU_DEP_2)
	v_add_co_u32 v36, vcc_lo, s12, v36
	v_add_co_ci_u32_e32 v37, vcc_lo, s13, v37, vcc_lo
	global_load_b128 v[36:39], v[36:37], off
.LBB75_48:                              ;   in Loop: Header=BB75_24 Depth=2
	s_and_not1_saveexec_b32 s18, s18
	s_cbranch_execz .LBB75_21
; %bb.49:                               ;   in Loop: Header=BB75_24 Depth=2
	s_waitcnt vmcnt(0)
	v_add_nc_u32_e32 v38, s6, v81
	ds_load_2addr_b32 v[36:37], v38 offset0:128 offset1:129
	ds_load_2addr_b32 v[38:39], v38 offset0:130 offset1:131
	s_branch .LBB75_21
.LBB75_50:                              ;   in Loop: Header=BB75_19 Depth=1
	v_cvt_i32_f32_e32 v0, v80
	s_waitcnt lgkmcnt(0)
	v_cvt_i32_f32_e32 v1, v79
	v_cvt_i32_f32_e32 v2, v78
	;; [unrolled: 1-line block ×3, first 2 shown]
	v_xor_b32_e32 v8, 16, v71
	v_cvt_f32_i32_dpp v0, v0 row_shr:8 row_mask:0xf bank_mask:0xf bound_ctrl:1
	v_cvt_f32_i32_dpp v1, v1 row_shr:8 row_mask:0xf bank_mask:0xf bound_ctrl:1
	;; [unrolled: 1-line block ×4, first 2 shown]
	v_cmp_gt_i32_e32 vcc_lo, 32, v8
	s_delay_alu instid0(VALU_DEP_4) | instskip(NEXT) | instid1(VALU_DEP_3)
	v_dual_add_f32 v0, v80, v0 :: v_dual_add_f32 v1, v79, v1
	v_dual_add_f32 v2, v78, v2 :: v_dual_add_f32 v3, v77, v3
	v_cvt_i32_f32_e32 v13, v72
	s_delay_alu instid0(VALU_DEP_3) | instskip(NEXT) | instid1(VALU_DEP_4)
	v_cvt_i32_f32_e32 v4, v0
	v_cvt_i32_f32_e32 v5, v1
	s_delay_alu instid0(VALU_DEP_4)
	v_cvt_i32_f32_e32 v6, v2
	v_cvt_i32_f32_e32 v7, v3
	;; [unrolled: 1-line block ×3, first 2 shown]
	v_cvt_f32_i32_dpp v4, v4 row_shr:4 row_mask:0xf bank_mask:0xf bound_ctrl:1
	v_cvt_f32_i32_dpp v5, v5 row_shr:4 row_mask:0xf bank_mask:0xf bound_ctrl:1
	;; [unrolled: 1-line block ×4, first 2 shown]
	s_delay_alu instid0(VALU_DEP_3) | instskip(NEXT) | instid1(VALU_DEP_2)
	v_dual_add_f32 v0, v0, v4 :: v_dual_add_f32 v1, v1, v5
	v_dual_add_f32 v2, v2, v6 :: v_dual_add_f32 v3, v3, v7
	v_cvt_i32_f32_e32 v5, v76
	s_delay_alu instid0(VALU_DEP_3) | instskip(NEXT) | instid1(VALU_DEP_4)
	v_cvt_i32_f32_e32 v4, v0
	v_cvt_i32_f32_e32 v6, v1
	s_delay_alu instid0(VALU_DEP_4) | instskip(SKIP_1) | instid1(VALU_DEP_4)
	v_cvt_i32_f32_e32 v7, v2
	v_cvt_i32_f32_e32 v9, v3
	v_cvt_f32_i32_dpp v4, v4 row_shr:2 row_mask:0xf bank_mask:0xf bound_ctrl:1
	s_delay_alu instid0(VALU_DEP_4) | instskip(NEXT) | instid1(VALU_DEP_4)
	v_cvt_f32_i32_dpp v6, v6 row_shr:2 row_mask:0xf bank_mask:0xf bound_ctrl:1
	v_cvt_f32_i32_dpp v7, v7 row_shr:2 row_mask:0xf bank_mask:0xf bound_ctrl:1
	s_delay_alu instid0(VALU_DEP_4) | instskip(NEXT) | instid1(VALU_DEP_3)
	v_cvt_f32_i32_dpp v9, v9 row_shr:2 row_mask:0xf bank_mask:0xf bound_ctrl:1
	v_dual_add_f32 v0, v0, v4 :: v_dual_add_f32 v1, v1, v6
	s_delay_alu instid0(VALU_DEP_2) | instskip(SKIP_1) | instid1(VALU_DEP_3)
	v_dual_add_f32 v2, v2, v7 :: v_dual_add_f32 v3, v3, v9
	v_cvt_i32_f32_e32 v6, v73
	v_cvt_i32_f32_e32 v4, v0
	s_delay_alu instid0(VALU_DEP_4) | instskip(NEXT) | instid1(VALU_DEP_4)
	v_cvt_i32_f32_e32 v7, v1
	v_cvt_i32_f32_e32 v9, v2
	;; [unrolled: 1-line block ×3, first 2 shown]
	s_delay_alu instid0(VALU_DEP_4) | instskip(NEXT) | instid1(VALU_DEP_4)
	v_cvt_f32_i32_dpp v4, v4 row_shr:1 row_mask:0xf bank_mask:0xf bound_ctrl:1
	v_cvt_f32_i32_dpp v7, v7 row_shr:1 row_mask:0xf bank_mask:0xf bound_ctrl:1
	s_delay_alu instid0(VALU_DEP_4) | instskip(NEXT) | instid1(VALU_DEP_4)
	v_cvt_f32_i32_dpp v9, v9 row_shr:1 row_mask:0xf bank_mask:0xf bound_ctrl:1
	v_cvt_f32_i32_dpp v11, v11 row_shr:1 row_mask:0xf bank_mask:0xf bound_ctrl:1
	s_delay_alu instid0(VALU_DEP_3)
	v_add_f32_e32 v12, v1, v7
	v_cvt_f32_i32_dpp v1, v5 row_shr:8 row_mask:0xf bank_mask:0xf bound_ctrl:1
	v_cndmask_b32_e32 v8, v71, v8, vcc_lo
	v_cvt_f32_i32_dpp v5, v6 row_shr:8 row_mask:0xf bank_mask:0xf bound_ctrl:1
	v_add_f32_e32 v16, v0, v4
	v_cvt_i32_f32_e32 v0, v74
	v_add_f32_e32 v1, v76, v1
	s_delay_alu instid0(VALU_DEP_4) | instskip(SKIP_1) | instid1(VALU_DEP_3)
	v_dual_add_f32 v5, v73, v5 :: v_dual_add_f32 v4, v3, v11
	v_cvt_f32_i32_dpp v3, v13 row_shr:8 row_mask:0xf bank_mask:0xf bound_ctrl:1
	v_cvt_i32_f32_e32 v6, v1
	s_waitcnt vmcnt(0)
	v_lshlrev_b32_e32 v18, 2, v8
	v_cvt_i32_f32_e32 v13, v5
	v_cvt_f32_i32_dpp v0, v0 row_shr:8 row_mask:0xf bank_mask:0xf bound_ctrl:1
	v_add_f32_e32 v3, v72, v3
	v_cvt_f32_i32_dpp v6, v6 row_shr:4 row_mask:0xf bank_mask:0xf bound_ctrl:1
	v_add_f32_e32 v8, v2, v9
	v_cvt_f32_i32_dpp v13, v13 row_shr:4 row_mask:0xf bank_mask:0xf bound_ctrl:1
	v_cvt_f32_i32_dpp v2, v10 row_shr:8 row_mask:0xf bank_mask:0xf bound_ctrl:1
	v_cvt_i32_f32_e32 v10, v3
	v_add_f32_e32 v1, v1, v6
	ds_bpermute_b32 v17, v18, v16
	v_add_f32_e32 v5, v5, v13
	ds_bpermute_b32 v11, v18, v8
	v_cvt_f32_i32_dpp v10, v10 row_shr:4 row_mask:0xf bank_mask:0xf bound_ctrl:1
	v_cvt_i32_f32_e32 v6, v1
	ds_bpermute_b32 v7, v18, v4
	v_cvt_i32_f32_e32 v13, v5
	v_add_f32_e32 v3, v3, v10
	v_cvt_f32_i32_dpp v6, v6 row_shr:2 row_mask:0xf bank_mask:0xf bound_ctrl:1
	v_add_f32_e32 v0, v74, v0
	s_delay_alu instid0(VALU_DEP_4)
	v_cvt_f32_i32_dpp v13, v13 row_shr:2 row_mask:0xf bank_mask:0xf bound_ctrl:1
	ds_bpermute_b32 v15, v18, v12
	v_cvt_i32_f32_e32 v10, v3
	v_add_f32_e32 v1, v1, v6
	v_cvt_i32_f32_e32 v14, v0
	v_add_f32_e32 v6, v5, v13
	s_delay_alu instid0(VALU_DEP_4) | instskip(NEXT) | instid1(VALU_DEP_4)
	v_cvt_f32_i32_dpp v10, v10 row_shr:2 row_mask:0xf bank_mask:0xf bound_ctrl:1
	v_cvt_i32_f32_e32 v5, v1
	s_delay_alu instid0(VALU_DEP_4) | instskip(NEXT) | instid1(VALU_DEP_4)
	v_cvt_f32_i32_dpp v14, v14 row_shr:4 row_mask:0xf bank_mask:0xf bound_ctrl:1
	v_cvt_i32_f32_e32 v13, v6
	s_delay_alu instid0(VALU_DEP_4) | instskip(NEXT) | instid1(VALU_DEP_4)
	v_add_f32_e32 v3, v3, v10
	v_cvt_f32_i32_dpp v5, v5 row_shr:1 row_mask:0xf bank_mask:0xf bound_ctrl:1
	v_add_f32_e32 v2, v75, v2
	s_delay_alu instid0(VALU_DEP_4) | instskip(NEXT) | instid1(VALU_DEP_4)
	v_cvt_f32_i32_dpp v19, v13 row_shr:1 row_mask:0xf bank_mask:0xf bound_ctrl:1
	v_cvt_i32_f32_e32 v10, v3
	s_delay_alu instid0(VALU_DEP_4) | instskip(NEXT) | instid1(VALU_DEP_4)
	v_add_f32_e32 v13, v1, v5
	v_cvt_i32_f32_e32 v9, v2
	s_delay_alu instid0(VALU_DEP_3) | instskip(NEXT) | instid1(VALU_DEP_2)
	v_cvt_f32_i32_dpp v10, v10 row_shr:1 row_mask:0xf bank_mask:0xf bound_ctrl:1
	v_cvt_f32_i32_dpp v9, v9 row_shr:4 row_mask:0xf bank_mask:0xf bound_ctrl:1
	s_delay_alu instid0(VALU_DEP_1) | instskip(NEXT) | instid1(VALU_DEP_1)
	v_dual_add_f32 v5, v3, v10 :: v_dual_add_f32 v2, v2, v9
	v_cvt_i32_f32_e32 v9, v2
	s_delay_alu instid0(VALU_DEP_1) | instskip(NEXT) | instid1(VALU_DEP_1)
	v_cvt_f32_i32_dpp v9, v9 row_shr:2 row_mask:0xf bank_mask:0xf bound_ctrl:1
	v_add_f32_e32 v2, v2, v9
	s_delay_alu instid0(VALU_DEP_1) | instskip(NEXT) | instid1(VALU_DEP_1)
	v_cvt_i32_f32_e32 v9, v2
	v_cvt_f32_i32_dpp v9, v9 row_shr:1 row_mask:0xf bank_mask:0xf bound_ctrl:1
	s_delay_alu instid0(VALU_DEP_1) | instskip(NEXT) | instid1(VALU_DEP_1)
	v_dual_add_f32 v0, v0, v14 :: v_dual_add_f32 v9, v2, v9
	v_cvt_i32_f32_e32 v14, v0
	v_add_f32_e32 v2, v6, v19
	ds_bpermute_b32 v6, v18, v5
	ds_bpermute_b32 v10, v18, v9
	v_cvt_f32_i32_dpp v14, v14 row_shr:2 row_mask:0xf bank_mask:0xf bound_ctrl:1
	ds_bpermute_b32 v3, v18, v2
	v_add_f32_e32 v0, v0, v14
	s_delay_alu instid0(VALU_DEP_1) | instskip(NEXT) | instid1(VALU_DEP_1)
	v_cvt_i32_f32_e32 v14, v0
	v_cvt_f32_i32_dpp v14, v14 row_shr:1 row_mask:0xf bank_mask:0xf bound_ctrl:1
	s_delay_alu instid0(VALU_DEP_1)
	v_add_f32_e32 v0, v0, v14
	ds_bpermute_b32 v14, v18, v13
	ds_bpermute_b32 v1, v18, v0
	s_and_saveexec_b32 s18, s0
	s_cbranch_execz .LBB75_63
; %bb.51:                               ;   in Loop: Header=BB75_19 Depth=1
	v_dual_mov_b32 v26, 0 :: v_dual_mov_b32 v25, 0
	v_dual_mov_b32 v24, 0 :: v_dual_mov_b32 v23, 0
	;; [unrolled: 1-line block ×4, first 2 shown]
	v_mov_b32_e32 v18, 0
	s_and_not1_b32 vcc_lo, exec_lo, s23
	s_cbranch_vccnz .LBB75_53
; %bb.52:                               ;   in Loop: Header=BB75_19 Depth=1
	v_mul_hi_u32 v18, v51, v69
	v_mul_hi_u32 v19, v55, v69
	;; [unrolled: 1-line block ×3, first 2 shown]
	v_mov_b32_e32 v33, v53
	s_delay_alu instid0(VALU_DEP_4) | instskip(NEXT) | instid1(VALU_DEP_4)
	v_mul_lo_u32 v18, v18, s14
	v_mul_lo_u32 v19, v19, s14
	s_delay_alu instid0(VALU_DEP_4) | instskip(NEXT) | instid1(VALU_DEP_3)
	v_mul_lo_u32 v20, v20, s14
	v_sub_nc_u32_e32 v18, v51, v18
	s_delay_alu instid0(VALU_DEP_3) | instskip(NEXT) | instid1(VALU_DEP_3)
	v_sub_nc_u32_e32 v21, v55, v19
	v_sub_nc_u32_e32 v20, v54, v20
	s_delay_alu instid0(VALU_DEP_3)
	v_subrev_nc_u32_e32 v22, s14, v18
	v_cmp_le_u32_e32 vcc_lo, s14, v18
	v_mov_b32_e32 v19, v53
	v_subrev_nc_u32_e32 v23, s14, v21
	v_subrev_nc_u32_e32 v24, s14, v20
	v_cndmask_b32_e32 v18, v18, v22, vcc_lo
	v_cmp_le_u32_e32 vcc_lo, s14, v21
	s_delay_alu instid0(VALU_DEP_4) | instskip(SKIP_2) | instid1(VALU_DEP_3)
	v_cndmask_b32_e32 v22, v21, v23, vcc_lo
	v_cmp_le_u32_e32 vcc_lo, s14, v20
	v_mov_b32_e32 v21, v53
	v_subrev_nc_u32_e32 v25, s14, v22
	v_cndmask_b32_e32 v20, v20, v24, vcc_lo
	v_subrev_nc_u32_e32 v24, s14, v18
	v_cmp_le_u32_e32 vcc_lo, s14, v18
	v_mov_b32_e32 v23, v53
	s_delay_alu instid0(VALU_DEP_4) | instskip(NEXT) | instid1(VALU_DEP_4)
	v_subrev_nc_u32_e32 v26, s14, v20
	v_cndmask_b32_e32 v52, v18, v24, vcc_lo
	v_cmp_le_u32_e32 vcc_lo, s14, v22
	v_dual_cndmask_b32 v18, v22, v25 :: v_dual_mov_b32 v25, v53
	v_cmp_le_u32_e32 vcc_lo, s14, v20
	s_delay_alu instid0(VALU_DEP_4) | instskip(NEXT) | instid1(VALU_DEP_3)
	v_add_nc_u32_e32 v22, s27, v52
	v_lshlrev_b64 v[28:29], 1, v[18:19]
	v_add_nc_u32_e32 v24, s27, v18
	v_cndmask_b32_e32 v20, v20, v26, vcc_lo
	v_lshlrev_b64 v[26:27], 1, v[52:53]
	v_add_nc_u32_e32 v52, s28, v52
	s_delay_alu instid0(VALU_DEP_3) | instskip(SKIP_1) | instid1(VALU_DEP_4)
	v_lshlrev_b64 v[30:31], 1, v[20:21]
	v_lshlrev_b64 v[21:22], 1, v[22:23]
	v_add_co_u32 v26, vcc_lo, s8, v26
	v_add_co_ci_u32_e32 v27, vcc_lo, s9, v27, vcc_lo
	v_add_co_u32 v28, vcc_lo, s8, v28
	v_add_co_ci_u32_e32 v29, vcc_lo, s9, v29, vcc_lo
	v_add_co_u32 v30, vcc_lo, s8, v30
	v_lshlrev_b64 v[23:24], 1, v[24:25]
	v_add_nc_u32_e32 v32, s27, v20
	v_add_co_ci_u32_e32 v31, vcc_lo, s9, v31, vcc_lo
	v_add_co_u32 v21, vcc_lo, s8, v21
	v_add_co_ci_u32_e32 v22, vcc_lo, s9, v22, vcc_lo
	s_delay_alu instid0(VALU_DEP_4)
	v_lshlrev_b64 v[32:33], 1, v[32:33]
	v_add_co_u32 v34, vcc_lo, s8, v23
	v_add_co_ci_u32_e32 v35, vcc_lo, s9, v24, vcc_lo
	v_lshlrev_b64 v[23:24], 1, v[52:53]
	v_add_nc_u32_e32 v52, s28, v18
	v_add_co_u32 v18, vcc_lo, s8, v32
	v_add_co_ci_u32_e32 v19, vcc_lo, s9, v33, vcc_lo
	s_delay_alu instid0(VALU_DEP_3) | instskip(SKIP_3) | instid1(VALU_DEP_3)
	v_lshlrev_b64 v[32:33], 1, v[52:53]
	v_add_nc_u32_e32 v52, s28, v20
	v_add_co_u32 v36, vcc_lo, s8, v23
	v_add_co_ci_u32_e32 v37, vcc_lo, s9, v24, vcc_lo
	v_lshlrev_b64 v[23:24], 1, v[52:53]
	v_add_co_u32 v32, vcc_lo, s8, v32
	v_add_co_ci_u32_e32 v33, vcc_lo, s9, v33, vcc_lo
	s_delay_alu instid0(VALU_DEP_3) | instskip(NEXT) | instid1(VALU_DEP_4)
	v_add_co_u32 v38, vcc_lo, s8, v23
	v_add_co_ci_u32_e32 v39, vcc_lo, s9, v24, vcc_lo
	s_clause 0x8
	global_load_u16 v26, v[26:27], off
	global_load_u16 v25, v[28:29], off
	;; [unrolled: 1-line block ×9, first 2 shown]
.LBB75_53:                              ;   in Loop: Header=BB75_19 Depth=1
	v_cmp_ne_u32_e32 vcc_lo, 0, v48
	s_and_saveexec_b32 s2, vcc_lo
	s_cbranch_execnz .LBB75_68
; %bb.54:                               ;   in Loop: Header=BB75_19 Depth=1
	s_or_b32 exec_lo, exec_lo, s2
	v_cmp_ne_u32_e64 s1, 0, v49
	s_delay_alu instid0(VALU_DEP_1)
	s_and_saveexec_b32 s3, s1
	s_cbranch_execnz .LBB75_69
.LBB75_55:                              ;   in Loop: Header=BB75_19 Depth=1
	s_or_b32 exec_lo, exec_lo, s3
	v_cmp_ne_u32_e64 s2, 0, v50
	s_delay_alu instid0(VALU_DEP_1)
	s_and_saveexec_b32 s19, s2
	s_cbranch_execnz .LBB75_70
.LBB75_56:                              ;   in Loop: Header=BB75_19 Depth=1
	s_or_b32 exec_lo, exec_lo, s19
	v_add_nc_u32_e32 v52, s7, v51
	s_and_saveexec_b32 s19, vcc_lo
	s_cbranch_execnz .LBB75_71
.LBB75_57:                              ;   in Loop: Header=BB75_19 Depth=1
	s_or_b32 exec_lo, exec_lo, s19
	s_and_saveexec_b32 s19, s1
	s_cbranch_execnz .LBB75_72
.LBB75_58:                              ;   in Loop: Header=BB75_19 Depth=1
	s_or_b32 exec_lo, exec_lo, s19
	s_and_saveexec_b32 s19, s2
	s_cbranch_execnz .LBB75_73
.LBB75_59:                              ;   in Loop: Header=BB75_19 Depth=1
	s_or_b32 exec_lo, exec_lo, s19
	v_add_nc_u32_e32 v52, s7, v52
	s_and_saveexec_b32 s3, vcc_lo
	s_cbranch_execnz .LBB75_74
.LBB75_60:                              ;   in Loop: Header=BB75_19 Depth=1
	s_or_b32 exec_lo, exec_lo, s3
	s_and_saveexec_b32 s3, s1
	s_cbranch_execnz .LBB75_75
.LBB75_61:                              ;   in Loop: Header=BB75_19 Depth=1
	s_or_b32 exec_lo, exec_lo, s3
	s_delay_alu instid0(SALU_CYCLE_1)
	s_and_b32 exec_lo, exec_lo, s2
	s_cbranch_execz .LBB75_63
.LBB75_62:                              ;   in Loop: Header=BB75_19 Depth=1
	s_waitcnt lgkmcnt(0)
	v_add_f32_e32 v0, v0, v1
	s_waitcnt vmcnt(0)
	v_cvt_f32_f16_e32 v1, v18
	v_add_nc_u32_e32 v52, 2, v52
	s_delay_alu instid0(VALU_DEP_2) | instskip(NEXT) | instid1(VALU_DEP_2)
	v_add_f32_e32 v2, v0, v1
	v_lshlrev_b64 v[0:1], 1, v[52:53]
	s_delay_alu instid0(VALU_DEP_2) | instskip(NEXT) | instid1(VALU_DEP_2)
	v_cvt_f16_f32_e32 v2, v2
	v_add_co_u32 v0, vcc_lo, s10, v0
	s_delay_alu instid0(VALU_DEP_3)
	v_add_co_ci_u32_e32 v1, vcc_lo, s11, v1, vcc_lo
	global_store_b16 v[0:1], v2, off
.LBB75_63:                              ;   in Loop: Header=BB75_19 Depth=1
	s_or_b32 exec_lo, exec_lo, s18
	v_add_nc_u32_e32 v51, s25, v51
	s_delay_alu instid0(VALU_DEP_1) | instskip(SKIP_1) | instid1(VALU_DEP_2)
	v_add_nc_u32_e32 v0, 3, v51
	v_cmp_gt_u32_e32 vcc_lo, s7, v51
	v_cmp_le_u32_e64 s1, s7, v0
	s_delay_alu instid0(VALU_DEP_1) | instskip(NEXT) | instid1(SALU_CYCLE_1)
	s_and_b32 s1, vcc_lo, s1
	s_and_saveexec_b32 s29, s1
	s_cbranch_execz .LBB75_18
; %bb.64:                               ;   in Loop: Header=BB75_19 Depth=1
	s_mov_b32 s30, exec_lo
	v_cmpx_ne_u32_e64 s24, v51
	s_cbranch_execz .LBB75_17
; %bb.65:                               ;   in Loop: Header=BB75_19 Depth=1
	v_subrev_nc_u32_e32 v0, s24, v51
	s_mov_b32 s31, 0
	s_mov_b64 s[18:19], 0
	s_delay_alu instid0(VALU_DEP_1)
	v_cmp_lt_u32_e32 vcc_lo, 1, v0
	v_cndmask_b32_e32 v0, 1, v0, vcc_lo
	.p2align	6
.LBB75_66:                              ;   Parent Loop BB75_19 Depth=1
                                        ; =>  This Inner Loop Header: Depth=2
	s_cmp_lg_u32 s18, 2
	s_cselect_b32 vcc_lo, -1, 0
	s_cmp_lg_u32 s18, 1
	v_cndmask_b32_e32 v50, 0, v50, vcc_lo
	s_cselect_b32 s1, -1, 0
	s_cmp_lg_u32 s18, 0
	v_cndmask_b32_e64 v49, 0, v49, s1
	s_cselect_b32 s2, -1, 0
	s_add_u32 s18, s18, 1
	v_cndmask_b32_e64 v48, 0, v48, s2
	v_cmp_eq_u32_e64 s3, s18, v0
	s_addc_u32 s19, s19, 0
	s_delay_alu instid0(VALU_DEP_1) | instskip(NEXT) | instid1(SALU_CYCLE_1)
	s_or_b32 s31, s3, s31
	s_and_not1_b32 exec_lo, exec_lo, s31
	s_cbranch_execnz .LBB75_66
; %bb.67:                               ;   in Loop: Header=BB75_19 Depth=1
	s_or_b32 exec_lo, exec_lo, s31
	s_branch .LBB75_17
.LBB75_68:                              ;   in Loop: Header=BB75_19 Depth=1
	s_waitcnt lgkmcnt(8)
	v_add_f32_e32 v16, v16, v17
	s_waitcnt vmcnt(8)
	v_cvt_f32_f16_e32 v17, v26
	v_mov_b32_e32 v52, v53
	s_delay_alu instid0(VALU_DEP_2) | instskip(NEXT) | instid1(VALU_DEP_2)
	v_add_f32_e32 v26, v16, v17
	v_lshlrev_b64 v[16:17], 1, v[51:52]
	s_delay_alu instid0(VALU_DEP_2) | instskip(NEXT) | instid1(VALU_DEP_2)
	v_cvt_f16_f32_e32 v26, v26
	v_add_co_u32 v16, s1, s10, v16
	s_delay_alu instid0(VALU_DEP_1) | instskip(SKIP_3) | instid1(VALU_DEP_1)
	v_add_co_ci_u32_e64 v17, s1, s11, v17, s1
	global_store_b16 v[16:17], v26, off
	s_or_b32 exec_lo, exec_lo, s2
	v_cmp_ne_u32_e64 s1, 0, v49
	s_and_saveexec_b32 s3, s1
	s_cbranch_execz .LBB75_55
.LBB75_69:                              ;   in Loop: Header=BB75_19 Depth=1
	s_waitcnt lgkmcnt(5)
	v_add_f32_e32 v12, v12, v15
	s_waitcnt vmcnt(7)
	v_cvt_f32_f16_e32 v15, v25
	v_mov_b32_e32 v56, v53
	s_delay_alu instid0(VALU_DEP_2) | instskip(NEXT) | instid1(VALU_DEP_2)
	v_add_f32_e32 v12, v12, v15
	v_lshlrev_b64 v[15:16], 1, v[55:56]
	s_delay_alu instid0(VALU_DEP_2) | instskip(NEXT) | instid1(VALU_DEP_2)
	v_cvt_f16_f32_e32 v12, v12
	v_add_co_u32 v15, s2, s10, v15
	s_delay_alu instid0(VALU_DEP_1) | instskip(SKIP_3) | instid1(VALU_DEP_1)
	v_add_co_ci_u32_e64 v16, s2, s11, v16, s2
	global_store_b16 v[15:16], v12, off
	s_or_b32 exec_lo, exec_lo, s3
	v_cmp_ne_u32_e64 s2, 0, v50
	s_and_saveexec_b32 s19, s2
	s_cbranch_execz .LBB75_56
.LBB75_70:                              ;   in Loop: Header=BB75_19 Depth=1
	s_waitcnt lgkmcnt(7)
	v_dual_add_f32 v8, v8, v11 :: v_dual_mov_b32 v55, v53
	s_waitcnt vmcnt(6)
	v_cvt_f32_f16_e32 v11, v24
	s_delay_alu instid0(VALU_DEP_1) | instskip(NEXT) | instid1(VALU_DEP_3)
	v_add_f32_e32 v8, v8, v11
	v_lshlrev_b64 v[11:12], 1, v[54:55]
	s_delay_alu instid0(VALU_DEP_2) | instskip(NEXT) | instid1(VALU_DEP_2)
	v_cvt_f16_f32_e32 v8, v8
	v_add_co_u32 v11, s3, s10, v11
	s_delay_alu instid0(VALU_DEP_1)
	v_add_co_ci_u32_e64 v12, s3, s11, v12, s3
	global_store_b16 v[11:12], v8, off
	s_or_b32 exec_lo, exec_lo, s19
	v_add_nc_u32_e32 v52, s7, v51
	s_and_saveexec_b32 s19, vcc_lo
	s_cbranch_execz .LBB75_57
.LBB75_71:                              ;   in Loop: Header=BB75_19 Depth=1
	s_waitcnt lgkmcnt(6)
	v_add_f32_e32 v4, v4, v7
	s_waitcnt vmcnt(5)
	v_cvt_f32_f16_e32 v7, v23
	s_delay_alu instid0(VALU_DEP_1) | instskip(SKIP_1) | instid1(VALU_DEP_2)
	v_add_f32_e32 v4, v4, v7
	v_lshlrev_b64 v[7:8], 1, v[52:53]
	v_cvt_f16_f32_e32 v4, v4
	s_delay_alu instid0(VALU_DEP_2) | instskip(NEXT) | instid1(VALU_DEP_1)
	v_add_co_u32 v7, s3, s10, v7
	v_add_co_ci_u32_e64 v8, s3, s11, v8, s3
	global_store_b16 v[7:8], v4, off
	s_or_b32 exec_lo, exec_lo, s19
	s_and_saveexec_b32 s19, s1
	s_cbranch_execz .LBB75_58
.LBB75_72:                              ;   in Loop: Header=BB75_19 Depth=1
	s_waitcnt lgkmcnt(1)
	v_dual_add_f32 v4, v13, v14 :: v_dual_add_nc_u32 v7, 1, v52
	v_mov_b32_e32 v8, v53
	s_waitcnt vmcnt(4)
	v_cvt_f32_f16_e32 v11, v22
	s_delay_alu instid0(VALU_DEP_2) | instskip(NEXT) | instid1(VALU_DEP_2)
	v_lshlrev_b64 v[7:8], 1, v[7:8]
	v_add_f32_e32 v4, v4, v11
	s_delay_alu instid0(VALU_DEP_1) | instskip(NEXT) | instid1(VALU_DEP_3)
	v_cvt_f16_f32_e32 v4, v4
	v_add_co_u32 v7, s3, s10, v7
	s_delay_alu instid0(VALU_DEP_1)
	v_add_co_ci_u32_e64 v8, s3, s11, v8, s3
	global_store_b16 v[7:8], v4, off
	s_or_b32 exec_lo, exec_lo, s19
	s_and_saveexec_b32 s19, s2
	s_cbranch_execz .LBB75_59
.LBB75_73:                              ;   in Loop: Header=BB75_19 Depth=1
	s_waitcnt lgkmcnt(3)
	v_dual_add_f32 v4, v9, v10 :: v_dual_add_nc_u32 v7, 2, v52
	v_mov_b32_e32 v8, v53
	s_waitcnt vmcnt(3)
	v_cvt_f32_f16_e32 v9, v21
	s_delay_alu instid0(VALU_DEP_2) | instskip(NEXT) | instid1(VALU_DEP_2)
	v_lshlrev_b64 v[7:8], 1, v[7:8]
	v_add_f32_e32 v4, v4, v9
	s_delay_alu instid0(VALU_DEP_1) | instskip(NEXT) | instid1(VALU_DEP_3)
	v_cvt_f16_f32_e32 v4, v4
	v_add_co_u32 v7, s3, s10, v7
	s_delay_alu instid0(VALU_DEP_1)
	v_add_co_ci_u32_e64 v8, s3, s11, v8, s3
	global_store_b16 v[7:8], v4, off
	s_or_b32 exec_lo, exec_lo, s19
	v_add_nc_u32_e32 v52, s7, v52
	s_and_saveexec_b32 s3, vcc_lo
	s_cbranch_execz .LBB75_60
.LBB75_74:                              ;   in Loop: Header=BB75_19 Depth=1
	s_waitcnt lgkmcnt(4)
	v_add_f32_e32 v4, v5, v6
	s_waitcnt vmcnt(2)
	v_cvt_f32_f16_e32 v5, v20
	s_delay_alu instid0(VALU_DEP_1) | instskip(SKIP_1) | instid1(VALU_DEP_2)
	v_add_f32_e32 v6, v4, v5
	v_lshlrev_b64 v[4:5], 1, v[52:53]
	v_cvt_f16_f32_e32 v6, v6
	s_delay_alu instid0(VALU_DEP_2) | instskip(NEXT) | instid1(VALU_DEP_3)
	v_add_co_u32 v4, vcc_lo, s10, v4
	v_add_co_ci_u32_e32 v5, vcc_lo, s11, v5, vcc_lo
	global_store_b16 v[4:5], v6, off
	s_or_b32 exec_lo, exec_lo, s3
	s_and_saveexec_b32 s3, s1
	s_cbranch_execz .LBB75_61
.LBB75_75:                              ;   in Loop: Header=BB75_19 Depth=1
	s_waitcnt lgkmcnt(2)
	v_dual_add_f32 v4, v2, v3 :: v_dual_mov_b32 v3, v53
	v_add_nc_u32_e32 v2, 1, v52
	s_waitcnt vmcnt(1)
	v_cvt_f32_f16_e32 v5, v19
	s_delay_alu instid0(VALU_DEP_2) | instskip(NEXT) | instid1(VALU_DEP_2)
	v_lshlrev_b64 v[2:3], 1, v[2:3]
	v_add_f32_e32 v4, v4, v5
	s_delay_alu instid0(VALU_DEP_1) | instskip(NEXT) | instid1(VALU_DEP_3)
	v_cvt_f16_f32_e32 v4, v4
	v_add_co_u32 v2, vcc_lo, s10, v2
	s_delay_alu instid0(VALU_DEP_4) | instskip(SKIP_2) | instid1(SALU_CYCLE_1)
	v_add_co_ci_u32_e32 v3, vcc_lo, s11, v3, vcc_lo
	global_store_b16 v[2:3], v4, off
	s_or_b32 exec_lo, exec_lo, s3
	s_and_b32 exec_lo, exec_lo, s2
	s_cbranch_execnz .LBB75_62
	s_branch .LBB75_63
.LBB75_76:
	s_nop 0
	s_sendmsg sendmsg(MSG_DEALLOC_VGPRS)
	s_endpgm
	.section	.rodata,"a",@progbits
	.p2align	6, 0x0
	.amdhsa_kernel _Z12wvSplitK_hf_I6__halfLi32ELi3ELi16ELi8ELi2ELi3EEviiiiiiPKT_S3_S3_PS1_ii
		.amdhsa_group_segment_fixed_size 65536
		.amdhsa_private_segment_fixed_size 0
		.amdhsa_kernarg_size 64
		.amdhsa_user_sgpr_count 15
		.amdhsa_user_sgpr_dispatch_ptr 0
		.amdhsa_user_sgpr_queue_ptr 0
		.amdhsa_user_sgpr_kernarg_segment_ptr 1
		.amdhsa_user_sgpr_dispatch_id 0
		.amdhsa_user_sgpr_private_segment_size 0
		.amdhsa_wavefront_size32 1
		.amdhsa_uses_dynamic_stack 0
		.amdhsa_enable_private_segment 0
		.amdhsa_system_sgpr_workgroup_id_x 1
		.amdhsa_system_sgpr_workgroup_id_y 0
		.amdhsa_system_sgpr_workgroup_id_z 0
		.amdhsa_system_sgpr_workgroup_info 0
		.amdhsa_system_vgpr_workitem_id 1
		.amdhsa_next_free_vgpr 82
		.amdhsa_next_free_sgpr 32
		.amdhsa_reserve_vcc 1
		.amdhsa_float_round_mode_32 0
		.amdhsa_float_round_mode_16_64 0
		.amdhsa_float_denorm_mode_32 3
		.amdhsa_float_denorm_mode_16_64 3
		.amdhsa_dx10_clamp 1
		.amdhsa_ieee_mode 1
		.amdhsa_fp16_overflow 0
		.amdhsa_workgroup_processor_mode 1
		.amdhsa_memory_ordered 1
		.amdhsa_forward_progress 0
		.amdhsa_shared_vgpr_count 0
		.amdhsa_exception_fp_ieee_invalid_op 0
		.amdhsa_exception_fp_denorm_src 0
		.amdhsa_exception_fp_ieee_div_zero 0
		.amdhsa_exception_fp_ieee_overflow 0
		.amdhsa_exception_fp_ieee_underflow 0
		.amdhsa_exception_fp_ieee_inexact 0
		.amdhsa_exception_int_div_zero 0
	.end_amdhsa_kernel
	.section	.text._Z12wvSplitK_hf_I6__halfLi32ELi3ELi16ELi8ELi2ELi3EEviiiiiiPKT_S3_S3_PS1_ii,"axG",@progbits,_Z12wvSplitK_hf_I6__halfLi32ELi3ELi16ELi8ELi2ELi3EEviiiiiiPKT_S3_S3_PS1_ii,comdat
.Lfunc_end75:
	.size	_Z12wvSplitK_hf_I6__halfLi32ELi3ELi16ELi8ELi2ELi3EEviiiiiiPKT_S3_S3_PS1_ii, .Lfunc_end75-_Z12wvSplitK_hf_I6__halfLi32ELi3ELi16ELi8ELi2ELi3EEviiiiiiPKT_S3_S3_PS1_ii
                                        ; -- End function
	.section	.AMDGPU.csdata,"",@progbits
; Kernel info:
; codeLenInByte = 6188
; NumSgprs: 34
; NumVgprs: 82
; ScratchSize: 0
; MemoryBound: 0
; FloatMode: 240
; IeeeMode: 1
; LDSByteSize: 65536 bytes/workgroup (compile time only)
; SGPRBlocks: 4
; VGPRBlocks: 10
; NumSGPRsForWavesPerEU: 34
; NumVGPRsForWavesPerEU: 82
; Occupancy: 8
; WaveLimiterHint : 0
; COMPUTE_PGM_RSRC2:SCRATCH_EN: 0
; COMPUTE_PGM_RSRC2:USER_SGPR: 15
; COMPUTE_PGM_RSRC2:TRAP_HANDLER: 0
; COMPUTE_PGM_RSRC2:TGID_X_EN: 1
; COMPUTE_PGM_RSRC2:TGID_Y_EN: 0
; COMPUTE_PGM_RSRC2:TGID_Z_EN: 0
; COMPUTE_PGM_RSRC2:TIDIG_COMP_CNT: 1
	.section	.text._Z16wvSplitK_hf_big_I6__halfLi32ELi3ELi16ELi8ELi2ELi3EEviiiiiiPKT_S3_S3_PS1_ii,"axG",@progbits,_Z16wvSplitK_hf_big_I6__halfLi32ELi3ELi16ELi8ELi2ELi3EEviiiiiiPKT_S3_S3_PS1_ii,comdat
	.protected	_Z16wvSplitK_hf_big_I6__halfLi32ELi3ELi16ELi8ELi2ELi3EEviiiiiiPKT_S3_S3_PS1_ii ; -- Begin function _Z16wvSplitK_hf_big_I6__halfLi32ELi3ELi16ELi8ELi2ELi3EEviiiiiiPKT_S3_S3_PS1_ii
	.globl	_Z16wvSplitK_hf_big_I6__halfLi32ELi3ELi16ELi8ELi2ELi3EEviiiiiiPKT_S3_S3_PS1_ii
	.p2align	8
	.type	_Z16wvSplitK_hf_big_I6__halfLi32ELi3ELi16ELi8ELi2ELi3EEviiiiiiPKT_S3_S3_PS1_ii,@function
_Z16wvSplitK_hf_big_I6__halfLi32ELi3ELi16ELi8ELi2ELi3EEviiiiiiPKT_S3_S3_PS1_ii: ; @_Z16wvSplitK_hf_big_I6__halfLi32ELi3ELi16ELi8ELi2ELi3EEviiiiiiPKT_S3_S3_PS1_ii
; %bb.0:
	s_load_b64 s[20:21], s[0:1], 0x38
	v_bfe_u32 v1, v0, 10, 10
	s_mov_b32 s2, exec_lo
	s_waitcnt lgkmcnt(0)
	s_delay_alu instid0(VALU_DEP_1)
	v_cmpx_gt_u32_e64 s20, v1
	s_cbranch_execz .LBB76_58
; %bb.1:
	s_load_b128 s[16:19], s[0:1], 0x0
	v_mad_u64_u32 v[2:3], null, s15, s20, v[1:2]
	s_mov_b32 s4, 1
	s_delay_alu instid0(SALU_CYCLE_1) | instskip(SKIP_1) | instid1(SALU_CYCLE_1)
	s_mov_b32 s5, s4
	s_mov_b32 s6, s4
	v_mov_b32_e32 v50, s6
	s_delay_alu instid0(VALU_DEP_2) | instskip(SKIP_1) | instid1(VALU_DEP_2)
	v_lshl_add_u32 v51, v2, 1, v2
	v_dual_mov_b32 v48, s4 :: v_dual_mov_b32 v49, s5
	v_add_nc_u32_e32 v2, 3, v51
	s_waitcnt lgkmcnt(0)
	v_cmp_gt_u32_e32 vcc_lo, s19, v51
	s_delay_alu instid0(VALU_DEP_2) | instskip(NEXT) | instid1(VALU_DEP_1)
	v_cmp_le_u32_e64 s2, s19, v2
	s_and_b32 s2, vcc_lo, s2
	s_delay_alu instid0(SALU_CYCLE_1)
	s_and_saveexec_b32 s7, s2
	s_cbranch_execz .LBB76_7
; %bb.2:
	v_dual_mov_b32 v50, s6 :: v_dual_mov_b32 v49, s5
	v_mov_b32_e32 v48, s4
	s_add_i32 s8, s19, -3
	s_mov_b32 s9, exec_lo
	v_cmpx_ne_u32_e64 s8, v51
	s_cbranch_execz .LBB76_6
; %bb.3:
	v_subrev_nc_u32_e32 v2, s8, v51
	s_mov_b32 s10, 0
	s_mov_b64 s[2:3], 0
	s_mov_b32 s5, s4
	s_mov_b32 s6, s4
	v_cmp_lt_u32_e32 vcc_lo, 1, v2
	v_cndmask_b32_e32 v2, 1, v2, vcc_lo
.LBB76_4:                               ; =>This Inner Loop Header: Depth=1
	s_cmp_lg_u32 s2, 2
	s_cselect_b32 s6, s6, 0
	s_cmp_lg_u32 s2, 1
	s_cselect_b32 s5, s5, 0
	;; [unrolled: 2-line block ×3, first 2 shown]
	s_add_u32 s2, s2, 1
	v_dual_mov_b32 v50, s6 :: v_dual_mov_b32 v49, s5
	v_cmp_eq_u32_e32 vcc_lo, s2, v2
	v_mov_b32_e32 v48, s4
	s_addc_u32 s3, s3, 0
	s_or_b32 s10, vcc_lo, s10
	s_delay_alu instid0(SALU_CYCLE_1)
	s_and_not1_b32 exec_lo, exec_lo, s10
	s_cbranch_execnz .LBB76_4
; %bb.5:
	s_or_b32 exec_lo, exec_lo, s10
	v_mov_b32_e32 v51, s8
.LBB76_6:
	s_or_b32 exec_lo, exec_lo, s9
.LBB76_7:
	s_delay_alu instid0(SALU_CYCLE_1)
	s_or_b32 exec_lo, exec_lo, s7
	s_mul_i32 s2, s20, 3
	s_abs_i32 s6, s19
	s_abs_i32 s3, s2
	s_mov_b32 s23, 0
	v_cvt_f32_u32_e32 v2, s3
	s_sub_i32 s5, 0, s3
	s_delay_alu instid0(VALU_DEP_1) | instskip(SKIP_2) | instid1(VALU_DEP_1)
	v_rcp_iflag_f32_e32 v2, v2
	s_waitcnt_depctr 0xfff
	v_mul_f32_e32 v2, 0x4f7ffffe, v2
	v_cvt_u32_f32_e32 v2, v2
	s_delay_alu instid0(VALU_DEP_1) | instskip(NEXT) | instid1(VALU_DEP_1)
	v_readfirstlane_b32 s4, v2
	s_mul_i32 s5, s5, s4
	s_delay_alu instid0(SALU_CYCLE_1) | instskip(NEXT) | instid1(SALU_CYCLE_1)
	s_mul_hi_u32 s5, s4, s5
	s_add_i32 s4, s4, s5
	s_ashr_i32 s5, s19, 31
	s_mul_hi_u32 s4, s6, s4
	s_delay_alu instid0(SALU_CYCLE_1) | instskip(NEXT) | instid1(SALU_CYCLE_1)
	s_mul_i32 s4, s4, s3
	s_sub_i32 s4, s6, s4
	s_delay_alu instid0(SALU_CYCLE_1) | instskip(SKIP_2) | instid1(SALU_CYCLE_1)
	s_sub_i32 s6, s4, s3
	s_cmp_ge_u32 s4, s3
	s_cselect_b32 s4, s6, s4
	s_sub_i32 s6, s4, s3
	s_cmp_ge_u32 s4, s3
	s_cselect_b32 s3, s6, s4
	s_add_i32 s4, s2, s19
	s_xor_b32 s3, s3, s5
	s_delay_alu instid0(SALU_CYCLE_1) | instskip(NEXT) | instid1(SALU_CYCLE_1)
	s_sub_i32 s3, s3, s5
	s_sub_i32 s4, s4, s3
	s_cmp_eq_u32 s3, 0
	s_cselect_b32 s22, s19, s4
	s_delay_alu instid0(SALU_CYCLE_1)
	v_cmp_gt_u32_e32 vcc_lo, s22, v51
	s_and_b32 exec_lo, exec_lo, vcc_lo
	s_cbranch_execz .LBB76_58
; %bb.8:
	s_load_b256 s[4:11], s[0:1], 0x10
	s_min_u32 s24, s18, 0x2a00
	s_cmp_lg_u32 s16, 0
	v_dual_mov_b32 v53, 0 :: v_dual_and_b32 v0, 0x3ff, v0
	s_cselect_b32 s25, -1, 0
	s_cmp_lg_u32 s18, 0
	s_load_b64 s[12:13], s[0:1], 0x30
	s_cselect_b32 s26, -1, 0
	s_lshl_b32 s27, s20, 8
	s_add_i32 s28, s16, -8
	s_add_i32 s29, s19, -1
	v_cmp_eq_u32_e64 s0, 31, v0
	v_mbcnt_lo_u32_b32 v60, -1, 0
	v_lshlrev_b32_e32 v61, 3, v0
	v_lshlrev_b32_e32 v0, 4, v0
	s_delay_alu instid0(VALU_DEP_2)
	v_lshl_add_u32 v62, v1, 8, v61
	s_waitcnt lgkmcnt(0)
	s_cmp_lg_u64 s[10:11], 0
	v_cvt_f32_u32_e32 v3, s4
	s_cselect_b32 s30, -1, 0
	s_abs_i32 s3, s5
	s_mul_i32 s5, s2, s21
	v_cvt_f32_u32_e32 v2, s3
	v_rcp_iflag_f32_e32 v3, v3
	s_sub_i32 s2, 0, s3
	s_add_i32 s21, s19, -3
	s_sub_i32 s14, 0, s4
	v_rcp_iflag_f32_e32 v2, v2
	s_sub_i32 s15, 1, s3
	v_lshl_add_u32 v63, v1, 9, v0
	v_add_nc_u32_e32 v65, s18, v62
	v_lshl_add_u32 v64, s18, 1, v62
	s_waitcnt_depctr 0xfff
	v_mul_f32_e32 v2, 0x4f7ffffe, v2
	s_delay_alu instid0(VALU_DEP_1) | instskip(NEXT) | instid1(VALU_DEP_1)
	v_cvt_u32_f32_e32 v2, v2
	v_readfirstlane_b32 s1, v2
	v_mul_f32_e32 v2, 0x4f7ffffe, v3
	s_delay_alu instid0(VALU_DEP_2) | instskip(NEXT) | instid1(VALU_DEP_1)
	s_mul_i32 s2, s2, s1
	v_cvt_u32_f32_e32 v2, v2
	s_mul_hi_u32 s2, s1, s2
	s_delay_alu instid0(SALU_CYCLE_1) | instskip(SKIP_1) | instid1(VALU_DEP_1)
	s_add_i32 s1, s1, s2
	s_cmp_lt_u32 s3, 2
	v_mul_lo_u32 v3, s14, v2
	s_cselect_b32 s2, s15, 1
	s_delay_alu instid0(SALU_CYCLE_1) | instskip(SKIP_3) | instid1(VALU_DEP_1)
	s_sub_i32 s14, s2, s3
	s_cmp_ge_u32 s2, s3
	s_cselect_b32 s31, s14, s2
	s_lshr_b32 s1, s1, 31
	v_mul_hi_u32 v3, v2, v3
	s_mul_i32 s1, s1, s3
	s_mul_i32 s31, s31, s4
	s_sub_i32 s1, 2, s1
	s_delay_alu instid0(SALU_CYCLE_1) | instskip(SKIP_2) | instid1(VALU_DEP_1)
	s_sub_i32 s2, s1, s3
	s_cmp_ge_u32 s1, s3
	s_cselect_b32 s1, s2, s1
	v_add_nc_u32_e32 v66, v2, v3
	s_sub_i32 s2, s1, s3
	s_cmp_ge_u32 s1, s3
	s_cselect_b32 s36, s2, s1
	s_add_u32 s33, s12, 2
	s_addc_u32 s34, s13, 0
	s_lshl_b32 s35, s24, 2
	s_lshl_b32 s20, s20, 9
	s_mul_i32 s36, s36, s4
	s_lshl_b32 s37, s24, 1
	s_branch .LBB76_12
.LBB76_9:                               ;   in Loop: Header=BB76_12 Depth=1
	s_or_b32 exec_lo, exec_lo, s40
	v_mov_b32_e32 v51, s21
.LBB76_10:                              ;   in Loop: Header=BB76_12 Depth=1
	s_or_b32 exec_lo, exec_lo, s39
.LBB76_11:                              ;   in Loop: Header=BB76_12 Depth=1
	s_delay_alu instid0(SALU_CYCLE_1) | instskip(NEXT) | instid1(VALU_DEP_1)
	s_or_b32 exec_lo, exec_lo, s38
	v_cmp_le_u32_e32 vcc_lo, s22, v51
	s_or_b32 s23, vcc_lo, s23
	s_delay_alu instid0(SALU_CYCLE_1)
	s_and_not1_b32 exec_lo, exec_lo, s23
	s_cbranch_execz .LBB76_58
.LBB76_12:                              ; =>This Loop Header: Depth=1
                                        ;     Child Loop BB76_17 Depth 2
                                        ;       Child Loop BB76_22 Depth 3
                                        ;     Child Loop BB76_48 Depth 2
	v_mov_b32_e32 v75, v53
	v_mov_b32_e32 v74, v53
	;; [unrolled: 1-line block ×9, first 2 shown]
	s_and_not1_b32 vcc_lo, exec_lo, s25
	s_mov_b32 s3, 0
	s_cbranch_vccnz .LBB76_29
; %bb.13:                               ;   in Loop: Header=BB76_12 Depth=1
	v_add_nc_u32_e32 v0, 1, v51
	v_dual_mov_b32 v68, 0 :: v_dual_add_nc_u32 v1, 2, v51
	v_min_u32_e32 v2, s29, v51
	s_waitcnt lgkmcnt(1)
	v_dual_mov_b32 v3, v53 :: v_dual_mov_b32 v70, 0
	s_delay_alu instid0(VALU_DEP_3)
	v_min_u32_e32 v4, s29, v1
	v_mov_b32_e32 v1, v53
	v_min_u32_e32 v0, s29, v0
	v_mul_lo_u32 v52, v2, s17
	v_cmp_gt_u32_e64 s1, s19, v51
	v_mul_lo_u32 v2, v4, s17
	v_dual_mov_b32 v67, 0 :: v_dual_mov_b32 v72, 0
	v_mul_lo_u32 v0, v0, s17
	v_dual_mov_b32 v69, 0 :: v_dual_mov_b32 v74, 0
	v_lshlrev_b64 v[54:55], 1, v[52:53]
	v_mov_b32_e32 v71, 0
	v_lshlrev_b64 v[58:59], 1, v[2:3]
	v_mov_b32_e32 v73, 0
	v_mov_b32_e32 v75, 0
	v_lshlrev_b64 v[56:57], 1, v[0:1]
	s_mov_b32 s14, 0
	s_branch .LBB76_17
.LBB76_14:                              ;   in Loop: Header=BB76_17 Depth=2
	s_or_b32 exec_lo, exec_lo, s38
.LBB76_15:                              ;   in Loop: Header=BB76_17 Depth=2
	s_delay_alu instid0(SALU_CYCLE_1)
	s_or_b32 exec_lo, exec_lo, s15
	s_waitcnt vmcnt(5) lgkmcnt(2)
	;;#ASMSTART
	v_dot2_f32_f16 v75, v44, v32, v75
	;;#ASMEND
	s_waitcnt vmcnt(4)
	;;#ASMSTART
	v_dot2_f32_f16 v74, v44, v28, v74
	;;#ASMEND
	s_waitcnt vmcnt(3)
	;;#ASMSTART
	v_dot2_f32_f16 v73, v44, v24, v73
	;;#ASMEND
	s_waitcnt lgkmcnt(1)
	;;#ASMSTART
	v_dot2_f32_f16 v72, v40, v32, v72
	;;#ASMEND
	;;#ASMSTART
	v_dot2_f32_f16 v71, v40, v28, v71
	;;#ASMEND
	;; [unrolled: 3-line block ×3, first 2 shown]
	s_waitcnt lgkmcnt(0)
	;;#ASMSTART
	v_dot2_f32_f16 v67, v36, v32, v67
	;;#ASMEND
	;;#ASMSTART
	v_dot2_f32_f16 v69, v36, v28, v69
	;;#ASMEND
	;; [unrolled: 3-line block ×30, first 2 shown]
	s_waitcnt vmcnt(2)
	;;#ASMSTART
	v_dot2_f32_f16 v75, v20, v8, v75
	;;#ASMEND
	s_waitcnt vmcnt(1)
	;;#ASMSTART
	v_dot2_f32_f16 v74, v20, v4, v74
	;;#ASMEND
	;; [unrolled: 4-line block ×3, first 2 shown]
	;;#ASMSTART
	v_dot2_f32_f16 v72, v16, v8, v72
	;;#ASMEND
	;;#ASMSTART
	v_dot2_f32_f16 v71, v16, v4, v71
	;;#ASMEND
	;; [unrolled: 3-line block ×33, first 2 shown]
.LBB76_16:                              ;   in Loop: Header=BB76_17 Depth=2
	s_or_b32 exec_lo, exec_lo, s2
	s_addk_i32 s14, 0x200
	s_delay_alu instid0(SALU_CYCLE_1)
	s_cmp_ge_u32 s14, s16
	s_cbranch_scc1 .LBB76_29
.LBB76_17:                              ;   Parent Loop BB76_12 Depth=1
                                        ; =>  This Loop Header: Depth=2
                                        ;       Child Loop BB76_22 Depth 3
	s_cmp_eq_u32 s14, 0
	s_cselect_b32 s15, -1, 0
	s_add_i32 s2, s3, s24
	s_delay_alu instid0(SALU_CYCLE_1) | instskip(SKIP_1) | instid1(SALU_CYCLE_1)
	s_cmp_eq_u32 s14, s2
	s_cselect_b32 s38, -1, 0
	s_or_b32 s38, s15, s38
	s_delay_alu instid0(SALU_CYCLE_1)
	s_and_not1_b32 vcc_lo, exec_lo, s38
	s_cbranch_vccz .LBB76_19
; %bb.18:                               ;   in Loop: Header=BB76_17 Depth=2
	s_and_saveexec_b32 s2, s1
	s_cbranch_execz .LBB76_16
	s_branch .LBB76_26
.LBB76_19:                              ;   in Loop: Header=BB76_17 Depth=2
	s_and_b32 s15, s15, exec_lo
	s_cselect_b32 s3, s3, s2
	s_and_not1_b32 vcc_lo, exec_lo, s26
	s_waitcnt vmcnt(0) lgkmcnt(0)
	s_waitcnt_vscnt null, 0x0
	s_barrier
	buffer_gl0_inv
	s_cbranch_vccnz .LBB76_25
; %bb.20:                               ;   in Loop: Header=BB76_17 Depth=2
	v_dual_mov_b32 v3, v63 :: v_dual_add_nc_u32 v0, s3, v64
	v_add_nc_u32_e32 v1, s3, v65
	v_add_nc_u32_e32 v2, s3, v62
	s_mov_b32 s15, 0
	s_mov_b32 s38, 0
                                        ; implicit-def: $sgpr39
	s_branch .LBB76_22
.LBB76_21:                              ;   in Loop: Header=BB76_22 Depth=3
	s_or_b32 exec_lo, exec_lo, s2
	s_delay_alu instid0(SALU_CYCLE_1) | instskip(NEXT) | instid1(SALU_CYCLE_1)
	s_and_b32 s2, exec_lo, s39
	s_or_b32 s15, s2, s15
	s_delay_alu instid0(SALU_CYCLE_1)
	s_and_not1_b32 exec_lo, exec_lo, s15
	s_cbranch_execz .LBB76_24
.LBB76_22:                              ;   Parent Loop BB76_12 Depth=1
                                        ;     Parent Loop BB76_17 Depth=2
                                        ; =>    This Inner Loop Header: Depth=3
	s_delay_alu instid0(VALU_DEP_1) | instskip(SKIP_2) | instid1(VALU_DEP_2)
	v_add_nc_u32_e32 v52, s38, v2
	v_add_nc_u32_e32 v4, s38, v62
	s_or_b32 s39, s39, exec_lo
	v_cmp_gt_u32_e32 vcc_lo, s18, v52
	s_delay_alu instid0(VALU_DEP_2) | instskip(NEXT) | instid1(VALU_DEP_1)
	v_cmp_gt_u32_e64 s2, s24, v4
	s_and_b32 s40, s2, vcc_lo
	s_delay_alu instid0(SALU_CYCLE_1)
	s_and_saveexec_b32 s2, s40
	s_cbranch_execz .LBB76_21
; %bb.23:                               ;   in Loop: Header=BB76_22 Depth=3
	v_lshlrev_b64 v[4:5], 1, v[52:53]
	v_add_nc_u32_e32 v52, s38, v1
	v_add_nc_u32_e32 v16, s37, v3
	;; [unrolled: 1-line block ×3, first 2 shown]
	s_delay_alu instid0(VALU_DEP_3) | instskip(SKIP_3) | instid1(VALU_DEP_3)
	v_lshlrev_b64 v[6:7], 1, v[52:53]
	v_add_nc_u32_e32 v52, s38, v0
	v_add_co_u32 v4, vcc_lo, s8, v4
	v_add_co_ci_u32_e32 v5, vcc_lo, s9, v5, vcc_lo
	v_lshlrev_b64 v[8:9], 1, v[52:53]
	v_add_co_u32 v10, vcc_lo, s8, v6
	v_add_co_ci_u32_e32 v11, vcc_lo, s9, v7, vcc_lo
	s_add_i32 s38, s38, s27
	s_delay_alu instid0(VALU_DEP_3) | instskip(NEXT) | instid1(VALU_DEP_4)
	v_add_co_u32 v12, vcc_lo, s8, v8
	v_add_co_ci_u32_e32 v13, vcc_lo, s9, v9, vcc_lo
	s_clause 0x2
	global_load_b128 v[4:7], v[4:5], off
	global_load_b128 v[8:11], v[10:11], off
	;; [unrolled: 1-line block ×3, first 2 shown]
	s_cmp_ge_u32 s38, s24
	s_cselect_b32 s40, -1, 0
	s_and_not1_b32 s39, s39, exec_lo
	s_and_b32 s40, s40, exec_lo
	s_delay_alu instid0(SALU_CYCLE_1)
	s_or_b32 s39, s39, s40
	s_waitcnt vmcnt(2)
	ds_store_b128 v3, v[4:7]
	v_add_nc_u32_e32 v3, s20, v3
	s_waitcnt vmcnt(1)
	ds_store_2addr_b64 v16, v[8:9], v[10:11] offset1:1
	s_waitcnt vmcnt(0)
	ds_store_2addr_b32 v17, v12, v13 offset1:1
	ds_store_2addr_b32 v17, v14, v15 offset0:2 offset1:3
	s_branch .LBB76_21
.LBB76_24:                              ;   in Loop: Header=BB76_17 Depth=2
	s_or_b32 exec_lo, exec_lo, s15
.LBB76_25:                              ;   in Loop: Header=BB76_17 Depth=2
	s_waitcnt lgkmcnt(0)
	s_barrier
	buffer_gl0_inv
	s_and_saveexec_b32 s2, s1
	s_cbranch_execz .LBB76_16
.LBB76_26:                              ;   in Loop: Header=BB76_17 Depth=2
	v_dual_mov_b32 v45, 0 :: v_dual_add_nc_u32 v76, s14, v61
	v_dual_mov_b32 v46, 0 :: v_dual_mov_b32 v47, 0
	s_waitcnt vmcnt(1)
	v_dual_mov_b32 v20, 0 :: v_dual_mov_b32 v21, 0
	s_delay_alu instid0(VALU_DEP_3) | instskip(SKIP_2) | instid1(VALU_DEP_3)
	v_min_u32_e32 v52, s28, v76
	v_dual_mov_b32 v44, 0 :: v_dual_add_nc_u32 v77, 0x100, v76
	v_dual_mov_b32 v22, 0 :: v_dual_mov_b32 v23, 0
	v_lshlrev_b64 v[0:1], 1, v[52:53]
	s_delay_alu instid0(VALU_DEP_3) | instskip(SKIP_2) | instid1(VALU_DEP_4)
	v_min_u32_e32 v52, s28, v77
	v_dual_mov_b32 v40, 0 :: v_dual_mov_b32 v41, 0
	v_dual_mov_b32 v42, 0 :: v_dual_mov_b32 v43, 0
	v_add_co_u32 v6, vcc_lo, s6, v0
	v_add_co_ci_u32_e32 v7, vcc_lo, s7, v1, vcc_lo
	v_lshlrev_b64 v[0:1], 1, v[52:53]
	s_delay_alu instid0(VALU_DEP_3) | instskip(NEXT) | instid1(VALU_DEP_3)
	v_add_co_u32 v2, vcc_lo, v6, v54
	v_add_co_ci_u32_e32 v3, vcc_lo, v7, v55, vcc_lo
	v_add_co_u32 v4, vcc_lo, v6, v56
	s_waitcnt lgkmcnt(0)
	v_add_co_ci_u32_e32 v5, vcc_lo, v7, v57, vcc_lo
	v_add_co_u32 v8, vcc_lo, s6, v0
	v_add_co_ci_u32_e32 v9, vcc_lo, s7, v1, vcc_lo
	v_add_co_u32 v0, vcc_lo, v6, v58
	v_add_co_ci_u32_e32 v1, vcc_lo, v7, v59, vcc_lo
	s_delay_alu instid0(VALU_DEP_4) | instskip(NEXT) | instid1(VALU_DEP_4)
	v_add_co_u32 v6, vcc_lo, v8, v54
	v_add_co_ci_u32_e32 v7, vcc_lo, v9, v55, vcc_lo
	v_add_co_u32 v12, vcc_lo, v8, v56
	v_add_co_ci_u32_e32 v13, vcc_lo, v9, v57, vcc_lo
	;; [unrolled: 2-line block ×3, first 2 shown]
	s_clause 0x5
	global_load_b128 v[32:35], v[2:3], off slc dlc
	global_load_b128 v[28:31], v[4:5], off slc dlc
	;; [unrolled: 1-line block ×6, first 2 shown]
	v_cmp_gt_u32_e32 vcc_lo, s16, v76
	v_dual_mov_b32 v16, 0 :: v_dual_mov_b32 v17, 0
	s_waitcnt vmcnt(6)
	v_dual_mov_b32 v18, 0 :: v_dual_mov_b32 v19, 0
	v_dual_mov_b32 v36, 0 :: v_dual_mov_b32 v37, 0
	;; [unrolled: 1-line block ×5, first 2 shown]
	s_and_saveexec_b32 s15, vcc_lo
	s_cbranch_execz .LBB76_15
; %bb.27:                               ;   in Loop: Header=BB76_17 Depth=2
	v_subrev_nc_u32_e32 v12, s3, v76
	v_dual_mov_b32 v14, 0 :: v_dual_mov_b32 v17, 0
	v_dual_mov_b32 v18, 0 :: v_dual_mov_b32 v21, 0
	s_delay_alu instid0(VALU_DEP_3) | instskip(SKIP_2) | instid1(VALU_DEP_3)
	v_dual_mov_b32 v15, 0 :: v_dual_lshlrev_b32 v78, 1, v12
	v_dual_mov_b32 v12, 0 :: v_dual_mov_b32 v23, 0
	v_mov_b32_e32 v16, 0
	v_dual_mov_b32 v13, 0 :: v_dual_add_nc_u32 v76, s37, v78
	v_mov_b32_e32 v22, 0
	v_mov_b32_e32 v20, 0
	s_mov_b32 s38, exec_lo
	s_delay_alu instid0(VALU_DEP_3)
	v_dual_mov_b32 v19, 0 :: v_dual_add_nc_u32 v52, s37, v76
	ds_load_b128 v[44:47], v78
	ds_load_b128 v[40:43], v76
	;; [unrolled: 1-line block ×3, first 2 shown]
	v_cmpx_gt_u32_e64 s16, v77
	s_cbranch_execz .LBB76_14
; %bb.28:                               ;   in Loop: Header=BB76_17 Depth=2
	ds_load_b128 v[20:23], v78 offset:512
	ds_load_b128 v[16:19], v76 offset:512
	;; [unrolled: 1-line block ×3, first 2 shown]
	s_branch .LBB76_14
.LBB76_29:                              ;   in Loop: Header=BB76_12 Depth=1
	s_mov_b32 s1, exec_lo
	v_cmpx_le_u32_e64 s19, v51
	s_xor_b32 s1, exec_lo, s1
; %bb.30:                               ;   in Loop: Header=BB76_12 Depth=1
	v_add_nc_u32_e32 v51, s5, v51
                                        ; implicit-def: $vgpr75
                                        ; implicit-def: $vgpr74
                                        ; implicit-def: $vgpr73
                                        ; implicit-def: $vgpr72
                                        ; implicit-def: $vgpr71
                                        ; implicit-def: $vgpr70
                                        ; implicit-def: $vgpr68
                                        ; implicit-def: $vgpr69
                                        ; implicit-def: $vgpr67
; %bb.31:                               ;   in Loop: Header=BB76_12 Depth=1
	s_and_not1_saveexec_b32 s38, s1
	s_cbranch_execz .LBB76_11
; %bb.32:                               ;   in Loop: Header=BB76_12 Depth=1
	v_cvt_i32_f32_e32 v0, v75
	v_cvt_i32_f32_e32 v1, v74
	;; [unrolled: 1-line block ×3, first 2 shown]
	s_waitcnt lgkmcnt(1)
	v_cvt_i32_f32_e32 v3, v72
	v_xor_b32_e32 v8, 16, v60
	v_cvt_f32_i32_dpp v0, v0 row_shr:8 row_mask:0xf bank_mask:0xf bound_ctrl:1
	v_cvt_f32_i32_dpp v1, v1 row_shr:8 row_mask:0xf bank_mask:0xf bound_ctrl:1
	;; [unrolled: 1-line block ×4, first 2 shown]
	v_cmp_gt_i32_e32 vcc_lo, 32, v8
	s_delay_alu instid0(VALU_DEP_4) | instskip(NEXT) | instid1(VALU_DEP_3)
	v_dual_add_f32 v0, v75, v0 :: v_dual_add_f32 v1, v74, v1
	v_dual_add_f32 v2, v73, v2 :: v_dual_add_f32 v3, v72, v3
	v_cvt_i32_f32_e32 v10, v70
	s_delay_alu instid0(VALU_DEP_3)
	v_cvt_i32_f32_e32 v4, v0
	s_waitcnt lgkmcnt(0)
	v_cvt_i32_f32_e32 v5, v1
	v_cvt_i32_f32_e32 v6, v2
	;; [unrolled: 1-line block ×4, first 2 shown]
	v_cvt_f32_i32_dpp v4, v4 row_shr:4 row_mask:0xf bank_mask:0xf bound_ctrl:1
	v_cvt_f32_i32_dpp v5, v5 row_shr:4 row_mask:0xf bank_mask:0xf bound_ctrl:1
	;; [unrolled: 1-line block ×4, first 2 shown]
	s_delay_alu instid0(VALU_DEP_3) | instskip(NEXT) | instid1(VALU_DEP_2)
	v_dual_add_f32 v0, v0, v4 :: v_dual_add_f32 v1, v1, v5
	v_dual_add_f32 v2, v2, v6 :: v_dual_add_f32 v3, v3, v7
	v_cvt_i32_f32_e32 v4, v71
	s_delay_alu instid0(VALU_DEP_3) | instskip(NEXT) | instid1(VALU_DEP_4)
	v_cvt_i32_f32_e32 v5, v0
	v_cvt_i32_f32_e32 v6, v1
	s_delay_alu instid0(VALU_DEP_4) | instskip(SKIP_1) | instid1(VALU_DEP_4)
	v_cvt_i32_f32_e32 v7, v2
	v_cvt_i32_f32_e32 v9, v3
	v_cvt_f32_i32_dpp v5, v5 row_shr:2 row_mask:0xf bank_mask:0xf bound_ctrl:1
	s_delay_alu instid0(VALU_DEP_4) | instskip(NEXT) | instid1(VALU_DEP_4)
	v_cvt_f32_i32_dpp v6, v6 row_shr:2 row_mask:0xf bank_mask:0xf bound_ctrl:1
	v_cvt_f32_i32_dpp v7, v7 row_shr:2 row_mask:0xf bank_mask:0xf bound_ctrl:1
	s_delay_alu instid0(VALU_DEP_4) | instskip(NEXT) | instid1(VALU_DEP_3)
	v_cvt_f32_i32_dpp v9, v9 row_shr:2 row_mask:0xf bank_mask:0xf bound_ctrl:1
	v_dual_add_f32 v0, v0, v5 :: v_dual_add_f32 v1, v1, v6
	s_delay_alu instid0(VALU_DEP_2) | instskip(SKIP_1) | instid1(VALU_DEP_3)
	v_dual_add_f32 v2, v2, v7 :: v_dual_add_f32 v3, v3, v9
	v_cvt_i32_f32_e32 v5, v69
	v_cvt_i32_f32_e32 v6, v0
	s_delay_alu instid0(VALU_DEP_4) | instskip(NEXT) | instid1(VALU_DEP_4)
	v_cvt_i32_f32_e32 v7, v1
	v_cvt_i32_f32_e32 v9, v2
	;; [unrolled: 1-line block ×3, first 2 shown]
	v_cvt_f32_i32_dpp v5, v5 row_shr:8 row_mask:0xf bank_mask:0xf bound_ctrl:1
	v_cvt_f32_i32_dpp v6, v6 row_shr:1 row_mask:0xf bank_mask:0xf bound_ctrl:1
	;; [unrolled: 1-line block ×4, first 2 shown]
	v_cndmask_b32_e32 v8, v60, v8, vcc_lo
	v_cvt_f32_i32_dpp v12, v12 row_shr:1 row_mask:0xf bank_mask:0xf bound_ctrl:1
	v_add_f32_e32 v17, v0, v6
	v_add_f32_e32 v13, v1, v7
	;; [unrolled: 1-line block ×3, first 2 shown]
	v_cvt_f32_i32_dpp v2, v4 row_shr:8 row_mask:0xf bank_mask:0xf bound_ctrl:1
	s_waitcnt vmcnt(0)
	v_lshlrev_b32_e32 v19, 2, v8
	v_cvt_i32_f32_e32 v0, v68
	v_add_f32_e32 v6, v3, v12
	v_cvt_f32_i32_dpp v3, v10 row_shr:8 row_mask:0xf bank_mask:0xf bound_ctrl:1
	v_add_f32_e32 v2, v71, v2
	v_cvt_f32_i32_dpp v4, v11 row_shr:8 row_mask:0xf bank_mask:0xf bound_ctrl:1
	v_cvt_f32_i32_dpp v0, v0 row_shr:8 row_mask:0xf bank_mask:0xf bound_ctrl:1
	ds_bpermute_b32 v18, v19, v17
	v_add_f32_e32 v3, v70, v3
	v_cvt_i32_f32_e32 v7, v2
	v_add_f32_e32 v4, v67, v4
	v_add_f32_e32 v0, v68, v0
	ds_bpermute_b32 v16, v19, v13
	v_cvt_i32_f32_e32 v8, v3
	v_cvt_f32_i32_dpp v7, v7 row_shr:4 row_mask:0xf bank_mask:0xf bound_ctrl:1
	v_add_f32_e32 v5, v69, v5
	v_cvt_i32_f32_e32 v10, v4
	v_cvt_i32_f32_e32 v14, v0
	v_cvt_f32_i32_dpp v8, v8 row_shr:4 row_mask:0xf bank_mask:0xf bound_ctrl:1
	v_add_f32_e32 v2, v2, v7
	v_cvt_i32_f32_e32 v11, v5
	v_cvt_f32_i32_dpp v10, v10 row_shr:4 row_mask:0xf bank_mask:0xf bound_ctrl:1
	v_cvt_f32_i32_dpp v14, v14 row_shr:4 row_mask:0xf bank_mask:0xf bound_ctrl:1
	v_add_f32_e32 v3, v3, v8
	v_cvt_i32_f32_e32 v7, v2
	v_cvt_f32_i32_dpp v11, v11 row_shr:4 row_mask:0xf bank_mask:0xf bound_ctrl:1
	v_add_f32_e32 v4, v4, v10
	v_add_f32_e32 v0, v0, v14
	v_cvt_i32_f32_e32 v8, v3
	v_cvt_f32_i32_dpp v7, v7 row_shr:2 row_mask:0xf bank_mask:0xf bound_ctrl:1
	v_add_f32_e32 v5, v5, v11
	v_cvt_i32_f32_e32 v10, v4
	v_cvt_i32_f32_e32 v14, v0
	v_cvt_f32_i32_dpp v8, v8 row_shr:2 row_mask:0xf bank_mask:0xf bound_ctrl:1
	v_add_f32_e32 v2, v2, v7
	v_cvt_i32_f32_e32 v11, v5
	v_cvt_f32_i32_dpp v10, v10 row_shr:2 row_mask:0xf bank_mask:0xf bound_ctrl:1
	v_cvt_f32_i32_dpp v14, v14 row_shr:2 row_mask:0xf bank_mask:0xf bound_ctrl:1
	v_add_f32_e32 v3, v3, v8
	v_cvt_i32_f32_e32 v7, v2
	v_cvt_f32_i32_dpp v11, v11 row_shr:2 row_mask:0xf bank_mask:0xf bound_ctrl:1
	v_add_f32_e32 v4, v4, v10
	v_add_f32_e32 v0, v0, v14
	v_cvt_i32_f32_e32 v8, v3
	v_cvt_f32_i32_dpp v7, v7 row_shr:1 row_mask:0xf bank_mask:0xf bound_ctrl:1
	v_add_f32_e32 v5, v5, v11
	v_cvt_i32_f32_e32 v10, v4
	v_cvt_i32_f32_e32 v14, v0
	v_cvt_f32_i32_dpp v8, v8 row_shr:1 row_mask:0xf bank_mask:0xf bound_ctrl:1
	ds_bpermute_b32 v12, v19, v1
	v_cvt_i32_f32_e32 v11, v5
	v_cvt_f32_i32_dpp v15, v10 row_shr:1 row_mask:0xf bank_mask:0xf bound_ctrl:1
	v_cvt_f32_i32_dpp v20, v14 row_shr:1 row_mask:0xf bank_mask:0xf bound_ctrl:1
	v_add_f32_e32 v14, v2, v7
	v_add_f32_e32 v10, v3, v8
	v_cvt_f32_i32_dpp v11, v11 row_shr:1 row_mask:0xf bank_mask:0xf bound_ctrl:1
	v_add_f32_e32 v7, v4, v15
	v_add_f32_e32 v2, v0, v20
	ds_bpermute_b32 v9, v19, v6
	ds_bpermute_b32 v15, v19, v14
	v_add_f32_e32 v4, v5, v11
	ds_bpermute_b32 v11, v19, v10
	ds_bpermute_b32 v8, v19, v7
	;; [unrolled: 1-line block ×4, first 2 shown]
	s_and_saveexec_b32 s14, s0
	s_cbranch_execz .LBB76_45
; %bb.33:                               ;   in Loop: Header=BB76_12 Depth=1
	v_dual_mov_b32 v27, 0 :: v_dual_add_nc_u32 v0, 2, v51
	v_dual_mov_b32 v26, 0 :: v_dual_mov_b32 v25, 0
	v_dual_mov_b32 v24, 0 :: v_dual_mov_b32 v23, 0
	v_dual_mov_b32 v22, 0 :: v_dual_mov_b32 v21, 0
	v_dual_mov_b32 v20, 0 :: v_dual_mov_b32 v19, 0
	s_and_not1_b32 vcc_lo, exec_lo, s30
	s_cbranch_vccnz .LBB76_35
; %bb.34:                               ;   in Loop: Header=BB76_12 Depth=1
	v_mul_hi_u32 v20, v51, v66
	v_add_nc_u32_e32 v19, 1, v51
	v_mul_hi_u32 v21, v0, v66
	s_delay_alu instid0(VALU_DEP_3) | instskip(NEXT) | instid1(VALU_DEP_2)
	v_mul_lo_u32 v20, v20, s4
	v_mul_lo_u32 v21, v21, s4
	s_delay_alu instid0(VALU_DEP_2) | instskip(SKIP_2) | instid1(VALU_DEP_4)
	v_sub_nc_u32_e32 v23, v51, v20
	v_mov_b32_e32 v20, v53
	v_mul_hi_u32 v22, v19, v66
	v_sub_nc_u32_e32 v21, v0, v21
	s_delay_alu instid0(VALU_DEP_4) | instskip(SKIP_1) | instid1(VALU_DEP_3)
	v_subrev_nc_u32_e32 v25, s4, v23
	v_cmp_le_u32_e32 vcc_lo, s4, v23
	v_subrev_nc_u32_e32 v26, s4, v21
	v_mul_lo_u32 v22, v22, s4
	s_delay_alu instid0(VALU_DEP_4) | instskip(SKIP_1) | instid1(VALU_DEP_4)
	v_cndmask_b32_e32 v23, v23, v25, vcc_lo
	v_cmp_le_u32_e32 vcc_lo, s4, v21
	v_cndmask_b32_e32 v21, v21, v26, vcc_lo
	s_delay_alu instid0(VALU_DEP_4) | instskip(SKIP_2) | instid1(VALU_DEP_4)
	v_sub_nc_u32_e32 v19, v19, v22
	v_mov_b32_e32 v22, v53
	v_subrev_nc_u32_e32 v26, s4, v23
	v_subrev_nc_u32_e32 v28, s4, v21
	s_delay_alu instid0(VALU_DEP_4) | instskip(SKIP_1) | instid1(VALU_DEP_2)
	v_subrev_nc_u32_e32 v27, s4, v19
	v_cmp_le_u32_e32 vcc_lo, s4, v19
	v_dual_mov_b32 v24, v53 :: v_dual_cndmask_b32 v19, v19, v27
	v_cmp_le_u32_e32 vcc_lo, s4, v23
	v_mov_b32_e32 v25, v53
	s_delay_alu instid0(VALU_DEP_3) | instskip(SKIP_2) | instid1(VALU_DEP_2)
	v_subrev_nc_u32_e32 v29, s4, v19
	v_cndmask_b32_e32 v52, v23, v26, vcc_lo
	v_cmp_le_u32_e32 vcc_lo, s4, v21
	v_add_nc_u32_e32 v23, s31, v52
	v_cndmask_b32_e32 v21, v21, v28, vcc_lo
	v_cmp_le_u32_e32 vcc_lo, s4, v19
	s_delay_alu instid0(VALU_DEP_2) | instskip(SKIP_4) | instid1(VALU_DEP_4)
	v_lshlrev_b64 v[30:31], 1, v[21:22]
	v_cndmask_b32_e32 v19, v19, v29, vcc_lo
	v_lshlrev_b64 v[28:29], 1, v[52:53]
	v_add_nc_u32_e32 v52, s36, v52
	v_lshlrev_b64 v[22:23], 1, v[23:24]
	v_lshlrev_b64 v[32:33], 1, v[19:20]
	v_add_nc_u32_e32 v24, s31, v19
	v_add_co_u32 v28, vcc_lo, s10, v28
	v_add_co_ci_u32_e32 v29, vcc_lo, s11, v29, vcc_lo
	v_add_co_u32 v30, vcc_lo, s10, v30
	v_add_co_ci_u32_e32 v31, vcc_lo, s11, v31, vcc_lo
	v_lshlrev_b64 v[24:25], 1, v[24:25]
	v_add_co_u32 v32, vcc_lo, s10, v32
	v_add_co_ci_u32_e32 v33, vcc_lo, s11, v33, vcc_lo
	v_add_co_u32 v22, vcc_lo, s10, v22
	v_add_co_ci_u32_e32 v23, vcc_lo, s11, v23, vcc_lo
	;; [unrolled: 2-line block ×3, first 2 shown]
	v_lshlrev_b64 v[24:25], 1, v[52:53]
	v_dual_mov_b32 v27, v53 :: v_dual_add_nc_u32 v52, s36, v19
	v_add_nc_u32_e32 v26, s31, v21
	s_delay_alu instid0(VALU_DEP_1) | instskip(NEXT) | instid1(VALU_DEP_1)
	v_lshlrev_b64 v[26:27], 1, v[26:27]
	v_add_co_u32 v19, vcc_lo, s10, v26
	s_delay_alu instid0(VALU_DEP_2) | instskip(SKIP_4) | instid1(VALU_DEP_3)
	v_add_co_ci_u32_e32 v20, vcc_lo, s11, v27, vcc_lo
	v_lshlrev_b64 v[26:27], 1, v[52:53]
	v_add_nc_u32_e32 v52, s36, v21
	v_add_co_u32 v36, vcc_lo, s10, v24
	v_add_co_ci_u32_e32 v37, vcc_lo, s11, v25, vcc_lo
	v_lshlrev_b64 v[24:25], 1, v[52:53]
	v_add_co_u32 v38, vcc_lo, s10, v26
	v_add_co_ci_u32_e32 v39, vcc_lo, s11, v27, vcc_lo
	s_delay_alu instid0(VALU_DEP_3) | instskip(NEXT) | instid1(VALU_DEP_4)
	v_add_co_u32 v40, vcc_lo, s10, v24
	v_add_co_ci_u32_e32 v41, vcc_lo, s11, v25, vcc_lo
	s_clause 0x8
	global_load_u16 v27, v[28:29], off
	global_load_u16 v26, v[32:33], off
	;; [unrolled: 1-line block ×9, first 2 shown]
.LBB76_35:                              ;   in Loop: Header=BB76_12 Depth=1
	v_cmp_ne_u32_e32 vcc_lo, 0, v48
	s_and_saveexec_b32 s2, vcc_lo
	s_cbranch_execnz .LBB76_50
; %bb.36:                               ;   in Loop: Header=BB76_12 Depth=1
	s_or_b32 exec_lo, exec_lo, s2
	v_cmp_ne_u32_e64 s1, 0, v49
	s_delay_alu instid0(VALU_DEP_1)
	s_and_saveexec_b32 s3, s1
	s_cbranch_execnz .LBB76_51
.LBB76_37:                              ;   in Loop: Header=BB76_12 Depth=1
	s_or_b32 exec_lo, exec_lo, s3
	v_cmp_ne_u32_e64 s2, 0, v50
	s_delay_alu instid0(VALU_DEP_1)
	s_and_saveexec_b32 s15, s2
	s_cbranch_execnz .LBB76_52
.LBB76_38:                              ;   in Loop: Header=BB76_12 Depth=1
	s_or_b32 exec_lo, exec_lo, s15
	v_add_nc_u32_e32 v52, s19, v51
	s_and_saveexec_b32 s15, vcc_lo
	s_cbranch_execnz .LBB76_53
.LBB76_39:                              ;   in Loop: Header=BB76_12 Depth=1
	s_or_b32 exec_lo, exec_lo, s15
	s_and_saveexec_b32 s15, s1
	s_cbranch_execnz .LBB76_54
.LBB76_40:                              ;   in Loop: Header=BB76_12 Depth=1
	s_or_b32 exec_lo, exec_lo, s15
	s_and_saveexec_b32 s15, s2
	s_cbranch_execnz .LBB76_55
.LBB76_41:                              ;   in Loop: Header=BB76_12 Depth=1
	s_or_b32 exec_lo, exec_lo, s15
	v_add_nc_u32_e32 v52, s19, v52
	s_and_saveexec_b32 s3, vcc_lo
	s_cbranch_execnz .LBB76_56
.LBB76_42:                              ;   in Loop: Header=BB76_12 Depth=1
	s_or_b32 exec_lo, exec_lo, s3
	s_and_saveexec_b32 s3, s1
	s_cbranch_execnz .LBB76_57
.LBB76_43:                              ;   in Loop: Header=BB76_12 Depth=1
	s_or_b32 exec_lo, exec_lo, s3
	s_delay_alu instid0(SALU_CYCLE_1)
	s_and_b32 exec_lo, exec_lo, s2
	s_cbranch_execz .LBB76_45
.LBB76_44:                              ;   in Loop: Header=BB76_12 Depth=1
	s_waitcnt lgkmcnt(1)
	v_add_f32_e32 v0, v2, v3
	s_waitcnt vmcnt(0)
	v_cvt_f32_f16_e32 v1, v19
	v_add_nc_u32_e32 v52, 2, v52
	s_delay_alu instid0(VALU_DEP_2) | instskip(NEXT) | instid1(VALU_DEP_2)
	v_add_f32_e32 v2, v0, v1
	v_lshlrev_b64 v[0:1], 1, v[52:53]
	s_delay_alu instid0(VALU_DEP_2) | instskip(NEXT) | instid1(VALU_DEP_2)
	v_cvt_f16_f32_e32 v2, v2
	v_add_co_u32 v0, vcc_lo, s12, v0
	s_delay_alu instid0(VALU_DEP_3)
	v_add_co_ci_u32_e32 v1, vcc_lo, s13, v1, vcc_lo
	global_store_b16 v[0:1], v2, off
.LBB76_45:                              ;   in Loop: Header=BB76_12 Depth=1
	s_or_b32 exec_lo, exec_lo, s14
	v_add_nc_u32_e32 v51, s5, v51
	s_delay_alu instid0(VALU_DEP_1) | instskip(SKIP_1) | instid1(VALU_DEP_2)
	v_add_nc_u32_e32 v0, 3, v51
	v_cmp_gt_u32_e32 vcc_lo, s19, v51
	v_cmp_le_u32_e64 s1, s19, v0
	s_delay_alu instid0(VALU_DEP_1) | instskip(NEXT) | instid1(SALU_CYCLE_1)
	s_and_b32 s1, vcc_lo, s1
	s_and_saveexec_b32 s39, s1
	s_cbranch_execz .LBB76_10
; %bb.46:                               ;   in Loop: Header=BB76_12 Depth=1
	s_mov_b32 s40, exec_lo
	v_cmpx_ne_u32_e64 s21, v51
	s_cbranch_execz .LBB76_9
; %bb.47:                               ;   in Loop: Header=BB76_12 Depth=1
	v_subrev_nc_u32_e32 v0, s21, v51
	s_mov_b32 s41, 0
	s_mov_b64 s[14:15], 0
	s_delay_alu instid0(VALU_DEP_1)
	v_cmp_lt_u32_e32 vcc_lo, 1, v0
	v_cndmask_b32_e32 v0, 1, v0, vcc_lo
	.p2align	6
.LBB76_48:                              ;   Parent Loop BB76_12 Depth=1
                                        ; =>  This Inner Loop Header: Depth=2
	s_cmp_lg_u32 s14, 2
	s_cselect_b32 vcc_lo, -1, 0
	s_cmp_lg_u32 s14, 1
	v_cndmask_b32_e32 v50, 0, v50, vcc_lo
	s_cselect_b32 s1, -1, 0
	s_cmp_lg_u32 s14, 0
	v_cndmask_b32_e64 v49, 0, v49, s1
	s_cselect_b32 s2, -1, 0
	s_add_u32 s14, s14, 1
	v_cndmask_b32_e64 v48, 0, v48, s2
	v_cmp_eq_u32_e64 s3, s14, v0
	s_addc_u32 s15, s15, 0
	s_delay_alu instid0(VALU_DEP_1) | instskip(NEXT) | instid1(SALU_CYCLE_1)
	s_or_b32 s41, s3, s41
	s_and_not1_b32 exec_lo, exec_lo, s41
	s_cbranch_execnz .LBB76_48
; %bb.49:                               ;   in Loop: Header=BB76_12 Depth=1
	s_or_b32 exec_lo, exec_lo, s41
	s_branch .LBB76_9
.LBB76_50:                              ;   in Loop: Header=BB76_12 Depth=1
	s_waitcnt lgkmcnt(8)
	v_add_f32_e32 v17, v17, v18
	s_waitcnt vmcnt(8)
	v_cvt_f32_f16_e32 v18, v27
	v_mov_b32_e32 v52, v53
	s_delay_alu instid0(VALU_DEP_2) | instskip(NEXT) | instid1(VALU_DEP_2)
	v_add_f32_e32 v27, v17, v18
	v_lshlrev_b64 v[17:18], 1, v[51:52]
	s_delay_alu instid0(VALU_DEP_2) | instskip(NEXT) | instid1(VALU_DEP_2)
	v_cvt_f16_f32_e32 v27, v27
	v_add_co_u32 v17, s1, s12, v17
	s_delay_alu instid0(VALU_DEP_1) | instskip(SKIP_3) | instid1(VALU_DEP_1)
	v_add_co_ci_u32_e64 v18, s1, s13, v18, s1
	global_store_b16 v[17:18], v27, off
	s_or_b32 exec_lo, exec_lo, s2
	v_cmp_ne_u32_e64 s1, 0, v49
	s_and_saveexec_b32 s3, s1
	s_cbranch_execz .LBB76_37
.LBB76_51:                              ;   in Loop: Header=BB76_12 Depth=1
	s_waitcnt lgkmcnt(7)
	v_add_f32_e32 v13, v13, v16
	s_waitcnt vmcnt(7)
	v_cvt_f32_f16_e32 v16, v26
	v_mov_b32_e32 v52, v53
	s_delay_alu instid0(VALU_DEP_2) | instskip(NEXT) | instid1(VALU_DEP_2)
	v_add_f32_e32 v13, v13, v16
	v_lshlrev_b64 v[16:17], 1, v[51:52]
	s_delay_alu instid0(VALU_DEP_2) | instskip(NEXT) | instid1(VALU_DEP_2)
	v_cvt_f16_f32_e32 v13, v13
	v_add_co_u32 v16, s2, s33, v16
	s_delay_alu instid0(VALU_DEP_1) | instskip(SKIP_3) | instid1(VALU_DEP_1)
	v_add_co_ci_u32_e64 v17, s2, s34, v17, s2
	global_store_b16 v[16:17], v13, off
	s_or_b32 exec_lo, exec_lo, s3
	v_cmp_ne_u32_e64 s2, 0, v50
	s_and_saveexec_b32 s15, s2
	s_cbranch_execz .LBB76_38
.LBB76_52:                              ;   in Loop: Header=BB76_12 Depth=1
	s_waitcnt lgkmcnt(6)
	v_add_f32_e32 v12, v1, v12
	s_waitcnt vmcnt(6)
	v_cvt_f32_f16_e32 v13, v25
	s_delay_alu instid0(VALU_DEP_1) | instskip(NEXT) | instid1(VALU_DEP_1)
	v_dual_mov_b32 v1, v53 :: v_dual_add_f32 v12, v12, v13
	v_lshlrev_b64 v[0:1], 1, v[0:1]
	s_delay_alu instid0(VALU_DEP_2) | instskip(NEXT) | instid1(VALU_DEP_2)
	v_cvt_f16_f32_e32 v12, v12
	v_add_co_u32 v0, s3, s12, v0
	s_delay_alu instid0(VALU_DEP_1)
	v_add_co_ci_u32_e64 v1, s3, s13, v1, s3
	global_store_b16 v[0:1], v12, off
	s_or_b32 exec_lo, exec_lo, s15
	v_add_nc_u32_e32 v52, s19, v51
	s_and_saveexec_b32 s15, vcc_lo
	s_cbranch_execz .LBB76_39
.LBB76_53:                              ;   in Loop: Header=BB76_12 Depth=1
	s_waitcnt lgkmcnt(5)
	v_add_f32_e32 v0, v6, v9
	s_waitcnt vmcnt(5)
	v_cvt_f32_f16_e32 v1, v24
	s_delay_alu instid0(VALU_DEP_1) | instskip(SKIP_1) | instid1(VALU_DEP_2)
	v_add_f32_e32 v6, v0, v1
	v_lshlrev_b64 v[0:1], 1, v[52:53]
	v_cvt_f16_f32_e32 v6, v6
	s_delay_alu instid0(VALU_DEP_2) | instskip(NEXT) | instid1(VALU_DEP_1)
	v_add_co_u32 v0, s3, s12, v0
	v_add_co_ci_u32_e64 v1, s3, s13, v1, s3
	global_store_b16 v[0:1], v6, off
	s_or_b32 exec_lo, exec_lo, s15
	s_and_saveexec_b32 s15, s1
	s_cbranch_execz .LBB76_40
.LBB76_54:                              ;   in Loop: Header=BB76_12 Depth=1
	s_waitcnt lgkmcnt(4)
	v_dual_add_f32 v6, v14, v15 :: v_dual_mov_b32 v1, v53
	v_add_nc_u32_e32 v0, 1, v52
	s_waitcnt vmcnt(4)
	v_cvt_f32_f16_e32 v9, v23
	s_delay_alu instid0(VALU_DEP_2) | instskip(NEXT) | instid1(VALU_DEP_2)
	v_lshlrev_b64 v[0:1], 1, v[0:1]
	v_add_f32_e32 v6, v6, v9
	s_delay_alu instid0(VALU_DEP_1) | instskip(NEXT) | instid1(VALU_DEP_3)
	v_cvt_f16_f32_e32 v6, v6
	v_add_co_u32 v0, s3, s12, v0
	s_delay_alu instid0(VALU_DEP_1)
	v_add_co_ci_u32_e64 v1, s3, s13, v1, s3
	global_store_b16 v[0:1], v6, off
	s_or_b32 exec_lo, exec_lo, s15
	s_and_saveexec_b32 s15, s2
	s_cbranch_execz .LBB76_41
.LBB76_55:                              ;   in Loop: Header=BB76_12 Depth=1
	s_waitcnt lgkmcnt(3)
	v_dual_add_f32 v6, v10, v11 :: v_dual_mov_b32 v1, v53
	v_add_nc_u32_e32 v0, 2, v52
	s_waitcnt vmcnt(3)
	v_cvt_f32_f16_e32 v9, v22
	s_delay_alu instid0(VALU_DEP_2) | instskip(NEXT) | instid1(VALU_DEP_2)
	v_lshlrev_b64 v[0:1], 1, v[0:1]
	v_add_f32_e32 v6, v6, v9
	s_delay_alu instid0(VALU_DEP_1) | instskip(NEXT) | instid1(VALU_DEP_3)
	v_cvt_f16_f32_e32 v6, v6
	v_add_co_u32 v0, s3, s12, v0
	s_delay_alu instid0(VALU_DEP_1)
	v_add_co_ci_u32_e64 v1, s3, s13, v1, s3
	global_store_b16 v[0:1], v6, off
	s_or_b32 exec_lo, exec_lo, s15
	v_add_nc_u32_e32 v52, s19, v52
	s_and_saveexec_b32 s3, vcc_lo
	s_cbranch_execz .LBB76_42
.LBB76_56:                              ;   in Loop: Header=BB76_12 Depth=1
	s_waitcnt lgkmcnt(2)
	v_add_f32_e32 v0, v7, v8
	s_waitcnt vmcnt(2)
	v_cvt_f32_f16_e32 v1, v21
	s_delay_alu instid0(VALU_DEP_1) | instskip(SKIP_1) | instid1(VALU_DEP_2)
	v_add_f32_e32 v6, v0, v1
	v_lshlrev_b64 v[0:1], 1, v[52:53]
	v_cvt_f16_f32_e32 v6, v6
	s_delay_alu instid0(VALU_DEP_2) | instskip(NEXT) | instid1(VALU_DEP_3)
	v_add_co_u32 v0, vcc_lo, s12, v0
	v_add_co_ci_u32_e32 v1, vcc_lo, s13, v1, vcc_lo
	global_store_b16 v[0:1], v6, off
	s_or_b32 exec_lo, exec_lo, s3
	s_and_saveexec_b32 s3, s1
	s_cbranch_execz .LBB76_43
.LBB76_57:                              ;   in Loop: Header=BB76_12 Depth=1
	s_waitcnt lgkmcnt(0)
	v_dual_add_f32 v4, v4, v5 :: v_dual_mov_b32 v1, v53
	v_add_nc_u32_e32 v0, 1, v52
	s_waitcnt vmcnt(1)
	v_cvt_f32_f16_e32 v5, v20
	s_delay_alu instid0(VALU_DEP_2) | instskip(NEXT) | instid1(VALU_DEP_2)
	v_lshlrev_b64 v[0:1], 1, v[0:1]
	v_add_f32_e32 v4, v4, v5
	s_delay_alu instid0(VALU_DEP_1) | instskip(NEXT) | instid1(VALU_DEP_3)
	v_cvt_f16_f32_e32 v4, v4
	v_add_co_u32 v0, vcc_lo, s12, v0
	s_delay_alu instid0(VALU_DEP_4) | instskip(SKIP_2) | instid1(SALU_CYCLE_1)
	v_add_co_ci_u32_e32 v1, vcc_lo, s13, v1, vcc_lo
	global_store_b16 v[0:1], v4, off
	s_or_b32 exec_lo, exec_lo, s3
	s_and_b32 exec_lo, exec_lo, s2
	s_cbranch_execnz .LBB76_44
	s_branch .LBB76_45
.LBB76_58:
	s_nop 0
	s_sendmsg sendmsg(MSG_DEALLOC_VGPRS)
	s_endpgm
	.section	.rodata,"a",@progbits
	.p2align	6, 0x0
	.amdhsa_kernel _Z16wvSplitK_hf_big_I6__halfLi32ELi3ELi16ELi8ELi2ELi3EEviiiiiiPKT_S3_S3_PS1_ii
		.amdhsa_group_segment_fixed_size 65536
		.amdhsa_private_segment_fixed_size 0
		.amdhsa_kernarg_size 64
		.amdhsa_user_sgpr_count 15
		.amdhsa_user_sgpr_dispatch_ptr 0
		.amdhsa_user_sgpr_queue_ptr 0
		.amdhsa_user_sgpr_kernarg_segment_ptr 1
		.amdhsa_user_sgpr_dispatch_id 0
		.amdhsa_user_sgpr_private_segment_size 0
		.amdhsa_wavefront_size32 1
		.amdhsa_uses_dynamic_stack 0
		.amdhsa_enable_private_segment 0
		.amdhsa_system_sgpr_workgroup_id_x 1
		.amdhsa_system_sgpr_workgroup_id_y 0
		.amdhsa_system_sgpr_workgroup_id_z 0
		.amdhsa_system_sgpr_workgroup_info 0
		.amdhsa_system_vgpr_workitem_id 1
		.amdhsa_next_free_vgpr 79
		.amdhsa_next_free_sgpr 42
		.amdhsa_reserve_vcc 1
		.amdhsa_float_round_mode_32 0
		.amdhsa_float_round_mode_16_64 0
		.amdhsa_float_denorm_mode_32 3
		.amdhsa_float_denorm_mode_16_64 3
		.amdhsa_dx10_clamp 1
		.amdhsa_ieee_mode 1
		.amdhsa_fp16_overflow 0
		.amdhsa_workgroup_processor_mode 1
		.amdhsa_memory_ordered 1
		.amdhsa_forward_progress 0
		.amdhsa_shared_vgpr_count 0
		.amdhsa_exception_fp_ieee_invalid_op 0
		.amdhsa_exception_fp_denorm_src 0
		.amdhsa_exception_fp_ieee_div_zero 0
		.amdhsa_exception_fp_ieee_overflow 0
		.amdhsa_exception_fp_ieee_underflow 0
		.amdhsa_exception_fp_ieee_inexact 0
		.amdhsa_exception_int_div_zero 0
	.end_amdhsa_kernel
	.section	.text._Z16wvSplitK_hf_big_I6__halfLi32ELi3ELi16ELi8ELi2ELi3EEviiiiiiPKT_S3_S3_PS1_ii,"axG",@progbits,_Z16wvSplitK_hf_big_I6__halfLi32ELi3ELi16ELi8ELi2ELi3EEviiiiiiPKT_S3_S3_PS1_ii,comdat
.Lfunc_end76:
	.size	_Z16wvSplitK_hf_big_I6__halfLi32ELi3ELi16ELi8ELi2ELi3EEviiiiiiPKT_S3_S3_PS1_ii, .Lfunc_end76-_Z16wvSplitK_hf_big_I6__halfLi32ELi3ELi16ELi8ELi2ELi3EEviiiiiiPKT_S3_S3_PS1_ii
                                        ; -- End function
	.section	.AMDGPU.csdata,"",@progbits
; Kernel info:
; codeLenInByte = 5744
; NumSgprs: 44
; NumVgprs: 79
; ScratchSize: 0
; MemoryBound: 0
; FloatMode: 240
; IeeeMode: 1
; LDSByteSize: 65536 bytes/workgroup (compile time only)
; SGPRBlocks: 5
; VGPRBlocks: 9
; NumSGPRsForWavesPerEU: 44
; NumVGPRsForWavesPerEU: 79
; Occupancy: 8
; WaveLimiterHint : 0
; COMPUTE_PGM_RSRC2:SCRATCH_EN: 0
; COMPUTE_PGM_RSRC2:USER_SGPR: 15
; COMPUTE_PGM_RSRC2:TRAP_HANDLER: 0
; COMPUTE_PGM_RSRC2:TGID_X_EN: 1
; COMPUTE_PGM_RSRC2:TGID_Y_EN: 0
; COMPUTE_PGM_RSRC2:TGID_Z_EN: 0
; COMPUTE_PGM_RSRC2:TIDIG_COMP_CNT: 1
	.section	.text._Z16wvSplitK_hf_sml_I6__halfLi32ELi4ELi16ELi8ELi1ELi3EEviiiiiiPKT_S3_S3_PS1_ii,"axG",@progbits,_Z16wvSplitK_hf_sml_I6__halfLi32ELi4ELi16ELi8ELi1ELi3EEviiiiiiPKT_S3_S3_PS1_ii,comdat
	.protected	_Z16wvSplitK_hf_sml_I6__halfLi32ELi4ELi16ELi8ELi1ELi3EEviiiiiiPKT_S3_S3_PS1_ii ; -- Begin function _Z16wvSplitK_hf_sml_I6__halfLi32ELi4ELi16ELi8ELi1ELi3EEviiiiiiPKT_S3_S3_PS1_ii
	.globl	_Z16wvSplitK_hf_sml_I6__halfLi32ELi4ELi16ELi8ELi1ELi3EEviiiiiiPKT_S3_S3_PS1_ii
	.p2align	8
	.type	_Z16wvSplitK_hf_sml_I6__halfLi32ELi4ELi16ELi8ELi1ELi3EEviiiiiiPKT_S3_S3_PS1_ii,@function
_Z16wvSplitK_hf_sml_I6__halfLi32ELi4ELi16ELi8ELi1ELi3EEviiiiiiPKT_S3_S3_PS1_ii: ; @_Z16wvSplitK_hf_sml_I6__halfLi32ELi4ELi16ELi8ELi1ELi3EEviiiiiiPKT_S3_S3_PS1_ii
; %bb.0:
	s_load_b128 s[4:7], s[0:1], 0x0
	v_and_b32_e32 v1, 0x3ff, v0
	v_bfe_u32 v0, v0, 10, 10
	s_mov_b32 s8, exec_lo
	s_delay_alu instid0(VALU_DEP_2) | instskip(NEXT) | instid1(VALU_DEP_1)
	v_lshlrev_b32_e32 v39, 3, v1
	v_lshl_add_u32 v3, v0, 8, v39
	s_waitcnt lgkmcnt(0)
	s_mul_i32 s2, s6, 3
	s_delay_alu instid0(SALU_CYCLE_1)
	s_min_u32 s9, s2, 0x8000
	s_delay_alu instid0(VALU_DEP_1) | instid1(SALU_CYCLE_1)
	v_cmpx_gt_u32_e64 s9, v3
	s_cbranch_execz .LBB77_9
; %bb.1:
	s_load_b64 s[2:3], s[0:1], 0x20
	v_lshlrev_b32_e32 v2, 1, v3
	v_add_nc_u32_e32 v8, 0x1000, v3
	s_mov_b32 s10, exec_lo
	s_waitcnt lgkmcnt(0)
	global_load_b128 v[4:7], v2, s[2:3]
	s_waitcnt vmcnt(0)
	ds_store_b128 v2, v[4:7]
	v_cmpx_gt_u32_e64 s9, v8
	s_xor_b32 s10, exec_lo, s10
	s_cbranch_execz .LBB77_9
; %bb.2:
	v_add_co_u32 v4, s2, s2, v2
	s_delay_alu instid0(VALU_DEP_1) | instskip(SKIP_1) | instid1(VALU_DEP_3)
	v_add_co_ci_u32_e64 v5, null, s3, 0, s2
	v_add_nc_u32_e32 v10, 0x2000, v3
	v_add_co_u32 v6, vcc_lo, 0x2000, v4
	s_delay_alu instid0(VALU_DEP_3)
	v_add_co_ci_u32_e32 v7, vcc_lo, 0, v5, vcc_lo
	s_mov_b32 s2, exec_lo
	global_load_b128 v[6:9], v[6:7], off
	s_waitcnt vmcnt(0)
	ds_store_b128 v2, v[6:9] offset:8192
	v_cmpx_gt_u32_e64 s9, v10
	s_xor_b32 s2, exec_lo, s2
	s_cbranch_execz .LBB77_9
; %bb.3:
	v_add_co_u32 v6, vcc_lo, 0x4000, v4
	v_add_co_ci_u32_e32 v7, vcc_lo, 0, v5, vcc_lo
	v_add_nc_u32_e32 v10, 0x3000, v3
	s_mov_b32 s2, exec_lo
	global_load_b128 v[6:9], v[6:7], off
	s_waitcnt vmcnt(0)
	ds_store_b128 v2, v[6:9] offset:16384
	v_cmpx_gt_u32_e64 s9, v10
	s_xor_b32 s2, exec_lo, s2
	s_cbranch_execz .LBB77_9
; %bb.4:
	v_add_co_u32 v6, vcc_lo, 0x6000, v4
	v_add_co_ci_u32_e32 v7, vcc_lo, 0, v5, vcc_lo
	v_add_nc_u32_e32 v10, 0x4000, v3
	;; [unrolled: 11-line block ×5, first 2 shown]
	s_mov_b32 s2, exec_lo
	global_load_b128 v[6:9], v[6:7], off
	s_waitcnt vmcnt(0)
	ds_store_b128 v2, v[6:9] offset:49152
	v_cmpx_gt_u32_e64 s9, v3
	s_xor_b32 s2, exec_lo, s2
	s_cbranch_execz .LBB77_9
; %bb.8:
	v_add_co_u32 v3, vcc_lo, 0xe000, v4
	v_add_co_ci_u32_e32 v4, vcc_lo, 0, v5, vcc_lo
	global_load_b128 v[3:6], v[3:4], off
	s_waitcnt vmcnt(0)
	ds_store_b128 v2, v[3:6] offset:57344
.LBB77_9:
	s_or_b32 exec_lo, exec_lo, s8
	s_load_b64 s[16:17], s[0:1], 0x38
	s_waitcnt lgkmcnt(0)
	s_barrier
	buffer_gl0_inv
	s_mov_b32 s2, exec_lo
	v_cmpx_gt_u32_e64 s16, v0
	s_cbranch_execz .LBB77_24
; %bb.10:
	s_load_b64 s[2:3], s[0:1], 0x10
	s_mul_i32 s15, s15, s16
	s_delay_alu instid0(SALU_CYCLE_1) | instskip(NEXT) | instid1(VALU_DEP_1)
	v_add_lshl_u32 v24, s15, v0, 2
	v_cmp_gt_u32_e32 vcc_lo, s7, v24
	s_and_b32 exec_lo, exec_lo, vcc_lo
	s_cbranch_execz .LBB77_24
; %bb.11:
	s_clause 0x1
	s_load_b128 s[8:11], s[0:1], 0x28
	s_load_b64 s[12:13], s[0:1], 0x18
	s_cmp_lg_u32 s4, 0
	s_waitcnt lgkmcnt(0)
	v_cvt_f32_u32_e32 v2, s2
	s_cselect_b32 s1, -1, 0
	s_add_i32 s14, s4, -8
	s_add_i32 s15, s7, -1
	s_mul_i32 s16, s16, s17
	v_rcp_iflag_f32_e32 v2, v2
	v_cmp_eq_u32_e64 s0, 31, v1
	v_lshlrev_b32_e32 v40, 4, v1
	v_mbcnt_lo_u32_b32 v41, -1, 0
	v_mov_b32_e32 v26, 0
	s_delay_alu instid0(VALU_DEP_2)
	v_xor_b32_e32 v42, 16, v41
	s_waitcnt_depctr 0xfff
	v_mul_f32_e32 v2, 0x4f7ffffe, v2
	s_cmp_lg_u64 s[8:9], 0
	s_cselect_b32 s18, -1, 0
	s_abs_i32 s19, s3
	s_lshl_b32 s16, s16, 2
	v_cvt_f32_u32_e32 v0, s19
	s_sub_i32 s20, 0, s19
	s_sub_i32 s21, 0, s2
	s_sub_i32 s22, 1, s19
	s_mov_b32 s3, 0
	v_rcp_iflag_f32_e32 v0, v0
	s_waitcnt_depctr 0xfff
	v_mul_f32_e32 v0, 0x4f7ffffe, v0
	s_delay_alu instid0(VALU_DEP_1) | instskip(NEXT) | instid1(VALU_DEP_1)
	v_cvt_u32_f32_e32 v0, v0
	v_readfirstlane_b32 s17, v0
	v_cvt_u32_f32_e32 v0, v2
	s_delay_alu instid0(VALU_DEP_2) | instskip(NEXT) | instid1(VALU_DEP_1)
	s_mul_i32 s20, s20, s17
	v_mul_lo_u32 v2, s21, v0
	s_mul_hi_u32 s20, s17, s20
	s_delay_alu instid0(SALU_CYCLE_1) | instskip(SKIP_2) | instid1(SALU_CYCLE_1)
	s_add_i32 s17, s17, s20
	s_cmp_lt_u32 s19, 2
	s_cselect_b32 s20, s22, 1
	s_sub_i32 s21, s20, s19
	s_cmp_ge_u32 s20, s19
	s_delay_alu instid0(VALU_DEP_1) | instskip(SKIP_2) | instid1(SALU_CYCLE_1)
	v_mul_hi_u32 v1, v0, v2
	s_cselect_b32 s20, s21, s20
	s_lshr_b32 s17, s17, 31
	s_mul_i32 s17, s17, s19
	s_delay_alu instid0(SALU_CYCLE_1) | instskip(NEXT) | instid1(VALU_DEP_1)
	s_sub_i32 s17, 2, s17
	v_add_nc_u32_e32 v43, v0, v1
	s_sub_i32 s21, s17, s19
	s_cmp_ge_u32 s17, s19
	s_cselect_b32 s21, s21, s17
	s_mul_i32 s17, s20, s2
	s_sub_i32 s22, s21, s19
	s_cmp_ge_u32 s21, s19
	s_cselect_b32 s20, s22, s21
	s_lshl_b32 s19, s6, 2
	s_mul_i32 s20, s20, s2
	s_lshl_b32 s6, s6, 1
	s_branch .LBB77_14
.LBB77_12:                              ;   in Loop: Header=BB77_14 Depth=1
	s_waitcnt lgkmcnt(10)
	v_dual_add_f32 v0, v0, v2 :: v_dual_add_f32 v1, v1, v3
	s_waitcnt lgkmcnt(8)
	v_dual_add_f32 v2, v4, v9 :: v_dual_add_f32 v3, v5, v10
	;; [unrolled: 2-line block ×4, first 2 shown]
	s_waitcnt vmcnt(11)
	v_cvt_f32_f16_e32 v9, v38
	s_waitcnt vmcnt(10)
	v_cvt_f32_f16_e32 v11, v37
	;; [unrolled: 2-line block ×4, first 2 shown]
	s_waitcnt lgkmcnt(2)
	v_add_f32_e32 v8, v20, v23
	v_add_f32_e32 v10, v18, v21
	v_dual_add_f32 v0, v0, v9 :: v_dual_add_f32 v9, v1, v11
	v_dual_add_f32 v2, v2, v12 :: v_dual_add_f32 v3, v3, v13
	s_waitcnt vmcnt(7)
	v_cvt_f32_f16_e32 v12, v34
	s_delay_alu instid0(VALU_DEP_3)
	v_cvt_f16_f32_e32 v11, v0
	v_cvt_f16_f32_e32 v9, v9
	;; [unrolled: 1-line block ×4, first 2 shown]
	v_lshlrev_b64 v[0:1], 1, v[24:25]
	v_add_f32_e32 v4, v4, v12
	s_waitcnt lgkmcnt(0)
	v_dual_add_f32 v12, v14, v15 :: v_dual_add_nc_u32 v25, s7, v24
	v_pack_b32_f16 v3, v2, v3
	v_pack_b32_f16 v2, v11, v9
	s_waitcnt vmcnt(6)
	v_cvt_f32_f16_e32 v9, v33
	v_add_co_u32 v0, vcc_lo, s10, v0
	v_add_co_ci_u32_e32 v1, vcc_lo, s11, v1, vcc_lo
	v_cvt_f16_f32_e32 v14, v4
	s_delay_alu instid0(VALU_DEP_4)
	v_add_f32_e32 v4, v5, v9
	s_waitcnt vmcnt(5)
	v_cvt_f32_f16_e32 v5, v32
	s_waitcnt vmcnt(4)
	v_cvt_f32_f16_e32 v9, v31
	;; [unrolled: 2-line block ×3, first 2 shown]
	v_add_f32_e32 v16, v16, v17
	global_store_b64 v[0:1], v[2:3], off
	v_dual_mov_b32 v3, v26 :: v_dual_add_nc_u32 v2, 1, v25
	v_dual_add_f32 v11, v8, v11 :: v_dual_add_f32 v6, v6, v5
	v_lshlrev_b64 v[0:1], 1, v[25:26]
	v_mov_b32_e32 v5, v26
	v_add_f32_e32 v9, v7, v9
	v_mov_b32_e32 v7, v26
	v_cvt_f16_f32_e32 v15, v4
	v_add_nc_u32_e32 v4, 2, v25
	v_lshlrev_b64 v[2:3], 1, v[2:3]
	s_waitcnt vmcnt(2)
	v_cvt_f32_f16_e32 v13, v29
	v_cvt_f16_f32_e32 v17, v6
	v_add_nc_u32_e32 v6, 3, v25
	v_add_nc_u32_e32 v25, s7, v25
	v_add_co_u32 v0, vcc_lo, s10, v0
	v_cvt_f16_f32_e32 v19, v11
	v_mov_b32_e32 v11, v26
	v_lshlrev_b64 v[4:5], 1, v[4:5]
	v_add_co_ci_u32_e32 v1, vcc_lo, s11, v1, vcc_lo
	s_waitcnt vmcnt(1)
	v_cvt_f32_f16_e32 v20, v28
	v_add_f32_e32 v13, v10, v13
	v_add_co_u32 v2, vcc_lo, s10, v2
	v_lshlrev_b64 v[6:7], 1, v[6:7]
	s_delay_alu instid0(VALU_DEP_4)
	v_add_f32_e32 v16, v16, v20
	v_add_nc_u32_e32 v10, 2, v25
	v_add_co_ci_u32_e32 v3, vcc_lo, s11, v3, vcc_lo
	v_add_co_u32 v4, vcc_lo, s10, v4
	v_cvt_f16_f32_e32 v18, v9
	v_lshlrev_b64 v[8:9], 1, v[25:26]
	v_cvt_f16_f32_e32 v13, v13
	s_waitcnt vmcnt(0)
	v_cvt_f32_f16_e32 v20, v27
	v_add_nc_u32_e32 v25, 3, v25
	v_add_co_ci_u32_e32 v5, vcc_lo, s11, v5, vcc_lo
	v_add_co_u32 v6, vcc_lo, s10, v6
	s_delay_alu instid0(VALU_DEP_4)
	v_add_f32_e32 v20, v12, v20
	v_lshlrev_b64 v[10:11], 1, v[10:11]
	v_add_co_ci_u32_e32 v7, vcc_lo, s11, v7, vcc_lo
	v_add_co_u32 v8, vcc_lo, s10, v8
	v_pack_b32_f16 v19, v19, v13
	v_lshlrev_b64 v[12:13], 1, v[25:26]
	v_add_co_ci_u32_e32 v9, vcc_lo, s11, v9, vcc_lo
	v_add_co_u32 v10, vcc_lo, s10, v10
	v_add_co_ci_u32_e32 v11, vcc_lo, s11, v11, vcc_lo
	s_delay_alu instid0(VALU_DEP_4)
	v_add_co_u32 v12, vcc_lo, s10, v12
	v_cvt_f16_f32_e32 v16, v16
	v_cvt_f16_f32_e32 v20, v20
	v_add_co_ci_u32_e32 v13, vcc_lo, s11, v13, vcc_lo
	s_clause 0x6
	global_store_b16 v[0:1], v14, off
	global_store_b16 v[2:3], v15, off
	;; [unrolled: 1-line block ×4, first 2 shown]
	global_store_b32 v[8:9], v19, off
	global_store_b16 v[10:11], v16, off
	global_store_b16 v[12:13], v20, off
.LBB77_13:                              ;   in Loop: Header=BB77_14 Depth=1
	s_or_b32 exec_lo, exec_lo, s21
	v_add_nc_u32_e32 v24, s16, v24
	s_delay_alu instid0(VALU_DEP_1) | instskip(SKIP_1) | instid1(SALU_CYCLE_1)
	v_cmp_le_u32_e32 vcc_lo, s7, v24
	s_or_b32 s3, vcc_lo, s3
	s_and_not1_b32 exec_lo, exec_lo, s3
	s_cbranch_execz .LBB77_24
.LBB77_14:                              ; =>This Loop Header: Depth=1
                                        ;     Child Loop BB77_17 Depth 2
	v_mov_b32_e32 v55, v26
	v_mov_b32_e32 v54, v26
	;; [unrolled: 1-line block ×12, first 2 shown]
	s_and_not1_b32 vcc_lo, exec_lo, s1
	s_cbranch_vccnz .LBB77_19
; %bb.15:                               ;   in Loop: Header=BB77_14 Depth=1
	v_or_b32_e32 v0, 1, v24
	v_or_b32_e32 v1, 2, v24
	s_waitcnt lgkmcnt(11)
	v_or_b32_e32 v2, 3, v24
	s_waitcnt lgkmcnt(10)
	v_min_u32_e32 v3, s15, v24
	v_dual_mov_b32 v5, v26 :: v_dual_mov_b32 v48, 0
	v_min_u32_e32 v0, s15, v0
	v_min_u32_e32 v1, s15, v1
	;; [unrolled: 1-line block ×3, first 2 shown]
	v_mul_lo_u32 v25, v3, s5
	v_dual_mov_b32 v3, v26 :: v_dual_mov_b32 v50, 0
	v_mul_lo_u32 v0, v0, s5
	v_mul_lo_u32 v2, v1, s5
	;; [unrolled: 1-line block ×3, first 2 shown]
	v_dual_mov_b32 v1, v26 :: v_dual_mov_b32 v56, v40
	v_lshlrev_b64 v[27:28], 1, v[25:26]
	v_dual_mov_b32 v49, 0 :: v_dual_mov_b32 v46, 0
	s_delay_alu instid0(VALU_DEP_3)
	v_lshlrev_b64 v[29:30], 1, v[0:1]
	v_lshlrev_b64 v[31:32], 1, v[2:3]
	;; [unrolled: 1-line block ×3, first 2 shown]
	v_dual_mov_b32 v51, 0 :: v_dual_mov_b32 v44, 0
	v_dual_mov_b32 v47, 0 :: v_dual_mov_b32 v52, 0
	;; [unrolled: 1-line block ×3, first 2 shown]
	v_mov_b32_e32 v53, 0
	v_mov_b32_e32 v55, 0
	s_mov_b32 s21, 0
	s_branch .LBB77_17
.LBB77_16:                              ;   in Loop: Header=BB77_17 Depth=2
	s_or_b32 exec_lo, exec_lo, s22
	v_add_nc_u32_e32 v56, 0x200, v56
	s_addk_i32 s21, 0x100
	s_waitcnt vmcnt(3) lgkmcnt(1)
	;;#ASMSTART
	v_dot2_f32_f16 v55, v20, v12, v55
	;;#ASMEND
	s_waitcnt vmcnt(2)
	;;#ASMSTART
	v_dot2_f32_f16 v54, v20, v8, v54
	;;#ASMEND
	s_waitcnt vmcnt(1)
	;; [unrolled: 4-line block ×3, first 2 shown]
	;;#ASMSTART
	v_dot2_f32_f16 v52, v20, v0, v52
	;;#ASMEND
	;;#ASMSTART
	v_dot2_f32_f16 v49, v16, v12, v49
	;;#ASMEND
	;; [unrolled: 3-line block ×21, first 2 shown]
	s_cmp_ge_u32 s21, s4
	;;#ASMSTART
	v_dot2_f32_f16 v55, v22, v14, v55
	;;#ASMEND
	;;#ASMSTART
	v_dot2_f32_f16 v54, v22, v10, v54
	;;#ASMEND
	;; [unrolled: 3-line block ×8, first 2 shown]
	s_waitcnt lgkmcnt(0)
	;;#ASMSTART
	v_dot2_f32_f16 v47, v37, v14, v47
	;;#ASMEND
	;;#ASMSTART
	v_dot2_f32_f16 v46, v37, v10, v46
	;;#ASMEND
	;; [unrolled: 3-line block ×16, first 2 shown]
	s_cbranch_scc1 .LBB77_19
.LBB77_17:                              ;   Parent Loop BB77_14 Depth=1
                                        ; =>  This Inner Loop Header: Depth=2
	s_waitcnt lgkmcnt(3)
	v_dual_mov_b32 v21, 0 :: v_dual_add_nc_u32 v18, s21, v39
	s_waitcnt lgkmcnt(2)
	v_dual_mov_b32 v20, 0 :: v_dual_mov_b32 v23, 0
	v_mov_b32_e32 v22, 0
	s_delay_alu instid0(VALU_DEP_3) | instskip(SKIP_2) | instid1(VALU_DEP_3)
	v_min_u32_e32 v25, s14, v18
	v_dual_mov_b32 v36, 0 :: v_dual_mov_b32 v37, 0
	v_dual_mov_b32 v38, 0 :: v_dual_mov_b32 v35, 0
	v_lshlrev_b64 v[0:1], 1, v[25:26]
	v_mov_b32_e32 v19, 0
	s_delay_alu instid0(VALU_DEP_2) | instskip(NEXT) | instid1(VALU_DEP_3)
	v_add_co_u32 v6, vcc_lo, s12, v0
	v_add_co_ci_u32_e32 v7, vcc_lo, s13, v1, vcc_lo
	s_delay_alu instid0(VALU_DEP_2) | instskip(NEXT) | instid1(VALU_DEP_2)
	v_add_co_u32 v0, vcc_lo, v6, v27
	v_add_co_ci_u32_e32 v1, vcc_lo, v7, v28, vcc_lo
	v_add_co_u32 v2, vcc_lo, v6, v29
	v_add_co_ci_u32_e32 v3, vcc_lo, v7, v30, vcc_lo
	;; [unrolled: 2-line block ×3, first 2 shown]
	v_add_co_u32 v16, vcc_lo, v6, v33
	s_waitcnt lgkmcnt(1)
	v_add_co_ci_u32_e32 v17, vcc_lo, v7, v34, vcc_lo
	s_waitcnt lgkmcnt(0)
	s_clause 0x3
	global_load_b128 v[12:15], v[0:1], off slc dlc
	global_load_b128 v[8:11], v[2:3], off slc dlc
	;; [unrolled: 1-line block ×4, first 2 shown]
	v_cmp_gt_u32_e32 vcc_lo, s4, v18
	v_dual_mov_b32 v16, 0 :: v_dual_mov_b32 v17, 0
	v_mov_b32_e32 v18, 0
	s_and_saveexec_b32 s22, vcc_lo
	s_cbranch_execz .LBB77_16
; %bb.18:                               ;   in Loop: Header=BB77_17 Depth=2
	v_add_nc_u32_e32 v16, s6, v56
	v_add_nc_u32_e32 v25, s19, v56
	ds_load_b128 v[16:19], v16
	ds_load_2addr_b32 v[35:36], v25 offset1:1
	ds_load_b128 v[20:23], v56
	ds_load_2addr_b32 v[37:38], v25 offset0:2 offset1:3
	s_branch .LBB77_16
.LBB77_19:                              ;   in Loop: Header=BB77_14 Depth=1
	; sched_barrier mask(0x00000000)
	v_cvt_i32_f32_e32 v0, v55
	v_cvt_i32_f32_e32 v1, v54
	v_cmp_gt_i32_e32 vcc_lo, 32, v42
	s_waitcnt lgkmcnt(10)
	v_cvt_i32_f32_e32 v3, v53
	v_cvt_i32_f32_e32 v4, v52
	v_cvt_f32_i32_dpp v0, v0 row_shr:8 row_mask:0xf bank_mask:0xf bound_ctrl:1
	v_cvt_f32_i32_dpp v1, v1 row_shr:8 row_mask:0xf bank_mask:0xf bound_ctrl:1
	v_cndmask_b32_e32 v2, v41, v42, vcc_lo
	v_cvt_i32_f32_e32 v5, v49
	v_cvt_i32_f32_e32 v6, v51
	v_cvt_f32_i32_dpp v3, v3 row_shr:8 row_mask:0xf bank_mask:0xf bound_ctrl:1
	v_dual_add_f32 v1, v54, v1 :: v_dual_add_f32 v0, v55, v0
	s_waitcnt lgkmcnt(0)
	v_lshlrev_b32_e32 v15, 2, v2
	v_cvt_i32_f32_e32 v7, v50
	v_cvt_f32_i32_dpp v4, v4 row_shr:8 row_mask:0xf bank_mask:0xf bound_ctrl:1
	v_cvt_i32_f32_e32 v8, v1
	v_cvt_i32_f32_e32 v2, v0
	v_cvt_f32_i32_dpp v5, v5 row_shr:8 row_mask:0xf bank_mask:0xf bound_ctrl:1
	v_cvt_f32_i32_dpp v6, v6 row_shr:8 row_mask:0xf bank_mask:0xf bound_ctrl:1
	;; [unrolled: 1-line block ×5, first 2 shown]
	v_add_f32_e32 v3, v53, v3
	v_cvt_i32_f32_e32 v14, v48
	v_add_f32_e32 v7, v50, v7
	v_cvt_i32_f32_e32 v17, v46
	v_add_f32_e32 v0, v0, v2
	v_add_f32_e32 v2, v52, v4
	v_dual_add_f32 v4, v49, v5 :: v_dual_add_f32 v5, v51, v6
	v_cvt_i32_f32_e32 v9, v3
	s_delay_alu instid0(VALU_DEP_4) | instskip(NEXT) | instid1(VALU_DEP_4)
	v_cvt_i32_f32_e32 v6, v0
	v_cvt_i32_f32_e32 v10, v2
	s_delay_alu instid0(VALU_DEP_4)
	v_cvt_i32_f32_e32 v11, v4
	v_cvt_i32_f32_e32 v12, v5
	v_cvt_i32_f32_e32 v13, v7
	v_cvt_f32_i32_dpp v6, v6 row_shr:2 row_mask:0xf bank_mask:0xf bound_ctrl:1
	v_add_f32_e32 v1, v1, v8
	v_cvt_i32_f32_e32 v19, v44
	v_cvt_f32_i32_dpp v12, v12 row_shr:4 row_mask:0xf bank_mask:0xf bound_ctrl:1
	v_cvt_f32_i32_dpp v13, v13 row_shr:4 row_mask:0xf bank_mask:0xf bound_ctrl:1
	v_add_f32_e32 v0, v0, v6
	v_cvt_i32_f32_e32 v8, v1
	v_cvt_f32_i32_dpp v6, v9 row_shr:4 row_mask:0xf bank_mask:0xf bound_ctrl:1
	v_cvt_f32_i32_dpp v9, v11 row_shr:4 row_mask:0xf bank_mask:0xf bound_ctrl:1
	v_add_f32_e32 v5, v5, v12
	v_cvt_f32_i32_dpp v14, v14 row_shr:8 row_mask:0xf bank_mask:0xf bound_ctrl:1
	v_cvt_f32_i32_dpp v8, v8 row_shr:2 row_mask:0xf bank_mask:0xf bound_ctrl:1
	;; [unrolled: 1-line block ×3, first 2 shown]
	v_add_f32_e32 v6, v3, v6
	v_add_f32_e32 v4, v4, v9
	v_cvt_i32_f32_e32 v12, v5
	v_add_f32_e32 v1, v1, v8
	v_cvt_f32_i32_dpp v8, v10 row_shr:4 row_mask:0xf bank_mask:0xf bound_ctrl:1
	v_cvt_i32_f32_e32 v10, v0
	v_cvt_i32_f32_e32 v9, v6
	v_cvt_f32_i32_dpp v12, v12 row_shr:2 row_mask:0xf bank_mask:0xf bound_ctrl:1
	v_cvt_i32_f32_e32 v11, v1
	v_cvt_f32_i32_dpp v19, v19 row_shr:8 row_mask:0xf bank_mask:0xf bound_ctrl:1
	v_cvt_f32_i32_dpp v3, v10 row_shr:1 row_mask:0xf bank_mask:0xf bound_ctrl:1
	v_add_f32_e32 v7, v7, v13
	v_cvt_f32_i32_dpp v9, v9 row_shr:2 row_mask:0xf bank_mask:0xf bound_ctrl:1
	v_cvt_f32_i32_dpp v10, v11 row_shr:1 row_mask:0xf bank_mask:0xf bound_ctrl:1
	v_add_f32_e32 v8, v2, v8
	v_add_f32_e32 v0, v0, v3
	v_cvt_i32_f32_e32 v11, v4
	v_cvt_i32_f32_e32 v13, v7
	v_add_f32_e32 v1, v1, v10
	v_cvt_i32_f32_e32 v10, v8
	v_dual_add_f32 v14, v48, v14 :: v_dual_add_f32 v17, v46, v17
	v_cvt_f32_i32_dpp v11, v11 row_shr:2 row_mask:0xf bank_mask:0xf bound_ctrl:1
	v_add_f32_e32 v6, v6, v9
	s_delay_alu instid0(VALU_DEP_4) | instskip(SKIP_4) | instid1(VALU_DEP_4)
	v_cvt_f32_i32_dpp v10, v10 row_shr:2 row_mask:0xf bank_mask:0xf bound_ctrl:1
	v_cvt_f32_i32_dpp v13, v13 row_shr:2 row_mask:0xf bank_mask:0xf bound_ctrl:1
	v_cvt_i32_f32_e32 v18, v45
	v_add_f32_e32 v9, v4, v11
	v_cvt_i32_f32_e32 v4, v6
	v_dual_add_f32 v8, v8, v10 :: v_dual_add_f32 v11, v7, v13
	v_dual_add_f32 v10, v5, v12 :: v_dual_add_f32 v19, v44, v19
	s_delay_alu instid0(VALU_DEP_3) | instskip(NEXT) | instid1(VALU_DEP_3)
	v_cvt_f32_i32_dpp v4, v4 row_shr:1 row_mask:0xf bank_mask:0xf bound_ctrl:1
	v_cvt_i32_f32_e32 v5, v8
	s_delay_alu instid0(VALU_DEP_4)
	v_cvt_i32_f32_e32 v13, v11
	v_cvt_i32_f32_e32 v22, v17
	v_cvt_f32_i32_dpp v18, v18 row_shr:8 row_mask:0xf bank_mask:0xf bound_ctrl:1
	v_add_f32_e32 v4, v6, v4
	v_cvt_f32_i32_dpp v5, v5 row_shr:1 row_mask:0xf bank_mask:0xf bound_ctrl:1
	v_cvt_f32_i32_dpp v13, v13 row_shr:1 row_mask:0xf bank_mask:0xf bound_ctrl:1
	v_cvt_i32_f32_e32 v25, v19
	v_cvt_f32_i32_dpp v22, v22 row_shr:4 row_mask:0xf bank_mask:0xf bound_ctrl:1
	v_cvt_i32_f32_e32 v16, v47
	v_add_f32_e32 v5, v8, v5
	v_add_f32_e32 v8, v11, v13
	v_cvt_f32_i32_dpp v25, v25 row_shr:4 row_mask:0xf bank_mask:0xf bound_ctrl:1
	v_add_f32_e32 v17, v17, v22
	v_add_f32_e32 v18, v45, v18
	v_cvt_f32_i32_dpp v16, v16 row_shr:8 row_mask:0xf bank_mask:0xf bound_ctrl:1
	v_cvt_i32_f32_e32 v20, v14
	v_add_f32_e32 v19, v19, v25
	v_cvt_i32_f32_e32 v22, v17
	v_cvt_i32_f32_e32 v23, v18
	;; [unrolled: 1-line block ×3, first 2 shown]
	v_cvt_f32_i32_dpp v20, v20 row_shr:4 row_mask:0xf bank_mask:0xf bound_ctrl:1
	v_cvt_i32_f32_e32 v25, v19
	v_cvt_f32_i32_dpp v22, v22 row_shr:2 row_mask:0xf bank_mask:0xf bound_ctrl:1
	v_add_f32_e32 v16, v47, v16
	v_cvt_f32_i32_dpp v23, v23 row_shr:4 row_mask:0xf bank_mask:0xf bound_ctrl:1
	v_add_f32_e32 v14, v14, v20
	;; [unrolled: 2-line block ×3, first 2 shown]
	v_cvt_i32_f32_e32 v21, v16
	v_add_f32_e32 v18, v18, v23
	v_cvt_i32_f32_e32 v20, v14
	v_add_f32_e32 v22, v19, v25
	v_cvt_i32_f32_e32 v12, v10
	v_cvt_f32_i32_dpp v21, v21 row_shr:4 row_mask:0xf bank_mask:0xf bound_ctrl:1
	v_cvt_i32_f32_e32 v23, v18
	v_cvt_f32_i32_dpp v20, v20 row_shr:2 row_mask:0xf bank_mask:0xf bound_ctrl:1
	;; [unrolled: 2-line block ×3, first 2 shown]
	v_cvt_f32_i32_dpp v12, v12 row_shr:1 row_mask:0xf bank_mask:0xf bound_ctrl:1
	v_cvt_f32_i32_dpp v23, v23 row_shr:2 row_mask:0xf bank_mask:0xf bound_ctrl:1
	v_add_f32_e32 v16, v16, v21
	v_add_f32_e32 v14, v14, v20
	v_cvt_i32_f32_e32 v20, v17
	v_cvt_f32_i32_dpp v25, v25 row_shr:1 row_mask:0xf bank_mask:0xf bound_ctrl:1
	v_dual_add_f32 v6, v9, v7 :: v_dual_add_f32 v7, v10, v12
	v_cvt_i32_f32_e32 v21, v16
	s_delay_alu instid0(VALU_DEP_4)
	v_cvt_f32_i32_dpp v28, v20 row_shr:1 row_mask:0xf bank_mask:0xf bound_ctrl:1
	ds_bpermute_b32 v2, v15, v0
	ds_bpermute_b32 v3, v15, v1
	;; [unrolled: 1-line block ×3, first 2 shown]
	v_cvt_f32_i32_dpp v21, v21 row_shr:2 row_mask:0xf bank_mask:0xf bound_ctrl:1
	ds_bpermute_b32 v10, v15, v5
	ds_bpermute_b32 v11, v15, v6
	;; [unrolled: 1-line block ×4, first 2 shown]
	v_dual_add_f32 v16, v16, v21 :: v_dual_add_f32 v21, v18, v23
	v_cvt_i32_f32_e32 v18, v14
	s_delay_alu instid0(VALU_DEP_2) | instskip(NEXT) | instid1(VALU_DEP_3)
	v_cvt_i32_f32_e32 v19, v16
	v_cvt_i32_f32_e32 v23, v21
	s_delay_alu instid0(VALU_DEP_3) | instskip(NEXT) | instid1(VALU_DEP_3)
	v_cvt_f32_i32_dpp v18, v18 row_shr:1 row_mask:0xf bank_mask:0xf bound_ctrl:1
	v_cvt_f32_i32_dpp v27, v19 row_shr:1 row_mask:0xf bank_mask:0xf bound_ctrl:1
	s_delay_alu instid0(VALU_DEP_3) | instskip(NEXT) | instid1(VALU_DEP_3)
	v_cvt_f32_i32_dpp v23, v23 row_shr:1 row_mask:0xf bank_mask:0xf bound_ctrl:1
	v_dual_add_f32 v19, v14, v18 :: v_dual_add_f32 v18, v17, v28
	v_add_f32_e32 v14, v22, v25
	s_delay_alu instid0(VALU_DEP_4) | instskip(NEXT) | instid1(VALU_DEP_4)
	v_add_f32_e32 v20, v16, v27
	v_add_f32_e32 v16, v21, v23
	ds_bpermute_b32 v22, v15, v19
	ds_bpermute_b32 v21, v15, v18
	;; [unrolled: 1-line block ×5, first 2 shown]
	s_and_saveexec_b32 s21, s0
	s_cbranch_execz .LBB77_13
; %bb.20:                               ;   in Loop: Header=BB77_14 Depth=1
	s_and_b32 vcc_lo, exec_lo, s18
	s_cbranch_vccz .LBB77_22
; %bb.21:                               ;   in Loop: Header=BB77_14 Depth=1
	v_mul_hi_u32 v25, v24, v43
	v_or_b32_e32 v27, 1, v24
	v_or_b32_e32 v29, 2, v24
	;; [unrolled: 1-line block ×3, first 2 shown]
	v_mov_b32_e32 v47, v26
	v_mov_b32_e32 v51, v26
	v_mul_hi_u32 v28, v27, v43
	v_mul_hi_u32 v30, v29, v43
	v_mul_lo_u32 v25, v25, s2
	v_mul_hi_u32 v32, v31, v43
	s_delay_alu instid0(VALU_DEP_4) | instskip(NEXT) | instid1(VALU_DEP_4)
	v_mul_lo_u32 v33, v28, s2
	v_mul_lo_u32 v34, v30, s2
	s_delay_alu instid0(VALU_DEP_4) | instskip(NEXT) | instid1(VALU_DEP_4)
	v_sub_nc_u32_e32 v25, v24, v25
	v_mul_lo_u32 v32, v32, s2
	s_delay_alu instid0(VALU_DEP_2)
	v_subrev_nc_u32_e32 v35, s2, v25
	v_sub_nc_u32_e32 v27, v27, v33
	v_cmp_le_u32_e32 vcc_lo, s2, v25
	v_mov_b32_e32 v28, v26
	v_sub_nc_u32_e32 v29, v29, v34
	v_sub_nc_u32_e32 v31, v31, v32
	v_subrev_nc_u32_e32 v33, s2, v27
	v_cndmask_b32_e32 v25, v25, v35, vcc_lo
	v_cmp_le_u32_e32 vcc_lo, s2, v27
	v_mov_b32_e32 v30, v26
	v_subrev_nc_u32_e32 v34, s2, v29
	v_subrev_nc_u32_e32 v35, s2, v31
	;; [unrolled: 1-line block ×3, first 2 shown]
	v_cndmask_b32_e32 v27, v27, v33, vcc_lo
	v_cmp_le_u32_e32 vcc_lo, s2, v29
	v_mov_b32_e32 v32, v26
	s_delay_alu instid0(VALU_DEP_3) | instskip(SKIP_2) | instid1(VALU_DEP_2)
	v_subrev_nc_u32_e32 v33, s2, v27
	v_cndmask_b32_e32 v29, v29, v34, vcc_lo
	v_cmp_le_u32_e32 vcc_lo, s2, v31
	v_subrev_nc_u32_e32 v34, s2, v29
	v_cndmask_b32_e32 v31, v31, v35, vcc_lo
	v_cmp_le_u32_e32 vcc_lo, s2, v25
	v_cndmask_b32_e32 v25, v25, v36, vcc_lo
	v_cmp_le_u32_e32 vcc_lo, s2, v27
	s_delay_alu instid0(VALU_DEP_2)
	v_add_nc_u32_e32 v46, s17, v25
	v_cndmask_b32_e32 v27, v27, v33, vcc_lo
	v_cmp_le_u32_e32 vcc_lo, s2, v29
	v_subrev_nc_u32_e32 v35, s2, v31
	v_cndmask_b32_e32 v29, v29, v34, vcc_lo
	v_cmp_le_u32_e32 vcc_lo, s2, v31
	v_lshlrev_b64 v[33:34], 1, v[25:26]
	s_delay_alu instid0(VALU_DEP_3) | instskip(SKIP_2) | instid1(VALU_DEP_4)
	v_lshlrev_b64 v[37:38], 1, v[29:30]
	v_dual_cndmask_b32 v31, v31, v35 :: v_dual_add_nc_u32 v50, s17, v29
	v_lshlrev_b64 v[35:36], 1, v[27:28]
	v_add_co_u32 v33, vcc_lo, s8, v33
	v_add_co_ci_u32_e32 v34, vcc_lo, s9, v34, vcc_lo
	s_delay_alu instid0(VALU_DEP_4) | instskip(NEXT) | instid1(VALU_DEP_4)
	v_lshlrev_b64 v[44:45], 1, v[31:32]
	v_add_co_u32 v35, vcc_lo, s8, v35
	v_add_co_ci_u32_e32 v36, vcc_lo, s9, v36, vcc_lo
	v_add_co_u32 v48, vcc_lo, s8, v37
	v_add_co_ci_u32_e32 v49, vcc_lo, s9, v38, vcc_lo
	v_lshlrev_b64 v[37:38], 1, v[46:47]
	v_add_co_u32 v44, vcc_lo, s8, v44
	v_add_co_ci_u32_e32 v45, vcc_lo, s9, v45, vcc_lo
	s_delay_alu instid0(VALU_DEP_3) | instskip(NEXT) | instid1(VALU_DEP_4)
	v_add_co_u32 v52, vcc_lo, s8, v37
	v_add_co_ci_u32_e32 v53, vcc_lo, s9, v38, vcc_lo
	v_lshlrev_b64 v[37:38], 1, v[50:51]
	v_add_nc_u32_e32 v50, s17, v31
	v_add_nc_u32_e32 v46, s17, v27
	v_add_nc_u32_e32 v25, s20, v25
	s_delay_alu instid0(VALU_DEP_3) | instskip(NEXT) | instid1(VALU_DEP_3)
	v_lshlrev_b64 v[50:51], 1, v[50:51]
	v_lshlrev_b64 v[46:47], 1, v[46:47]
	s_delay_alu instid0(VALU_DEP_1) | instskip(NEXT) | instid1(VALU_DEP_2)
	v_add_co_u32 v46, vcc_lo, s8, v46
	v_add_co_ci_u32_e32 v47, vcc_lo, s9, v47, vcc_lo
	v_add_co_u32 v54, vcc_lo, s8, v37
	v_add_co_ci_u32_e32 v55, vcc_lo, s9, v38, vcc_lo
	v_lshlrev_b64 v[37:38], 1, v[25:26]
	v_add_nc_u32_e32 v25, s20, v27
	v_add_co_u32 v27, vcc_lo, s8, v50
	v_add_co_ci_u32_e32 v28, vcc_lo, s9, v51, vcc_lo
	s_delay_alu instid0(VALU_DEP_3) | instskip(SKIP_3) | instid1(VALU_DEP_3)
	v_lshlrev_b64 v[50:51], 1, v[25:26]
	v_add_nc_u32_e32 v25, s20, v29
	v_add_co_u32 v29, vcc_lo, s8, v37
	v_add_co_ci_u32_e32 v30, vcc_lo, s9, v38, vcc_lo
	v_lshlrev_b64 v[37:38], 1, v[25:26]
	v_add_nc_u32_e32 v25, s20, v31
	v_add_co_u32 v50, vcc_lo, s8, v50
	v_add_co_ci_u32_e32 v51, vcc_lo, s9, v51, vcc_lo
	s_delay_alu instid0(VALU_DEP_3) | instskip(SKIP_3) | instid1(VALU_DEP_4)
	v_lshlrev_b64 v[31:32], 1, v[25:26]
	v_add_co_u32 v56, vcc_lo, s8, v37
	v_add_co_ci_u32_e32 v57, vcc_lo, s9, v38, vcc_lo
	v_mov_b32_e32 v25, v26
	v_add_co_u32 v58, vcc_lo, s8, v31
	v_add_co_ci_u32_e32 v59, vcc_lo, s9, v32, vcc_lo
	s_clause 0xb
	global_load_u16 v38, v[33:34], off
	global_load_u16 v37, v[35:36], off
	;; [unrolled: 1-line block ×12, first 2 shown]
	s_cbranch_execnz .LBB77_12
	s_branch .LBB77_23
.LBB77_22:                              ;   in Loop: Header=BB77_14 Depth=1
                                        ; implicit-def: $vgpr27
                                        ; implicit-def: $vgpr28
                                        ; implicit-def: $vgpr29
                                        ; implicit-def: $vgpr30
                                        ; implicit-def: $vgpr31
                                        ; implicit-def: $vgpr32
                                        ; implicit-def: $vgpr33
                                        ; implicit-def: $vgpr34
                                        ; implicit-def: $vgpr35
                                        ; implicit-def: $vgpr36
                                        ; implicit-def: $vgpr37
                                        ; implicit-def: $vgpr38
.LBB77_23:                              ;   in Loop: Header=BB77_14 Depth=1
	s_waitcnt vmcnt(11)
	v_dual_mov_b32 v25, v26 :: v_dual_mov_b32 v38, 0
	s_waitcnt vmcnt(9)
	v_dual_mov_b32 v37, 0 :: v_dual_mov_b32 v36, 0
	;; [unrolled: 2-line block ×6, first 2 shown]
	s_waitcnt vmcnt(0)
	v_mov_b32_e32 v27, 0
	s_branch .LBB77_12
.LBB77_24:
	s_nop 0
	s_sendmsg sendmsg(MSG_DEALLOC_VGPRS)
	s_endpgm
	.section	.rodata,"a",@progbits
	.p2align	6, 0x0
	.amdhsa_kernel _Z16wvSplitK_hf_sml_I6__halfLi32ELi4ELi16ELi8ELi1ELi3EEviiiiiiPKT_S3_S3_PS1_ii
		.amdhsa_group_segment_fixed_size 65536
		.amdhsa_private_segment_fixed_size 0
		.amdhsa_kernarg_size 64
		.amdhsa_user_sgpr_count 15
		.amdhsa_user_sgpr_dispatch_ptr 0
		.amdhsa_user_sgpr_queue_ptr 0
		.amdhsa_user_sgpr_kernarg_segment_ptr 1
		.amdhsa_user_sgpr_dispatch_id 0
		.amdhsa_user_sgpr_private_segment_size 0
		.amdhsa_wavefront_size32 1
		.amdhsa_uses_dynamic_stack 0
		.amdhsa_enable_private_segment 0
		.amdhsa_system_sgpr_workgroup_id_x 1
		.amdhsa_system_sgpr_workgroup_id_y 0
		.amdhsa_system_sgpr_workgroup_id_z 0
		.amdhsa_system_sgpr_workgroup_info 0
		.amdhsa_system_vgpr_workitem_id 1
		.amdhsa_next_free_vgpr 60
		.amdhsa_next_free_sgpr 23
		.amdhsa_reserve_vcc 1
		.amdhsa_float_round_mode_32 0
		.amdhsa_float_round_mode_16_64 0
		.amdhsa_float_denorm_mode_32 3
		.amdhsa_float_denorm_mode_16_64 3
		.amdhsa_dx10_clamp 1
		.amdhsa_ieee_mode 1
		.amdhsa_fp16_overflow 0
		.amdhsa_workgroup_processor_mode 1
		.amdhsa_memory_ordered 1
		.amdhsa_forward_progress 0
		.amdhsa_shared_vgpr_count 0
		.amdhsa_exception_fp_ieee_invalid_op 0
		.amdhsa_exception_fp_denorm_src 0
		.amdhsa_exception_fp_ieee_div_zero 0
		.amdhsa_exception_fp_ieee_overflow 0
		.amdhsa_exception_fp_ieee_underflow 0
		.amdhsa_exception_fp_ieee_inexact 0
		.amdhsa_exception_int_div_zero 0
	.end_amdhsa_kernel
	.section	.text._Z16wvSplitK_hf_sml_I6__halfLi32ELi4ELi16ELi8ELi1ELi3EEviiiiiiPKT_S3_S3_PS1_ii,"axG",@progbits,_Z16wvSplitK_hf_sml_I6__halfLi32ELi4ELi16ELi8ELi1ELi3EEviiiiiiPKT_S3_S3_PS1_ii,comdat
.Lfunc_end77:
	.size	_Z16wvSplitK_hf_sml_I6__halfLi32ELi4ELi16ELi8ELi1ELi3EEviiiiiiPKT_S3_S3_PS1_ii, .Lfunc_end77-_Z16wvSplitK_hf_sml_I6__halfLi32ELi4ELi16ELi8ELi1ELi3EEviiiiiiPKT_S3_S3_PS1_ii
                                        ; -- End function
	.section	.AMDGPU.csdata,"",@progbits
; Kernel info:
; codeLenInByte = 4720
; NumSgprs: 25
; NumVgprs: 60
; ScratchSize: 0
; MemoryBound: 0
; FloatMode: 240
; IeeeMode: 1
; LDSByteSize: 65536 bytes/workgroup (compile time only)
; SGPRBlocks: 3
; VGPRBlocks: 7
; NumSGPRsForWavesPerEU: 25
; NumVGPRsForWavesPerEU: 60
; Occupancy: 8
; WaveLimiterHint : 0
; COMPUTE_PGM_RSRC2:SCRATCH_EN: 0
; COMPUTE_PGM_RSRC2:USER_SGPR: 15
; COMPUTE_PGM_RSRC2:TRAP_HANDLER: 0
; COMPUTE_PGM_RSRC2:TGID_X_EN: 1
; COMPUTE_PGM_RSRC2:TGID_Y_EN: 0
; COMPUTE_PGM_RSRC2:TGID_Z_EN: 0
; COMPUTE_PGM_RSRC2:TIDIG_COMP_CNT: 1
	.section	.text._Z12wvSplitK_hf_I6__halfLi32ELi4ELi16ELi8ELi1ELi3EEviiiiiiPKT_S3_S3_PS1_ii,"axG",@progbits,_Z12wvSplitK_hf_I6__halfLi32ELi4ELi16ELi8ELi1ELi3EEviiiiiiPKT_S3_S3_PS1_ii,comdat
	.protected	_Z12wvSplitK_hf_I6__halfLi32ELi4ELi16ELi8ELi1ELi3EEviiiiiiPKT_S3_S3_PS1_ii ; -- Begin function _Z12wvSplitK_hf_I6__halfLi32ELi4ELi16ELi8ELi1ELi3EEviiiiiiPKT_S3_S3_PS1_ii
	.globl	_Z12wvSplitK_hf_I6__halfLi32ELi4ELi16ELi8ELi1ELi3EEviiiiiiPKT_S3_S3_PS1_ii
	.p2align	8
	.type	_Z12wvSplitK_hf_I6__halfLi32ELi4ELi16ELi8ELi1ELi3EEviiiiiiPKT_S3_S3_PS1_ii,@function
_Z12wvSplitK_hf_I6__halfLi32ELi4ELi16ELi8ELi1ELi3EEviiiiiiPKT_S3_S3_PS1_ii: ; @_Z12wvSplitK_hf_I6__halfLi32ELi4ELi16ELi8ELi1ELi3EEviiiiiiPKT_S3_S3_PS1_ii
; %bb.0:
	s_clause 0x1
	s_load_b64 s[20:21], s[0:1], 0x38
	s_load_b128 s[8:11], s[0:1], 0x0
	v_bfe_u32 v5, v0, 10, 10
	s_clause 0x1
	s_load_b64 s[16:17], s[0:1], 0x20
	s_load_b64 s[18:19], s[0:1], 0x10
	s_mov_b32 s4, 1
	s_delay_alu instid0(SALU_CYCLE_1) | instskip(SKIP_4) | instid1(SALU_CYCLE_1)
	s_mov_b32 s5, s4
	s_mov_b32 s6, s4
	;; [unrolled: 1-line block ×3, first 2 shown]
	s_waitcnt lgkmcnt(0)
	s_mul_i32 s15, s15, s20
	v_add_lshl_u32 v33, s15, v5, 2
	s_delay_alu instid0(VALU_DEP_1) | instskip(SKIP_1) | instid1(VALU_DEP_2)
	v_add_nc_u32_e32 v1, 4, v33
	v_cmp_gt_u32_e32 vcc_lo, s11, v33
	v_cmp_le_u32_e64 s2, s11, v1
	v_dual_mov_b32 v1, s4 :: v_dual_mov_b32 v4, s7
	v_dual_mov_b32 v2, s5 :: v_dual_mov_b32 v3, s6
	s_delay_alu instid0(VALU_DEP_3) | instskip(NEXT) | instid1(SALU_CYCLE_1)
	s_and_b32 s2, vcc_lo, s2
	s_and_saveexec_b32 s12, s2
	s_cbranch_execz .LBB78_6
; %bb.1:
	v_dual_mov_b32 v1, s4 :: v_dual_mov_b32 v2, s5
	v_dual_mov_b32 v3, s6 :: v_dual_mov_b32 v4, s7
	s_add_i32 s13, s11, -4
	s_mov_b32 s14, exec_lo
	v_cmpx_ne_u32_e64 s13, v33
	s_cbranch_execz .LBB78_5
; %bb.2:
	v_subrev_nc_u32_e32 v1, s13, v33
	s_mov_b32 s15, 0
	s_mov_b64 s[2:3], 0
	s_mov_b32 s5, s4
	s_mov_b32 s6, s4
	v_cmp_lt_u32_e32 vcc_lo, 1, v1
	s_mov_b32 s7, s4
	v_cndmask_b32_e32 v6, 1, v1, vcc_lo
	.p2align	6
.LBB78_3:                               ; =>This Inner Loop Header: Depth=1
	s_cmp_lg_u32 s2, 3
	s_cselect_b32 s7, s7, 0
	s_cmp_lg_u32 s2, 2
	s_cselect_b32 s6, s6, 0
	;; [unrolled: 2-line block ×4, first 2 shown]
	s_add_u32 s2, s2, 1
	v_dual_mov_b32 v1, s4 :: v_dual_mov_b32 v2, s5
	v_cmp_eq_u32_e32 vcc_lo, s2, v6
	v_dual_mov_b32 v3, s6 :: v_dual_mov_b32 v4, s7
	s_addc_u32 s3, s3, 0
	s_or_b32 s15, vcc_lo, s15
	s_delay_alu instid0(SALU_CYCLE_1)
	s_and_not1_b32 exec_lo, exec_lo, s15
	s_cbranch_execnz .LBB78_3
; %bb.4:
	s_or_b32 exec_lo, exec_lo, s15
	v_mov_b32_e32 v33, s13
.LBB78_5:
	s_or_b32 exec_lo, exec_lo, s14
.LBB78_6:
	s_delay_alu instid0(SALU_CYCLE_1) | instskip(SKIP_2) | instid1(SALU_CYCLE_1)
	s_or_b32 exec_lo, exec_lo, s12
	v_and_b32_e32 v6, 0x3ff, v0
	s_mul_i32 s2, s10, 3
	s_min_u32 s3, s2, 0x8000
	s_mov_b32 s2, exec_lo
	s_delay_alu instid0(VALU_DEP_1) | instskip(NEXT) | instid1(VALU_DEP_1)
	v_lshlrev_b32_e32 v0, 3, v6
	v_lshl_add_u32 v8, v5, 8, v0
	s_delay_alu instid0(VALU_DEP_1)
	v_cmpx_gt_u32_e64 s3, v8
	s_cbranch_execz .LBB78_15
; %bb.7:
	v_lshlrev_b32_e32 v7, 1, v8
	v_add_nc_u32_e32 v13, 0x1000, v8
	s_mov_b32 s4, exec_lo
	global_load_b128 v[9:12], v7, s[16:17]
	s_waitcnt vmcnt(0)
	ds_store_b128 v7, v[9:12]
	v_cmpx_gt_u32_e64 s3, v13
	s_xor_b32 s4, exec_lo, s4
	s_cbranch_execz .LBB78_15
; %bb.8:
	v_add_co_u32 v9, s4, s16, v7
	s_delay_alu instid0(VALU_DEP_1) | instskip(SKIP_1) | instid1(VALU_DEP_3)
	v_add_co_ci_u32_e64 v10, null, s17, 0, s4
	v_add_nc_u32_e32 v15, 0x2000, v8
	v_add_co_u32 v11, vcc_lo, 0x2000, v9
	s_delay_alu instid0(VALU_DEP_3)
	v_add_co_ci_u32_e32 v12, vcc_lo, 0, v10, vcc_lo
	s_mov_b32 s4, exec_lo
	global_load_b128 v[11:14], v[11:12], off
	s_waitcnt vmcnt(0)
	ds_store_b128 v7, v[11:14] offset:8192
	v_cmpx_gt_u32_e64 s3, v15
	s_xor_b32 s4, exec_lo, s4
	s_cbranch_execz .LBB78_15
; %bb.9:
	v_add_co_u32 v11, vcc_lo, 0x4000, v9
	v_add_co_ci_u32_e32 v12, vcc_lo, 0, v10, vcc_lo
	v_add_nc_u32_e32 v15, 0x3000, v8
	s_mov_b32 s4, exec_lo
	global_load_b128 v[11:14], v[11:12], off
	s_waitcnt vmcnt(0)
	ds_store_b128 v7, v[11:14] offset:16384
	v_cmpx_gt_u32_e64 s3, v15
	s_xor_b32 s4, exec_lo, s4
	s_cbranch_execz .LBB78_15
; %bb.10:
	v_add_co_u32 v11, vcc_lo, 0x6000, v9
	v_add_co_ci_u32_e32 v12, vcc_lo, 0, v10, vcc_lo
	v_add_nc_u32_e32 v15, 0x4000, v8
	;; [unrolled: 11-line block ×5, first 2 shown]
	global_load_b128 v[11:14], v[11:12], off
	v_cmp_gt_u32_e32 vcc_lo, s3, v8
	s_waitcnt vmcnt(0)
	ds_store_b128 v7, v[11:14] offset:49152
	s_and_saveexec_b32 s3, vcc_lo
	s_delay_alu instid0(SALU_CYCLE_1)
	s_xor_b32 s3, exec_lo, s3
	s_cbranch_execz .LBB78_15
; %bb.14:
	v_add_co_u32 v8, vcc_lo, 0xe000, v9
	v_add_co_ci_u32_e32 v9, vcc_lo, 0, v10, vcc_lo
	global_load_b128 v[8:11], v[8:9], off
	s_waitcnt vmcnt(0)
	ds_store_b128 v7, v[8:11] offset:57344
.LBB78_15:
	s_or_b32 exec_lo, exec_lo, s2
	v_cmp_gt_u32_e32 vcc_lo, s20, v5
	v_cmp_gt_u32_e64 s2, s11, v33
	s_waitcnt lgkmcnt(0)
	s_barrier
	buffer_gl0_inv
	s_and_b32 s2, vcc_lo, s2
	s_delay_alu instid0(SALU_CYCLE_1)
	s_and_saveexec_b32 s3, s2
	s_cbranch_execz .LBB78_68
; %bb.16:
	s_clause 0x1
	s_load_b128 s[12:15], s[0:1], 0x28
	s_load_b64 s[6:7], s[0:1], 0x18
	s_cmp_lg_u32 s8, 0
	v_cvt_f32_u32_e32 v7, s18
	s_cselect_b32 s22, -1, 0
	s_add_i32 s23, s8, -8
	s_add_i32 s24, s11, -1
	s_mul_i32 s0, s20, s21
	v_rcp_iflag_f32_e32 v7, v7
	v_lshlrev_b32_e32 v49, 4, v6
	v_mov_b32_e32 v35, 0
	v_mbcnt_lo_u32_b32 v53, -1, 0
	s_mov_b32 s21, 0
	v_add_nc_u32_e32 v50, s10, v0
	s_waitcnt lgkmcnt(0)
	s_cmp_lg_u64 s[12:13], 0
	s_cselect_b32 s25, -1, 0
	s_abs_i32 s1, s19
	s_lshl_b32 s19, s0, 2
	v_cvt_f32_u32_e32 v5, s1
	s_sub_i32 s0, 0, s1
	s_add_i32 s20, s11, -4
	s_sub_i32 s3, 0, s18
	s_sub_i32 s4, 1, s1
	v_rcp_iflag_f32_e32 v5, v5
	s_waitcnt_depctr 0xfff
	v_mul_f32_e32 v5, 0x4f7ffffe, v5
	s_delay_alu instid0(VALU_DEP_1) | instskip(NEXT) | instid1(VALU_DEP_1)
	v_cvt_u32_f32_e32 v5, v5
	v_readfirstlane_b32 s2, v5
	v_mul_f32_e32 v5, 0x4f7ffffe, v7
	s_delay_alu instid0(VALU_DEP_2) | instskip(NEXT) | instid1(VALU_DEP_1)
	s_mul_i32 s0, s0, s2
	v_cvt_u32_f32_e32 v5, v5
	s_mul_hi_u32 s0, s2, s0
	s_delay_alu instid0(SALU_CYCLE_1) | instskip(SKIP_1) | instid1(VALU_DEP_1)
	s_add_i32 s2, s2, s0
	s_cmp_lt_u32 s1, 2
	v_mul_lo_u32 v7, s3, v5
	s_cselect_b32 s0, s4, 1
	s_delay_alu instid0(SALU_CYCLE_1)
	s_sub_i32 s4, s0, s1
	s_cmp_ge_u32 s0, s1
	s_cselect_b32 s27, s4, s0
	s_lshr_b32 s2, s2, 31
	v_cmp_eq_u32_e64 s0, 31, v6
	s_mul_i32 s2, s2, s1
	v_mul_hi_u32 v6, v5, v7
	s_sub_i32 s2, 2, s2
	s_mul_i32 s27, s27, s18
	s_sub_i32 s3, s2, s1
	s_cmp_ge_u32 s2, s1
	s_cselect_b32 s2, s3, s2
	s_delay_alu instid0(SALU_CYCLE_1)
	s_sub_i32 s3, s2, s1
	s_cmp_ge_u32 s2, s1
	v_add_nc_u32_e32 v51, v5, v6
	s_cselect_b32 s28, s3, s2
	s_lshl_b32 s26, s10, 1
	s_mul_i32 s28, s28, s18
	v_add_nc_u32_e32 v52, s26, v0
	s_lshl_b32 s10, s10, 2
	s_branch .LBB78_19
.LBB78_17:                              ;   in Loop: Header=BB78_19 Depth=1
	s_or_b32 exec_lo, exec_lo, s30
	v_mov_b32_e32 v33, s20
.LBB78_18:                              ;   in Loop: Header=BB78_19 Depth=1
	s_or_b32 exec_lo, exec_lo, s29
	s_delay_alu instid0(VALU_DEP_1) | instskip(SKIP_1) | instid1(SALU_CYCLE_1)
	v_cmp_le_u32_e32 vcc_lo, s11, v33
	s_or_b32 s21, vcc_lo, s21
	s_and_not1_b32 exec_lo, exec_lo, s21
	s_cbranch_execz .LBB78_68
.LBB78_19:                              ; =>This Loop Header: Depth=1
                                        ;     Child Loop BB78_23 Depth 2
                                        ;     Child Loop BB78_55 Depth 2
	v_dual_mov_b32 v65, v35 :: v_dual_add_nc_u32 v38, 1, v33
	v_dual_mov_b32 v64, v35 :: v_dual_add_nc_u32 v37, 2, v33
	;; [unrolled: 1-line block ×3, first 2 shown]
	v_mov_b32_e32 v62, v35
	v_mov_b32_e32 v54, v35
	;; [unrolled: 1-line block ×9, first 2 shown]
	s_and_not1_b32 vcc_lo, exec_lo, s22
	s_cbranch_vccnz .LBB78_36
; %bb.20:                               ;   in Loop: Header=BB78_19 Depth=1
	v_min_u32_e32 v5, s24, v33
	v_min_u32_e32 v6, s24, v38
	s_waitcnt lgkmcnt(0)
	v_min_u32_e32 v7, s24, v37
	v_min_u32_e32 v8, s24, v36
	v_dual_mov_b32 v10, v35 :: v_dual_mov_b32 v57, 0
	v_mul_lo_u32 v34, v5, s9
	v_mul_lo_u32 v5, v6, s9
	;; [unrolled: 1-line block ×4, first 2 shown]
	v_dual_mov_b32 v6, v35 :: v_dual_mov_b32 v59, 0
	v_dual_mov_b32 v8, v35 :: v_dual_mov_b32 v61, 0
	s_waitcnt vmcnt(4)
	v_lshlrev_b64 v[39:40], 1, v[34:35]
	s_delay_alu instid0(VALU_DEP_3)
	v_lshlrev_b64 v[41:42], 1, v[5:6]
	v_dual_mov_b32 v66, v49 :: v_dual_mov_b32 v55, 0
	v_lshlrev_b64 v[43:44], 1, v[7:8]
	v_lshlrev_b64 v[45:46], 1, v[9:10]
	v_dual_mov_b32 v60, 0 :: v_dual_mov_b32 v63, 0
	v_dual_mov_b32 v58, 0 :: v_dual_mov_b32 v65, 0
	v_mov_b32_e32 v56, 0
	v_mov_b32_e32 v54, 0
	;; [unrolled: 1-line block ×4, first 2 shown]
	s_mov_b32 s1, 0
	s_branch .LBB78_23
.LBB78_21:                              ;   in Loop: Header=BB78_23 Depth=2
	s_or_b32 exec_lo, exec_lo, s3
.LBB78_22:                              ;   in Loop: Header=BB78_23 Depth=2
	s_delay_alu instid0(SALU_CYCLE_1)
	s_or_b32 exec_lo, exec_lo, s2
	v_add_nc_u32_e32 v66, 0x200, v66
	s_addk_i32 s1, 0x100
	s_waitcnt vmcnt(0) lgkmcnt(0)
	;;#ASMSTART
	v_dot2_f32_f16 v65, v21, v17, v65
	;;#ASMEND
	;;#ASMSTART
	v_dot2_f32_f16 v64, v21, v13, v64
	;;#ASMEND
	;; [unrolled: 3-line block ×24, first 2 shown]
	s_cmp_ge_u32 s1, s8
	;;#ASMSTART
	v_dot2_f32_f16 v65, v23, v19, v65
	;;#ASMEND
	;;#ASMSTART
	v_dot2_f32_f16 v64, v23, v15, v64
	;;#ASMEND
	;; [unrolled: 3-line block ×24, first 2 shown]
	s_cbranch_scc1 .LBB78_36
.LBB78_23:                              ;   Parent Loop BB78_19 Depth=1
                                        ; =>  This Inner Loop Header: Depth=2
	s_waitcnt vmcnt(3)
	v_dual_mov_b32 v32, 0 :: v_dual_add_nc_u32 v47, s1, v0
	s_waitcnt vmcnt(1)
	v_dual_mov_b32 v31, 0 :: v_dual_mov_b32 v30, 0
	s_waitcnt vmcnt(0)
	v_dual_mov_b32 v29, 0 :: v_dual_mov_b32 v28, 0
	v_min_u32_e32 v34, s23, v47
	v_dual_mov_b32 v27, 0 :: v_dual_mov_b32 v26, 0
	v_dual_mov_b32 v25, 0 :: v_dual_mov_b32 v24, 0
	s_delay_alu instid0(VALU_DEP_3) | instskip(SKIP_2) | instid1(VALU_DEP_2)
	v_lshlrev_b64 v[5:6], 1, v[34:35]
	v_mov_b32_e32 v23, 0
	s_mov_b32 s2, exec_lo
	v_add_co_u32 v11, vcc_lo, s6, v5
	s_delay_alu instid0(VALU_DEP_3) | instskip(NEXT) | instid1(VALU_DEP_2)
	v_add_co_ci_u32_e32 v12, vcc_lo, s7, v6, vcc_lo
	v_add_co_u32 v5, vcc_lo, v11, v39
	s_delay_alu instid0(VALU_DEP_2)
	v_add_co_ci_u32_e32 v6, vcc_lo, v12, v40, vcc_lo
	v_add_co_u32 v7, vcc_lo, v11, v41
	v_add_co_ci_u32_e32 v8, vcc_lo, v12, v42, vcc_lo
	v_add_co_u32 v9, vcc_lo, v11, v43
	;; [unrolled: 2-line block ×3, first 2 shown]
	v_add_co_ci_u32_e32 v22, vcc_lo, v12, v46, vcc_lo
	s_clause 0x3
	global_load_b128 v[17:20], v[5:6], off slc dlc
	global_load_b128 v[13:16], v[7:8], off slc dlc
	global_load_b128 v[9:12], v[9:10], off slc dlc
	global_load_b128 v[5:8], v[21:22], off slc dlc
	v_dual_mov_b32 v22, 0 :: v_dual_mov_b32 v21, 0
	v_cmpx_gt_u32_e64 s8, v47
	s_cbranch_execz .LBB78_22
; %bb.24:                               ;   in Loop: Header=BB78_23 Depth=2
	s_mov_b32 s3, exec_lo
                                        ; implicit-def: $vgpr24
	v_cmpx_lt_u32_e32 0x7fff, v47
	s_xor_b32 s3, exec_lo, s3
	s_cbranch_execz .LBB78_26
; %bb.25:                               ;   in Loop: Header=BB78_23 Depth=2
	v_mov_b32_e32 v48, v35
	s_delay_alu instid0(VALU_DEP_1) | instskip(NEXT) | instid1(VALU_DEP_1)
	v_lshlrev_b64 v[21:22], 1, v[47:48]
	v_add_co_u32 v21, vcc_lo, s16, v21
	s_delay_alu instid0(VALU_DEP_2)
	v_add_co_ci_u32_e32 v22, vcc_lo, s17, v22, vcc_lo
	global_load_b128 v[21:24], v[21:22], off
.LBB78_26:                              ;   in Loop: Header=BB78_23 Depth=2
	s_and_not1_saveexec_b32 s3, s3
	s_cbranch_execz .LBB78_28
; %bb.27:                               ;   in Loop: Header=BB78_23 Depth=2
	s_waitcnt vmcnt(0)
	ds_load_b128 v[21:24], v66
.LBB78_28:                              ;   in Loop: Header=BB78_23 Depth=2
	s_or_b32 exec_lo, exec_lo, s3
	v_add_nc_u32_e32 v34, s1, v50
	s_mov_b32 s3, exec_lo
                                        ; implicit-def: $vgpr28
	s_delay_alu instid0(VALU_DEP_1)
	v_cmpx_lt_u32_e32 0x7fff, v34
	s_xor_b32 s3, exec_lo, s3
	s_cbranch_execz .LBB78_30
; %bb.29:                               ;   in Loop: Header=BB78_23 Depth=2
	v_lshlrev_b64 v[25:26], 1, v[34:35]
	s_delay_alu instid0(VALU_DEP_1) | instskip(NEXT) | instid1(VALU_DEP_2)
	v_add_co_u32 v25, vcc_lo, s16, v25
	v_add_co_ci_u32_e32 v26, vcc_lo, s17, v26, vcc_lo
	global_load_b128 v[25:28], v[25:26], off
.LBB78_30:                              ;   in Loop: Header=BB78_23 Depth=2
	s_and_not1_saveexec_b32 s3, s3
	s_cbranch_execz .LBB78_32
; %bb.31:                               ;   in Loop: Header=BB78_23 Depth=2
	s_waitcnt vmcnt(0)
	v_add_nc_u32_e32 v25, s26, v66
	ds_load_b128 v[25:28], v25
.LBB78_32:                              ;   in Loop: Header=BB78_23 Depth=2
	s_or_b32 exec_lo, exec_lo, s3
	v_add_nc_u32_e32 v34, s1, v52
	s_mov_b32 s3, exec_lo
                                        ; implicit-def: $vgpr32
	s_delay_alu instid0(VALU_DEP_1)
	v_cmpx_lt_u32_e32 0x7fff, v34
	s_xor_b32 s3, exec_lo, s3
	s_cbranch_execz .LBB78_34
; %bb.33:                               ;   in Loop: Header=BB78_23 Depth=2
	v_lshlrev_b64 v[29:30], 1, v[34:35]
	s_delay_alu instid0(VALU_DEP_1) | instskip(NEXT) | instid1(VALU_DEP_2)
	v_add_co_u32 v29, vcc_lo, s16, v29
	v_add_co_ci_u32_e32 v30, vcc_lo, s17, v30, vcc_lo
	global_load_b128 v[29:32], v[29:30], off
.LBB78_34:                              ;   in Loop: Header=BB78_23 Depth=2
	s_and_not1_saveexec_b32 s3, s3
	s_cbranch_execz .LBB78_21
; %bb.35:                               ;   in Loop: Header=BB78_23 Depth=2
	s_waitcnt vmcnt(0)
	v_add_nc_u32_e32 v31, s10, v66
	ds_load_2addr_b32 v[29:30], v31 offset1:1
	ds_load_2addr_b32 v[31:32], v31 offset0:2 offset1:3
	s_branch .LBB78_21
.LBB78_36:                              ;   in Loop: Header=BB78_19 Depth=1
	v_cvt_i32_f32_e32 v5, v65
	v_cvt_i32_f32_e32 v6, v64
	s_waitcnt lgkmcnt(0)
	v_xor_b32_e32 v7, 16, v53
	v_cvt_i32_f32_e32 v8, v63
	v_cvt_i32_f32_e32 v10, v59
	v_cvt_f32_i32_dpp v5, v5 row_shr:8 row_mask:0xf bank_mask:0xf bound_ctrl:1
	v_cvt_f32_i32_dpp v6, v6 row_shr:8 row_mask:0xf bank_mask:0xf bound_ctrl:1
	v_cmp_gt_i32_e32 vcc_lo, 32, v7
	v_cvt_i32_f32_e32 v9, v62
	v_cvt_f32_i32_dpp v8, v8 row_shr:8 row_mask:0xf bank_mask:0xf bound_ctrl:1
	s_delay_alu instid0(VALU_DEP_4) | instskip(SKIP_3) | instid1(VALU_DEP_4)
	v_dual_add_f32 v5, v65, v5 :: v_dual_add_f32 v6, v64, v6
	v_cvt_f32_i32_dpp v10, v10 row_shr:8 row_mask:0xf bank_mask:0xf bound_ctrl:1
	v_cvt_i32_f32_e32 v11, v61
	v_cvt_i32_f32_e32 v12, v60
	;; [unrolled: 1-line block ×4, first 2 shown]
	v_cvt_f32_i32_dpp v9, v9 row_shr:8 row_mask:0xf bank_mask:0xf bound_ctrl:1
	v_cvt_f32_i32_dpp v11, v11 row_shr:8 row_mask:0xf bank_mask:0xf bound_ctrl:1
	;; [unrolled: 1-line block ×5, first 2 shown]
	v_cndmask_b32_e32 v7, v53, v7, vcc_lo
	s_delay_alu instid0(VALU_DEP_4) | instskip(NEXT) | instid1(VALU_DEP_4)
	v_dual_add_f32 v9, v62, v9 :: v_dual_add_f32 v12, v60, v12
	v_dual_add_f32 v5, v5, v13 :: v_dual_add_f32 v10, v59, v10
	s_delay_alu instid0(VALU_DEP_3) | instskip(SKIP_1) | instid1(VALU_DEP_3)
	v_dual_add_f32 v6, v6, v14 :: v_dual_lshlrev_b32 v7, 2, v7
	v_add_f32_e32 v8, v63, v8
	v_cvt_i32_f32_e32 v13, v5
	v_cvt_i32_f32_e32 v16, v9
	s_delay_alu instid0(VALU_DEP_4) | instskip(SKIP_3) | instid1(VALU_DEP_4)
	v_cvt_i32_f32_e32 v14, v6
	v_cvt_i32_f32_e32 v17, v10
	;; [unrolled: 1-line block ×3, first 2 shown]
	v_cvt_f32_i32_dpp v13, v13 row_shr:2 row_mask:0xf bank_mask:0xf bound_ctrl:1
	v_cvt_f32_i32_dpp v14, v14 row_shr:2 row_mask:0xf bank_mask:0xf bound_ctrl:1
	v_add_f32_e32 v11, v61, v11
	v_cvt_f32_i32_dpp v17, v17 row_shr:4 row_mask:0xf bank_mask:0xf bound_ctrl:1
	s_delay_alu instid0(VALU_DEP_3)
	v_add_f32_e32 v6, v6, v14
	v_cvt_f32_i32_dpp v14, v15 row_shr:4 row_mask:0xf bank_mask:0xf bound_ctrl:1
	v_add_f32_e32 v5, v5, v13
	v_cvt_i32_f32_e32 v18, v11
	v_cvt_f32_i32_dpp v15, v16 row_shr:4 row_mask:0xf bank_mask:0xf bound_ctrl:1
	v_cvt_i32_f32_e32 v13, v12
	v_add_f32_e32 v8, v8, v14
	v_cvt_i32_f32_e32 v16, v5
	v_cvt_i32_f32_e32 v19, v6
	v_cvt_f32_i32_dpp v18, v18 row_shr:4 row_mask:0xf bank_mask:0xf bound_ctrl:1
	v_cvt_f32_i32_dpp v13, v13 row_shr:4 row_mask:0xf bank_mask:0xf bound_ctrl:1
	v_dual_add_f32 v9, v9, v15 :: v_dual_add_f32 v10, v10, v17
	v_cvt_f32_i32_dpp v16, v16 row_shr:1 row_mask:0xf bank_mask:0xf bound_ctrl:1
	v_cvt_f32_i32_dpp v19, v19 row_shr:1 row_mask:0xf bank_mask:0xf bound_ctrl:1
	s_delay_alu instid0(VALU_DEP_2) | instskip(SKIP_2) | instid1(VALU_DEP_4)
	v_add_f32_e32 v27, v5, v16
	v_add_f32_e32 v5, v11, v18
	v_cvt_i32_f32_e32 v11, v8
	v_dual_add_f32 v21, v6, v19 :: v_dual_add_f32 v6, v12, v13
	v_cvt_i32_f32_e32 v12, v9
	v_cvt_i32_f32_e32 v13, v10
	s_delay_alu instid0(VALU_DEP_4)
	v_cvt_f32_i32_dpp v11, v11 row_shr:2 row_mask:0xf bank_mask:0xf bound_ctrl:1
	v_cvt_i32_f32_e32 v16, v54
	v_cvt_i32_f32_e32 v15, v6
	v_cvt_f32_i32_dpp v12, v12 row_shr:2 row_mask:0xf bank_mask:0xf bound_ctrl:1
	v_cvt_f32_i32_dpp v13, v13 row_shr:2 row_mask:0xf bank_mask:0xf bound_ctrl:1
	v_add_f32_e32 v8, v8, v11
	v_cvt_i32_f32_e32 v14, v5
	v_cvt_f32_i32_dpp v15, v15 row_shr:2 row_mask:0xf bank_mask:0xf bound_ctrl:1
	s_delay_alu instid0(VALU_DEP_4) | instskip(NEXT) | instid1(VALU_DEP_4)
	v_dual_add_f32 v9, v9, v12 :: v_dual_add_f32 v10, v10, v13
	v_cvt_i32_f32_e32 v11, v8
	s_delay_alu instid0(VALU_DEP_4) | instskip(NEXT) | instid1(VALU_DEP_4)
	v_cvt_f32_i32_dpp v14, v14 row_shr:2 row_mask:0xf bank_mask:0xf bound_ctrl:1
	v_add_f32_e32 v6, v6, v15
	s_delay_alu instid0(VALU_DEP_4)
	v_cvt_i32_f32_e32 v12, v9
	v_cvt_f32_i32_dpp v16, v16 row_shr:8 row_mask:0xf bank_mask:0xf bound_ctrl:1
	v_cvt_f32_i32_dpp v11, v11 row_shr:1 row_mask:0xf bank_mask:0xf bound_ctrl:1
	v_add_f32_e32 v5, v5, v14
	v_cvt_i32_f32_e32 v15, v6
	v_cvt_f32_i32_dpp v12, v12 row_shr:1 row_mask:0xf bank_mask:0xf bound_ctrl:1
	v_cvt_i32_f32_e32 v13, v10
	ds_bpermute_b32 v28, v7, v27
	v_cvt_i32_f32_e32 v14, v5
	v_cvt_f32_i32_dpp v15, v15 row_shr:1 row_mask:0xf bank_mask:0xf bound_ctrl:1
	v_add_f32_e32 v18, v9, v12
	v_cvt_i32_f32_e32 v9, v57
	v_cvt_f32_i32_dpp v13, v13 row_shr:1 row_mask:0xf bank_mask:0xf bound_ctrl:1
	v_cvt_f32_i32_dpp v14, v14 row_shr:1 row_mask:0xf bank_mask:0xf bound_ctrl:1
	v_add_f32_e32 v23, v8, v11
	v_cvt_i32_f32_e32 v11, v56
	v_cvt_f32_i32_dpp v9, v9 row_shr:8 row_mask:0xf bank_mask:0xf bound_ctrl:1
	v_add_f32_e32 v6, v6, v15
	v_add_f32_e32 v16, v54, v16
	;; [unrolled: 1-line block ×3, first 2 shown]
	v_cvt_f32_i32_dpp v11, v11 row_shr:8 row_mask:0xf bank_mask:0xf bound_ctrl:1
	v_add_f32_e32 v9, v57, v9
	v_add_f32_e32 v10, v5, v14
	s_waitcnt vmcnt(0)
	v_cvt_i32_f32_e32 v29, v16
	v_cvt_i32_f32_e32 v5, v58
	v_add_f32_e32 v11, v56, v11
	v_cvt_i32_f32_e32 v19, v9
	v_cvt_i32_f32_e32 v14, v55
	v_cvt_f32_i32_dpp v29, v29 row_shr:4 row_mask:0xf bank_mask:0xf bound_ctrl:1
	v_cvt_f32_i32_dpp v5, v5 row_shr:8 row_mask:0xf bank_mask:0xf bound_ctrl:1
	v_cvt_i32_f32_e32 v24, v11
	v_cvt_f32_i32_dpp v19, v19 row_shr:4 row_mask:0xf bank_mask:0xf bound_ctrl:1
	v_cvt_f32_i32_dpp v14, v14 row_shr:8 row_mask:0xf bank_mask:0xf bound_ctrl:1
	v_add_f32_e32 v16, v16, v29
	ds_bpermute_b32 v22, v7, v21
	v_cvt_f32_i32_dpp v24, v24 row_shr:4 row_mask:0xf bank_mask:0xf bound_ctrl:1
	v_dual_add_f32 v9, v9, v19 :: v_dual_add_f32 v14, v55, v14
	v_cvt_i32_f32_e32 v29, v16
	ds_bpermute_b32 v25, v7, v23
	ds_bpermute_b32 v20, v7, v18
	v_cvt_i32_f32_e32 v19, v9
	v_cvt_i32_f32_e32 v26, v14
	v_cvt_f32_i32_dpp v29, v29 row_shr:2 row_mask:0xf bank_mask:0xf bound_ctrl:1
	v_add_f32_e32 v11, v11, v24
	ds_bpermute_b32 v15, v7, v13
	v_cvt_f32_i32_dpp v19, v19 row_shr:2 row_mask:0xf bank_mask:0xf bound_ctrl:1
	v_cvt_f32_i32_dpp v26, v26 row_shr:4 row_mask:0xf bank_mask:0xf bound_ctrl:1
	v_add_f32_e32 v16, v16, v29
	v_cvt_i32_f32_e32 v24, v11
	ds_bpermute_b32 v12, v7, v10
	v_add_f32_e32 v9, v9, v19
	ds_bpermute_b32 v8, v7, v6
	v_cvt_i32_f32_e32 v29, v16
	v_cvt_f32_i32_dpp v24, v24 row_shr:2 row_mask:0xf bank_mask:0xf bound_ctrl:1
	v_add_f32_e32 v14, v14, v26
	s_delay_alu instid0(VALU_DEP_3) | instskip(NEXT) | instid1(VALU_DEP_3)
	v_cvt_f32_i32_dpp v29, v29 row_shr:1 row_mask:0xf bank_mask:0xf bound_ctrl:1
	v_add_f32_e32 v11, v11, v24
	s_delay_alu instid0(VALU_DEP_3) | instskip(NEXT) | instid1(VALU_DEP_2)
	v_cvt_i32_f32_e32 v26, v14
	v_cvt_i32_f32_e32 v24, v11
	s_delay_alu instid0(VALU_DEP_2) | instskip(NEXT) | instid1(VALU_DEP_2)
	v_cvt_f32_i32_dpp v26, v26 row_shr:2 row_mask:0xf bank_mask:0xf bound_ctrl:1
	v_cvt_f32_i32_dpp v30, v24 row_shr:1 row_mask:0xf bank_mask:0xf bound_ctrl:1
	v_add_f32_e32 v5, v58, v5
	s_delay_alu instid0(VALU_DEP_3) | instskip(NEXT) | instid1(VALU_DEP_2)
	v_add_f32_e32 v19, v14, v26
	v_cvt_i32_f32_e32 v17, v5
	s_delay_alu instid0(VALU_DEP_2) | instskip(NEXT) | instid1(VALU_DEP_2)
	v_cvt_i32_f32_e32 v26, v19
	v_cvt_f32_i32_dpp v17, v17 row_shr:4 row_mask:0xf bank_mask:0xf bound_ctrl:1
	s_delay_alu instid0(VALU_DEP_2) | instskip(NEXT) | instid1(VALU_DEP_2)
	v_cvt_f32_i32_dpp v26, v26 row_shr:1 row_mask:0xf bank_mask:0xf bound_ctrl:1
	v_add_f32_e32 v5, v5, v17
	s_delay_alu instid0(VALU_DEP_1) | instskip(NEXT) | instid1(VALU_DEP_1)
	v_cvt_i32_f32_e32 v17, v5
	v_cvt_f32_i32_dpp v17, v17 row_shr:2 row_mask:0xf bank_mask:0xf bound_ctrl:1
	s_delay_alu instid0(VALU_DEP_1) | instskip(SKIP_1) | instid1(VALU_DEP_2)
	v_add_f32_e32 v5, v5, v17
	v_cvt_i32_f32_e32 v17, v9
	v_cvt_i32_f32_e32 v14, v5
	s_delay_alu instid0(VALU_DEP_2) | instskip(NEXT) | instid1(VALU_DEP_2)
	v_cvt_f32_i32_dpp v17, v17 row_shr:1 row_mask:0xf bank_mask:0xf bound_ctrl:1
	v_cvt_f32_i32_dpp v14, v14 row_shr:1 row_mask:0xf bank_mask:0xf bound_ctrl:1
	s_delay_alu instid0(VALU_DEP_2) | instskip(SKIP_1) | instid1(VALU_DEP_3)
	v_add_f32_e32 v17, v9, v17
	v_add_f32_e32 v9, v19, v26
	v_add_f32_e32 v24, v5, v14
	v_dual_add_f32 v14, v11, v30 :: v_dual_add_f32 v5, v16, v29
	ds_bpermute_b32 v19, v7, v17
	ds_bpermute_b32 v11, v7, v9
	ds_bpermute_b32 v26, v7, v24
	ds_bpermute_b32 v16, v7, v14
	ds_bpermute_b32 v7, v7, v5
	s_and_saveexec_b32 s5, s0
	s_cbranch_execz .LBB78_52
; %bb.37:                               ;   in Loop: Header=BB78_19 Depth=1
	v_dual_mov_b32 v34, 0 :: v_dual_mov_b32 v39, 0
	v_dual_mov_b32 v45, 0 :: v_dual_mov_b32 v44, 0
	;; [unrolled: 1-line block ×6, first 2 shown]
	s_and_not1_b32 vcc_lo, exec_lo, s25
	s_cbranch_vccnz .LBB78_39
; %bb.38:                               ;   in Loop: Header=BB78_19 Depth=1
	v_mul_hi_u32 v29, v33, v51
	v_mul_hi_u32 v30, v38, v51
	;; [unrolled: 1-line block ×4, first 2 shown]
	s_delay_alu instid0(VALU_DEP_4) | instskip(NEXT) | instid1(VALU_DEP_4)
	v_mul_lo_u32 v29, v29, s18
	v_mul_lo_u32 v34, v30, s18
	s_delay_alu instid0(VALU_DEP_4) | instskip(NEXT) | instid1(VALU_DEP_4)
	v_mul_lo_u32 v31, v31, s18
	v_mul_lo_u32 v32, v32, s18
	s_delay_alu instid0(VALU_DEP_4) | instskip(NEXT) | instid1(VALU_DEP_4)
	v_sub_nc_u32_e32 v29, v33, v29
	v_sub_nc_u32_e32 v34, v38, v34
	s_delay_alu instid0(VALU_DEP_4) | instskip(NEXT) | instid1(VALU_DEP_4)
	v_sub_nc_u32_e32 v31, v37, v31
	v_sub_nc_u32_e32 v39, v36, v32
	s_delay_alu instid0(VALU_DEP_4)
	v_subrev_nc_u32_e32 v40, s18, v29
	v_cmp_le_u32_e32 vcc_lo, s18, v29
	v_mov_b32_e32 v30, v35
	v_subrev_nc_u32_e32 v41, s18, v34
	v_subrev_nc_u32_e32 v42, s18, v31
	;; [unrolled: 1-line block ×3, first 2 shown]
	v_cndmask_b32_e32 v29, v29, v40, vcc_lo
	v_cmp_le_u32_e32 vcc_lo, s18, v34
	v_dual_mov_b32 v32, v35 :: v_dual_cndmask_b32 v41, v34, v41
	v_cmp_le_u32_e32 vcc_lo, s18, v31
	s_delay_alu instid0(VALU_DEP_4)
	v_subrev_nc_u32_e32 v34, s18, v29
	v_cndmask_b32_e32 v31, v31, v42, vcc_lo
	v_cmp_le_u32_e32 vcc_lo, s18, v39
	v_subrev_nc_u32_e32 v42, s18, v41
	v_cndmask_b32_e32 v39, v39, v43, vcc_lo
	v_cmp_le_u32_e32 vcc_lo, s18, v29
	v_cndmask_b32_e32 v34, v29, v34, vcc_lo
	v_cmp_le_u32_e32 vcc_lo, s18, v41
	v_mov_b32_e32 v40, v35
	v_subrev_nc_u32_e32 v44, s18, v39
	s_delay_alu instid0(VALU_DEP_4) | instskip(SKIP_3) | instid1(VALU_DEP_3)
	v_dual_mov_b32 v57, v35 :: v_dual_add_nc_u32 v54, s27, v34
	v_cndmask_b32_e32 v29, v41, v42, vcc_lo
	v_lshlrev_b64 v[41:42], 1, v[34:35]
	v_dual_mov_b32 v59, v35 :: v_dual_add_nc_u32 v34, s28, v34
	v_add_nc_u32_e32 v56, s27, v29
	v_subrev_nc_u32_e32 v43, s18, v31
	v_cmp_le_u32_e32 vcc_lo, s18, v31
	s_delay_alu instid0(VALU_DEP_4)
	v_lshlrev_b64 v[62:63], 1, v[34:35]
	v_add_nc_u32_e32 v34, s28, v29
	v_lshlrev_b64 v[56:57], 1, v[56:57]
	v_cndmask_b32_e32 v31, v31, v43, vcc_lo
	v_cmp_le_u32_e32 vcc_lo, s18, v39
	v_mov_b32_e32 v61, v35
	s_delay_alu instid0(VALU_DEP_3) | instskip(SKIP_3) | instid1(VALU_DEP_3)
	v_lshlrev_b64 v[45:46], 1, v[31:32]
	v_dual_cndmask_b32 v39, v39, v44 :: v_dual_add_nc_u32 v58, s27, v31
	v_lshlrev_b64 v[43:44], 1, v[29:30]
	v_add_co_u32 v41, vcc_lo, s12, v41
	v_dual_mov_b32 v55, v35 :: v_dual_add_nc_u32 v60, s27, v39
	v_add_co_ci_u32_e32 v42, vcc_lo, s13, v42, vcc_lo
	s_delay_alu instid0(VALU_DEP_4)
	v_add_co_u32 v43, vcc_lo, s12, v43
	v_lshlrev_b64 v[47:48], 1, v[39:40]
	v_add_co_ci_u32_e32 v44, vcc_lo, s13, v44, vcc_lo
	v_add_co_u32 v45, vcc_lo, s12, v45
	v_lshlrev_b64 v[54:55], 1, v[54:55]
	v_add_co_ci_u32_e32 v46, vcc_lo, s13, v46, vcc_lo
	v_add_co_u32 v47, vcc_lo, s12, v47
	v_add_co_ci_u32_e32 v48, vcc_lo, s13, v48, vcc_lo
	s_delay_alu instid0(VALU_DEP_4)
	v_add_co_u32 v54, vcc_lo, s12, v54
	v_lshlrev_b64 v[58:59], 1, v[58:59]
	v_add_co_ci_u32_e32 v55, vcc_lo, s13, v55, vcc_lo
	v_add_co_u32 v56, vcc_lo, s12, v56
	v_lshlrev_b64 v[60:61], 1, v[60:61]
	v_add_co_ci_u32_e32 v57, vcc_lo, s13, v57, vcc_lo
	v_add_co_u32 v58, vcc_lo, s12, v58
	v_add_co_ci_u32_e32 v59, vcc_lo, s13, v59, vcc_lo
	s_delay_alu instid0(VALU_DEP_4)
	v_add_co_u32 v29, vcc_lo, s12, v60
	v_add_co_ci_u32_e32 v30, vcc_lo, s13, v61, vcc_lo
	v_lshlrev_b64 v[60:61], 1, v[34:35]
	v_add_nc_u32_e32 v34, s28, v31
	v_add_co_u32 v31, vcc_lo, s12, v62
	v_add_co_ci_u32_e32 v32, vcc_lo, s13, v63, vcc_lo
	s_delay_alu instid0(VALU_DEP_3) | instskip(SKIP_3) | instid1(VALU_DEP_3)
	v_lshlrev_b64 v[62:63], 1, v[34:35]
	v_add_nc_u32_e32 v34, s28, v39
	v_add_co_u32 v60, vcc_lo, s12, v60
	v_add_co_ci_u32_e32 v61, vcc_lo, s13, v61, vcc_lo
	v_lshlrev_b64 v[39:40], 1, v[34:35]
	v_add_co_u32 v62, vcc_lo, s12, v62
	v_add_co_ci_u32_e32 v63, vcc_lo, s13, v63, vcc_lo
	s_delay_alu instid0(VALU_DEP_3) | instskip(NEXT) | instid1(VALU_DEP_4)
	v_add_co_u32 v64, vcc_lo, s12, v39
	v_add_co_ci_u32_e32 v65, vcc_lo, s13, v40, vcc_lo
	s_clause 0xb
	global_load_u16 v34, v[41:42], off
	global_load_u16 v39, v[43:44], off
	;; [unrolled: 1-line block ×12, first 2 shown]
.LBB78_39:                              ;   in Loop: Header=BB78_19 Depth=1
	v_cmp_ne_u32_e32 vcc_lo, 0, v1
	s_and_saveexec_b32 s2, vcc_lo
	s_cbranch_execnz .LBB78_57
; %bb.40:                               ;   in Loop: Header=BB78_19 Depth=1
	s_or_b32 exec_lo, exec_lo, s2
	v_cmp_ne_u32_e64 s1, 0, v2
	s_delay_alu instid0(VALU_DEP_1)
	s_and_saveexec_b32 s3, s1
	s_cbranch_execnz .LBB78_58
.LBB78_41:                              ;   in Loop: Header=BB78_19 Depth=1
	s_or_b32 exec_lo, exec_lo, s3
	v_cmp_ne_u32_e64 s2, 0, v3
	s_delay_alu instid0(VALU_DEP_1)
	s_and_saveexec_b32 s4, s2
	s_cbranch_execnz .LBB78_59
.LBB78_42:                              ;   in Loop: Header=BB78_19 Depth=1
	s_or_b32 exec_lo, exec_lo, s4
	v_cmp_ne_u32_e64 s3, 0, v4
	s_delay_alu instid0(VALU_DEP_1)
	s_and_saveexec_b32 s29, s3
	s_cbranch_execnz .LBB78_60
.LBB78_43:                              ;   in Loop: Header=BB78_19 Depth=1
	s_or_b32 exec_lo, exec_lo, s29
	s_waitcnt vmcnt(11)
	v_add_nc_u32_e32 v34, s11, v33
	s_and_saveexec_b32 s29, vcc_lo
	s_cbranch_execnz .LBB78_61
.LBB78_44:                              ;   in Loop: Header=BB78_19 Depth=1
	s_or_b32 exec_lo, exec_lo, s29
	s_and_saveexec_b32 s29, s1
	s_cbranch_execnz .LBB78_62
.LBB78_45:                              ;   in Loop: Header=BB78_19 Depth=1
	s_or_b32 exec_lo, exec_lo, s29
	s_and_saveexec_b32 s29, s2
	s_cbranch_execnz .LBB78_63
.LBB78_46:                              ;   in Loop: Header=BB78_19 Depth=1
	s_or_b32 exec_lo, exec_lo, s29
	s_and_saveexec_b32 s29, s3
	s_cbranch_execnz .LBB78_64
.LBB78_47:                              ;   in Loop: Header=BB78_19 Depth=1
	s_or_b32 exec_lo, exec_lo, s29
	v_add_nc_u32_e32 v34, s11, v34
	s_and_saveexec_b32 s4, vcc_lo
	s_cbranch_execnz .LBB78_65
.LBB78_48:                              ;   in Loop: Header=BB78_19 Depth=1
	s_or_b32 exec_lo, exec_lo, s4
	s_and_saveexec_b32 s4, s1
	s_cbranch_execnz .LBB78_66
.LBB78_49:                              ;   in Loop: Header=BB78_19 Depth=1
	s_or_b32 exec_lo, exec_lo, s4
	s_and_saveexec_b32 s1, s2
	s_cbranch_execnz .LBB78_67
.LBB78_50:                              ;   in Loop: Header=BB78_19 Depth=1
	s_or_b32 exec_lo, exec_lo, s1
	s_delay_alu instid0(SALU_CYCLE_1)
	s_and_b32 exec_lo, exec_lo, s3
	s_cbranch_execz .LBB78_52
.LBB78_51:                              ;   in Loop: Header=BB78_19 Depth=1
	s_waitcnt lgkmcnt(0)
	v_dual_add_f32 v5, v5, v7 :: v_dual_add_nc_u32 v34, 3, v34
	s_waitcnt vmcnt(0)
	v_cvt_f32_f16_e32 v6, v29
	s_delay_alu instid0(VALU_DEP_1) | instskip(NEXT) | instid1(VALU_DEP_3)
	v_add_f32_e32 v7, v5, v6
	v_lshlrev_b64 v[5:6], 1, v[34:35]
	s_delay_alu instid0(VALU_DEP_2) | instskip(NEXT) | instid1(VALU_DEP_2)
	v_cvt_f16_f32_e32 v7, v7
	v_add_co_u32 v5, vcc_lo, s14, v5
	s_delay_alu instid0(VALU_DEP_3)
	v_add_co_ci_u32_e32 v6, vcc_lo, s15, v6, vcc_lo
	global_store_b16 v[5:6], v7, off
.LBB78_52:                              ;   in Loop: Header=BB78_19 Depth=1
	s_or_b32 exec_lo, exec_lo, s5
	v_add_nc_u32_e32 v33, s19, v33
	s_delay_alu instid0(VALU_DEP_1) | instskip(SKIP_1) | instid1(VALU_DEP_2)
	v_add_nc_u32_e32 v5, 4, v33
	v_cmp_gt_u32_e32 vcc_lo, s11, v33
	v_cmp_le_u32_e64 s1, s11, v5
	s_delay_alu instid0(VALU_DEP_1) | instskip(NEXT) | instid1(SALU_CYCLE_1)
	s_and_b32 s1, vcc_lo, s1
	s_and_saveexec_b32 s29, s1
	s_cbranch_execz .LBB78_18
; %bb.53:                               ;   in Loop: Header=BB78_19 Depth=1
	s_mov_b32 s30, exec_lo
	v_cmpx_ne_u32_e64 s20, v33
	s_cbranch_execz .LBB78_17
; %bb.54:                               ;   in Loop: Header=BB78_19 Depth=1
	v_subrev_nc_u32_e32 v5, s20, v33
	s_mov_b32 s31, 0
	s_mov_b64 s[4:5], 0
	s_delay_alu instid0(VALU_DEP_1)
	v_cmp_lt_u32_e32 vcc_lo, 1, v5
	v_cndmask_b32_e32 v5, 1, v5, vcc_lo
	.p2align	6
.LBB78_55:                              ;   Parent Loop BB78_19 Depth=1
                                        ; =>  This Inner Loop Header: Depth=2
	s_cmp_lg_u32 s4, 3
	s_cselect_b32 vcc_lo, -1, 0
	s_cmp_lg_u32 s4, 2
	v_cndmask_b32_e32 v4, 0, v4, vcc_lo
	s_cselect_b32 s1, -1, 0
	s_cmp_lg_u32 s4, 1
	v_cndmask_b32_e64 v3, 0, v3, s1
	s_cselect_b32 s2, -1, 0
	s_cmp_lg_u32 s4, 0
	v_cndmask_b32_e64 v2, 0, v2, s2
	s_cselect_b32 s3, -1, 0
	s_add_u32 s4, s4, 1
	v_cndmask_b32_e64 v1, 0, v1, s3
	v_cmp_eq_u32_e32 vcc_lo, s4, v5
	s_addc_u32 s5, s5, 0
	s_or_b32 s31, vcc_lo, s31
	s_delay_alu instid0(SALU_CYCLE_1)
	s_and_not1_b32 exec_lo, exec_lo, s31
	s_cbranch_execnz .LBB78_55
; %bb.56:                               ;   in Loop: Header=BB78_19 Depth=1
	s_or_b32 exec_lo, exec_lo, s31
	s_branch .LBB78_17
.LBB78_57:                              ;   in Loop: Header=BB78_19 Depth=1
	s_waitcnt lgkmcnt(11)
	v_add_f32_e32 v27, v27, v28
	s_waitcnt vmcnt(11)
	v_cvt_f32_f16_e32 v28, v34
	v_mov_b32_e32 v34, v35
	s_delay_alu instid0(VALU_DEP_2) | instskip(NEXT) | instid1(VALU_DEP_2)
	v_add_f32_e32 v46, v27, v28
	v_lshlrev_b64 v[27:28], 1, v[33:34]
	s_delay_alu instid0(VALU_DEP_2) | instskip(NEXT) | instid1(VALU_DEP_2)
	v_cvt_f16_f32_e32 v34, v46
	v_add_co_u32 v27, s1, s14, v27
	s_delay_alu instid0(VALU_DEP_1) | instskip(SKIP_3) | instid1(VALU_DEP_1)
	v_add_co_ci_u32_e64 v28, s1, s15, v28, s1
	global_store_b16 v[27:28], v34, off
	s_or_b32 exec_lo, exec_lo, s2
	v_cmp_ne_u32_e64 s1, 0, v2
	s_and_saveexec_b32 s3, s1
	s_cbranch_execz .LBB78_41
.LBB78_58:                              ;   in Loop: Header=BB78_19 Depth=1
	s_waitcnt lgkmcnt(10)
	v_add_f32_e32 v21, v21, v22
	s_waitcnt vmcnt(10)
	v_cvt_f32_f16_e32 v22, v39
	v_mov_b32_e32 v39, v35
	s_delay_alu instid0(VALU_DEP_2) | instskip(NEXT) | instid1(VALU_DEP_2)
	v_add_f32_e32 v27, v21, v22
	v_lshlrev_b64 v[21:22], 1, v[38:39]
	s_delay_alu instid0(VALU_DEP_2) | instskip(NEXT) | instid1(VALU_DEP_2)
	v_cvt_f16_f32_e32 v27, v27
	v_add_co_u32 v21, s2, s14, v21
	s_delay_alu instid0(VALU_DEP_1) | instskip(SKIP_3) | instid1(VALU_DEP_1)
	v_add_co_ci_u32_e64 v22, s2, s15, v22, s2
	global_store_b16 v[21:22], v27, off
	s_or_b32 exec_lo, exec_lo, s3
	v_cmp_ne_u32_e64 s2, 0, v3
	s_and_saveexec_b32 s4, s2
	s_cbranch_execz .LBB78_42
.LBB78_59:                              ;   in Loop: Header=BB78_19 Depth=1
	s_waitcnt lgkmcnt(9)
	v_add_f32_e32 v21, v23, v25
	s_waitcnt vmcnt(9)
	v_cvt_f32_f16_e32 v22, v45
	s_delay_alu instid0(VALU_DEP_1) | instskip(NEXT) | instid1(VALU_DEP_1)
	v_dual_mov_b32 v38, v35 :: v_dual_add_f32 v23, v21, v22
	v_lshlrev_b64 v[21:22], 1, v[37:38]
	s_delay_alu instid0(VALU_DEP_2) | instskip(NEXT) | instid1(VALU_DEP_2)
	v_cvt_f16_f32_e32 v23, v23
	v_add_co_u32 v21, s3, s14, v21
	s_delay_alu instid0(VALU_DEP_1) | instskip(SKIP_3) | instid1(VALU_DEP_1)
	v_add_co_ci_u32_e64 v22, s3, s15, v22, s3
	global_store_b16 v[21:22], v23, off
	s_or_b32 exec_lo, exec_lo, s4
	v_cmp_ne_u32_e64 s3, 0, v4
	s_and_saveexec_b32 s29, s3
	s_cbranch_execz .LBB78_43
.LBB78_60:                              ;   in Loop: Header=BB78_19 Depth=1
	s_waitcnt lgkmcnt(8)
	v_dual_add_f32 v18, v18, v20 :: v_dual_mov_b32 v37, v35
	s_waitcnt vmcnt(8)
	v_cvt_f32_f16_e32 v20, v44
	s_delay_alu instid0(VALU_DEP_1) | instskip(NEXT) | instid1(VALU_DEP_3)
	v_add_f32_e32 v18, v18, v20
	v_lshlrev_b64 v[20:21], 1, v[36:37]
	s_delay_alu instid0(VALU_DEP_2) | instskip(NEXT) | instid1(VALU_DEP_2)
	v_cvt_f16_f32_e32 v18, v18
	v_add_co_u32 v20, s4, s14, v20
	s_delay_alu instid0(VALU_DEP_1)
	v_add_co_ci_u32_e64 v21, s4, s15, v21, s4
	global_store_b16 v[20:21], v18, off
	s_or_b32 exec_lo, exec_lo, s29
	v_add_nc_u32_e32 v34, s11, v33
	s_and_saveexec_b32 s29, vcc_lo
	s_cbranch_execz .LBB78_44
.LBB78_61:                              ;   in Loop: Header=BB78_19 Depth=1
	s_waitcnt lgkmcnt(7)
	v_add_f32_e32 v13, v13, v15
	s_waitcnt vmcnt(7)
	v_cvt_f32_f16_e32 v15, v43
	v_lshlrev_b64 v[20:21], 1, v[34:35]
	s_delay_alu instid0(VALU_DEP_2) | instskip(NEXT) | instid1(VALU_DEP_2)
	v_add_f32_e32 v13, v13, v15
	v_add_co_u32 v20, s4, s14, v20
	s_delay_alu instid0(VALU_DEP_1) | instskip(NEXT) | instid1(VALU_DEP_3)
	v_add_co_ci_u32_e64 v21, s4, s15, v21, s4
	v_cvt_f16_f32_e32 v13, v13
	global_store_b16 v[20:21], v13, off
	s_or_b32 exec_lo, exec_lo, s29
	s_and_saveexec_b32 s29, s1
	s_cbranch_execz .LBB78_45
.LBB78_62:                              ;   in Loop: Header=BB78_19 Depth=1
	s_waitcnt lgkmcnt(6)
	v_dual_add_f32 v10, v10, v12 :: v_dual_mov_b32 v13, v35
	v_add_nc_u32_e32 v12, 1, v34
	s_waitcnt vmcnt(6)
	v_cvt_f32_f16_e32 v15, v42
	s_delay_alu instid0(VALU_DEP_2) | instskip(NEXT) | instid1(VALU_DEP_2)
	v_lshlrev_b64 v[12:13], 1, v[12:13]
	v_add_f32_e32 v10, v10, v15
	s_delay_alu instid0(VALU_DEP_1) | instskip(NEXT) | instid1(VALU_DEP_3)
	v_cvt_f16_f32_e32 v10, v10
	v_add_co_u32 v12, s4, s14, v12
	s_delay_alu instid0(VALU_DEP_1)
	v_add_co_ci_u32_e64 v13, s4, s15, v13, s4
	global_store_b16 v[12:13], v10, off
	s_or_b32 exec_lo, exec_lo, s29
	s_and_saveexec_b32 s29, s2
	s_cbranch_execz .LBB78_46
.LBB78_63:                              ;   in Loop: Header=BB78_19 Depth=1
	s_waitcnt lgkmcnt(5)
	v_dual_add_f32 v6, v6, v8 :: v_dual_mov_b32 v13, v35
	v_add_nc_u32_e32 v12, 2, v34
	s_waitcnt vmcnt(5)
	v_cvt_f32_f16_e32 v8, v41
	s_delay_alu instid0(VALU_DEP_2) | instskip(NEXT) | instid1(VALU_DEP_2)
	v_lshlrev_b64 v[12:13], 1, v[12:13]
	v_add_f32_e32 v6, v6, v8
	s_delay_alu instid0(VALU_DEP_1) | instskip(NEXT) | instid1(VALU_DEP_3)
	v_cvt_f16_f32_e32 v6, v6
	v_add_co_u32 v12, s4, s14, v12
	s_delay_alu instid0(VALU_DEP_1)
	v_add_co_ci_u32_e64 v13, s4, s15, v13, s4
	global_store_b16 v[12:13], v6, off
	s_or_b32 exec_lo, exec_lo, s29
	s_and_saveexec_b32 s29, s3
	s_cbranch_execz .LBB78_47
.LBB78_64:                              ;   in Loop: Header=BB78_19 Depth=1
	s_waitcnt lgkmcnt(2)
	v_dual_add_f32 v6, v24, v26 :: v_dual_mov_b32 v13, v35
	v_add_nc_u32_e32 v12, 3, v34
	s_waitcnt vmcnt(4)
	v_cvt_f32_f16_e32 v8, v40
	s_delay_alu instid0(VALU_DEP_2) | instskip(NEXT) | instid1(VALU_DEP_2)
	v_lshlrev_b64 v[12:13], 1, v[12:13]
	v_add_f32_e32 v6, v6, v8
	s_delay_alu instid0(VALU_DEP_1) | instskip(NEXT) | instid1(VALU_DEP_3)
	v_cvt_f16_f32_e32 v6, v6
	v_add_co_u32 v12, s4, s14, v12
	s_delay_alu instid0(VALU_DEP_1)
	v_add_co_ci_u32_e64 v13, s4, s15, v13, s4
	global_store_b16 v[12:13], v6, off
	s_or_b32 exec_lo, exec_lo, s29
	v_add_nc_u32_e32 v34, s11, v34
	s_and_saveexec_b32 s4, vcc_lo
	s_cbranch_execz .LBB78_48
.LBB78_65:                              ;   in Loop: Header=BB78_19 Depth=1
	s_waitcnt lgkmcnt(4)
	v_add_f32_e32 v6, v17, v19
	s_waitcnt vmcnt(3)
	v_cvt_f32_f16_e32 v8, v32
	v_lshlrev_b64 v[12:13], 1, v[34:35]
	s_delay_alu instid0(VALU_DEP_2) | instskip(NEXT) | instid1(VALU_DEP_2)
	v_add_f32_e32 v6, v6, v8
	v_add_co_u32 v12, vcc_lo, s14, v12
	s_delay_alu instid0(VALU_DEP_3) | instskip(NEXT) | instid1(VALU_DEP_3)
	v_add_co_ci_u32_e32 v13, vcc_lo, s15, v13, vcc_lo
	v_cvt_f16_f32_e32 v6, v6
	global_store_b16 v[12:13], v6, off
	s_or_b32 exec_lo, exec_lo, s4
	s_and_saveexec_b32 s4, s1
	s_cbranch_execz .LBB78_49
.LBB78_66:                              ;   in Loop: Header=BB78_19 Depth=1
	s_waitcnt lgkmcnt(1)
	v_dual_add_f32 v6, v14, v16 :: v_dual_mov_b32 v13, v35
	v_add_nc_u32_e32 v12, 1, v34
	s_waitcnt vmcnt(2)
	v_cvt_f32_f16_e32 v8, v31
	s_delay_alu instid0(VALU_DEP_2) | instskip(NEXT) | instid1(VALU_DEP_2)
	v_lshlrev_b64 v[12:13], 1, v[12:13]
	v_add_f32_e32 v6, v6, v8
	s_delay_alu instid0(VALU_DEP_1) | instskip(NEXT) | instid1(VALU_DEP_3)
	v_cvt_f16_f32_e32 v6, v6
	v_add_co_u32 v12, vcc_lo, s14, v12
	s_delay_alu instid0(VALU_DEP_4)
	v_add_co_ci_u32_e32 v13, vcc_lo, s15, v13, vcc_lo
	global_store_b16 v[12:13], v6, off
	s_or_b32 exec_lo, exec_lo, s4
	s_and_saveexec_b32 s1, s2
	s_cbranch_execz .LBB78_50
.LBB78_67:                              ;   in Loop: Header=BB78_19 Depth=1
	s_waitcnt lgkmcnt(3)
	v_dual_add_f32 v6, v9, v11 :: v_dual_mov_b32 v9, v35
	v_add_nc_u32_e32 v8, 2, v34
	s_waitcnt vmcnt(1)
	v_cvt_f32_f16_e32 v10, v30
	s_delay_alu instid0(VALU_DEP_2) | instskip(NEXT) | instid1(VALU_DEP_2)
	v_lshlrev_b64 v[8:9], 1, v[8:9]
	v_add_f32_e32 v6, v6, v10
	s_delay_alu instid0(VALU_DEP_1) | instskip(NEXT) | instid1(VALU_DEP_3)
	v_cvt_f16_f32_e32 v6, v6
	v_add_co_u32 v8, vcc_lo, s14, v8
	s_delay_alu instid0(VALU_DEP_4) | instskip(SKIP_2) | instid1(SALU_CYCLE_1)
	v_add_co_ci_u32_e32 v9, vcc_lo, s15, v9, vcc_lo
	global_store_b16 v[8:9], v6, off
	s_or_b32 exec_lo, exec_lo, s1
	s_and_b32 exec_lo, exec_lo, s3
	s_cbranch_execnz .LBB78_51
	s_branch .LBB78_52
.LBB78_68:
	s_nop 0
	s_sendmsg sendmsg(MSG_DEALLOC_VGPRS)
	s_endpgm
	.section	.rodata,"a",@progbits
	.p2align	6, 0x0
	.amdhsa_kernel _Z12wvSplitK_hf_I6__halfLi32ELi4ELi16ELi8ELi1ELi3EEviiiiiiPKT_S3_S3_PS1_ii
		.amdhsa_group_segment_fixed_size 65536
		.amdhsa_private_segment_fixed_size 0
		.amdhsa_kernarg_size 64
		.amdhsa_user_sgpr_count 15
		.amdhsa_user_sgpr_dispatch_ptr 0
		.amdhsa_user_sgpr_queue_ptr 0
		.amdhsa_user_sgpr_kernarg_segment_ptr 1
		.amdhsa_user_sgpr_dispatch_id 0
		.amdhsa_user_sgpr_private_segment_size 0
		.amdhsa_wavefront_size32 1
		.amdhsa_uses_dynamic_stack 0
		.amdhsa_enable_private_segment 0
		.amdhsa_system_sgpr_workgroup_id_x 1
		.amdhsa_system_sgpr_workgroup_id_y 0
		.amdhsa_system_sgpr_workgroup_id_z 0
		.amdhsa_system_sgpr_workgroup_info 0
		.amdhsa_system_vgpr_workitem_id 1
		.amdhsa_next_free_vgpr 67
		.amdhsa_next_free_sgpr 32
		.amdhsa_reserve_vcc 1
		.amdhsa_float_round_mode_32 0
		.amdhsa_float_round_mode_16_64 0
		.amdhsa_float_denorm_mode_32 3
		.amdhsa_float_denorm_mode_16_64 3
		.amdhsa_dx10_clamp 1
		.amdhsa_ieee_mode 1
		.amdhsa_fp16_overflow 0
		.amdhsa_workgroup_processor_mode 1
		.amdhsa_memory_ordered 1
		.amdhsa_forward_progress 0
		.amdhsa_shared_vgpr_count 0
		.amdhsa_exception_fp_ieee_invalid_op 0
		.amdhsa_exception_fp_denorm_src 0
		.amdhsa_exception_fp_ieee_div_zero 0
		.amdhsa_exception_fp_ieee_overflow 0
		.amdhsa_exception_fp_ieee_underflow 0
		.amdhsa_exception_fp_ieee_inexact 0
		.amdhsa_exception_int_div_zero 0
	.end_amdhsa_kernel
	.section	.text._Z12wvSplitK_hf_I6__halfLi32ELi4ELi16ELi8ELi1ELi3EEviiiiiiPKT_S3_S3_PS1_ii,"axG",@progbits,_Z12wvSplitK_hf_I6__halfLi32ELi4ELi16ELi8ELi1ELi3EEviiiiiiPKT_S3_S3_PS1_ii,comdat
.Lfunc_end78:
	.size	_Z12wvSplitK_hf_I6__halfLi32ELi4ELi16ELi8ELi1ELi3EEviiiiiiPKT_S3_S3_PS1_ii, .Lfunc_end78-_Z12wvSplitK_hf_I6__halfLi32ELi4ELi16ELi8ELi1ELi3EEviiiiiiPKT_S3_S3_PS1_ii
                                        ; -- End function
	.section	.AMDGPU.csdata,"",@progbits
; Kernel info:
; codeLenInByte = 5988
; NumSgprs: 34
; NumVgprs: 67
; ScratchSize: 0
; MemoryBound: 0
; FloatMode: 240
; IeeeMode: 1
; LDSByteSize: 65536 bytes/workgroup (compile time only)
; SGPRBlocks: 4
; VGPRBlocks: 8
; NumSGPRsForWavesPerEU: 34
; NumVGPRsForWavesPerEU: 67
; Occupancy: 8
; WaveLimiterHint : 0
; COMPUTE_PGM_RSRC2:SCRATCH_EN: 0
; COMPUTE_PGM_RSRC2:USER_SGPR: 15
; COMPUTE_PGM_RSRC2:TRAP_HANDLER: 0
; COMPUTE_PGM_RSRC2:TGID_X_EN: 1
; COMPUTE_PGM_RSRC2:TGID_Y_EN: 0
; COMPUTE_PGM_RSRC2:TGID_Z_EN: 0
; COMPUTE_PGM_RSRC2:TIDIG_COMP_CNT: 1
	.section	.text._Z16wvSplitK_hf_big_I6__halfLi32ELi4ELi16ELi8ELi1ELi3EEviiiiiiPKT_S3_S3_PS1_ii,"axG",@progbits,_Z16wvSplitK_hf_big_I6__halfLi32ELi4ELi16ELi8ELi1ELi3EEviiiiiiPKT_S3_S3_PS1_ii,comdat
	.protected	_Z16wvSplitK_hf_big_I6__halfLi32ELi4ELi16ELi8ELi1ELi3EEviiiiiiPKT_S3_S3_PS1_ii ; -- Begin function _Z16wvSplitK_hf_big_I6__halfLi32ELi4ELi16ELi8ELi1ELi3EEviiiiiiPKT_S3_S3_PS1_ii
	.globl	_Z16wvSplitK_hf_big_I6__halfLi32ELi4ELi16ELi8ELi1ELi3EEviiiiiiPKT_S3_S3_PS1_ii
	.p2align	8
	.type	_Z16wvSplitK_hf_big_I6__halfLi32ELi4ELi16ELi8ELi1ELi3EEviiiiiiPKT_S3_S3_PS1_ii,@function
_Z16wvSplitK_hf_big_I6__halfLi32ELi4ELi16ELi8ELi1ELi3EEviiiiiiPKT_S3_S3_PS1_ii: ; @_Z16wvSplitK_hf_big_I6__halfLi32ELi4ELi16ELi8ELi1ELi3EEviiiiiiPKT_S3_S3_PS1_ii
; %bb.0:
	s_load_b64 s[20:21], s[0:1], 0x38
	v_bfe_u32 v5, v0, 10, 10
	s_mov_b32 s2, exec_lo
	s_waitcnt lgkmcnt(0)
	s_delay_alu instid0(VALU_DEP_1)
	v_cmpx_gt_u32_e64 s20, v5
	s_cbranch_execz .LBB79_62
; %bb.1:
	s_load_b128 s[16:19], s[0:1], 0x0
	s_mul_i32 s15, s15, s20
	s_mov_b32 s4, 1
	v_add_lshl_u32 v33, s15, v5, 2
	s_mov_b32 s5, s4
	s_mov_b32 s6, s4
	;; [unrolled: 1-line block ×3, first 2 shown]
	s_delay_alu instid0(VALU_DEP_1) | instskip(SKIP_2) | instid1(VALU_DEP_2)
	v_add_nc_u32_e32 v1, 4, v33
	s_waitcnt lgkmcnt(0)
	v_cmp_gt_u32_e32 vcc_lo, s19, v33
	v_cmp_le_u32_e64 s2, s19, v1
	v_dual_mov_b32 v1, s4 :: v_dual_mov_b32 v4, s7
	v_dual_mov_b32 v2, s5 :: v_dual_mov_b32 v3, s6
	s_delay_alu instid0(VALU_DEP_3) | instskip(NEXT) | instid1(SALU_CYCLE_1)
	s_and_b32 s2, vcc_lo, s2
	s_and_saveexec_b32 s8, s2
	s_cbranch_execz .LBB79_7
; %bb.2:
	v_dual_mov_b32 v1, s4 :: v_dual_mov_b32 v2, s5
	v_dual_mov_b32 v3, s6 :: v_dual_mov_b32 v4, s7
	s_add_i32 s9, s19, -4
	s_mov_b32 s10, exec_lo
	v_cmpx_ne_u32_e64 s9, v33
	s_cbranch_execz .LBB79_6
; %bb.3:
	v_subrev_nc_u32_e32 v1, s9, v33
	s_mov_b32 s11, 0
	s_mov_b64 s[2:3], 0
	s_mov_b32 s5, s4
	s_mov_b32 s6, s4
	v_cmp_lt_u32_e32 vcc_lo, 1, v1
	s_mov_b32 s7, s4
	v_cndmask_b32_e32 v6, 1, v1, vcc_lo
	.p2align	6
.LBB79_4:                               ; =>This Inner Loop Header: Depth=1
	s_cmp_lg_u32 s2, 3
	s_cselect_b32 s7, s7, 0
	s_cmp_lg_u32 s2, 2
	s_cselect_b32 s6, s6, 0
	;; [unrolled: 2-line block ×4, first 2 shown]
	s_add_u32 s2, s2, 1
	v_dual_mov_b32 v1, s4 :: v_dual_mov_b32 v2, s5
	v_cmp_eq_u32_e32 vcc_lo, s2, v6
	v_dual_mov_b32 v3, s6 :: v_dual_mov_b32 v4, s7
	s_addc_u32 s3, s3, 0
	s_or_b32 s11, vcc_lo, s11
	s_delay_alu instid0(SALU_CYCLE_1)
	s_and_not1_b32 exec_lo, exec_lo, s11
	s_cbranch_execnz .LBB79_4
; %bb.5:
	s_or_b32 exec_lo, exec_lo, s11
	v_mov_b32_e32 v33, s9
.LBB79_6:
	s_or_b32 exec_lo, exec_lo, s10
.LBB79_7:
	s_delay_alu instid0(SALU_CYCLE_1)
	s_or_b32 exec_lo, exec_lo, s8
	s_lshl_b32 s2, s20, 2
	s_abs_i32 s6, s19
	s_abs_i32 s3, s2
	s_mov_b32 s23, 0
	v_cvt_f32_u32_e32 v6, s3
	s_sub_i32 s5, 0, s3
	s_delay_alu instid0(VALU_DEP_1) | instskip(SKIP_2) | instid1(VALU_DEP_1)
	v_rcp_iflag_f32_e32 v6, v6
	s_waitcnt_depctr 0xfff
	v_mul_f32_e32 v6, 0x4f7ffffe, v6
	v_cvt_u32_f32_e32 v6, v6
	s_delay_alu instid0(VALU_DEP_1) | instskip(NEXT) | instid1(VALU_DEP_1)
	v_readfirstlane_b32 s4, v6
	s_mul_i32 s5, s5, s4
	s_delay_alu instid0(SALU_CYCLE_1) | instskip(NEXT) | instid1(SALU_CYCLE_1)
	s_mul_hi_u32 s5, s4, s5
	s_add_i32 s4, s4, s5
	s_ashr_i32 s5, s19, 31
	s_mul_hi_u32 s4, s6, s4
	s_delay_alu instid0(SALU_CYCLE_1) | instskip(NEXT) | instid1(SALU_CYCLE_1)
	s_mul_i32 s4, s4, s3
	s_sub_i32 s4, s6, s4
	s_delay_alu instid0(SALU_CYCLE_1) | instskip(SKIP_2) | instid1(SALU_CYCLE_1)
	s_sub_i32 s6, s4, s3
	s_cmp_ge_u32 s4, s3
	s_cselect_b32 s4, s6, s4
	s_sub_i32 s6, s4, s3
	s_cmp_ge_u32 s4, s3
	s_cselect_b32 s3, s6, s4
	s_add_i32 s2, s2, s19
	s_xor_b32 s3, s3, s5
	s_delay_alu instid0(SALU_CYCLE_1) | instskip(NEXT) | instid1(SALU_CYCLE_1)
	s_sub_i32 s3, s3, s5
	s_sub_i32 s2, s2, s3
	s_cmp_eq_u32 s3, 0
	s_cselect_b32 s22, s19, s2
	s_delay_alu instid0(SALU_CYCLE_1)
	v_cmp_gt_u32_e32 vcc_lo, s22, v33
	s_and_b32 exec_lo, exec_lo, vcc_lo
	s_cbranch_execz .LBB79_62
; %bb.8:
	s_load_b256 s[8:15], s[0:1], 0x10
	s_min_u32 s24, s18, 0x2a00
	s_cmp_lg_u32 s16, 0
	s_mul_i32 s2, s21, s20
	s_cselect_b32 s25, -1, 0
	s_cmp_lg_u32 s18, 0
	s_load_b64 s[6:7], s[0:1], 0x30
	s_cselect_b32 s21, -1, 0
	s_lshl_b32 s26, s20, 8
	s_add_i32 s27, s16, -8
	s_add_i32 s28, s19, -1
	s_lshl_b32 s29, s2, 2
	v_and_b32_e32 v8, 0x3ff, v0
	v_mbcnt_lo_u32_b32 v0, -1, 0
	s_delay_alu instid0(VALU_DEP_2)
	v_dual_mov_b32 v35, 0 :: v_dual_lshlrev_b32 v44, 3, v8
	v_cmp_eq_u32_e64 s0, 31, v8
	v_lshlrev_b32_e32 v8, 4, v8
	s_waitcnt lgkmcnt(0)
	s_cmp_lg_u64 s[14:15], 0
	v_cvt_f32_u32_e32 v7, s8
	s_cselect_b32 s30, -1, 0
	s_abs_i32 s2, s9
	s_add_i32 s9, s19, -4
	v_cvt_f32_u32_e32 v6, s2
	v_rcp_iflag_f32_e32 v7, v7
	s_sub_i32 s3, 0, s2
	s_sub_i32 s4, 0, s8
	;; [unrolled: 1-line block ×3, first 2 shown]
	v_rcp_iflag_f32_e32 v6, v6
	v_lshl_add_u32 v45, v5, 8, v44
	v_lshl_add_u32 v46, v5, 9, v8
	s_delay_alu instid0(VALU_DEP_2) | instskip(SKIP_3) | instid1(VALU_DEP_1)
	v_lshl_add_u32 v47, s18, 1, v45
	v_add_nc_u32_e32 v48, s18, v45
	s_waitcnt_depctr 0xfff
	v_mul_f32_e32 v6, 0x4f7ffffe, v6
	v_cvt_u32_f32_e32 v6, v6
	s_delay_alu instid0(VALU_DEP_1) | instskip(SKIP_1) | instid1(VALU_DEP_2)
	v_readfirstlane_b32 s1, v6
	v_mul_f32_e32 v6, 0x4f7ffffe, v7
	s_mul_i32 s3, s3, s1
	s_delay_alu instid0(VALU_DEP_1) | instskip(SKIP_1) | instid1(SALU_CYCLE_1)
	v_cvt_u32_f32_e32 v6, v6
	s_mul_hi_u32 s3, s1, s3
	s_add_i32 s1, s1, s3
	s_cmp_lt_u32 s2, 2
	s_delay_alu instid0(VALU_DEP_1) | instskip(SKIP_1) | instid1(SALU_CYCLE_1)
	v_mul_lo_u32 v7, s4, v6
	s_cselect_b32 s3, s5, 1
	s_sub_i32 s4, s3, s2
	s_cmp_ge_u32 s3, s2
	s_cselect_b32 s31, s4, s3
	s_lshr_b32 s1, s1, 31
	s_delay_alu instid0(VALU_DEP_1) | instskip(SKIP_3) | instid1(SALU_CYCLE_1)
	v_mul_hi_u32 v7, v6, v7
	s_mul_i32 s1, s1, s2
	s_mul_i32 s31, s31, s8
	s_sub_i32 s1, 2, s1
	s_sub_i32 s3, s1, s2
	s_cmp_ge_u32 s1, s2
	s_cselect_b32 s1, s3, s1
	s_delay_alu instid0(VALU_DEP_1)
	v_add_nc_u32_e32 v49, v6, v7
	s_sub_i32 s3, s1, s2
	s_cmp_ge_u32 s1, s2
	s_cselect_b32 s36, s3, s1
	s_add_u32 s33, s6, 2
	s_addc_u32 s34, s7, 0
	s_lshl_b32 s35, s24, 2
	s_lshl_b32 s20, s20, 9
	s_mul_i32 s36, s36, s8
	s_lshl_b32 s37, s24, 1
	s_branch .LBB79_12
.LBB79_9:                               ;   in Loop: Header=BB79_12 Depth=1
	s_or_b32 exec_lo, exec_lo, s40
	v_mov_b32_e32 v33, s9
.LBB79_10:                              ;   in Loop: Header=BB79_12 Depth=1
	s_or_b32 exec_lo, exec_lo, s39
.LBB79_11:                              ;   in Loop: Header=BB79_12 Depth=1
	s_delay_alu instid0(SALU_CYCLE_1) | instskip(NEXT) | instid1(VALU_DEP_1)
	s_or_b32 exec_lo, exec_lo, s38
	v_cmp_le_u32_e32 vcc_lo, s22, v33
	s_or_b32 s23, vcc_lo, s23
	s_delay_alu instid0(SALU_CYCLE_1)
	s_and_not1_b32 exec_lo, exec_lo, s23
	s_cbranch_execz .LBB79_62
.LBB79_12:                              ; =>This Loop Header: Depth=1
                                        ;     Child Loop BB79_16 Depth 2
                                        ;       Child Loop BB79_21 Depth 3
                                        ;     Child Loop BB79_49 Depth 2
	v_mov_b32_e32 v61, v35
	v_mov_b32_e32 v60, v35
	;; [unrolled: 1-line block ×4, first 2 shown]
	s_waitcnt vmcnt(10)
	v_mov_b32_e32 v50, v35
	v_mov_b32_e32 v51, v35
	;; [unrolled: 1-line block ×8, first 2 shown]
	s_and_not1_b32 vcc_lo, exec_lo, s25
	s_mov_b32 s3, 0
	s_cbranch_vccnz .LBB79_27
; %bb.13:                               ;   in Loop: Header=BB79_12 Depth=1
	v_dual_mov_b32 v59, 0 :: v_dual_add_nc_u32 v6, 2, v33
	v_add_nc_u32_e32 v5, 1, v33
	v_add_nc_u32_e32 v7, 3, v33
	v_min_u32_e32 v8, s28, v33
	s_delay_alu instid0(VALU_DEP_4)
	v_min_u32_e32 v6, s28, v6
	s_waitcnt lgkmcnt(0)
	v_dual_mov_b32 v10, v35 :: v_dual_mov_b32 v57, 0
	v_cmp_gt_u32_e64 s1, s19, v33
	v_mul_lo_u32 v34, v8, s17
	v_mov_b32_e32 v8, v35
	v_min_u32_e32 v9, s28, v7
	v_mul_lo_u32 v7, v6, s17
	v_mov_b32_e32 v6, v35
	v_min_u32_e32 v5, s28, v5
	v_dual_mov_b32 v58, 0 :: v_dual_mov_b32 v53, 0
	v_mul_lo_u32 v9, v9, s17
	s_waitcnt vmcnt(2)
	v_lshlrev_b64 v[36:37], 1, v[34:35]
	v_mul_lo_u32 v5, v5, s17
	v_lshlrev_b64 v[40:41], 1, v[7:8]
	v_dual_mov_b32 v54, 0 :: v_dual_mov_b32 v51, 0
	v_dual_mov_b32 v52, 0 :: v_dual_mov_b32 v55, 0
	v_lshlrev_b64 v[42:43], 1, v[9:10]
	v_dual_mov_b32 v50, 0 :: v_dual_mov_b32 v61, 0
	v_lshlrev_b64 v[38:39], 1, v[5:6]
	v_mov_b32_e32 v56, 0
	v_mov_b32_e32 v60, 0
	s_mov_b32 s4, 0
	s_branch .LBB79_16
.LBB79_14:                              ;   in Loop: Header=BB79_16 Depth=2
	s_or_b32 exec_lo, exec_lo, s5
	s_waitcnt vmcnt(3) lgkmcnt(2)
	;;#ASMSTART
	v_dot2_f32_f16 v61, v29, v21, v61
	;;#ASMEND
	s_waitcnt vmcnt(2)
	;;#ASMSTART
	v_dot2_f32_f16 v60, v29, v13, v60
	;;#ASMEND
	s_waitcnt vmcnt(1)
	;;#ASMSTART
	v_dot2_f32_f16 v56, v29, v9, v56
	;;#ASMEND
	s_waitcnt vmcnt(0)
	;;#ASMSTART
	v_dot2_f32_f16 v55, v29, v5, v55
	;;#ASMEND
	s_waitcnt lgkmcnt(1)
	;;#ASMSTART
	v_dot2_f32_f16 v58, v25, v21, v58
	;;#ASMEND
	;;#ASMSTART
	v_dot2_f32_f16 v59, v25, v13, v59
	;;#ASMEND
	;; [unrolled: 3-line block ×4, first 2 shown]
	s_waitcnt lgkmcnt(0)
	;;#ASMSTART
	v_dot2_f32_f16 v53, v17, v21, v53
	;;#ASMEND
	;;#ASMSTART
	v_dot2_f32_f16 v52, v17, v13, v52
	;;#ASMEND
	;; [unrolled: 3-line block ×40, first 2 shown]
.LBB79_15:                              ;   in Loop: Header=BB79_16 Depth=2
	s_or_b32 exec_lo, exec_lo, s2
	s_addk_i32 s4, 0x100
	s_delay_alu instid0(SALU_CYCLE_1)
	s_cmp_ge_u32 s4, s16
	s_cbranch_scc1 .LBB79_27
.LBB79_16:                              ;   Parent Loop BB79_12 Depth=1
                                        ; =>  This Loop Header: Depth=2
                                        ;       Child Loop BB79_21 Depth 3
	s_cmp_eq_u32 s4, 0
	s_cselect_b32 s5, -1, 0
	s_add_i32 s2, s3, s24
	s_delay_alu instid0(SALU_CYCLE_1) | instskip(SKIP_1) | instid1(SALU_CYCLE_1)
	s_cmp_eq_u32 s4, s2
	s_cselect_b32 s38, -1, 0
	s_or_b32 s38, s5, s38
	s_delay_alu instid0(SALU_CYCLE_1)
	s_and_not1_b32 vcc_lo, exec_lo, s38
	s_cbranch_vccz .LBB79_18
; %bb.17:                               ;   in Loop: Header=BB79_16 Depth=2
	s_and_saveexec_b32 s2, s1
	s_cbranch_execz .LBB79_15
	s_branch .LBB79_25
.LBB79_18:                              ;   in Loop: Header=BB79_16 Depth=2
	s_and_b32 s5, s5, exec_lo
	s_cselect_b32 s3, s3, s2
	s_and_not1_b32 vcc_lo, exec_lo, s21
	s_waitcnt vmcnt(0)
	s_waitcnt_vscnt null, 0x0
	s_barrier
	buffer_gl0_inv
	s_cbranch_vccnz .LBB79_24
; %bb.19:                               ;   in Loop: Header=BB79_16 Depth=2
	v_dual_mov_b32 v8, v46 :: v_dual_add_nc_u32 v5, s3, v47
	v_add_nc_u32_e32 v6, s3, v48
	v_add_nc_u32_e32 v7, s3, v45
	s_mov_b32 s5, 0
	s_mov_b32 s38, 0
                                        ; implicit-def: $sgpr39
	s_branch .LBB79_21
.LBB79_20:                              ;   in Loop: Header=BB79_21 Depth=3
	s_or_b32 exec_lo, exec_lo, s2
	s_delay_alu instid0(SALU_CYCLE_1) | instskip(NEXT) | instid1(SALU_CYCLE_1)
	s_and_b32 s2, exec_lo, s39
	s_or_b32 s5, s2, s5
	s_delay_alu instid0(SALU_CYCLE_1)
	s_and_not1_b32 exec_lo, exec_lo, s5
	s_cbranch_execz .LBB79_23
.LBB79_21:                              ;   Parent Loop BB79_12 Depth=1
                                        ;     Parent Loop BB79_16 Depth=2
                                        ; =>    This Inner Loop Header: Depth=3
	s_delay_alu instid0(VALU_DEP_1) | instskip(SKIP_2) | instid1(VALU_DEP_2)
	v_add_nc_u32_e32 v34, s38, v7
	v_add_nc_u32_e32 v9, s38, v45
	s_or_b32 s39, s39, exec_lo
	v_cmp_gt_u32_e32 vcc_lo, s18, v34
	s_delay_alu instid0(VALU_DEP_2) | instskip(NEXT) | instid1(VALU_DEP_1)
	v_cmp_gt_u32_e64 s2, s24, v9
	s_and_b32 s40, s2, vcc_lo
	s_delay_alu instid0(SALU_CYCLE_1)
	s_and_saveexec_b32 s2, s40
	s_cbranch_execz .LBB79_20
; %bb.22:                               ;   in Loop: Header=BB79_21 Depth=3
	v_lshlrev_b64 v[9:10], 1, v[34:35]
	v_add_nc_u32_e32 v34, s38, v6
	v_add_nc_u32_e32 v21, s37, v8
	v_add_nc_u32_e32 v22, s35, v8
	s_delay_alu instid0(VALU_DEP_3) | instskip(SKIP_3) | instid1(VALU_DEP_3)
	v_lshlrev_b64 v[11:12], 1, v[34:35]
	v_add_nc_u32_e32 v34, s38, v5
	v_add_co_u32 v9, vcc_lo, s12, v9
	v_add_co_ci_u32_e32 v10, vcc_lo, s13, v10, vcc_lo
	v_lshlrev_b64 v[13:14], 1, v[34:35]
	v_add_co_u32 v15, vcc_lo, s12, v11
	v_add_co_ci_u32_e32 v16, vcc_lo, s13, v12, vcc_lo
	s_add_i32 s38, s38, s26
	s_delay_alu instid0(VALU_DEP_3) | instskip(NEXT) | instid1(VALU_DEP_4)
	v_add_co_u32 v17, vcc_lo, s12, v13
	v_add_co_ci_u32_e32 v18, vcc_lo, s13, v14, vcc_lo
	s_clause 0x2
	global_load_b128 v[9:12], v[9:10], off
	global_load_b128 v[13:16], v[15:16], off
	;; [unrolled: 1-line block ×3, first 2 shown]
	s_cmp_ge_u32 s38, s24
	s_cselect_b32 s40, -1, 0
	s_and_not1_b32 s39, s39, exec_lo
	s_and_b32 s40, s40, exec_lo
	s_delay_alu instid0(SALU_CYCLE_1)
	s_or_b32 s39, s39, s40
	s_waitcnt vmcnt(2)
	ds_store_b128 v8, v[9:12]
	v_add_nc_u32_e32 v8, s20, v8
	s_waitcnt vmcnt(1)
	ds_store_2addr_b64 v21, v[13:14], v[15:16] offset1:1
	s_waitcnt vmcnt(0)
	ds_store_2addr_b32 v22, v17, v18 offset1:1
	ds_store_2addr_b32 v22, v19, v20 offset0:2 offset1:3
	s_branch .LBB79_20
.LBB79_23:                              ;   in Loop: Header=BB79_16 Depth=2
	s_or_b32 exec_lo, exec_lo, s5
.LBB79_24:                              ;   in Loop: Header=BB79_16 Depth=2
	s_waitcnt lgkmcnt(0)
	s_barrier
	buffer_gl0_inv
	s_and_saveexec_b32 s2, s1
	s_cbranch_execz .LBB79_15
.LBB79_25:                              ;   in Loop: Header=BB79_16 Depth=2
	v_dual_mov_b32 v29, 0 :: v_dual_add_nc_u32 v62, s4, v44
	s_waitcnt vmcnt(0)
	v_dual_mov_b32 v30, 0 :: v_dual_mov_b32 v31, 0
	v_dual_mov_b32 v32, 0 :: v_dual_mov_b32 v25, 0
	s_delay_alu instid0(VALU_DEP_3) | instskip(SKIP_3) | instid1(VALU_DEP_4)
	v_min_u32_e32 v34, s27, v62
	v_dual_mov_b32 v26, 0 :: v_dual_mov_b32 v27, 0
	v_mov_b32_e32 v28, 0
	v_mov_b32_e32 v20, 0
	v_lshlrev_b64 v[5:6], 1, v[34:35]
	s_mov_b32 s5, exec_lo
	v_mov_b32_e32 v19, 0
	s_delay_alu instid0(VALU_DEP_2) | instskip(NEXT) | instid1(VALU_DEP_3)
	v_add_co_u32 v11, vcc_lo, s10, v5
	v_add_co_ci_u32_e32 v12, vcc_lo, s11, v6, vcc_lo
	s_delay_alu instid0(VALU_DEP_2) | instskip(NEXT) | instid1(VALU_DEP_2)
	v_add_co_u32 v5, vcc_lo, v11, v36
	v_add_co_ci_u32_e32 v6, vcc_lo, v12, v37, vcc_lo
	v_add_co_u32 v7, vcc_lo, v11, v38
	v_add_co_ci_u32_e32 v8, vcc_lo, v12, v39, vcc_lo
	;; [unrolled: 2-line block ×4, first 2 shown]
	s_clause 0x3
	global_load_b128 v[21:24], v[5:6], off slc dlc
	global_load_b128 v[13:16], v[7:8], off slc dlc
	;; [unrolled: 1-line block ×4, first 2 shown]
	v_dual_mov_b32 v17, 0 :: v_dual_mov_b32 v18, 0
	v_cmpx_gt_u32_e64 s16, v62
	s_cbranch_execz .LBB79_14
; %bb.26:                               ;   in Loop: Header=BB79_16 Depth=2
	v_subrev_nc_u32_e32 v17, s3, v62
	s_delay_alu instid0(VALU_DEP_1) | instskip(NEXT) | instid1(VALU_DEP_1)
	v_lshlrev_b32_e32 v17, 1, v17
	v_add_nc_u32_e32 v18, s37, v17
	s_delay_alu instid0(VALU_DEP_1)
	v_add_nc_u32_e32 v19, s37, v18
	ds_load_b128 v[29:32], v17
	ds_load_b128 v[25:28], v18
	ds_load_b128 v[17:20], v19
	s_branch .LBB79_14
.LBB79_27:                              ;   in Loop: Header=BB79_12 Depth=1
	s_mov_b32 s1, exec_lo
	v_cmpx_le_u32_e64 s19, v33
	s_xor_b32 s1, exec_lo, s1
; %bb.28:                               ;   in Loop: Header=BB79_12 Depth=1
	v_add_nc_u32_e32 v33, s29, v33
                                        ; implicit-def: $vgpr61
                                        ; implicit-def: $vgpr60
                                        ; implicit-def: $vgpr56
                                        ; implicit-def: $vgpr55
                                        ; implicit-def: $vgpr50
                                        ; implicit-def: $vgpr51
                                        ; implicit-def: $vgpr52
                                        ; implicit-def: $vgpr53
                                        ; implicit-def: $vgpr54
                                        ; implicit-def: $vgpr57
                                        ; implicit-def: $vgpr59
                                        ; implicit-def: $vgpr58
; %bb.29:                               ;   in Loop: Header=BB79_12 Depth=1
	s_and_not1_saveexec_b32 s38, s1
	s_cbranch_execz .LBB79_11
; %bb.30:                               ;   in Loop: Header=BB79_12 Depth=1
	v_cvt_i32_f32_e32 v5, v61
	v_cvt_i32_f32_e32 v6, v60
	v_xor_b32_e32 v7, 16, v0
	v_cvt_i32_f32_e32 v8, v56
	v_cvt_i32_f32_e32 v9, v55
	v_cvt_f32_i32_dpp v5, v5 row_shr:8 row_mask:0xf bank_mask:0xf bound_ctrl:1
	v_cvt_f32_i32_dpp v6, v6 row_shr:8 row_mask:0xf bank_mask:0xf bound_ctrl:1
	v_cmp_gt_i32_e32 vcc_lo, 32, v7
	v_cvt_f32_i32_dpp v8, v8 row_shr:8 row_mask:0xf bank_mask:0xf bound_ctrl:1
	v_cvt_f32_i32_dpp v9, v9 row_shr:8 row_mask:0xf bank_mask:0xf bound_ctrl:1
	s_delay_alu instid0(VALU_DEP_4)
	v_dual_add_f32 v5, v61, v5 :: v_dual_add_f32 v6, v60, v6
	s_waitcnt lgkmcnt(0)
	v_cvt_i32_f32_e32 v10, v58
	v_cvt_i32_f32_e32 v12, v57
	;; [unrolled: 1-line block ×5, first 2 shown]
	v_cvt_f32_i32_dpp v10, v10 row_shr:8 row_mask:0xf bank_mask:0xf bound_ctrl:1
	v_cvt_f32_i32_dpp v12, v12 row_shr:8 row_mask:0xf bank_mask:0xf bound_ctrl:1
	;; [unrolled: 1-line block ×5, first 2 shown]
	s_delay_alu instid0(VALU_DEP_4) | instskip(SKIP_1) | instid1(VALU_DEP_1)
	v_dual_cndmask_b32 v7, v0, v7 :: v_dual_add_f32 v12, v57, v12
	s_waitcnt vmcnt(0)
	v_dual_add_f32 v6, v6, v14 :: v_dual_lshlrev_b32 v31, 2, v7
	v_dual_add_f32 v7, v56, v8 :: v_dual_add_f32 v8, v55, v9
	v_add_f32_e32 v5, v5, v13
	s_delay_alu instid0(VALU_DEP_3) | instskip(SKIP_1) | instid1(VALU_DEP_4)
	v_cvt_i32_f32_e32 v13, v6
	v_add_f32_e32 v9, v58, v10
	v_cvt_i32_f32_e32 v15, v8
	s_delay_alu instid0(VALU_DEP_3) | instskip(NEXT) | instid1(VALU_DEP_3)
	v_cvt_f32_i32_dpp v13, v13 row_shr:2 row_mask:0xf bank_mask:0xf bound_ctrl:1
	v_cvt_i32_f32_e32 v16, v9
	s_delay_alu instid0(VALU_DEP_2) | instskip(SKIP_1) | instid1(VALU_DEP_3)
	v_add_f32_e32 v6, v6, v13
	v_cvt_i32_f32_e32 v14, v7
	v_cvt_f32_i32_dpp v16, v16 row_shr:4 row_mask:0xf bank_mask:0xf bound_ctrl:1
	s_delay_alu instid0(VALU_DEP_3) | instskip(NEXT) | instid1(VALU_DEP_3)
	v_cvt_i32_f32_e32 v18, v6
	v_cvt_f32_i32_dpp v13, v14 row_shr:4 row_mask:0xf bank_mask:0xf bound_ctrl:1
	v_cvt_f32_i32_dpp v14, v15 row_shr:4 row_mask:0xf bank_mask:0xf bound_ctrl:1
	s_delay_alu instid0(VALU_DEP_3) | instskip(NEXT) | instid1(VALU_DEP_2)
	v_cvt_f32_i32_dpp v18, v18 row_shr:1 row_mask:0xf bank_mask:0xf bound_ctrl:1
	v_dual_add_f32 v13, v7, v13 :: v_dual_add_f32 v8, v8, v14
	v_cvt_i32_f32_e32 v10, v5
	s_delay_alu instid0(VALU_DEP_3) | instskip(NEXT) | instid1(VALU_DEP_2)
	v_add_f32_e32 v7, v6, v18
	v_cvt_f32_i32_dpp v10, v10 row_shr:2 row_mask:0xf bank_mask:0xf bound_ctrl:1
	s_delay_alu instid0(VALU_DEP_1) | instskip(SKIP_1) | instid1(VALU_DEP_2)
	v_add_f32_e32 v5, v5, v10
	v_cvt_i32_f32_e32 v10, v12
	v_cvt_i32_f32_e32 v15, v5
	s_delay_alu instid0(VALU_DEP_2) | instskip(SKIP_1) | instid1(VALU_DEP_3)
	v_cvt_f32_i32_dpp v10, v10 row_shr:4 row_mask:0xf bank_mask:0xf bound_ctrl:1
	v_add_f32_e32 v11, v59, v11
	v_cvt_f32_i32_dpp v15, v15 row_shr:1 row_mask:0xf bank_mask:0xf bound_ctrl:1
	s_delay_alu instid0(VALU_DEP_3) | instskip(NEXT) | instid1(VALU_DEP_3)
	v_add_f32_e32 v6, v12, v10
	v_cvt_i32_f32_e32 v17, v11
	s_delay_alu instid0(VALU_DEP_3) | instskip(NEXT) | instid1(VALU_DEP_3)
	v_add_f32_e32 v29, v5, v15
	v_cvt_i32_f32_e32 v15, v6
	s_delay_alu instid0(VALU_DEP_3) | instskip(NEXT) | instid1(VALU_DEP_2)
	v_cvt_f32_i32_dpp v17, v17 row_shr:4 row_mask:0xf bank_mask:0xf bound_ctrl:1
	v_cvt_f32_i32_dpp v15, v15 row_shr:2 row_mask:0xf bank_mask:0xf bound_ctrl:1
	s_delay_alu instid0(VALU_DEP_1) | instskip(SKIP_1) | instid1(VALU_DEP_2)
	v_add_f32_e32 v6, v6, v15
	v_cvt_i32_f32_e32 v10, v13
	v_cvt_i32_f32_e32 v15, v6
	s_delay_alu instid0(VALU_DEP_2) | instskip(SKIP_2) | instid1(VALU_DEP_4)
	v_cvt_f32_i32_dpp v10, v10 row_shr:2 row_mask:0xf bank_mask:0xf bound_ctrl:1
	v_add_f32_e32 v5, v11, v17
	v_cvt_i32_f32_e32 v11, v8
	v_cvt_f32_i32_dpp v15, v15 row_shr:1 row_mask:0xf bank_mask:0xf bound_ctrl:1
	s_delay_alu instid0(VALU_DEP_4) | instskip(NEXT) | instid1(VALU_DEP_4)
	v_add_f32_e32 v10, v13, v10
	v_cvt_i32_f32_e32 v14, v5
	s_delay_alu instid0(VALU_DEP_4) | instskip(NEXT) | instid1(VALU_DEP_2)
	v_cvt_f32_i32_dpp v11, v11 row_shr:2 row_mask:0xf bank_mask:0xf bound_ctrl:1
	v_cvt_f32_i32_dpp v14, v14 row_shr:2 row_mask:0xf bank_mask:0xf bound_ctrl:1
	s_delay_alu instid0(VALU_DEP_2) | instskip(SKIP_1) | instid1(VALU_DEP_1)
	v_add_f32_e32 v8, v8, v11
	v_cvt_i32_f32_e32 v11, v10
	v_cvt_f32_i32_dpp v11, v11 row_shr:1 row_mask:0xf bank_mask:0xf bound_ctrl:1
	s_delay_alu instid0(VALU_DEP_1) | instskip(SKIP_1) | instid1(VALU_DEP_1)
	v_add_f32_e32 v25, v10, v11
	v_cvt_i32_f32_e32 v10, v51
	v_cvt_f32_i32_dpp v10, v10 row_shr:8 row_mask:0xf bank_mask:0xf bound_ctrl:1
	s_delay_alu instid0(VALU_DEP_1) | instskip(NEXT) | instid1(VALU_DEP_1)
	v_dual_add_f32 v9, v9, v16 :: v_dual_add_f32 v10, v51, v10
	v_cvt_i32_f32_e32 v12, v9
	s_delay_alu instid0(VALU_DEP_2) | instskip(NEXT) | instid1(VALU_DEP_2)
	v_cvt_i32_f32_e32 v20, v10
	v_cvt_f32_i32_dpp v12, v12 row_shr:2 row_mask:0xf bank_mask:0xf bound_ctrl:1
	s_delay_alu instid0(VALU_DEP_2) | instskip(NEXT) | instid1(VALU_DEP_2)
	v_cvt_f32_i32_dpp v20, v20 row_shr:4 row_mask:0xf bank_mask:0xf bound_ctrl:1
	v_add_f32_e32 v9, v9, v12
	v_cvt_i32_f32_e32 v12, v8
	s_delay_alu instid0(VALU_DEP_3) | instskip(NEXT) | instid1(VALU_DEP_3)
	v_add_f32_e32 v10, v10, v20
	v_cvt_i32_f32_e32 v13, v9
	s_delay_alu instid0(VALU_DEP_3) | instskip(NEXT) | instid1(VALU_DEP_3)
	v_cvt_f32_i32_dpp v12, v12 row_shr:1 row_mask:0xf bank_mask:0xf bound_ctrl:1
	v_cvt_i32_f32_e32 v20, v10
	s_delay_alu instid0(VALU_DEP_3) | instskip(NEXT) | instid1(VALU_DEP_2)
	v_cvt_f32_i32_dpp v13, v13 row_shr:1 row_mask:0xf bank_mask:0xf bound_ctrl:1
	v_cvt_f32_i32_dpp v20, v20 row_shr:2 row_mask:0xf bank_mask:0xf bound_ctrl:1
	s_delay_alu instid0(VALU_DEP_2)
	v_dual_add_f32 v16, v9, v13 :: v_dual_add_f32 v9, v6, v15
	v_cvt_i32_f32_e32 v6, v53
	ds_bpermute_b32 v24, v31, v7
	v_add_f32_e32 v10, v10, v20
	ds_bpermute_b32 v18, v31, v16
	v_cvt_f32_i32_dpp v6, v6 row_shr:8 row_mask:0xf bank_mask:0xf bound_ctrl:1
	v_cvt_i32_f32_e32 v20, v10
	s_delay_alu instid0(VALU_DEP_2) | instskip(SKIP_3) | instid1(VALU_DEP_1)
	v_add_f32_e32 v6, v53, v6
	ds_bpermute_b32 v27, v31, v25
	v_cvt_f32_i32_dpp v28, v20 row_shr:1 row_mask:0xf bank_mask:0xf bound_ctrl:1
	v_cvt_i32_f32_e32 v17, v6
	v_cvt_f32_i32_dpp v17, v17 row_shr:4 row_mask:0xf bank_mask:0xf bound_ctrl:1
	s_delay_alu instid0(VALU_DEP_1) | instskip(NEXT) | instid1(VALU_DEP_1)
	v_add_f32_e32 v6, v6, v17
	v_cvt_i32_f32_e32 v17, v6
	s_delay_alu instid0(VALU_DEP_1) | instskip(SKIP_3) | instid1(VALU_DEP_4)
	v_cvt_f32_i32_dpp v17, v17 row_shr:2 row_mask:0xf bank_mask:0xf bound_ctrl:1
	v_add_f32_e32 v21, v8, v12
	v_cvt_i32_f32_e32 v8, v52
	v_cvt_i32_f32_e32 v12, v50
	v_add_f32_e32 v6, v6, v17
	ds_bpermute_b32 v23, v31, v21
	v_cvt_f32_i32_dpp v8, v8 row_shr:8 row_mask:0xf bank_mask:0xf bound_ctrl:1
	v_cvt_f32_i32_dpp v12, v12 row_shr:8 row_mask:0xf bank_mask:0xf bound_ctrl:1
	v_add_f32_e32 v5, v5, v14
	v_cvt_i32_f32_e32 v17, v6
	s_delay_alu instid0(VALU_DEP_4) | instskip(NEXT) | instid1(VALU_DEP_4)
	v_add_f32_e32 v8, v52, v8
	v_add_f32_e32 v12, v50, v12
	s_delay_alu instid0(VALU_DEP_4) | instskip(NEXT) | instid1(VALU_DEP_4)
	v_cvt_i32_f32_e32 v14, v5
	v_cvt_f32_i32_dpp v17, v17 row_shr:1 row_mask:0xf bank_mask:0xf bound_ctrl:1
	ds_bpermute_b32 v30, v31, v29
	v_cvt_i32_f32_e32 v19, v8
	v_cvt_i32_f32_e32 v22, v12
	v_cvt_f32_i32_dpp v14, v14 row_shr:1 row_mask:0xf bank_mask:0xf bound_ctrl:1
	v_add_f32_e32 v20, v6, v17
	s_delay_alu instid0(VALU_DEP_4) | instskip(NEXT) | instid1(VALU_DEP_4)
	v_cvt_f32_i32_dpp v19, v19 row_shr:4 row_mask:0xf bank_mask:0xf bound_ctrl:1
	v_cvt_f32_i32_dpp v22, v22 row_shr:4 row_mask:0xf bank_mask:0xf bound_ctrl:1
	s_delay_alu instid0(VALU_DEP_4) | instskip(SKIP_1) | instid1(VALU_DEP_4)
	v_add_f32_e32 v13, v5, v14
	v_cvt_i32_f32_e32 v5, v54
	v_add_f32_e32 v8, v8, v19
	s_delay_alu instid0(VALU_DEP_4)
	v_add_f32_e32 v12, v12, v22
	ds_bpermute_b32 v15, v31, v13
	v_cvt_f32_i32_dpp v5, v5 row_shr:8 row_mask:0xf bank_mask:0xf bound_ctrl:1
	ds_bpermute_b32 v11, v31, v9
	v_cvt_i32_f32_e32 v19, v8
	v_cvt_i32_f32_e32 v22, v12
	s_delay_alu instid0(VALU_DEP_2) | instskip(SKIP_1) | instid1(VALU_DEP_3)
	v_cvt_f32_i32_dpp v19, v19 row_shr:2 row_mask:0xf bank_mask:0xf bound_ctrl:1
	v_add_f32_e32 v5, v54, v5
	v_cvt_f32_i32_dpp v22, v22 row_shr:2 row_mask:0xf bank_mask:0xf bound_ctrl:1
	s_delay_alu instid0(VALU_DEP_3) | instskip(NEXT) | instid1(VALU_DEP_3)
	v_add_f32_e32 v8, v8, v19
	v_cvt_i32_f32_e32 v14, v5
	s_delay_alu instid0(VALU_DEP_2) | instskip(NEXT) | instid1(VALU_DEP_2)
	v_cvt_i32_f32_e32 v19, v8
	v_cvt_f32_i32_dpp v14, v14 row_shr:4 row_mask:0xf bank_mask:0xf bound_ctrl:1
	s_delay_alu instid0(VALU_DEP_2) | instskip(NEXT) | instid1(VALU_DEP_2)
	v_cvt_f32_i32_dpp v19, v19 row_shr:1 row_mask:0xf bank_mask:0xf bound_ctrl:1
	v_add_f32_e32 v5, v5, v14
	s_delay_alu instid0(VALU_DEP_2) | instskip(NEXT) | instid1(VALU_DEP_2)
	v_add_f32_e32 v17, v8, v19
	v_cvt_i32_f32_e32 v14, v5
	ds_bpermute_b32 v19, v31, v17
	v_cvt_f32_i32_dpp v14, v14 row_shr:2 row_mask:0xf bank_mask:0xf bound_ctrl:1
	s_delay_alu instid0(VALU_DEP_1) | instskip(SKIP_1) | instid1(VALU_DEP_2)
	v_add_f32_e32 v5, v5, v14
	v_add_f32_e32 v14, v12, v22
	v_cvt_i32_f32_e32 v12, v5
	s_delay_alu instid0(VALU_DEP_2) | instskip(NEXT) | instid1(VALU_DEP_2)
	v_cvt_i32_f32_e32 v22, v14
	v_cvt_f32_i32_dpp v12, v12 row_shr:1 row_mask:0xf bank_mask:0xf bound_ctrl:1
	s_delay_alu instid0(VALU_DEP_2) | instskip(NEXT) | instid1(VALU_DEP_2)
	v_cvt_f32_i32_dpp v22, v22 row_shr:1 row_mask:0xf bank_mask:0xf bound_ctrl:1
	v_add_f32_e32 v26, v5, v12
	v_add_f32_e32 v12, v10, v28
	s_delay_alu instid0(VALU_DEP_3)
	v_add_f32_e32 v8, v14, v22
	ds_bpermute_b32 v22, v31, v20
	ds_bpermute_b32 v28, v31, v26
	;; [unrolled: 1-line block ×4, first 2 shown]
	s_and_saveexec_b32 s5, s0
	s_cbranch_execz .LBB79_46
; %bb.31:                               ;   in Loop: Header=BB79_12 Depth=1
	v_dual_mov_b32 v34, 0 :: v_dual_add_nc_u32 v5, 3, v33
	v_dual_mov_b32 v43, 0 :: v_dual_add_nc_u32 v6, 2, v33
	v_dual_mov_b32 v50, 0 :: v_dual_mov_b32 v41, 0
	v_dual_mov_b32 v42, 0 :: v_dual_mov_b32 v39, 0
	;; [unrolled: 1-line block ×4, first 2 shown]
	v_mov_b32_e32 v36, 0
	v_mov_b32_e32 v32, 0
	s_and_not1_b32 vcc_lo, exec_lo, s30
	s_cbranch_vccnz .LBB79_33
; %bb.32:                               ;   in Loop: Header=BB79_12 Depth=1
	v_mul_hi_u32 v31, v33, v49
	v_add_nc_u32_e32 v34, 1, v33
	v_mul_hi_u32 v32, v6, v49
	v_mul_hi_u32 v36, v5, v49
	v_mov_b32_e32 v57, v35
	v_mov_b32_e32 v61, v35
	v_mul_hi_u32 v37, v34, v49
	v_mul_lo_u32 v31, v31, s8
	v_mul_lo_u32 v38, v32, s8
	;; [unrolled: 1-line block ×3, first 2 shown]
	s_delay_alu instid0(VALU_DEP_4) | instskip(SKIP_4) | instid1(VALU_DEP_3)
	v_mul_lo_u32 v40, v37, s8
	v_mov_b32_e32 v37, v35
	v_sub_nc_u32_e32 v31, v33, v31
	v_sub_nc_u32_e32 v38, v6, v38
	;; [unrolled: 1-line block ×3, first 2 shown]
	v_subrev_nc_u32_e32 v41, s8, v31
	v_cmp_le_u32_e32 vcc_lo, s8, v31
	v_sub_nc_u32_e32 v34, v34, v40
	v_subrev_nc_u32_e32 v40, s8, v38
	v_subrev_nc_u32_e32 v42, s8, v36
	v_cndmask_b32_e32 v31, v31, v41, vcc_lo
	v_cmp_le_u32_e32 vcc_lo, s8, v38
	v_mov_b32_e32 v39, v35
	v_subrev_nc_u32_e32 v41, s8, v34
	v_cndmask_b32_e32 v38, v38, v40, vcc_lo
	v_cmp_le_u32_e32 vcc_lo, s8, v36
	v_cndmask_b32_e32 v40, v36, v42, vcc_lo
	v_cmp_le_u32_e32 vcc_lo, s8, v34
	v_mov_b32_e32 v32, v35
	v_subrev_nc_u32_e32 v36, s8, v31
	v_subrev_nc_u32_e32 v42, s8, v38
	;; [unrolled: 1-line block ×3, first 2 shown]
	v_cndmask_b32_e32 v41, v34, v41, vcc_lo
	v_cmp_le_u32_e32 vcc_lo, s8, v31
	v_cndmask_b32_e32 v34, v31, v36, vcc_lo
	v_cmp_le_u32_e32 vcc_lo, s8, v38
	s_delay_alu instid0(VALU_DEP_4) | instskip(SKIP_4) | instid1(VALU_DEP_4)
	v_subrev_nc_u32_e32 v31, s8, v41
	v_cndmask_b32_e32 v36, v38, v42, vcc_lo
	v_cmp_le_u32_e32 vcc_lo, s8, v40
	v_cndmask_b32_e32 v38, v40, v43, vcc_lo
	v_cmp_le_u32_e32 vcc_lo, s8, v41
	v_lshlrev_b64 v[42:43], 1, v[36:37]
	s_delay_alu instid0(VALU_DEP_3)
	v_lshlrev_b64 v[50:51], 1, v[38:39]
	v_cndmask_b32_e32 v31, v41, v31, vcc_lo
	v_add_nc_u32_e32 v39, s31, v34
	v_lshlrev_b64 v[40:41], 1, v[34:35]
	v_add_nc_u32_e32 v60, s31, v38
	v_add_nc_u32_e32 v34, s36, v34
	v_lshlrev_b64 v[52:53], 1, v[31:32]
	v_add_nc_u32_e32 v56, s31, v31
	v_add_co_u32 v54, vcc_lo, s14, v40
	v_add_co_ci_u32_e32 v55, vcc_lo, s15, v41, vcc_lo
	s_delay_alu instid0(VALU_DEP_4) | instskip(SKIP_4) | instid1(VALU_DEP_4)
	v_add_co_u32 v52, vcc_lo, s14, v52
	v_mov_b32_e32 v40, v35
	v_add_co_ci_u32_e32 v53, vcc_lo, s15, v53, vcc_lo
	v_add_co_u32 v41, vcc_lo, s14, v42
	v_add_co_ci_u32_e32 v42, vcc_lo, s15, v43, vcc_lo
	v_lshlrev_b64 v[39:40], 1, v[39:40]
	v_add_co_u32 v58, vcc_lo, s14, v50
	v_add_co_ci_u32_e32 v59, vcc_lo, s15, v51, vcc_lo
	v_lshlrev_b64 v[50:51], 1, v[56:57]
	v_add_nc_u32_e32 v56, s31, v36
	v_add_co_u32 v39, vcc_lo, s14, v39
	v_add_co_ci_u32_e32 v40, vcc_lo, s15, v40, vcc_lo
	s_delay_alu instid0(VALU_DEP_3) | instskip(SKIP_3) | instid1(VALU_DEP_4)
	v_lshlrev_b64 v[56:57], 1, v[56:57]
	v_add_co_u32 v62, vcc_lo, s14, v50
	v_add_co_ci_u32_e32 v63, vcc_lo, s15, v51, vcc_lo
	v_lshlrev_b64 v[50:51], 1, v[60:61]
	v_add_co_u32 v56, vcc_lo, s14, v56
	v_lshlrev_b64 v[60:61], 1, v[34:35]
	v_add_nc_u32_e32 v34, s36, v31
	v_add_co_ci_u32_e32 v57, vcc_lo, s15, v57, vcc_lo
	v_add_co_u32 v31, vcc_lo, s14, v50
	v_add_co_ci_u32_e32 v32, vcc_lo, s15, v51, vcc_lo
	s_delay_alu instid0(VALU_DEP_4) | instskip(SKIP_3) | instid1(VALU_DEP_3)
	v_lshlrev_b64 v[50:51], 1, v[34:35]
	v_add_nc_u32_e32 v34, s36, v36
	v_add_co_u32 v36, vcc_lo, s14, v60
	v_add_co_ci_u32_e32 v37, vcc_lo, s15, v61, vcc_lo
	v_lshlrev_b64 v[60:61], 1, v[34:35]
	v_add_nc_u32_e32 v34, s36, v38
	v_add_co_u32 v64, vcc_lo, s14, v50
	v_add_co_ci_u32_e32 v65, vcc_lo, s15, v51, vcc_lo
	s_delay_alu instid0(VALU_DEP_3) | instskip(SKIP_2) | instid1(VALU_DEP_3)
	v_lshlrev_b64 v[50:51], 1, v[34:35]
	v_add_co_u32 v60, vcc_lo, s14, v60
	v_add_co_ci_u32_e32 v61, vcc_lo, s15, v61, vcc_lo
	v_add_co_u32 v66, vcc_lo, s14, v50
	s_delay_alu instid0(VALU_DEP_4)
	v_add_co_ci_u32_e32 v67, vcc_lo, s15, v51, vcc_lo
	s_clause 0xb
	global_load_u16 v34, v[54:55], off
	global_load_u16 v50, v[52:53], off
	;; [unrolled: 1-line block ×12, first 2 shown]
.LBB79_33:                              ;   in Loop: Header=BB79_12 Depth=1
	v_cmp_ne_u32_e32 vcc_lo, 0, v1
	s_and_saveexec_b32 s2, vcc_lo
	s_cbranch_execnz .LBB79_51
; %bb.34:                               ;   in Loop: Header=BB79_12 Depth=1
	s_or_b32 exec_lo, exec_lo, s2
	v_cmp_ne_u32_e64 s1, 0, v2
	s_delay_alu instid0(VALU_DEP_1)
	s_and_saveexec_b32 s3, s1
	s_cbranch_execnz .LBB79_52
.LBB79_35:                              ;   in Loop: Header=BB79_12 Depth=1
	s_or_b32 exec_lo, exec_lo, s3
	v_cmp_ne_u32_e64 s2, 0, v3
	s_delay_alu instid0(VALU_DEP_1)
	s_and_saveexec_b32 s4, s2
	s_cbranch_execnz .LBB79_53
.LBB79_36:                              ;   in Loop: Header=BB79_12 Depth=1
	s_or_b32 exec_lo, exec_lo, s4
	v_cmp_ne_u32_e64 s3, 0, v4
	s_delay_alu instid0(VALU_DEP_1)
	s_and_saveexec_b32 s39, s3
	s_cbranch_execnz .LBB79_54
.LBB79_37:                              ;   in Loop: Header=BB79_12 Depth=1
	s_or_b32 exec_lo, exec_lo, s39
	s_waitcnt vmcnt(11)
	v_add_nc_u32_e32 v34, s19, v33
	s_and_saveexec_b32 s39, vcc_lo
	s_cbranch_execnz .LBB79_55
.LBB79_38:                              ;   in Loop: Header=BB79_12 Depth=1
	s_or_b32 exec_lo, exec_lo, s39
	s_and_saveexec_b32 s39, s1
	s_cbranch_execnz .LBB79_56
.LBB79_39:                              ;   in Loop: Header=BB79_12 Depth=1
	s_or_b32 exec_lo, exec_lo, s39
	s_and_saveexec_b32 s39, s2
	s_cbranch_execnz .LBB79_57
.LBB79_40:                              ;   in Loop: Header=BB79_12 Depth=1
	s_or_b32 exec_lo, exec_lo, s39
	s_and_saveexec_b32 s39, s3
	s_cbranch_execnz .LBB79_58
.LBB79_41:                              ;   in Loop: Header=BB79_12 Depth=1
	s_or_b32 exec_lo, exec_lo, s39
	v_add_nc_u32_e32 v34, s19, v34
	s_and_saveexec_b32 s4, vcc_lo
	s_cbranch_execnz .LBB79_59
.LBB79_42:                              ;   in Loop: Header=BB79_12 Depth=1
	s_or_b32 exec_lo, exec_lo, s4
	s_and_saveexec_b32 s4, s1
	s_cbranch_execnz .LBB79_60
.LBB79_43:                              ;   in Loop: Header=BB79_12 Depth=1
	s_or_b32 exec_lo, exec_lo, s4
	s_and_saveexec_b32 s1, s2
	s_cbranch_execnz .LBB79_61
.LBB79_44:                              ;   in Loop: Header=BB79_12 Depth=1
	s_or_b32 exec_lo, exec_lo, s1
	s_delay_alu instid0(SALU_CYCLE_1)
	s_and_b32 exec_lo, exec_lo, s3
	s_cbranch_execz .LBB79_46
.LBB79_45:                              ;   in Loop: Header=BB79_12 Depth=1
	s_waitcnt lgkmcnt(0)
	v_add_f32_e32 v5, v8, v10
	s_waitcnt vmcnt(0)
	v_cvt_f32_f16_e32 v6, v31
	v_add_nc_u32_e32 v34, 3, v34
	s_delay_alu instid0(VALU_DEP_2) | instskip(NEXT) | instid1(VALU_DEP_2)
	v_add_f32_e32 v7, v5, v6
	v_lshlrev_b64 v[5:6], 1, v[34:35]
	s_delay_alu instid0(VALU_DEP_2) | instskip(NEXT) | instid1(VALU_DEP_2)
	v_cvt_f16_f32_e32 v7, v7
	v_add_co_u32 v5, vcc_lo, s6, v5
	s_delay_alu instid0(VALU_DEP_3)
	v_add_co_ci_u32_e32 v6, vcc_lo, s7, v6, vcc_lo
	global_store_b16 v[5:6], v7, off
.LBB79_46:                              ;   in Loop: Header=BB79_12 Depth=1
	s_or_b32 exec_lo, exec_lo, s5
	v_add_nc_u32_e32 v33, s29, v33
	s_delay_alu instid0(VALU_DEP_1) | instskip(SKIP_1) | instid1(VALU_DEP_2)
	v_add_nc_u32_e32 v5, 4, v33
	v_cmp_gt_u32_e32 vcc_lo, s19, v33
	v_cmp_le_u32_e64 s1, s19, v5
	s_delay_alu instid0(VALU_DEP_1) | instskip(NEXT) | instid1(SALU_CYCLE_1)
	s_and_b32 s1, vcc_lo, s1
	s_and_saveexec_b32 s39, s1
	s_cbranch_execz .LBB79_10
; %bb.47:                               ;   in Loop: Header=BB79_12 Depth=1
	s_mov_b32 s40, exec_lo
	v_cmpx_ne_u32_e64 s9, v33
	s_cbranch_execz .LBB79_9
; %bb.48:                               ;   in Loop: Header=BB79_12 Depth=1
	v_subrev_nc_u32_e32 v5, s9, v33
	s_mov_b32 s41, 0
	s_mov_b64 s[4:5], 0
	s_delay_alu instid0(VALU_DEP_1)
	v_cmp_lt_u32_e32 vcc_lo, 1, v5
	v_cndmask_b32_e32 v5, 1, v5, vcc_lo
	.p2align	6
.LBB79_49:                              ;   Parent Loop BB79_12 Depth=1
                                        ; =>  This Inner Loop Header: Depth=2
	s_cmp_lg_u32 s4, 3
	s_cselect_b32 vcc_lo, -1, 0
	s_cmp_lg_u32 s4, 2
	v_cndmask_b32_e32 v4, 0, v4, vcc_lo
	s_cselect_b32 s1, -1, 0
	s_cmp_lg_u32 s4, 1
	v_cndmask_b32_e64 v3, 0, v3, s1
	s_cselect_b32 s2, -1, 0
	s_cmp_lg_u32 s4, 0
	v_cndmask_b32_e64 v2, 0, v2, s2
	s_cselect_b32 s3, -1, 0
	s_add_u32 s4, s4, 1
	v_cndmask_b32_e64 v1, 0, v1, s3
	v_cmp_eq_u32_e32 vcc_lo, s4, v5
	s_addc_u32 s5, s5, 0
	s_or_b32 s41, vcc_lo, s41
	s_delay_alu instid0(SALU_CYCLE_1)
	s_and_not1_b32 exec_lo, exec_lo, s41
	s_cbranch_execnz .LBB79_49
; %bb.50:                               ;   in Loop: Header=BB79_12 Depth=1
	s_or_b32 exec_lo, exec_lo, s41
	s_branch .LBB79_9
.LBB79_51:                              ;   in Loop: Header=BB79_12 Depth=1
	s_waitcnt lgkmcnt(7)
	v_add_f32_e32 v29, v29, v30
	s_waitcnt vmcnt(11)
	v_cvt_f32_f16_e32 v30, v34
	s_delay_alu instid0(VALU_DEP_1) | instskip(NEXT) | instid1(VALU_DEP_1)
	v_dual_mov_b32 v34, v35 :: v_dual_add_f32 v51, v29, v30
	v_lshlrev_b64 v[29:30], 1, v[33:34]
	s_delay_alu instid0(VALU_DEP_2) | instskip(NEXT) | instid1(VALU_DEP_2)
	v_cvt_f16_f32_e32 v34, v51
	v_add_co_u32 v29, s1, s6, v29
	s_delay_alu instid0(VALU_DEP_1) | instskip(SKIP_3) | instid1(VALU_DEP_1)
	v_add_co_ci_u32_e64 v30, s1, s7, v30, s1
	global_store_b16 v[29:30], v34, off
	s_or_b32 exec_lo, exec_lo, s2
	v_cmp_ne_u32_e64 s1, 0, v2
	s_and_saveexec_b32 s3, s1
	s_cbranch_execz .LBB79_35
.LBB79_52:                              ;   in Loop: Header=BB79_12 Depth=1
	s_waitcnt vmcnt(11)
	v_mov_b32_e32 v34, v35
	s_waitcnt lgkmcnt(11)
	v_add_f32_e32 v7, v7, v24
	s_waitcnt vmcnt(10)
	v_cvt_f32_f16_e32 v24, v50
	s_waitcnt lgkmcnt(7)
	v_lshlrev_b64 v[29:30], 1, v[33:34]
	s_delay_alu instid0(VALU_DEP_2) | instskip(NEXT) | instid1(VALU_DEP_2)
	v_add_f32_e32 v7, v7, v24
	v_add_co_u32 v29, s2, s33, v29
	s_delay_alu instid0(VALU_DEP_2) | instskip(NEXT) | instid1(VALU_DEP_4)
	v_cvt_f16_f32_e32 v7, v7
	v_add_co_ci_u32_e64 v30, s2, s34, v30, s2
	global_store_b16 v[29:30], v7, off
	s_or_b32 exec_lo, exec_lo, s3
	v_cmp_ne_u32_e64 s2, 0, v3
	s_delay_alu instid0(VALU_DEP_1)
	s_and_saveexec_b32 s4, s2
	s_cbranch_execz .LBB79_36
.LBB79_53:                              ;   in Loop: Header=BB79_12 Depth=1
	s_waitcnt lgkmcnt(9)
	v_dual_add_f32 v24, v25, v27 :: v_dual_mov_b32 v7, v35
	s_waitcnt vmcnt(9)
	v_cvt_f32_f16_e32 v25, v43
	s_delay_alu instid0(VALU_DEP_2) | instskip(NEXT) | instid1(VALU_DEP_2)
	v_lshlrev_b64 v[6:7], 1, v[6:7]
	v_add_f32_e32 v24, v24, v25
	s_delay_alu instid0(VALU_DEP_1) | instskip(NEXT) | instid1(VALU_DEP_3)
	v_cvt_f16_f32_e32 v24, v24
	v_add_co_u32 v6, s3, s6, v6
	s_delay_alu instid0(VALU_DEP_1) | instskip(SKIP_3) | instid1(VALU_DEP_1)
	v_add_co_ci_u32_e64 v7, s3, s7, v7, s3
	global_store_b16 v[6:7], v24, off
	s_or_b32 exec_lo, exec_lo, s4
	v_cmp_ne_u32_e64 s3, 0, v4
	s_and_saveexec_b32 s39, s3
	s_cbranch_execz .LBB79_37
.LBB79_54:                              ;   in Loop: Header=BB79_12 Depth=1
	s_waitcnt lgkmcnt(8)
	v_dual_add_f32 v7, v21, v23 :: v_dual_mov_b32 v6, v35
	s_waitcnt vmcnt(8)
	v_cvt_f32_f16_e32 v21, v42
	s_delay_alu instid0(VALU_DEP_2) | instskip(NEXT) | instid1(VALU_DEP_2)
	v_lshlrev_b64 v[5:6], 1, v[5:6]
	v_add_f32_e32 v7, v7, v21
	s_delay_alu instid0(VALU_DEP_1) | instskip(NEXT) | instid1(VALU_DEP_3)
	v_cvt_f16_f32_e32 v7, v7
	v_add_co_u32 v5, s4, s6, v5
	s_delay_alu instid0(VALU_DEP_1)
	v_add_co_ci_u32_e64 v6, s4, s7, v6, s4
	global_store_b16 v[5:6], v7, off
	s_or_b32 exec_lo, exec_lo, s39
	v_add_nc_u32_e32 v34, s19, v33
	s_and_saveexec_b32 s39, vcc_lo
	s_cbranch_execz .LBB79_38
.LBB79_55:                              ;   in Loop: Header=BB79_12 Depth=1
	s_waitcnt lgkmcnt(10)
	v_add_f32_e32 v5, v16, v18
	s_waitcnt vmcnt(7)
	v_cvt_f32_f16_e32 v6, v41
	s_delay_alu instid0(VALU_DEP_1) | instskip(SKIP_1) | instid1(VALU_DEP_2)
	v_add_f32_e32 v7, v5, v6
	v_lshlrev_b64 v[5:6], 1, v[34:35]
	v_cvt_f16_f32_e32 v7, v7
	s_delay_alu instid0(VALU_DEP_2) | instskip(NEXT) | instid1(VALU_DEP_1)
	v_add_co_u32 v5, s4, s6, v5
	v_add_co_ci_u32_e64 v6, s4, s7, v6, s4
	global_store_b16 v[5:6], v7, off
	s_or_b32 exec_lo, exec_lo, s39
	s_and_saveexec_b32 s39, s1
	s_cbranch_execz .LBB79_39
.LBB79_56:                              ;   in Loop: Header=BB79_12 Depth=1
	s_waitcnt lgkmcnt(6)
	v_dual_add_f32 v7, v13, v15 :: v_dual_mov_b32 v6, v35
	v_add_nc_u32_e32 v5, 1, v34
	s_waitcnt vmcnt(6)
	v_cvt_f32_f16_e32 v13, v40
	s_delay_alu instid0(VALU_DEP_2) | instskip(NEXT) | instid1(VALU_DEP_2)
	v_lshlrev_b64 v[5:6], 1, v[5:6]
	v_add_f32_e32 v7, v7, v13
	s_delay_alu instid0(VALU_DEP_1) | instskip(NEXT) | instid1(VALU_DEP_3)
	v_cvt_f16_f32_e32 v7, v7
	v_add_co_u32 v5, s4, s6, v5
	s_delay_alu instid0(VALU_DEP_1)
	v_add_co_ci_u32_e64 v6, s4, s7, v6, s4
	global_store_b16 v[5:6], v7, off
	s_or_b32 exec_lo, exec_lo, s39
	s_and_saveexec_b32 s39, s2
	s_cbranch_execz .LBB79_40
.LBB79_57:                              ;   in Loop: Header=BB79_12 Depth=1
	s_waitcnt lgkmcnt(5)
	v_dual_add_f32 v7, v9, v11 :: v_dual_mov_b32 v6, v35
	v_add_nc_u32_e32 v5, 2, v34
	s_waitcnt vmcnt(5)
	v_cvt_f32_f16_e32 v9, v39
	s_delay_alu instid0(VALU_DEP_2) | instskip(NEXT) | instid1(VALU_DEP_2)
	v_lshlrev_b64 v[5:6], 1, v[5:6]
	v_add_f32_e32 v7, v7, v9
	s_delay_alu instid0(VALU_DEP_1) | instskip(NEXT) | instid1(VALU_DEP_3)
	v_cvt_f16_f32_e32 v7, v7
	v_add_co_u32 v5, s4, s6, v5
	s_delay_alu instid0(VALU_DEP_1)
	v_add_co_ci_u32_e64 v6, s4, s7, v6, s4
	global_store_b16 v[5:6], v7, off
	s_or_b32 exec_lo, exec_lo, s39
	s_and_saveexec_b32 s39, s3
	s_cbranch_execz .LBB79_41
.LBB79_58:                              ;   in Loop: Header=BB79_12 Depth=1
	s_waitcnt lgkmcnt(2)
	v_dual_add_f32 v7, v26, v28 :: v_dual_mov_b32 v6, v35
	v_add_nc_u32_e32 v5, 3, v34
	s_waitcnt vmcnt(4)
	v_cvt_f32_f16_e32 v9, v38
	s_delay_alu instid0(VALU_DEP_2) | instskip(NEXT) | instid1(VALU_DEP_2)
	v_lshlrev_b64 v[5:6], 1, v[5:6]
	v_add_f32_e32 v7, v7, v9
	s_delay_alu instid0(VALU_DEP_1) | instskip(NEXT) | instid1(VALU_DEP_3)
	v_cvt_f16_f32_e32 v7, v7
	v_add_co_u32 v5, s4, s6, v5
	s_delay_alu instid0(VALU_DEP_1)
	v_add_co_ci_u32_e64 v6, s4, s7, v6, s4
	global_store_b16 v[5:6], v7, off
	s_or_b32 exec_lo, exec_lo, s39
	v_add_nc_u32_e32 v34, s19, v34
	s_and_saveexec_b32 s4, vcc_lo
	s_cbranch_execz .LBB79_42
.LBB79_59:                              ;   in Loop: Header=BB79_12 Depth=1
	s_waitcnt lgkmcnt(3)
	v_add_f32_e32 v5, v20, v22
	s_waitcnt vmcnt(3)
	v_cvt_f32_f16_e32 v6, v37
	s_delay_alu instid0(VALU_DEP_1) | instskip(SKIP_1) | instid1(VALU_DEP_2)
	v_add_f32_e32 v7, v5, v6
	v_lshlrev_b64 v[5:6], 1, v[34:35]
	v_cvt_f16_f32_e32 v7, v7
	s_delay_alu instid0(VALU_DEP_2) | instskip(NEXT) | instid1(VALU_DEP_3)
	v_add_co_u32 v5, vcc_lo, s6, v5
	v_add_co_ci_u32_e32 v6, vcc_lo, s7, v6, vcc_lo
	global_store_b16 v[5:6], v7, off
	s_or_b32 exec_lo, exec_lo, s4
	s_and_saveexec_b32 s4, s1
	s_cbranch_execz .LBB79_43
.LBB79_60:                              ;   in Loop: Header=BB79_12 Depth=1
	s_waitcnt lgkmcnt(4)
	v_dual_add_f32 v7, v17, v19 :: v_dual_mov_b32 v6, v35
	v_add_nc_u32_e32 v5, 1, v34
	s_waitcnt vmcnt(2)
	v_cvt_f32_f16_e32 v9, v36
	s_delay_alu instid0(VALU_DEP_2) | instskip(NEXT) | instid1(VALU_DEP_2)
	v_lshlrev_b64 v[5:6], 1, v[5:6]
	v_add_f32_e32 v7, v7, v9
	s_delay_alu instid0(VALU_DEP_1) | instskip(NEXT) | instid1(VALU_DEP_3)
	v_cvt_f16_f32_e32 v7, v7
	v_add_co_u32 v5, vcc_lo, s6, v5
	s_delay_alu instid0(VALU_DEP_4)
	v_add_co_ci_u32_e32 v6, vcc_lo, s7, v6, vcc_lo
	global_store_b16 v[5:6], v7, off
	s_or_b32 exec_lo, exec_lo, s4
	s_and_saveexec_b32 s1, s2
	s_cbranch_execz .LBB79_44
.LBB79_61:                              ;   in Loop: Header=BB79_12 Depth=1
	s_waitcnt lgkmcnt(1)
	v_dual_add_f32 v7, v12, v14 :: v_dual_mov_b32 v6, v35
	v_add_nc_u32_e32 v5, 2, v34
	s_waitcnt vmcnt(1)
	v_cvt_f32_f16_e32 v9, v32
	s_delay_alu instid0(VALU_DEP_2) | instskip(NEXT) | instid1(VALU_DEP_2)
	v_lshlrev_b64 v[5:6], 1, v[5:6]
	v_add_f32_e32 v7, v7, v9
	s_delay_alu instid0(VALU_DEP_1) | instskip(NEXT) | instid1(VALU_DEP_3)
	v_cvt_f16_f32_e32 v7, v7
	v_add_co_u32 v5, vcc_lo, s6, v5
	s_delay_alu instid0(VALU_DEP_4) | instskip(SKIP_2) | instid1(SALU_CYCLE_1)
	v_add_co_ci_u32_e32 v6, vcc_lo, s7, v6, vcc_lo
	global_store_b16 v[5:6], v7, off
	s_or_b32 exec_lo, exec_lo, s1
	s_and_b32 exec_lo, exec_lo, s3
	s_cbranch_execnz .LBB79_45
	s_branch .LBB79_46
.LBB79_62:
	s_nop 0
	s_sendmsg sendmsg(MSG_DEALLOC_VGPRS)
	s_endpgm
	.section	.rodata,"a",@progbits
	.p2align	6, 0x0
	.amdhsa_kernel _Z16wvSplitK_hf_big_I6__halfLi32ELi4ELi16ELi8ELi1ELi3EEviiiiiiPKT_S3_S3_PS1_ii
		.amdhsa_group_segment_fixed_size 65536
		.amdhsa_private_segment_fixed_size 0
		.amdhsa_kernarg_size 64
		.amdhsa_user_sgpr_count 15
		.amdhsa_user_sgpr_dispatch_ptr 0
		.amdhsa_user_sgpr_queue_ptr 0
		.amdhsa_user_sgpr_kernarg_segment_ptr 1
		.amdhsa_user_sgpr_dispatch_id 0
		.amdhsa_user_sgpr_private_segment_size 0
		.amdhsa_wavefront_size32 1
		.amdhsa_uses_dynamic_stack 0
		.amdhsa_enable_private_segment 0
		.amdhsa_system_sgpr_workgroup_id_x 1
		.amdhsa_system_sgpr_workgroup_id_y 0
		.amdhsa_system_sgpr_workgroup_id_z 0
		.amdhsa_system_sgpr_workgroup_info 0
		.amdhsa_system_vgpr_workitem_id 1
		.amdhsa_next_free_vgpr 68
		.amdhsa_next_free_sgpr 42
		.amdhsa_reserve_vcc 1
		.amdhsa_float_round_mode_32 0
		.amdhsa_float_round_mode_16_64 0
		.amdhsa_float_denorm_mode_32 3
		.amdhsa_float_denorm_mode_16_64 3
		.amdhsa_dx10_clamp 1
		.amdhsa_ieee_mode 1
		.amdhsa_fp16_overflow 0
		.amdhsa_workgroup_processor_mode 1
		.amdhsa_memory_ordered 1
		.amdhsa_forward_progress 0
		.amdhsa_shared_vgpr_count 0
		.amdhsa_exception_fp_ieee_invalid_op 0
		.amdhsa_exception_fp_denorm_src 0
		.amdhsa_exception_fp_ieee_div_zero 0
		.amdhsa_exception_fp_ieee_overflow 0
		.amdhsa_exception_fp_ieee_underflow 0
		.amdhsa_exception_fp_ieee_inexact 0
		.amdhsa_exception_int_div_zero 0
	.end_amdhsa_kernel
	.section	.text._Z16wvSplitK_hf_big_I6__halfLi32ELi4ELi16ELi8ELi1ELi3EEviiiiiiPKT_S3_S3_PS1_ii,"axG",@progbits,_Z16wvSplitK_hf_big_I6__halfLi32ELi4ELi16ELi8ELi1ELi3EEviiiiiiPKT_S3_S3_PS1_ii,comdat
.Lfunc_end79:
	.size	_Z16wvSplitK_hf_big_I6__halfLi32ELi4ELi16ELi8ELi1ELi3EEviiiiiiPKT_S3_S3_PS1_ii, .Lfunc_end79-_Z16wvSplitK_hf_big_I6__halfLi32ELi4ELi16ELi8ELi1ELi3EEviiiiiiPKT_S3_S3_PS1_ii
                                        ; -- End function
	.section	.AMDGPU.csdata,"",@progbits
; Kernel info:
; codeLenInByte = 5944
; NumSgprs: 44
; NumVgprs: 68
; ScratchSize: 0
; MemoryBound: 0
; FloatMode: 240
; IeeeMode: 1
; LDSByteSize: 65536 bytes/workgroup (compile time only)
; SGPRBlocks: 5
; VGPRBlocks: 8
; NumSGPRsForWavesPerEU: 44
; NumVGPRsForWavesPerEU: 68
; Occupancy: 8
; WaveLimiterHint : 0
; COMPUTE_PGM_RSRC2:SCRATCH_EN: 0
; COMPUTE_PGM_RSRC2:USER_SGPR: 15
; COMPUTE_PGM_RSRC2:TRAP_HANDLER: 0
; COMPUTE_PGM_RSRC2:TGID_X_EN: 1
; COMPUTE_PGM_RSRC2:TGID_Y_EN: 0
; COMPUTE_PGM_RSRC2:TGID_Z_EN: 0
; COMPUTE_PGM_RSRC2:TIDIG_COMP_CNT: 1
	.section	.text._Z16wvSplitK_hf_sml_I6__halfLi32ELi4ELi16ELi8ELi2ELi3EEviiiiiiPKT_S3_S3_PS1_ii,"axG",@progbits,_Z16wvSplitK_hf_sml_I6__halfLi32ELi4ELi16ELi8ELi2ELi3EEviiiiiiPKT_S3_S3_PS1_ii,comdat
	.protected	_Z16wvSplitK_hf_sml_I6__halfLi32ELi4ELi16ELi8ELi2ELi3EEviiiiiiPKT_S3_S3_PS1_ii ; -- Begin function _Z16wvSplitK_hf_sml_I6__halfLi32ELi4ELi16ELi8ELi2ELi3EEviiiiiiPKT_S3_S3_PS1_ii
	.globl	_Z16wvSplitK_hf_sml_I6__halfLi32ELi4ELi16ELi8ELi2ELi3EEviiiiiiPKT_S3_S3_PS1_ii
	.p2align	8
	.type	_Z16wvSplitK_hf_sml_I6__halfLi32ELi4ELi16ELi8ELi2ELi3EEviiiiiiPKT_S3_S3_PS1_ii,@function
_Z16wvSplitK_hf_sml_I6__halfLi32ELi4ELi16ELi8ELi2ELi3EEviiiiiiPKT_S3_S3_PS1_ii: ; @_Z16wvSplitK_hf_sml_I6__halfLi32ELi4ELi16ELi8ELi2ELi3EEviiiiiiPKT_S3_S3_PS1_ii
; %bb.0:
	s_load_b128 s[4:7], s[0:1], 0x0
	v_and_b32_e32 v1, 0x3ff, v0
	v_bfe_u32 v0, v0, 10, 10
	s_mov_b32 s8, exec_lo
	s_delay_alu instid0(VALU_DEP_2) | instskip(NEXT) | instid1(VALU_DEP_1)
	v_lshlrev_b32_e32 v67, 3, v1
	v_lshl_add_u32 v3, v0, 8, v67
	s_waitcnt lgkmcnt(0)
	s_mul_i32 s2, s6, 3
	s_delay_alu instid0(SALU_CYCLE_1)
	s_min_u32 s9, s2, 0x8000
	s_delay_alu instid0(VALU_DEP_1) | instid1(SALU_CYCLE_1)
	v_cmpx_gt_u32_e64 s9, v3
	s_cbranch_execz .LBB80_9
; %bb.1:
	s_load_b64 s[2:3], s[0:1], 0x20
	v_lshlrev_b32_e32 v2, 1, v3
	v_add_nc_u32_e32 v8, 0x1000, v3
	s_mov_b32 s10, exec_lo
	s_waitcnt lgkmcnt(0)
	global_load_b128 v[4:7], v2, s[2:3]
	s_waitcnt vmcnt(0)
	ds_store_b128 v2, v[4:7]
	v_cmpx_gt_u32_e64 s9, v8
	s_xor_b32 s10, exec_lo, s10
	s_cbranch_execz .LBB80_9
; %bb.2:
	v_add_co_u32 v4, s2, s2, v2
	s_delay_alu instid0(VALU_DEP_1) | instskip(SKIP_1) | instid1(VALU_DEP_3)
	v_add_co_ci_u32_e64 v5, null, s3, 0, s2
	v_add_nc_u32_e32 v10, 0x2000, v3
	v_add_co_u32 v6, vcc_lo, 0x2000, v4
	s_delay_alu instid0(VALU_DEP_3)
	v_add_co_ci_u32_e32 v7, vcc_lo, 0, v5, vcc_lo
	s_mov_b32 s2, exec_lo
	global_load_b128 v[6:9], v[6:7], off
	s_waitcnt vmcnt(0)
	ds_store_b128 v2, v[6:9] offset:8192
	v_cmpx_gt_u32_e64 s9, v10
	s_xor_b32 s2, exec_lo, s2
	s_cbranch_execz .LBB80_9
; %bb.3:
	v_add_co_u32 v6, vcc_lo, 0x4000, v4
	v_add_co_ci_u32_e32 v7, vcc_lo, 0, v5, vcc_lo
	v_add_nc_u32_e32 v10, 0x3000, v3
	s_mov_b32 s2, exec_lo
	global_load_b128 v[6:9], v[6:7], off
	s_waitcnt vmcnt(0)
	ds_store_b128 v2, v[6:9] offset:16384
	v_cmpx_gt_u32_e64 s9, v10
	s_xor_b32 s2, exec_lo, s2
	s_cbranch_execz .LBB80_9
; %bb.4:
	v_add_co_u32 v6, vcc_lo, 0x6000, v4
	v_add_co_ci_u32_e32 v7, vcc_lo, 0, v5, vcc_lo
	v_add_nc_u32_e32 v10, 0x4000, v3
	;; [unrolled: 11-line block ×5, first 2 shown]
	s_mov_b32 s2, exec_lo
	global_load_b128 v[6:9], v[6:7], off
	s_waitcnt vmcnt(0)
	ds_store_b128 v2, v[6:9] offset:49152
	v_cmpx_gt_u32_e64 s9, v3
	s_xor_b32 s2, exec_lo, s2
	s_cbranch_execz .LBB80_9
; %bb.8:
	v_add_co_u32 v3, vcc_lo, 0xe000, v4
	v_add_co_ci_u32_e32 v4, vcc_lo, 0, v5, vcc_lo
	global_load_b128 v[3:6], v[3:4], off
	s_waitcnt vmcnt(0)
	ds_store_b128 v2, v[3:6] offset:57344
.LBB80_9:
	s_or_b32 exec_lo, exec_lo, s8
	s_load_b64 s[16:17], s[0:1], 0x38
	s_waitcnt lgkmcnt(0)
	s_barrier
	buffer_gl0_inv
	s_mov_b32 s2, exec_lo
	v_cmpx_gt_u32_e64 s16, v0
	s_cbranch_execz .LBB80_26
; %bb.10:
	s_load_b64 s[2:3], s[0:1], 0x10
	s_mul_i32 s15, s15, s16
	s_delay_alu instid0(SALU_CYCLE_1) | instskip(NEXT) | instid1(VALU_DEP_1)
	v_add_lshl_u32 v48, s15, v0, 2
	v_cmp_gt_u32_e32 vcc_lo, s7, v48
	s_and_b32 exec_lo, exec_lo, vcc_lo
	s_cbranch_execz .LBB80_26
; %bb.11:
	s_clause 0x1
	s_load_b128 s[8:11], s[0:1], 0x28
	s_load_b64 s[12:13], s[0:1], 0x18
	s_cmp_lg_u32 s4, 0
	s_waitcnt lgkmcnt(0)
	v_cvt_f32_u32_e32 v2, s2
	s_cselect_b32 s1, -1, 0
	s_add_i32 s14, s4, -8
	s_add_i32 s15, s7, -1
	s_mul_i32 s0, s16, s17
	v_rcp_iflag_f32_e32 v2, v2
	v_mov_b32_e32 v50, 0
	v_lshlrev_b32_e32 v68, 4, v1
	v_mbcnt_lo_u32_b32 v69, -1, 0
	s_waitcnt_depctr 0xfff
	v_mul_f32_e32 v2, 0x4f7ffffe, v2
	s_cmp_lg_u64 s[8:9], 0
	s_cselect_b32 s18, -1, 0
	s_abs_i32 s19, s3
	s_lshl_b32 s16, s0, 2
	v_cvt_f32_u32_e32 v0, s19
	s_sub_i32 s20, 0, s19
	s_sub_i32 s0, 0, s2
	;; [unrolled: 1-line block ×3, first 2 shown]
	s_mov_b32 s3, 0
	v_rcp_iflag_f32_e32 v0, v0
	s_waitcnt_depctr 0xfff
	v_mul_f32_e32 v0, 0x4f7ffffe, v0
	s_delay_alu instid0(VALU_DEP_1) | instskip(NEXT) | instid1(VALU_DEP_1)
	v_cvt_u32_f32_e32 v0, v0
	v_readfirstlane_b32 s17, v0
	v_cvt_u32_f32_e32 v0, v2
	s_delay_alu instid0(VALU_DEP_2) | instskip(NEXT) | instid1(VALU_DEP_1)
	s_mul_i32 s20, s20, s17
	v_mul_lo_u32 v2, s0, v0
	s_mul_hi_u32 s20, s17, s20
	v_cmp_eq_u32_e64 s0, 31, v1
	s_add_i32 s17, s17, s20
	s_cmp_lt_u32 s19, 2
	s_cselect_b32 s20, s21, 1
	s_delay_alu instid0(SALU_CYCLE_1) | instskip(SKIP_4) | instid1(SALU_CYCLE_1)
	s_sub_i32 s21, s20, s19
	s_cmp_ge_u32 s20, s19
	v_mul_hi_u32 v2, v0, v2
	s_cselect_b32 s20, s21, s20
	s_lshr_b32 s17, s17, 31
	s_mul_i32 s17, s17, s19
	s_delay_alu instid0(SALU_CYCLE_1) | instskip(NEXT) | instid1(SALU_CYCLE_1)
	s_sub_i32 s17, 2, s17
	s_sub_i32 s21, s17, s19
	s_cmp_ge_u32 s17, s19
	s_delay_alu instid0(VALU_DEP_1)
	v_add_nc_u32_e32 v70, v0, v2
	s_cselect_b32 s21, s21, s17
	s_mul_i32 s17, s20, s2
	s_sub_i32 s22, s21, s19
	s_cmp_ge_u32 s21, s19
	s_cselect_b32 s20, s22, s21
	s_lshl_b32 s19, s6, 2
	s_mul_i32 s20, s20, s2
	s_lshl_b32 s6, s6, 1
	s_branch .LBB80_14
.LBB80_12:                              ;   in Loop: Header=BB80_14 Depth=1
	s_waitcnt lgkmcnt(10)
	v_dual_add_f32 v0, v0, v2 :: v_dual_add_f32 v1, v1, v3
	s_waitcnt lgkmcnt(8)
	v_dual_add_f32 v2, v4, v9 :: v_dual_add_f32 v3, v5, v10
	;; [unrolled: 2-line block ×4, first 2 shown]
	s_waitcnt vmcnt(11)
	v_cvt_f32_f16_e32 v9, v35
	s_waitcnt vmcnt(10)
	v_cvt_f32_f16_e32 v11, v34
	;; [unrolled: 2-line block ×4, first 2 shown]
	v_add_f32_e32 v8, v20, v23
	s_waitcnt lgkmcnt(1)
	v_add_f32_e32 v10, v18, v21
	v_dual_add_f32 v0, v0, v9 :: v_dual_add_f32 v9, v1, v11
	v_dual_add_f32 v2, v2, v12 :: v_dual_add_f32 v3, v3, v13
	s_waitcnt vmcnt(7)
	v_cvt_f32_f16_e32 v12, v31
	s_delay_alu instid0(VALU_DEP_3)
	v_cvt_f16_f32_e32 v11, v0
	v_cvt_f16_f32_e32 v9, v9
	;; [unrolled: 1-line block ×4, first 2 shown]
	v_lshlrev_b64 v[0:1], 1, v[48:49]
	v_add_f32_e32 v4, v4, v12
	s_waitcnt lgkmcnt(0)
	v_dual_add_f32 v12, v14, v15 :: v_dual_add_nc_u32 v49, s7, v48
	v_pack_b32_f16 v3, v2, v3
	v_pack_b32_f16 v2, v11, v9
	s_waitcnt vmcnt(6)
	v_cvt_f32_f16_e32 v9, v30
	v_add_co_u32 v0, vcc_lo, s10, v0
	v_add_co_ci_u32_e32 v1, vcc_lo, s11, v1, vcc_lo
	v_cvt_f16_f32_e32 v14, v4
	s_delay_alu instid0(VALU_DEP_4)
	v_add_f32_e32 v4, v5, v9
	s_waitcnt vmcnt(5)
	v_cvt_f32_f16_e32 v5, v29
	s_waitcnt vmcnt(4)
	v_cvt_f32_f16_e32 v9, v28
	;; [unrolled: 2-line block ×3, first 2 shown]
	v_add_f32_e32 v16, v16, v17
	global_store_b64 v[0:1], v[2:3], off
	v_dual_mov_b32 v3, v50 :: v_dual_add_nc_u32 v2, 1, v49
	v_dual_add_f32 v11, v8, v11 :: v_dual_add_f32 v6, v6, v5
	v_lshlrev_b64 v[0:1], 1, v[49:50]
	v_mov_b32_e32 v5, v50
	v_add_f32_e32 v9, v7, v9
	v_mov_b32_e32 v7, v50
	v_cvt_f16_f32_e32 v15, v4
	v_add_nc_u32_e32 v4, 2, v49
	v_lshlrev_b64 v[2:3], 1, v[2:3]
	s_waitcnt vmcnt(2)
	v_cvt_f32_f16_e32 v13, v26
	v_cvt_f16_f32_e32 v17, v6
	v_add_nc_u32_e32 v6, 3, v49
	v_add_nc_u32_e32 v49, s7, v49
	v_add_co_u32 v0, vcc_lo, s10, v0
	v_cvt_f16_f32_e32 v19, v11
	v_mov_b32_e32 v11, v50
	v_lshlrev_b64 v[4:5], 1, v[4:5]
	v_add_co_ci_u32_e32 v1, vcc_lo, s11, v1, vcc_lo
	s_waitcnt vmcnt(1)
	v_cvt_f32_f16_e32 v20, v25
	v_add_f32_e32 v13, v10, v13
	v_add_co_u32 v2, vcc_lo, s10, v2
	v_lshlrev_b64 v[6:7], 1, v[6:7]
	s_delay_alu instid0(VALU_DEP_4)
	v_add_f32_e32 v16, v16, v20
	v_add_nc_u32_e32 v10, 2, v49
	v_add_co_ci_u32_e32 v3, vcc_lo, s11, v3, vcc_lo
	v_add_co_u32 v4, vcc_lo, s10, v4
	v_cvt_f16_f32_e32 v18, v9
	v_lshlrev_b64 v[8:9], 1, v[49:50]
	v_cvt_f16_f32_e32 v13, v13
	s_waitcnt vmcnt(0)
	v_cvt_f32_f16_e32 v20, v24
	v_add_nc_u32_e32 v49, 3, v49
	v_add_co_ci_u32_e32 v5, vcc_lo, s11, v5, vcc_lo
	v_add_co_u32 v6, vcc_lo, s10, v6
	s_delay_alu instid0(VALU_DEP_4)
	v_add_f32_e32 v20, v12, v20
	v_lshlrev_b64 v[10:11], 1, v[10:11]
	v_add_co_ci_u32_e32 v7, vcc_lo, s11, v7, vcc_lo
	v_add_co_u32 v8, vcc_lo, s10, v8
	v_pack_b32_f16 v19, v19, v13
	v_lshlrev_b64 v[12:13], 1, v[49:50]
	v_add_co_ci_u32_e32 v9, vcc_lo, s11, v9, vcc_lo
	v_add_co_u32 v10, vcc_lo, s10, v10
	v_add_co_ci_u32_e32 v11, vcc_lo, s11, v11, vcc_lo
	s_delay_alu instid0(VALU_DEP_4)
	v_add_co_u32 v12, vcc_lo, s10, v12
	v_cvt_f16_f32_e32 v16, v16
	v_cvt_f16_f32_e32 v20, v20
	v_add_co_ci_u32_e32 v13, vcc_lo, s11, v13, vcc_lo
	s_clause 0x6
	global_store_b16 v[0:1], v14, off
	global_store_b16 v[2:3], v15, off
	;; [unrolled: 1-line block ×4, first 2 shown]
	global_store_b32 v[8:9], v19, off
	global_store_b16 v[10:11], v16, off
	global_store_b16 v[12:13], v20, off
.LBB80_13:                              ;   in Loop: Header=BB80_14 Depth=1
	s_or_b32 exec_lo, exec_lo, s21
	v_add_nc_u32_e32 v48, s16, v48
	s_delay_alu instid0(VALU_DEP_1) | instskip(SKIP_1) | instid1(SALU_CYCLE_1)
	v_cmp_le_u32_e32 vcc_lo, s7, v48
	s_or_b32 s3, vcc_lo, s3
	s_and_not1_b32 exec_lo, exec_lo, s3
	s_cbranch_execz .LBB80_26
.LBB80_14:                              ; =>This Loop Header: Depth=1
                                        ;     Child Loop BB80_18 Depth 2
	v_mov_b32_e32 v82, v50
	v_mov_b32_e32 v81, v50
	;; [unrolled: 1-line block ×12, first 2 shown]
	s_and_not1_b32 vcc_lo, exec_lo, s1
	s_cbranch_vccnz .LBB80_21
; %bb.15:                               ;   in Loop: Header=BB80_14 Depth=1
	v_or_b32_e32 v0, 1, v48
	v_or_b32_e32 v1, 2, v48
	s_waitcnt lgkmcnt(11)
	v_or_b32_e32 v2, 3, v48
	s_waitcnt lgkmcnt(10)
	v_min_u32_e32 v3, s15, v48
	v_dual_mov_b32 v5, v50 :: v_dual_mov_b32 v76, 0
	v_min_u32_e32 v0, s15, v0
	v_min_u32_e32 v1, s15, v1
	;; [unrolled: 1-line block ×3, first 2 shown]
	v_mul_lo_u32 v49, v3, s5
	v_dual_mov_b32 v3, v50 :: v_dual_mov_b32 v72, 0
	v_mul_lo_u32 v0, v0, s5
	v_mul_lo_u32 v2, v1, s5
	;; [unrolled: 1-line block ×3, first 2 shown]
	v_dual_mov_b32 v1, v50 :: v_dual_mov_b32 v74, 0
	v_lshlrev_b64 v[51:52], 1, v[49:50]
	v_dual_mov_b32 v71, 0 :: v_dual_mov_b32 v78, 0
	s_delay_alu instid0(VALU_DEP_3)
	v_lshlrev_b64 v[53:54], 1, v[0:1]
	v_lshlrev_b64 v[55:56], 1, v[2:3]
	;; [unrolled: 1-line block ×3, first 2 shown]
	v_dual_mov_b32 v83, v68 :: v_dual_mov_b32 v80, 0
	v_dual_mov_b32 v73, 0 :: v_dual_mov_b32 v82, 0
	v_mov_b32_e32 v75, 0
	v_mov_b32_e32 v77, 0
	v_mov_b32_e32 v79, 0
	v_mov_b32_e32 v81, 0
	s_mov_b32 s21, 0
	s_branch .LBB80_18
.LBB80_16:                              ;   in Loop: Header=BB80_18 Depth=2
	s_or_b32 exec_lo, exec_lo, s23
.LBB80_17:                              ;   in Loop: Header=BB80_18 Depth=2
	s_delay_alu instid0(SALU_CYCLE_1)
	s_or_b32 exec_lo, exec_lo, s22
	s_waitcnt vmcnt(7) lgkmcnt(1)
	;;#ASMSTART
	v_dot2_f32_f16 v82, v44, v28, v82
	;;#ASMEND
	s_waitcnt vmcnt(6)
	;;#ASMSTART
	v_dot2_f32_f16 v81, v44, v24, v81
	;;#ASMEND
	s_waitcnt vmcnt(5)
	;; [unrolled: 4-line block ×3, first 2 shown]
	;;#ASMSTART
	v_dot2_f32_f16 v79, v44, v32, v79
	;;#ASMEND
	;;#ASMSTART
	v_dot2_f32_f16 v78, v40, v28, v78
	;;#ASMEND
	;;#ASMSTART
	v_dot2_f32_f16 v77, v40, v24, v77
	;;#ASMEND
	;;#ASMSTART
	v_dot2_f32_f16 v76, v40, v36, v76
	;;#ASMEND
	;;#ASMSTART
	v_dot2_f32_f16 v75, v40, v32, v75
	;;#ASMEND
	;;#ASMSTART
	v_dot2_f32_f16 v71, v63, v28, v71
	;;#ASMEND
	;;#ASMSTART
	v_dot2_f32_f16 v74, v63, v24, v74
	;;#ASMEND
	;;#ASMSTART
	v_dot2_f32_f16 v73, v63, v36, v73
	;;#ASMEND
	;;#ASMSTART
	v_dot2_f32_f16 v72, v63, v32, v72
	;;#ASMEND
	;;#ASMSTART
	v_dot2_f32_f16 v82, v45, v29, v82
	;;#ASMEND
	;;#ASMSTART
	v_dot2_f32_f16 v81, v45, v25, v81
	;;#ASMEND
	;;#ASMSTART
	v_dot2_f32_f16 v80, v45, v37, v80
	;;#ASMEND
	;;#ASMSTART
	v_dot2_f32_f16 v79, v45, v33, v79
	;;#ASMEND
	;;#ASMSTART
	v_dot2_f32_f16 v78, v41, v29, v78
	;;#ASMEND
	;;#ASMSTART
	v_dot2_f32_f16 v77, v41, v25, v77
	;;#ASMEND
	;;#ASMSTART
	v_dot2_f32_f16 v76, v41, v37, v76
	;;#ASMEND
	;;#ASMSTART
	v_dot2_f32_f16 v75, v41, v33, v75
	;;#ASMEND
	;;#ASMSTART
	v_dot2_f32_f16 v71, v64, v29, v71
	;;#ASMEND
	;;#ASMSTART
	v_dot2_f32_f16 v74, v64, v25, v74
	;;#ASMEND
	;;#ASMSTART
	v_dot2_f32_f16 v73, v64, v37, v73
	;;#ASMEND
	;;#ASMSTART
	v_dot2_f32_f16 v72, v64, v33, v72
	;;#ASMEND
	;;#ASMSTART
	v_dot2_f32_f16 v82, v46, v30, v82
	;;#ASMEND
	;;#ASMSTART
	v_dot2_f32_f16 v81, v46, v26, v81
	;;#ASMEND
	;;#ASMSTART
	v_dot2_f32_f16 v80, v46, v38, v80
	;;#ASMEND
	;;#ASMSTART
	v_dot2_f32_f16 v79, v46, v34, v79
	;;#ASMEND
	;;#ASMSTART
	v_dot2_f32_f16 v78, v42, v30, v78
	;;#ASMEND
	;;#ASMSTART
	v_dot2_f32_f16 v77, v42, v26, v77
	;;#ASMEND
	;;#ASMSTART
	v_dot2_f32_f16 v76, v42, v38, v76
	;;#ASMEND
	;;#ASMSTART
	v_dot2_f32_f16 v75, v42, v34, v75
	;;#ASMEND
	s_waitcnt lgkmcnt(0)
	;;#ASMSTART
	v_dot2_f32_f16 v71, v65, v30, v71
	;;#ASMEND
	;;#ASMSTART
	v_dot2_f32_f16 v74, v65, v26, v74
	;;#ASMEND
	;; [unrolled: 3-line block ×4, first 2 shown]
	v_add_nc_u32_e32 v83, 0x400, v83
	;;#ASMSTART
	v_dot2_f32_f16 v82, v47, v31, v82
	;;#ASMEND
	;;#ASMSTART
	v_dot2_f32_f16 v81, v47, v27, v81
	;;#ASMEND
	;; [unrolled: 3-line block ×12, first 2 shown]
	s_addk_i32 s21, 0x200
	s_waitcnt vmcnt(3)
	;;#ASMSTART
	v_dot2_f32_f16 v82, v20, v12, v82
	;;#ASMEND
	s_waitcnt vmcnt(2)
	;;#ASMSTART
	v_dot2_f32_f16 v81, v20, v8, v81
	;;#ASMEND
	s_waitcnt vmcnt(1)
	;;#ASMSTART
	v_dot2_f32_f16 v80, v20, v4, v80
	;;#ASMEND
	s_waitcnt vmcnt(0)
	;;#ASMSTART
	v_dot2_f32_f16 v79, v20, v0, v79
	;;#ASMEND
	;;#ASMSTART
	v_dot2_f32_f16 v78, v16, v12, v78
	;;#ASMEND
	;;#ASMSTART
	v_dot2_f32_f16 v77, v16, v8, v77
	;;#ASMEND
	;; [unrolled: 3-line block ×20, first 2 shown]
	s_cmp_ge_u32 s21, s4
	;;#ASMSTART
	v_dot2_f32_f16 v82, v22, v14, v82
	;;#ASMEND
	;;#ASMSTART
	v_dot2_f32_f16 v81, v22, v10, v81
	;;#ASMEND
	;; [unrolled: 3-line block ×24, first 2 shown]
	s_cbranch_scc1 .LBB80_21
.LBB80_18:                              ;   Parent Loop BB80_14 Depth=1
                                        ; =>  This Inner Loop Header: Depth=2
	v_dual_mov_b32 v45, 0 :: v_dual_add_nc_u32 v20, s21, v67
	s_waitcnt lgkmcnt(1)
	v_dual_mov_b32 v44, 0 :: v_dual_mov_b32 v21, 0
	v_dual_mov_b32 v46, 0 :: v_dual_mov_b32 v23, 0
	s_delay_alu instid0(VALU_DEP_3) | instskip(SKIP_2) | instid1(VALU_DEP_3)
	v_min_u32_e32 v49, s14, v20
	v_dual_mov_b32 v47, 0 :: v_dual_add_nc_u32 v84, 0x100, v20
	v_dual_mov_b32 v22, 0 :: v_dual_mov_b32 v43, 0
	v_lshlrev_b64 v[0:1], 1, v[49:50]
	s_delay_alu instid0(VALU_DEP_3)
	v_min_u32_e32 v49, s14, v84
	v_mov_b32_e32 v40, 0
	v_mov_b32_e32 v42, 0
	v_dual_mov_b32 v64, 0 :: v_dual_mov_b32 v59, 0
	v_add_co_u32 v8, vcc_lo, s12, v0
	v_add_co_ci_u32_e32 v9, vcc_lo, s13, v1, vcc_lo
	v_lshlrev_b64 v[0:1], 1, v[49:50]
	s_delay_alu instid0(VALU_DEP_3) | instskip(NEXT) | instid1(VALU_DEP_3)
	v_add_co_u32 v2, vcc_lo, v8, v51
	v_add_co_ci_u32_e32 v3, vcc_lo, v9, v52, vcc_lo
	v_add_co_u32 v4, vcc_lo, v8, v53
	v_add_co_ci_u32_e32 v5, vcc_lo, v9, v54, vcc_lo
	;; [unrolled: 2-line block ×5, first 2 shown]
	s_clause 0x1
	global_load_b128 v[28:31], v[2:3], off slc dlc
	global_load_b128 v[24:27], v[4:5], off slc dlc
	v_add_co_u32 v2, vcc_lo, v10, v51
	v_add_co_ci_u32_e32 v3, vcc_lo, v11, v52, vcc_lo
	v_add_co_u32 v4, vcc_lo, v10, v53
	v_add_co_ci_u32_e32 v5, vcc_lo, v11, v54, vcc_lo
	;; [unrolled: 2-line block ×4, first 2 shown]
	s_clause 0x1
	global_load_b128 v[36:39], v[6:7], off slc dlc
	global_load_b128 v[32:35], v[0:1], off slc dlc
	s_waitcnt lgkmcnt(0)
	s_clause 0x3
	global_load_b128 v[12:15], v[2:3], off slc dlc
	global_load_b128 v[8:11], v[4:5], off slc dlc
	;; [unrolled: 1-line block ×4, first 2 shown]
	v_cmp_gt_u32_e32 vcc_lo, s4, v20
	v_dual_mov_b32 v20, 0 :: v_dual_mov_b32 v41, 0
	v_dual_mov_b32 v16, 0 :: v_dual_mov_b32 v63, 0
	;; [unrolled: 1-line block ×3, first 2 shown]
	v_mov_b32_e32 v65, 0
	v_dual_mov_b32 v19, 0 :: v_dual_mov_b32 v66, 0
	v_dual_mov_b32 v61, 0 :: v_dual_mov_b32 v60, 0
	v_mov_b32_e32 v62, 0
	s_and_saveexec_b32 s22, vcc_lo
	s_cbranch_execz .LBB80_17
; %bb.19:                               ;   in Loop: Header=BB80_18 Depth=2
	v_dual_mov_b32 v62, 0 :: v_dual_add_nc_u32 v85, s6, v83
	v_dual_mov_b32 v60, 0 :: v_dual_add_nc_u32 v49, s19, v83
	v_dual_mov_b32 v61, 0 :: v_dual_mov_b32 v18, 0
	ds_load_b128 v[40:43], v85
	ds_load_2addr_b32 v[63:64], v49 offset1:1
	ds_load_b128 v[44:47], v83
	ds_load_2addr_b32 v[65:66], v49 offset0:2 offset1:3
	v_dual_mov_b32 v59, 0 :: v_dual_mov_b32 v16, 0
	v_dual_mov_b32 v19, 0 :: v_dual_mov_b32 v22, 0
	;; [unrolled: 1-line block ×3, first 2 shown]
	v_mov_b32_e32 v23, 0
	v_mov_b32_e32 v21, 0
	s_mov_b32 s23, exec_lo
	v_cmpx_gt_u32_e64 s4, v84
	s_cbranch_execz .LBB80_16
; %bb.20:                               ;   in Loop: Header=BB80_18 Depth=2
	ds_load_b128 v[16:19], v85 offset:512
	ds_load_2addr_b32 v[59:60], v49 offset0:128 offset1:129
	ds_load_b128 v[20:23], v83 offset:512
	ds_load_2addr_b32 v[61:62], v49 offset0:130 offset1:131
	s_branch .LBB80_16
.LBB80_21:                              ;   in Loop: Header=BB80_14 Depth=1
	; sched_barrier mask(0x00000000)
	v_cvt_i32_f32_e32 v0, v82
	v_cvt_i32_f32_e32 v1, v81
	s_waitcnt lgkmcnt(11)
	v_xor_b32_e32 v2, 16, v69
	v_cvt_i32_f32_e32 v4, v79
	s_waitcnt lgkmcnt(10)
	v_cvt_i32_f32_e32 v3, v80
	v_cvt_f32_i32_dpp v0, v0 row_shr:8 row_mask:0xf bank_mask:0xf bound_ctrl:1
	v_cvt_f32_i32_dpp v1, v1 row_shr:8 row_mask:0xf bank_mask:0xf bound_ctrl:1
	v_cmp_gt_i32_e32 vcc_lo, 32, v2
	v_cvt_i32_f32_e32 v5, v78
	v_cvt_f32_i32_dpp v4, v4 row_shr:8 row_mask:0xf bank_mask:0xf bound_ctrl:1
	s_delay_alu instid0(VALU_DEP_4) | instskip(SKIP_3) | instid1(VALU_DEP_4)
	v_dual_add_f32 v0, v82, v0 :: v_dual_add_f32 v1, v81, v1
	v_cndmask_b32_e32 v2, v69, v2, vcc_lo
	v_cvt_i32_f32_e32 v7, v76
	v_cvt_f32_i32_dpp v3, v3 row_shr:8 row_mask:0xf bank_mask:0xf bound_ctrl:1
	v_cvt_i32_f32_e32 v8, v0
	s_waitcnt lgkmcnt(9)
	v_cvt_i32_f32_e32 v9, v1
	v_cvt_f32_i32_dpp v5, v5 row_shr:8 row_mask:0xf bank_mask:0xf bound_ctrl:1
	v_cvt_f32_i32_dpp v7, v7 row_shr:8 row_mask:0xf bank_mask:0xf bound_ctrl:1
	v_cvt_i32_f32_e32 v6, v77
	v_cvt_f32_i32_dpp v8, v8 row_shr:4 row_mask:0xf bank_mask:0xf bound_ctrl:1
	v_cvt_f32_i32_dpp v9, v9 row_shr:4 row_mask:0xf bank_mask:0xf bound_ctrl:1
	s_waitcnt lgkmcnt(0)
	v_lshlrev_b32_e32 v15, 2, v2
	v_cvt_i32_f32_e32 v17, v74
	v_cvt_f32_i32_dpp v6, v6 row_shr:8 row_mask:0xf bank_mask:0xf bound_ctrl:1
	v_dual_add_f32 v0, v0, v8 :: v_dual_add_f32 v1, v1, v9
	v_dual_add_f32 v2, v80, v3 :: v_dual_add_f32 v3, v79, v4
	v_dual_add_f32 v4, v78, v5 :: v_dual_add_f32 v7, v76, v7
	s_delay_alu instid0(VALU_DEP_3) | instskip(NEXT) | instid1(VALU_DEP_4)
	v_cvt_i32_f32_e32 v5, v0
	v_cvt_i32_f32_e32 v8, v1
	s_delay_alu instid0(VALU_DEP_4) | instskip(NEXT) | instid1(VALU_DEP_4)
	v_cvt_i32_f32_e32 v9, v2
	v_cvt_i32_f32_e32 v11, v4
	v_cvt_i32_f32_e32 v10, v3
	v_cvt_f32_i32_dpp v5, v5 row_shr:2 row_mask:0xf bank_mask:0xf bound_ctrl:1
	v_cvt_f32_i32_dpp v8, v8 row_shr:2 row_mask:0xf bank_mask:0xf bound_ctrl:1
	v_cvt_i32_f32_e32 v19, v72
	v_cvt_f32_i32_dpp v11, v11 row_shr:4 row_mask:0xf bank_mask:0xf bound_ctrl:1
	v_cvt_f32_i32_dpp v17, v17 row_shr:8 row_mask:0xf bank_mask:0xf bound_ctrl:1
	s_delay_alu instid0(VALU_DEP_4) | instskip(SKIP_3) | instid1(VALU_DEP_4)
	v_dual_add_f32 v0, v0, v5 :: v_dual_add_f32 v1, v1, v8
	v_cvt_i32_f32_e32 v5, v7
	v_cvt_f32_i32_dpp v8, v9 row_shr:4 row_mask:0xf bank_mask:0xf bound_ctrl:1
	v_cvt_f32_i32_dpp v9, v10 row_shr:4 row_mask:0xf bank_mask:0xf bound_ctrl:1
	v_cvt_i32_f32_e32 v10, v0
	v_cvt_i32_f32_e32 v13, v1
	v_cvt_f32_i32_dpp v5, v5 row_shr:4 row_mask:0xf bank_mask:0xf bound_ctrl:1
	v_add_f32_e32 v4, v4, v11
	v_dual_add_f32 v6, v77, v6 :: v_dual_add_f32 v9, v3, v9
	s_delay_alu instid0(VALU_DEP_4) | instskip(NEXT) | instid1(VALU_DEP_4)
	v_cvt_f32_i32_dpp v13, v13 row_shr:1 row_mask:0xf bank_mask:0xf bound_ctrl:1
	v_add_f32_e32 v5, v7, v5
	v_cvt_f32_i32_dpp v10, v10 row_shr:1 row_mask:0xf bank_mask:0xf bound_ctrl:1
	v_add_f32_e32 v8, v2, v8
	v_cvt_i32_f32_e32 v12, v6
	v_add_f32_e32 v1, v1, v13
	v_cvt_i32_f32_e32 v13, v5
	v_cvt_i32_f32_e32 v11, v4
	;; [unrolled: 1-line block ×3, first 2 shown]
	v_cvt_f32_i32_dpp v12, v12 row_shr:4 row_mask:0xf bank_mask:0xf bound_ctrl:1
	v_cvt_f32_i32_dpp v19, v19 row_shr:8 row_mask:0xf bank_mask:0xf bound_ctrl:1
	;; [unrolled: 1-line block ×3, first 2 shown]
	v_add_f32_e32 v0, v0, v10
	v_cvt_i32_f32_e32 v10, v9
	v_cvt_f32_i32_dpp v7, v7 row_shr:2 row_mask:0xf bank_mask:0xf bound_ctrl:1
	v_cvt_f32_i32_dpp v11, v11 row_shr:2 row_mask:0xf bank_mask:0xf bound_ctrl:1
	v_add_f32_e32 v6, v6, v12
	v_cvt_i32_f32_e32 v16, v71
	v_cvt_f32_i32_dpp v10, v10 row_shr:2 row_mask:0xf bank_mask:0xf bound_ctrl:1
	v_add_f32_e32 v7, v8, v7
	v_cvt_i32_f32_e32 v18, v73
	v_cvt_i32_f32_e32 v12, v6
	v_cvt_f32_i32_dpp v16, v16 row_shr:8 row_mask:0xf bank_mask:0xf bound_ctrl:1
	v_dual_add_f32 v8, v9, v10 :: v_dual_add_f32 v9, v4, v11
	v_add_f32_e32 v11, v5, v13
	v_cvt_i32_f32_e32 v4, v7
	v_cvt_f32_i32_dpp v12, v12 row_shr:2 row_mask:0xf bank_mask:0xf bound_ctrl:1
	s_delay_alu instid0(VALU_DEP_4)
	v_cvt_i32_f32_e32 v5, v8
	v_add_f32_e32 v17, v74, v17
	v_cvt_i32_f32_e32 v13, v11
	v_cvt_f32_i32_dpp v4, v4 row_shr:1 row_mask:0xf bank_mask:0xf bound_ctrl:1
	v_cvt_f32_i32_dpp v18, v18 row_shr:8 row_mask:0xf bank_mask:0xf bound_ctrl:1
	;; [unrolled: 1-line block ×3, first 2 shown]
	v_add_f32_e32 v10, v6, v12
	v_cvt_f32_i32_dpp v13, v13 row_shr:1 row_mask:0xf bank_mask:0xf bound_ctrl:1
	v_dual_add_f32 v4, v7, v4 :: v_dual_add_f32 v19, v72, v19
	s_delay_alu instid0(VALU_DEP_4) | instskip(SKIP_1) | instid1(VALU_DEP_4)
	v_add_f32_e32 v5, v8, v5
	v_cvt_i32_f32_e32 v22, v17
	v_add_f32_e32 v8, v11, v13
	v_cvt_i32_f32_e32 v14, v75
	v_cvt_i32_f32_e32 v24, v19
	;; [unrolled: 1-line block ×3, first 2 shown]
	v_cvt_f32_i32_dpp v22, v22 row_shr:4 row_mask:0xf bank_mask:0xf bound_ctrl:1
	v_add_f32_e32 v16, v71, v16
	v_cvt_f32_i32_dpp v14, v14 row_shr:8 row_mask:0xf bank_mask:0xf bound_ctrl:1
	v_cvt_f32_i32_dpp v24, v24 row_shr:4 row_mask:0xf bank_mask:0xf bound_ctrl:1
	v_add_f32_e32 v18, v73, v18
	v_add_f32_e32 v17, v17, v22
	v_cvt_i32_f32_e32 v21, v16
	v_cvt_i32_f32_e32 v12, v10
	v_add_f32_e32 v19, v19, v24
	v_cvt_i32_f32_e32 v23, v18
	v_cvt_i32_f32_e32 v22, v17
	v_cvt_f32_i32_dpp v21, v21 row_shr:4 row_mask:0xf bank_mask:0xf bound_ctrl:1
	v_cvt_f32_i32_dpp v6, v6 row_shr:1 row_mask:0xf bank_mask:0xf bound_ctrl:1
	v_cvt_i32_f32_e32 v24, v19
	v_cvt_f32_i32_dpp v23, v23 row_shr:4 row_mask:0xf bank_mask:0xf bound_ctrl:1
	v_cvt_f32_i32_dpp v22, v22 row_shr:2 row_mask:0xf bank_mask:0xf bound_ctrl:1
	v_add_f32_e32 v16, v16, v21
	v_cvt_f32_i32_dpp v12, v12 row_shr:1 row_mask:0xf bank_mask:0xf bound_ctrl:1
	v_cvt_f32_i32_dpp v24, v24 row_shr:2 row_mask:0xf bank_mask:0xf bound_ctrl:1
	v_add_f32_e32 v18, v18, v23
	v_add_f32_e32 v6, v9, v6
	v_cvt_i32_f32_e32 v21, v16
	v_add_f32_e32 v7, v10, v12
	ds_bpermute_b32 v2, v15, v0
	v_cvt_i32_f32_e32 v23, v18
	ds_bpermute_b32 v3, v15, v1
	v_cvt_f32_i32_dpp v21, v21 row_shr:2 row_mask:0xf bank_mask:0xf bound_ctrl:1
	ds_bpermute_b32 v9, v15, v4
	ds_bpermute_b32 v10, v15, v5
	v_cvt_f32_i32_dpp v23, v23 row_shr:2 row_mask:0xf bank_mask:0xf bound_ctrl:1
	v_add_f32_e32 v14, v75, v14
	v_add_f32_e32 v16, v16, v21
	ds_bpermute_b32 v11, v15, v6
	ds_bpermute_b32 v12, v15, v7
	v_add_f32_e32 v21, v18, v23
	v_cvt_i32_f32_e32 v20, v14
	ds_bpermute_b32 v13, v15, v8
	v_dual_add_f32 v17, v17, v22 :: v_dual_add_f32 v22, v19, v24
	v_cvt_i32_f32_e32 v19, v16
	v_cvt_f32_i32_dpp v20, v20 row_shr:4 row_mask:0xf bank_mask:0xf bound_ctrl:1
	v_cvt_i32_f32_e32 v23, v21
	s_delay_alu instid0(VALU_DEP_4) | instskip(NEXT) | instid1(VALU_DEP_4)
	v_cvt_i32_f32_e32 v24, v22
	v_cvt_f32_i32_dpp v25, v19 row_shr:1 row_mask:0xf bank_mask:0xf bound_ctrl:1
	s_delay_alu instid0(VALU_DEP_4) | instskip(NEXT) | instid1(VALU_DEP_4)
	v_add_f32_e32 v14, v14, v20
	v_cvt_f32_i32_dpp v23, v23 row_shr:1 row_mask:0xf bank_mask:0xf bound_ctrl:1
	s_delay_alu instid0(VALU_DEP_4) | instskip(NEXT) | instid1(VALU_DEP_3)
	v_cvt_f32_i32_dpp v24, v24 row_shr:1 row_mask:0xf bank_mask:0xf bound_ctrl:1
	v_cvt_i32_f32_e32 v20, v14
	s_delay_alu instid0(VALU_DEP_1) | instskip(NEXT) | instid1(VALU_DEP_1)
	v_cvt_f32_i32_dpp v20, v20 row_shr:2 row_mask:0xf bank_mask:0xf bound_ctrl:1
	v_add_f32_e32 v14, v14, v20
	v_cvt_i32_f32_e32 v20, v17
	s_delay_alu instid0(VALU_DEP_2) | instskip(NEXT) | instid1(VALU_DEP_2)
	v_cvt_i32_f32_e32 v18, v14
	v_cvt_f32_i32_dpp v26, v20 row_shr:1 row_mask:0xf bank_mask:0xf bound_ctrl:1
	v_add_f32_e32 v20, v16, v25
	v_add_f32_e32 v16, v21, v23
	s_delay_alu instid0(VALU_DEP_4)
	v_cvt_f32_i32_dpp v18, v18 row_shr:1 row_mask:0xf bank_mask:0xf bound_ctrl:1
	ds_bpermute_b32 v23, v15, v20
	v_add_f32_e32 v19, v14, v18
	v_add_f32_e32 v18, v17, v26
	v_add_f32_e32 v14, v22, v24
	ds_bpermute_b32 v17, v15, v16
	ds_bpermute_b32 v22, v15, v19
	ds_bpermute_b32 v21, v15, v18
	ds_bpermute_b32 v15, v15, v14
	s_and_saveexec_b32 s21, s0
	s_cbranch_execz .LBB80_13
; %bb.22:                               ;   in Loop: Header=BB80_14 Depth=1
	s_and_b32 vcc_lo, exec_lo, s18
	s_cbranch_vccz .LBB80_24
; %bb.23:                               ;   in Loop: Header=BB80_14 Depth=1
	v_mul_hi_u32 v24, v48, v70
	v_or_b32_e32 v26, 1, v48
	v_or_b32_e32 v28, 2, v48
	;; [unrolled: 1-line block ×3, first 2 shown]
	v_mov_b32_e32 v43, v50
	s_delay_alu instid0(VALU_DEP_4) | instskip(NEXT) | instid1(VALU_DEP_4)
	v_mul_hi_u32 v25, v26, v70
	v_mul_hi_u32 v27, v28, v70
	v_mul_lo_u32 v24, v24, s2
	v_mul_hi_u32 v30, v29, v70
	v_mov_b32_e32 v39, v50
	v_mul_lo_u32 v31, v25, s2
	v_mul_lo_u32 v32, v27, s2
	v_sub_nc_u32_e32 v24, v48, v24
	v_mul_lo_u32 v30, v30, s2
	s_delay_alu instid0(VALU_DEP_2)
	v_subrev_nc_u32_e32 v33, s2, v24
	v_sub_nc_u32_e32 v26, v26, v31
	v_cmp_le_u32_e32 vcc_lo, s2, v24
	v_mov_b32_e32 v25, v50
	v_sub_nc_u32_e32 v28, v28, v32
	v_sub_nc_u32_e32 v30, v29, v30
	v_subrev_nc_u32_e32 v31, s2, v26
	v_cndmask_b32_e32 v24, v24, v33, vcc_lo
	v_cmp_le_u32_e32 vcc_lo, s2, v26
	v_subrev_nc_u32_e32 v32, s2, v28
	v_subrev_nc_u32_e32 v33, s2, v30
	s_delay_alu instid0(VALU_DEP_4) | instskip(SKIP_4) | instid1(VALU_DEP_2)
	v_subrev_nc_u32_e32 v34, s2, v24
	v_cndmask_b32_e32 v26, v26, v31, vcc_lo
	v_cmp_le_u32_e32 vcc_lo, s2, v28
	v_dual_mov_b32 v27, v50 :: v_dual_cndmask_b32 v28, v28, v32
	v_cmp_le_u32_e32 vcc_lo, s2, v30
	v_subrev_nc_u32_e32 v31, s2, v28
	v_cndmask_b32_e32 v32, v30, v33, vcc_lo
	v_cmp_le_u32_e32 vcc_lo, s2, v24
	s_delay_alu instid0(VALU_DEP_2) | instskip(SKIP_3) | instid1(VALU_DEP_3)
	v_subrev_nc_u32_e32 v33, s2, v32
	v_cndmask_b32_e32 v49, v24, v34, vcc_lo
	v_subrev_nc_u32_e32 v30, s2, v26
	v_cmp_le_u32_e32 vcc_lo, s2, v26
	v_add_nc_u32_e32 v38, s17, v49
	s_delay_alu instid0(VALU_DEP_3)
	v_cndmask_b32_e32 v24, v26, v30, vcc_lo
	v_cmp_le_u32_e32 vcc_lo, s2, v28
	v_dual_mov_b32 v29, v50 :: v_dual_cndmask_b32 v26, v28, v31
	v_cmp_le_u32_e32 vcc_lo, s2, v32
	v_lshlrev_b64 v[30:31], 1, v[49:50]
	v_add_nc_u32_e32 v49, s20, v49
	s_delay_alu instid0(VALU_DEP_4) | instskip(SKIP_4) | instid1(VALU_DEP_4)
	v_lshlrev_b64 v[34:35], 1, v[26:27]
	v_cndmask_b32_e32 v28, v32, v33, vcc_lo
	v_lshlrev_b64 v[32:33], 1, v[24:25]
	v_add_co_u32 v30, vcc_lo, s8, v30
	v_add_co_ci_u32_e32 v31, vcc_lo, s9, v31, vcc_lo
	v_lshlrev_b64 v[36:37], 1, v[28:29]
	s_delay_alu instid0(VALU_DEP_4)
	v_add_co_u32 v32, vcc_lo, s8, v32
	v_add_co_ci_u32_e32 v33, vcc_lo, s9, v33, vcc_lo
	v_add_co_u32 v40, vcc_lo, s8, v34
	v_add_co_ci_u32_e32 v41, vcc_lo, s9, v35, vcc_lo
	v_lshlrev_b64 v[34:35], 1, v[38:39]
	v_add_nc_u32_e32 v38, s17, v24
	v_add_co_u32 v36, vcc_lo, s8, v36
	v_add_nc_u32_e32 v42, s17, v26
	v_add_co_ci_u32_e32 v37, vcc_lo, s9, v37, vcc_lo
	s_delay_alu instid0(VALU_DEP_4)
	v_lshlrev_b64 v[38:39], 1, v[38:39]
	v_add_co_u32 v44, vcc_lo, s8, v34
	v_add_co_ci_u32_e32 v45, vcc_lo, s9, v35, vcc_lo
	v_lshlrev_b64 v[34:35], 1, v[42:43]
	v_add_nc_u32_e32 v42, s17, v28
	v_add_co_u32 v38, vcc_lo, s8, v38
	v_add_co_ci_u32_e32 v39, vcc_lo, s9, v39, vcc_lo
	s_delay_alu instid0(VALU_DEP_3)
	v_lshlrev_b64 v[42:43], 1, v[42:43]
	v_add_co_u32 v46, vcc_lo, s8, v34
	v_add_co_ci_u32_e32 v47, vcc_lo, s9, v35, vcc_lo
	v_lshlrev_b64 v[34:35], 1, v[49:50]
	v_add_nc_u32_e32 v49, s20, v24
	v_add_co_u32 v24, vcc_lo, s8, v42
	v_add_co_ci_u32_e32 v25, vcc_lo, s9, v43, vcc_lo
	s_delay_alu instid0(VALU_DEP_3) | instskip(SKIP_3) | instid1(VALU_DEP_3)
	v_lshlrev_b64 v[42:43], 1, v[49:50]
	v_add_nc_u32_e32 v49, s20, v26
	v_add_co_u32 v26, vcc_lo, s8, v34
	v_add_co_ci_u32_e32 v27, vcc_lo, s9, v35, vcc_lo
	v_lshlrev_b64 v[34:35], 1, v[49:50]
	v_add_nc_u32_e32 v49, s20, v28
	v_add_co_u32 v42, vcc_lo, s8, v42
	v_add_co_ci_u32_e32 v43, vcc_lo, s9, v43, vcc_lo
	s_delay_alu instid0(VALU_DEP_3) | instskip(SKIP_3) | instid1(VALU_DEP_4)
	v_lshlrev_b64 v[28:29], 1, v[49:50]
	v_mov_b32_e32 v49, v50
	v_add_co_u32 v51, vcc_lo, s8, v34
	v_add_co_ci_u32_e32 v52, vcc_lo, s9, v35, vcc_lo
	v_add_co_u32 v53, vcc_lo, s8, v28
	v_add_co_ci_u32_e32 v54, vcc_lo, s9, v29, vcc_lo
	s_clause 0xb
	global_load_u16 v35, v[30:31], off
	global_load_u16 v34, v[32:33], off
	;; [unrolled: 1-line block ×12, first 2 shown]
	s_cbranch_execnz .LBB80_12
	s_branch .LBB80_25
.LBB80_24:                              ;   in Loop: Header=BB80_14 Depth=1
                                        ; implicit-def: $vgpr24
                                        ; implicit-def: $vgpr25
                                        ; implicit-def: $vgpr26
                                        ; implicit-def: $vgpr27
                                        ; implicit-def: $vgpr28
                                        ; implicit-def: $vgpr29
                                        ; implicit-def: $vgpr30
                                        ; implicit-def: $vgpr31
                                        ; implicit-def: $vgpr32
                                        ; implicit-def: $vgpr33
                                        ; implicit-def: $vgpr34
                                        ; implicit-def: $vgpr35
.LBB80_25:                              ;   in Loop: Header=BB80_14 Depth=1
	s_waitcnt vmcnt(10)
	v_dual_mov_b32 v49, v50 :: v_dual_mov_b32 v34, 0
	s_waitcnt vmcnt(8)
	v_dual_mov_b32 v35, 0 :: v_dual_mov_b32 v32, 0
	;; [unrolled: 2-line block ×6, first 2 shown]
	v_mov_b32_e32 v25, 0
	s_branch .LBB80_12
.LBB80_26:
	s_nop 0
	s_sendmsg sendmsg(MSG_DEALLOC_VGPRS)
	s_endpgm
	.section	.rodata,"a",@progbits
	.p2align	6, 0x0
	.amdhsa_kernel _Z16wvSplitK_hf_sml_I6__halfLi32ELi4ELi16ELi8ELi2ELi3EEviiiiiiPKT_S3_S3_PS1_ii
		.amdhsa_group_segment_fixed_size 65536
		.amdhsa_private_segment_fixed_size 0
		.amdhsa_kernarg_size 64
		.amdhsa_user_sgpr_count 15
		.amdhsa_user_sgpr_dispatch_ptr 0
		.amdhsa_user_sgpr_queue_ptr 0
		.amdhsa_user_sgpr_kernarg_segment_ptr 1
		.amdhsa_user_sgpr_dispatch_id 0
		.amdhsa_user_sgpr_private_segment_size 0
		.amdhsa_wavefront_size32 1
		.amdhsa_uses_dynamic_stack 0
		.amdhsa_enable_private_segment 0
		.amdhsa_system_sgpr_workgroup_id_x 1
		.amdhsa_system_sgpr_workgroup_id_y 0
		.amdhsa_system_sgpr_workgroup_id_z 0
		.amdhsa_system_sgpr_workgroup_info 0
		.amdhsa_system_vgpr_workitem_id 1
		.amdhsa_next_free_vgpr 86
		.amdhsa_next_free_sgpr 24
		.amdhsa_reserve_vcc 1
		.amdhsa_float_round_mode_32 0
		.amdhsa_float_round_mode_16_64 0
		.amdhsa_float_denorm_mode_32 3
		.amdhsa_float_denorm_mode_16_64 3
		.amdhsa_dx10_clamp 1
		.amdhsa_ieee_mode 1
		.amdhsa_fp16_overflow 0
		.amdhsa_workgroup_processor_mode 1
		.amdhsa_memory_ordered 1
		.amdhsa_forward_progress 0
		.amdhsa_shared_vgpr_count 0
		.amdhsa_exception_fp_ieee_invalid_op 0
		.amdhsa_exception_fp_denorm_src 0
		.amdhsa_exception_fp_ieee_div_zero 0
		.amdhsa_exception_fp_ieee_overflow 0
		.amdhsa_exception_fp_ieee_underflow 0
		.amdhsa_exception_fp_ieee_inexact 0
		.amdhsa_exception_int_div_zero 0
	.end_amdhsa_kernel
	.section	.text._Z16wvSplitK_hf_sml_I6__halfLi32ELi4ELi16ELi8ELi2ELi3EEviiiiiiPKT_S3_S3_PS1_ii,"axG",@progbits,_Z16wvSplitK_hf_sml_I6__halfLi32ELi4ELi16ELi8ELi2ELi3EEviiiiiiPKT_S3_S3_PS1_ii,comdat
.Lfunc_end80:
	.size	_Z16wvSplitK_hf_sml_I6__halfLi32ELi4ELi16ELi8ELi2ELi3EEviiiiiiPKT_S3_S3_PS1_ii, .Lfunc_end80-_Z16wvSplitK_hf_sml_I6__halfLi32ELi4ELi16ELi8ELi2ELi3EEviiiiiiPKT_S3_S3_PS1_ii
                                        ; -- End function
	.section	.AMDGPU.csdata,"",@progbits
; Kernel info:
; codeLenInByte = 5968
; NumSgprs: 26
; NumVgprs: 86
; ScratchSize: 0
; MemoryBound: 0
; FloatMode: 240
; IeeeMode: 1
; LDSByteSize: 65536 bytes/workgroup (compile time only)
; SGPRBlocks: 3
; VGPRBlocks: 10
; NumSGPRsForWavesPerEU: 26
; NumVGPRsForWavesPerEU: 86
; Occupancy: 8
; WaveLimiterHint : 0
; COMPUTE_PGM_RSRC2:SCRATCH_EN: 0
; COMPUTE_PGM_RSRC2:USER_SGPR: 15
; COMPUTE_PGM_RSRC2:TRAP_HANDLER: 0
; COMPUTE_PGM_RSRC2:TGID_X_EN: 1
; COMPUTE_PGM_RSRC2:TGID_Y_EN: 0
; COMPUTE_PGM_RSRC2:TGID_Z_EN: 0
; COMPUTE_PGM_RSRC2:TIDIG_COMP_CNT: 1
	.section	.text._Z12wvSplitK_hf_I6__halfLi32ELi4ELi16ELi8ELi2ELi3EEviiiiiiPKT_S3_S3_PS1_ii,"axG",@progbits,_Z12wvSplitK_hf_I6__halfLi32ELi4ELi16ELi8ELi2ELi3EEviiiiiiPKT_S3_S3_PS1_ii,comdat
	.protected	_Z12wvSplitK_hf_I6__halfLi32ELi4ELi16ELi8ELi2ELi3EEviiiiiiPKT_S3_S3_PS1_ii ; -- Begin function _Z12wvSplitK_hf_I6__halfLi32ELi4ELi16ELi8ELi2ELi3EEviiiiiiPKT_S3_S3_PS1_ii
	.globl	_Z12wvSplitK_hf_I6__halfLi32ELi4ELi16ELi8ELi2ELi3EEviiiiiiPKT_S3_S3_PS1_ii
	.p2align	8
	.type	_Z12wvSplitK_hf_I6__halfLi32ELi4ELi16ELi8ELi2ELi3EEviiiiiiPKT_S3_S3_PS1_ii,@function
_Z12wvSplitK_hf_I6__halfLi32ELi4ELi16ELi8ELi2ELi3EEviiiiiiPKT_S3_S3_PS1_ii: ; @_Z12wvSplitK_hf_I6__halfLi32ELi4ELi16ELi8ELi2ELi3EEviiiiiiPKT_S3_S3_PS1_ii
; %bb.0:
	s_clause 0x1
	s_load_b64 s[20:21], s[0:1], 0x38
	s_load_b128 s[8:11], s[0:1], 0x0
	v_bfe_u32 v5, v0, 10, 10
	s_clause 0x1
	s_load_b64 s[16:17], s[0:1], 0x20
	s_load_b64 s[18:19], s[0:1], 0x10
	s_mov_b32 s4, 1
	s_delay_alu instid0(SALU_CYCLE_1) | instskip(SKIP_4) | instid1(SALU_CYCLE_1)
	s_mov_b32 s5, s4
	s_mov_b32 s6, s4
	;; [unrolled: 1-line block ×3, first 2 shown]
	s_waitcnt lgkmcnt(0)
	s_mul_i32 s15, s15, s20
	v_add_lshl_u32 v61, s15, v5, 2
	s_delay_alu instid0(VALU_DEP_1) | instskip(SKIP_1) | instid1(VALU_DEP_2)
	v_add_nc_u32_e32 v1, 4, v61
	v_cmp_gt_u32_e32 vcc_lo, s11, v61
	v_cmp_le_u32_e64 s2, s11, v1
	v_dual_mov_b32 v1, s4 :: v_dual_mov_b32 v4, s7
	v_dual_mov_b32 v2, s5 :: v_dual_mov_b32 v3, s6
	s_delay_alu instid0(VALU_DEP_3) | instskip(NEXT) | instid1(SALU_CYCLE_1)
	s_and_b32 s2, vcc_lo, s2
	s_and_saveexec_b32 s12, s2
	s_cbranch_execz .LBB81_6
; %bb.1:
	v_dual_mov_b32 v1, s4 :: v_dual_mov_b32 v2, s5
	v_dual_mov_b32 v3, s6 :: v_dual_mov_b32 v4, s7
	s_add_i32 s13, s11, -4
	s_mov_b32 s14, exec_lo
	v_cmpx_ne_u32_e64 s13, v61
	s_cbranch_execz .LBB81_5
; %bb.2:
	v_subrev_nc_u32_e32 v1, s13, v61
	s_mov_b32 s15, 0
	s_mov_b64 s[2:3], 0
	s_mov_b32 s5, s4
	s_mov_b32 s6, s4
	v_cmp_lt_u32_e32 vcc_lo, 1, v1
	s_mov_b32 s7, s4
	v_cndmask_b32_e32 v6, 1, v1, vcc_lo
	.p2align	6
.LBB81_3:                               ; =>This Inner Loop Header: Depth=1
	s_cmp_lg_u32 s2, 3
	s_cselect_b32 s7, s7, 0
	s_cmp_lg_u32 s2, 2
	s_cselect_b32 s6, s6, 0
	s_cmp_lg_u32 s2, 1
	s_cselect_b32 s5, s5, 0
	s_cmp_lg_u32 s2, 0
	s_cselect_b32 s4, s4, 0
	s_add_u32 s2, s2, 1
	v_dual_mov_b32 v1, s4 :: v_dual_mov_b32 v2, s5
	v_cmp_eq_u32_e32 vcc_lo, s2, v6
	v_dual_mov_b32 v3, s6 :: v_dual_mov_b32 v4, s7
	s_addc_u32 s3, s3, 0
	s_or_b32 s15, vcc_lo, s15
	s_delay_alu instid0(SALU_CYCLE_1)
	s_and_not1_b32 exec_lo, exec_lo, s15
	s_cbranch_execnz .LBB81_3
; %bb.4:
	s_or_b32 exec_lo, exec_lo, s15
	v_mov_b32_e32 v61, s13
.LBB81_5:
	s_or_b32 exec_lo, exec_lo, s14
.LBB81_6:
	s_delay_alu instid0(SALU_CYCLE_1) | instskip(SKIP_2) | instid1(SALU_CYCLE_1)
	s_or_b32 exec_lo, exec_lo, s12
	v_and_b32_e32 v6, 0x3ff, v0
	s_mul_i32 s2, s10, 3
	s_min_u32 s3, s2, 0x8000
	s_mov_b32 s2, exec_lo
	s_delay_alu instid0(VALU_DEP_1) | instskip(NEXT) | instid1(VALU_DEP_1)
	v_lshlrev_b32_e32 v0, 3, v6
	v_lshl_add_u32 v8, v5, 8, v0
	s_delay_alu instid0(VALU_DEP_1)
	v_cmpx_gt_u32_e64 s3, v8
	s_cbranch_execz .LBB81_15
; %bb.7:
	v_lshlrev_b32_e32 v7, 1, v8
	v_add_nc_u32_e32 v13, 0x1000, v8
	s_mov_b32 s4, exec_lo
	global_load_b128 v[9:12], v7, s[16:17]
	s_waitcnt vmcnt(0)
	ds_store_b128 v7, v[9:12]
	v_cmpx_gt_u32_e64 s3, v13
	s_xor_b32 s4, exec_lo, s4
	s_cbranch_execz .LBB81_15
; %bb.8:
	v_add_co_u32 v9, s4, s16, v7
	s_delay_alu instid0(VALU_DEP_1) | instskip(SKIP_1) | instid1(VALU_DEP_3)
	v_add_co_ci_u32_e64 v10, null, s17, 0, s4
	v_add_nc_u32_e32 v15, 0x2000, v8
	v_add_co_u32 v11, vcc_lo, 0x2000, v9
	s_delay_alu instid0(VALU_DEP_3)
	v_add_co_ci_u32_e32 v12, vcc_lo, 0, v10, vcc_lo
	s_mov_b32 s4, exec_lo
	global_load_b128 v[11:14], v[11:12], off
	s_waitcnt vmcnt(0)
	ds_store_b128 v7, v[11:14] offset:8192
	v_cmpx_gt_u32_e64 s3, v15
	s_xor_b32 s4, exec_lo, s4
	s_cbranch_execz .LBB81_15
; %bb.9:
	v_add_co_u32 v11, vcc_lo, 0x4000, v9
	v_add_co_ci_u32_e32 v12, vcc_lo, 0, v10, vcc_lo
	v_add_nc_u32_e32 v15, 0x3000, v8
	s_mov_b32 s4, exec_lo
	global_load_b128 v[11:14], v[11:12], off
	s_waitcnt vmcnt(0)
	ds_store_b128 v7, v[11:14] offset:16384
	v_cmpx_gt_u32_e64 s3, v15
	s_xor_b32 s4, exec_lo, s4
	s_cbranch_execz .LBB81_15
; %bb.10:
	v_add_co_u32 v11, vcc_lo, 0x6000, v9
	v_add_co_ci_u32_e32 v12, vcc_lo, 0, v10, vcc_lo
	v_add_nc_u32_e32 v15, 0x4000, v8
	;; [unrolled: 11-line block ×5, first 2 shown]
	global_load_b128 v[11:14], v[11:12], off
	v_cmp_gt_u32_e32 vcc_lo, s3, v8
	s_waitcnt vmcnt(0)
	ds_store_b128 v7, v[11:14] offset:49152
	s_and_saveexec_b32 s3, vcc_lo
	s_delay_alu instid0(SALU_CYCLE_1)
	s_xor_b32 s3, exec_lo, s3
	s_cbranch_execz .LBB81_15
; %bb.14:
	v_add_co_u32 v8, vcc_lo, 0xe000, v9
	v_add_co_ci_u32_e32 v9, vcc_lo, 0, v10, vcc_lo
	global_load_b128 v[8:11], v[8:9], off
	s_waitcnt vmcnt(0)
	ds_store_b128 v7, v[8:11] offset:57344
.LBB81_15:
	s_or_b32 exec_lo, exec_lo, s2
	v_cmp_gt_u32_e32 vcc_lo, s20, v5
	v_cmp_gt_u32_e64 s2, s11, v61
	s_waitcnt lgkmcnt(0)
	s_barrier
	buffer_gl0_inv
	s_and_b32 s2, vcc_lo, s2
	s_delay_alu instid0(SALU_CYCLE_1)
	s_and_saveexec_b32 s3, s2
	s_cbranch_execz .LBB81_82
; %bb.16:
	s_clause 0x1
	s_load_b128 s[12:15], s[0:1], 0x28
	s_load_b64 s[6:7], s[0:1], 0x18
	s_cmp_lg_u32 s8, 0
	v_cvt_f32_u32_e32 v7, s18
	s_cselect_b32 s22, -1, 0
	s_add_i32 s23, s8, -8
	s_add_i32 s24, s11, -1
	s_mul_i32 s0, s20, s21
	v_rcp_iflag_f32_e32 v7, v7
	v_lshlrev_b32_e32 v79, 4, v6
	v_mov_b32_e32 v63, 0
	v_mbcnt_lo_u32_b32 v83, -1, 0
	s_mov_b32 s21, 0
	v_add_nc_u32_e32 v80, s10, v0
	s_waitcnt lgkmcnt(0)
	s_cmp_lg_u64 s[12:13], 0
	s_cselect_b32 s25, -1, 0
	s_abs_i32 s1, s19
	s_lshl_b32 s19, s0, 2
	v_cvt_f32_u32_e32 v5, s1
	s_sub_i32 s0, 0, s1
	s_add_i32 s20, s11, -4
	s_sub_i32 s3, 0, s18
	s_sub_i32 s4, 1, s1
	v_rcp_iflag_f32_e32 v5, v5
	s_waitcnt_depctr 0xfff
	v_mul_f32_e32 v5, 0x4f7ffffe, v5
	s_delay_alu instid0(VALU_DEP_1) | instskip(NEXT) | instid1(VALU_DEP_1)
	v_cvt_u32_f32_e32 v5, v5
	v_readfirstlane_b32 s2, v5
	v_mul_f32_e32 v5, 0x4f7ffffe, v7
	s_delay_alu instid0(VALU_DEP_2) | instskip(NEXT) | instid1(VALU_DEP_1)
	s_mul_i32 s0, s0, s2
	v_cvt_u32_f32_e32 v5, v5
	s_mul_hi_u32 s0, s2, s0
	s_delay_alu instid0(SALU_CYCLE_1) | instskip(SKIP_1) | instid1(VALU_DEP_1)
	s_add_i32 s2, s2, s0
	s_cmp_lt_u32 s1, 2
	v_mul_lo_u32 v7, s3, v5
	s_cselect_b32 s0, s4, 1
	s_delay_alu instid0(SALU_CYCLE_1)
	s_sub_i32 s4, s0, s1
	s_cmp_ge_u32 s0, s1
	s_cselect_b32 s27, s4, s0
	s_lshr_b32 s2, s2, 31
	v_cmp_eq_u32_e64 s0, 31, v6
	s_mul_i32 s2, s2, s1
	v_mul_hi_u32 v6, v5, v7
	s_sub_i32 s2, 2, s2
	s_mul_i32 s27, s27, s18
	s_sub_i32 s3, s2, s1
	s_cmp_ge_u32 s2, s1
	s_cselect_b32 s2, s3, s2
	s_delay_alu instid0(SALU_CYCLE_1)
	s_sub_i32 s3, s2, s1
	s_cmp_ge_u32 s2, s1
	v_add_nc_u32_e32 v81, v5, v6
	s_cselect_b32 s28, s3, s2
	s_lshl_b32 s26, s10, 1
	s_mul_i32 s28, s28, s18
	v_add_nc_u32_e32 v82, s26, v0
	s_lshl_b32 s10, s10, 2
	s_branch .LBB81_19
.LBB81_17:                              ;   in Loop: Header=BB81_19 Depth=1
	s_or_b32 exec_lo, exec_lo, s30
	v_mov_b32_e32 v61, s20
.LBB81_18:                              ;   in Loop: Header=BB81_19 Depth=1
	s_or_b32 exec_lo, exec_lo, s29
	s_delay_alu instid0(VALU_DEP_1) | instskip(SKIP_1) | instid1(SALU_CYCLE_1)
	v_cmp_le_u32_e32 vcc_lo, s11, v61
	s_or_b32 s21, vcc_lo, s21
	s_and_not1_b32 exec_lo, exec_lo, s21
	s_cbranch_execz .LBB81_82
.LBB81_19:                              ; =>This Loop Header: Depth=1
                                        ;     Child Loop BB81_24 Depth 2
                                        ;     Child Loop BB81_69 Depth 2
	v_dual_mov_b32 v95, v63 :: v_dual_add_nc_u32 v66, 1, v61
	v_dual_mov_b32 v94, v63 :: v_dual_add_nc_u32 v65, 2, v61
	v_dual_mov_b32 v93, v63 :: v_dual_add_nc_u32 v64, 3, v61
	v_mov_b32_e32 v92, v63
	v_mov_b32_e32 v91, v63
	;; [unrolled: 1-line block ×9, first 2 shown]
	s_and_not1_b32 vcc_lo, exec_lo, s22
	s_cbranch_vccnz .LBB81_50
; %bb.20:                               ;   in Loop: Header=BB81_19 Depth=1
	v_min_u32_e32 v5, s24, v61
	v_min_u32_e32 v6, s24, v66
	s_waitcnt lgkmcnt(0)
	v_min_u32_e32 v7, s24, v65
	v_min_u32_e32 v8, s24, v64
	v_dual_mov_b32 v10, v63 :: v_dual_mov_b32 v89, 0
	v_mul_lo_u32 v62, v5, s9
	v_mul_lo_u32 v5, v6, s9
	;; [unrolled: 1-line block ×4, first 2 shown]
	v_dual_mov_b32 v6, v63 :: v_dual_mov_b32 v87, 0
	v_dual_mov_b32 v8, v63 :: v_dual_mov_b32 v85, 0
	v_lshlrev_b64 v[67:68], 1, v[62:63]
	s_delay_alu instid0(VALU_DEP_3) | instskip(SKIP_1) | instid1(VALU_DEP_4)
	v_lshlrev_b64 v[69:70], 1, v[5:6]
	v_dual_mov_b32 v84, 0 :: v_dual_mov_b32 v91, 0
	v_lshlrev_b64 v[71:72], 1, v[7:8]
	v_lshlrev_b64 v[73:74], 1, v[9:10]
	v_dual_mov_b32 v96, v79 :: v_dual_mov_b32 v93, 0
	v_dual_mov_b32 v86, 0 :: v_dual_mov_b32 v95, 0
	v_mov_b32_e32 v88, 0
	v_mov_b32_e32 v90, 0
	;; [unrolled: 1-line block ×4, first 2 shown]
	s_mov_b32 s1, 0
	s_branch .LBB81_24
.LBB81_21:                              ;   in Loop: Header=BB81_24 Depth=2
	s_or_b32 exec_lo, exec_lo, s4
.LBB81_22:                              ;   in Loop: Header=BB81_24 Depth=2
	s_delay_alu instid0(SALU_CYCLE_1)
	s_or_b32 exec_lo, exec_lo, s3
.LBB81_23:                              ;   in Loop: Header=BB81_24 Depth=2
	s_delay_alu instid0(SALU_CYCLE_1)
	s_or_b32 exec_lo, exec_lo, s2
	s_waitcnt vmcnt(0) lgkmcnt(0)
	;;#ASMSTART
	v_dot2_f32_f16 v95, v45, v25, v95
	;;#ASMEND
	;;#ASMSTART
	v_dot2_f32_f16 v94, v45, v21, v94
	;;#ASMEND
	;; [unrolled: 3-line block ×36, first 2 shown]
	v_add_nc_u32_e32 v96, 0x400, v96
	;;#ASMSTART
	v_dot2_f32_f16 v95, v48, v28, v95
	;;#ASMEND
	;;#ASMSTART
	v_dot2_f32_f16 v94, v48, v24, v94
	;;#ASMEND
	;; [unrolled: 3-line block ×12, first 2 shown]
	s_addk_i32 s1, 0x200
	;;#ASMSTART
	v_dot2_f32_f16 v95, v57, v17, v95
	;;#ASMEND
	;;#ASMSTART
	v_dot2_f32_f16 v94, v57, v13, v94
	;;#ASMEND
	;;#ASMSTART
	v_dot2_f32_f16 v93, v57, v9, v93
	;;#ASMEND
	;;#ASMSTART
	v_dot2_f32_f16 v92, v57, v5, v92
	;;#ASMEND
	;;#ASMSTART
	v_dot2_f32_f16 v91, v53, v17, v91
	;;#ASMEND
	;;#ASMSTART
	v_dot2_f32_f16 v90, v53, v13, v90
	;;#ASMEND
	;;#ASMSTART
	v_dot2_f32_f16 v89, v53, v9, v89
	;;#ASMEND
	;;#ASMSTART
	v_dot2_f32_f16 v88, v53, v5, v88
	;;#ASMEND
	;;#ASMSTART
	v_dot2_f32_f16 v84, v49, v17, v84
	;;#ASMEND
	;;#ASMSTART
	v_dot2_f32_f16 v87, v49, v13, v87
	;;#ASMEND
	;;#ASMSTART
	v_dot2_f32_f16 v86, v49, v9, v86
	;;#ASMEND
	;;#ASMSTART
	v_dot2_f32_f16 v85, v49, v5, v85
	;;#ASMEND
	;;#ASMSTART
	v_dot2_f32_f16 v95, v58, v18, v95
	;;#ASMEND
	;;#ASMSTART
	v_dot2_f32_f16 v94, v58, v14, v94
	;;#ASMEND
	;;#ASMSTART
	v_dot2_f32_f16 v93, v58, v10, v93
	;;#ASMEND
	;;#ASMSTART
	v_dot2_f32_f16 v92, v58, v6, v92
	;;#ASMEND
	;;#ASMSTART
	v_dot2_f32_f16 v91, v54, v18, v91
	;;#ASMEND
	;;#ASMSTART
	v_dot2_f32_f16 v90, v54, v14, v90
	;;#ASMEND
	;;#ASMSTART
	v_dot2_f32_f16 v89, v54, v10, v89
	;;#ASMEND
	;;#ASMSTART
	v_dot2_f32_f16 v88, v54, v6, v88
	;;#ASMEND
	;;#ASMSTART
	v_dot2_f32_f16 v84, v50, v18, v84
	;;#ASMEND
	;;#ASMSTART
	v_dot2_f32_f16 v87, v50, v14, v87
	;;#ASMEND
	;;#ASMSTART
	v_dot2_f32_f16 v86, v50, v10, v86
	;;#ASMEND
	;;#ASMSTART
	v_dot2_f32_f16 v85, v50, v6, v85
	;;#ASMEND
	s_cmp_ge_u32 s1, s8
	;;#ASMSTART
	v_dot2_f32_f16 v95, v59, v19, v95
	;;#ASMEND
	;;#ASMSTART
	v_dot2_f32_f16 v94, v59, v15, v94
	;;#ASMEND
	;; [unrolled: 3-line block ×24, first 2 shown]
	s_cbranch_scc1 .LBB81_50
.LBB81_24:                              ;   Parent Loop BB81_19 Depth=1
                                        ; =>  This Inner Loop Header: Depth=2
	v_dual_mov_b32 v51, 0 :: v_dual_add_nc_u32 v76, s1, v0
	v_dual_mov_b32 v50, 0 :: v_dual_mov_b32 v49, 0
	v_dual_mov_b32 v56, 0 :: v_dual_mov_b32 v55, 0
	s_delay_alu instid0(VALU_DEP_3) | instskip(SKIP_2) | instid1(VALU_DEP_3)
	v_min_u32_e32 v62, s23, v76
	v_dual_mov_b32 v52, 0 :: v_dual_add_nc_u32 v75, 0x100, v76
	v_dual_mov_b32 v54, 0 :: v_dual_mov_b32 v53, 0
	v_lshlrev_b64 v[5:6], 1, v[62:63]
	s_delay_alu instid0(VALU_DEP_3) | instskip(SKIP_2) | instid1(VALU_DEP_4)
	v_min_u32_e32 v62, s23, v75
	v_dual_mov_b32 v44, 0 :: v_dual_mov_b32 v43, 0
	v_dual_mov_b32 v42, 0 :: v_dual_mov_b32 v41, 0
	v_add_co_u32 v13, vcc_lo, s6, v5
	v_add_co_ci_u32_e32 v14, vcc_lo, s7, v6, vcc_lo
	v_lshlrev_b64 v[5:6], 1, v[62:63]
	s_delay_alu instid0(VALU_DEP_3) | instskip(NEXT) | instid1(VALU_DEP_3)
	v_add_co_u32 v7, vcc_lo, v13, v67
	v_add_co_ci_u32_e32 v8, vcc_lo, v14, v68, vcc_lo
	v_add_co_u32 v9, vcc_lo, v13, v69
	v_add_co_ci_u32_e32 v10, vcc_lo, v14, v70, vcc_lo
	;; [unrolled: 2-line block ×5, first 2 shown]
	s_clause 0x1
	global_load_b128 v[25:28], v[7:8], off slc dlc
	global_load_b128 v[21:24], v[9:10], off slc dlc
	v_add_co_u32 v7, vcc_lo, v15, v67
	v_add_co_ci_u32_e32 v8, vcc_lo, v16, v68, vcc_lo
	v_add_co_u32 v9, vcc_lo, v15, v69
	v_add_co_ci_u32_e32 v10, vcc_lo, v16, v70, vcc_lo
	s_waitcnt vmcnt(10)
	v_add_co_u32 v37, vcc_lo, v15, v71
	v_add_co_ci_u32_e32 v38, vcc_lo, v16, v72, vcc_lo
	v_add_co_u32 v39, vcc_lo, v15, v73
	v_add_co_ci_u32_e32 v40, vcc_lo, v16, v74, vcc_lo
	s_clause 0x5
	global_load_b128 v[33:36], v[11:12], off slc dlc
	global_load_b128 v[29:32], v[5:6], off slc dlc
	;; [unrolled: 1-line block ×6, first 2 shown]
	v_cmp_gt_u32_e32 vcc_lo, s8, v76
	v_dual_mov_b32 v40, 0 :: v_dual_mov_b32 v39, 0
	v_dual_mov_b32 v38, 0 :: v_dual_mov_b32 v37, 0
	;; [unrolled: 1-line block ×6, first 2 shown]
	s_and_saveexec_b32 s2, vcc_lo
	s_cbranch_execz .LBB81_23
; %bb.25:                               ;   in Loop: Header=BB81_24 Depth=2
	s_mov_b32 s3, exec_lo
                                        ; implicit-def: $vgpr48
	v_cmpx_lt_u32_e32 0x7fff, v76
	s_xor_b32 s3, exec_lo, s3
	s_cbranch_execz .LBB81_27
; %bb.26:                               ;   in Loop: Header=BB81_24 Depth=2
	v_mov_b32_e32 v77, v63
	s_delay_alu instid0(VALU_DEP_1) | instskip(NEXT) | instid1(VALU_DEP_1)
	v_lshlrev_b64 v[37:38], 1, v[76:77]
	v_add_co_u32 v37, vcc_lo, s16, v37
	s_delay_alu instid0(VALU_DEP_2)
	v_add_co_ci_u32_e32 v38, vcc_lo, s17, v38, vcc_lo
	global_load_b128 v[45:48], v[37:38], off
.LBB81_27:                              ;   in Loop: Header=BB81_24 Depth=2
	s_and_not1_saveexec_b32 s3, s3
	s_cbranch_execz .LBB81_29
; %bb.28:                               ;   in Loop: Header=BB81_24 Depth=2
	s_waitcnt vmcnt(0)
	ds_load_b128 v[45:48], v96
.LBB81_29:                              ;   in Loop: Header=BB81_24 Depth=2
	s_or_b32 exec_lo, exec_lo, s3
	v_add_nc_u32_e32 v62, s1, v80
	s_mov_b32 s3, exec_lo
                                        ; implicit-def: $vgpr44
	s_delay_alu instid0(VALU_DEP_1)
	v_cmpx_lt_u32_e32 0x7fff, v62
	s_xor_b32 s3, exec_lo, s3
	s_cbranch_execz .LBB81_31
; %bb.30:                               ;   in Loop: Header=BB81_24 Depth=2
	v_lshlrev_b64 v[37:38], 1, v[62:63]
	s_delay_alu instid0(VALU_DEP_1) | instskip(NEXT) | instid1(VALU_DEP_2)
	v_add_co_u32 v37, vcc_lo, s16, v37
	v_add_co_ci_u32_e32 v38, vcc_lo, s17, v38, vcc_lo
	global_load_b128 v[41:44], v[37:38], off
.LBB81_31:                              ;   in Loop: Header=BB81_24 Depth=2
	s_and_not1_saveexec_b32 s3, s3
	s_cbranch_execz .LBB81_33
; %bb.32:                               ;   in Loop: Header=BB81_24 Depth=2
	v_add_nc_u32_e32 v37, s26, v96
	s_waitcnt vmcnt(0)
	ds_load_b128 v[41:44], v37
.LBB81_33:                              ;   in Loop: Header=BB81_24 Depth=2
	s_or_b32 exec_lo, exec_lo, s3
	v_add_nc_u32_e32 v77, s1, v82
	s_mov_b32 s3, exec_lo
                                        ; implicit-def: $vgpr40
	s_delay_alu instid0(VALU_DEP_1)
	v_cmpx_lt_u32_e32 0x7fff, v77
	s_xor_b32 s3, exec_lo, s3
	s_cbranch_execz .LBB81_35
; %bb.34:                               ;   in Loop: Header=BB81_24 Depth=2
	v_mov_b32_e32 v78, v63
	s_delay_alu instid0(VALU_DEP_1) | instskip(NEXT) | instid1(VALU_DEP_1)
	v_lshlrev_b64 v[37:38], 1, v[77:78]
	v_add_co_u32 v37, vcc_lo, s16, v37
	s_delay_alu instid0(VALU_DEP_2)
	v_add_co_ci_u32_e32 v38, vcc_lo, s17, v38, vcc_lo
	global_load_b128 v[37:40], v[37:38], off
.LBB81_35:                              ;   in Loop: Header=BB81_24 Depth=2
	s_and_not1_saveexec_b32 s3, s3
	s_cbranch_execz .LBB81_37
; %bb.36:                               ;   in Loop: Header=BB81_24 Depth=2
	s_waitcnt vmcnt(0)
	v_add_nc_u32_e32 v39, s10, v96
	ds_load_2addr_b32 v[37:38], v39 offset1:1
	ds_load_2addr_b32 v[39:40], v39 offset0:2 offset1:3
.LBB81_37:                              ;   in Loop: Header=BB81_24 Depth=2
	s_or_b32 exec_lo, exec_lo, s3
	v_dual_mov_b32 v52, 0 :: v_dual_mov_b32 v51, 0
	v_dual_mov_b32 v50, 0 :: v_dual_mov_b32 v49, 0
	;; [unrolled: 1-line block ×6, first 2 shown]
	s_mov_b32 s3, exec_lo
	v_cmpx_gt_u32_e64 s8, v75
	s_cbranch_execz .LBB81_22
; %bb.38:                               ;   in Loop: Header=BB81_24 Depth=2
	s_mov_b32 s4, exec_lo
                                        ; implicit-def: $vgpr60
	v_cmpx_lt_u32_e32 0x7fff, v75
	s_xor_b32 s4, exec_lo, s4
	s_cbranch_execz .LBB81_40
; %bb.39:                               ;   in Loop: Header=BB81_24 Depth=2
	v_mov_b32_e32 v76, v63
	s_delay_alu instid0(VALU_DEP_1) | instskip(NEXT) | instid1(VALU_DEP_1)
	v_lshlrev_b64 v[49:50], 1, v[75:76]
	v_add_co_u32 v49, vcc_lo, s16, v49
	s_delay_alu instid0(VALU_DEP_2)
	v_add_co_ci_u32_e32 v50, vcc_lo, s17, v50, vcc_lo
	global_load_b128 v[57:60], v[49:50], off
.LBB81_40:                              ;   in Loop: Header=BB81_24 Depth=2
	s_and_not1_saveexec_b32 s4, s4
	s_cbranch_execz .LBB81_42
; %bb.41:                               ;   in Loop: Header=BB81_24 Depth=2
	s_waitcnt vmcnt(0)
	ds_load_b128 v[57:60], v96 offset:512
.LBB81_42:                              ;   in Loop: Header=BB81_24 Depth=2
	s_or_b32 exec_lo, exec_lo, s4
	v_add_nc_u32_e32 v62, 0x100, v62
	s_mov_b32 s4, exec_lo
                                        ; implicit-def: $vgpr56
	s_delay_alu instid0(VALU_DEP_1)
	v_cmpx_lt_u32_e32 0x7fff, v62
	s_xor_b32 s4, exec_lo, s4
	s_cbranch_execz .LBB81_44
; %bb.43:                               ;   in Loop: Header=BB81_24 Depth=2
	v_lshlrev_b64 v[49:50], 1, v[62:63]
	s_delay_alu instid0(VALU_DEP_1) | instskip(NEXT) | instid1(VALU_DEP_2)
	v_add_co_u32 v49, vcc_lo, s16, v49
	v_add_co_ci_u32_e32 v50, vcc_lo, s17, v50, vcc_lo
	global_load_b128 v[53:56], v[49:50], off
.LBB81_44:                              ;   in Loop: Header=BB81_24 Depth=2
	s_and_not1_saveexec_b32 s4, s4
	s_cbranch_execz .LBB81_46
; %bb.45:                               ;   in Loop: Header=BB81_24 Depth=2
	v_add_nc_u32_e32 v49, s26, v96
	s_waitcnt vmcnt(0)
	ds_load_b128 v[53:56], v49 offset:512
.LBB81_46:                              ;   in Loop: Header=BB81_24 Depth=2
	s_or_b32 exec_lo, exec_lo, s4
	v_add_nc_u32_e32 v62, 0x100, v77
	s_mov_b32 s4, exec_lo
                                        ; implicit-def: $vgpr52
	s_delay_alu instid0(VALU_DEP_1)
	v_cmpx_lt_u32_e32 0x7fff, v62
	s_xor_b32 s4, exec_lo, s4
	s_cbranch_execz .LBB81_48
; %bb.47:                               ;   in Loop: Header=BB81_24 Depth=2
	v_lshlrev_b64 v[49:50], 1, v[62:63]
	s_delay_alu instid0(VALU_DEP_1) | instskip(NEXT) | instid1(VALU_DEP_2)
	v_add_co_u32 v49, vcc_lo, s16, v49
	v_add_co_ci_u32_e32 v50, vcc_lo, s17, v50, vcc_lo
	global_load_b128 v[49:52], v[49:50], off
.LBB81_48:                              ;   in Loop: Header=BB81_24 Depth=2
	s_and_not1_saveexec_b32 s4, s4
	s_cbranch_execz .LBB81_21
; %bb.49:                               ;   in Loop: Header=BB81_24 Depth=2
	s_waitcnt vmcnt(0)
	v_add_nc_u32_e32 v51, s10, v96
	ds_load_2addr_b32 v[49:50], v51 offset0:128 offset1:129
	ds_load_2addr_b32 v[51:52], v51 offset0:130 offset1:131
	s_branch .LBB81_21
.LBB81_50:                              ;   in Loop: Header=BB81_19 Depth=1
	v_cvt_i32_f32_e32 v5, v95
	v_cvt_i32_f32_e32 v6, v94
	s_waitcnt lgkmcnt(0)
	v_xor_b32_e32 v7, 16, v83
	v_cvt_i32_f32_e32 v8, v93
	v_cvt_i32_f32_e32 v10, v91
	v_cvt_f32_i32_dpp v5, v5 row_shr:8 row_mask:0xf bank_mask:0xf bound_ctrl:1
	v_cvt_f32_i32_dpp v6, v6 row_shr:8 row_mask:0xf bank_mask:0xf bound_ctrl:1
	v_cmp_gt_i32_e32 vcc_lo, 32, v7
	v_cvt_i32_f32_e32 v9, v92
	v_cvt_f32_i32_dpp v8, v8 row_shr:8 row_mask:0xf bank_mask:0xf bound_ctrl:1
	s_delay_alu instid0(VALU_DEP_4) | instskip(SKIP_3) | instid1(VALU_DEP_4)
	v_dual_add_f32 v5, v95, v5 :: v_dual_add_f32 v6, v94, v6
	v_cvt_f32_i32_dpp v10, v10 row_shr:8 row_mask:0xf bank_mask:0xf bound_ctrl:1
	v_cvt_i32_f32_e32 v11, v90
	v_cvt_i32_f32_e32 v12, v89
	;; [unrolled: 1-line block ×4, first 2 shown]
	v_cvt_f32_i32_dpp v9, v9 row_shr:8 row_mask:0xf bank_mask:0xf bound_ctrl:1
	v_cvt_f32_i32_dpp v11, v11 row_shr:8 row_mask:0xf bank_mask:0xf bound_ctrl:1
	;; [unrolled: 1-line block ×5, first 2 shown]
	v_cndmask_b32_e32 v7, v83, v7, vcc_lo
	s_delay_alu instid0(VALU_DEP_4) | instskip(NEXT) | instid1(VALU_DEP_4)
	v_dual_add_f32 v9, v92, v9 :: v_dual_add_f32 v12, v89, v12
	v_dual_add_f32 v5, v5, v13 :: v_dual_add_f32 v10, v91, v10
	s_delay_alu instid0(VALU_DEP_3) | instskip(SKIP_1) | instid1(VALU_DEP_3)
	v_dual_add_f32 v6, v6, v14 :: v_dual_lshlrev_b32 v7, 2, v7
	v_add_f32_e32 v8, v93, v8
	v_cvt_i32_f32_e32 v13, v5
	v_cvt_i32_f32_e32 v16, v9
	s_delay_alu instid0(VALU_DEP_4) | instskip(SKIP_3) | instid1(VALU_DEP_4)
	v_cvt_i32_f32_e32 v14, v6
	v_cvt_i32_f32_e32 v17, v10
	;; [unrolled: 1-line block ×3, first 2 shown]
	v_cvt_f32_i32_dpp v13, v13 row_shr:2 row_mask:0xf bank_mask:0xf bound_ctrl:1
	v_cvt_f32_i32_dpp v14, v14 row_shr:2 row_mask:0xf bank_mask:0xf bound_ctrl:1
	s_delay_alu instid0(VALU_DEP_4) | instskip(NEXT) | instid1(VALU_DEP_3)
	v_cvt_f32_i32_dpp v17, v17 row_shr:4 row_mask:0xf bank_mask:0xf bound_ctrl:1
	v_add_f32_e32 v5, v5, v13
	v_cvt_i32_f32_e32 v13, v12
	s_delay_alu instid0(VALU_DEP_4)
	v_add_f32_e32 v6, v6, v14
	v_cvt_f32_i32_dpp v14, v15 row_shr:4 row_mask:0xf bank_mask:0xf bound_ctrl:1
	v_add_f32_e32 v11, v90, v11
	v_cvt_f32_i32_dpp v15, v16 row_shr:4 row_mask:0xf bank_mask:0xf bound_ctrl:1
	v_cvt_i32_f32_e32 v16, v5
	v_cvt_i32_f32_e32 v19, v6
	v_add_f32_e32 v8, v8, v14
	v_cvt_i32_f32_e32 v18, v11
	v_cvt_f32_i32_dpp v13, v13 row_shr:4 row_mask:0xf bank_mask:0xf bound_ctrl:1
	v_cvt_f32_i32_dpp v16, v16 row_shr:1 row_mask:0xf bank_mask:0xf bound_ctrl:1
	;; [unrolled: 1-line block ×3, first 2 shown]
	v_dual_add_f32 v9, v9, v15 :: v_dual_add_f32 v10, v10, v17
	v_cvt_f32_i32_dpp v18, v18 row_shr:4 row_mask:0xf bank_mask:0xf bound_ctrl:1
	s_delay_alu instid0(VALU_DEP_4) | instskip(NEXT) | instid1(VALU_DEP_4)
	v_add_f32_e32 v27, v5, v16
	v_dual_add_f32 v21, v6, v19 :: v_dual_add_f32 v6, v12, v13
	s_delay_alu instid0(VALU_DEP_4) | instskip(NEXT) | instid1(VALU_DEP_4)
	v_cvt_i32_f32_e32 v12, v9
	v_add_f32_e32 v5, v11, v18
	v_cvt_i32_f32_e32 v11, v8
	v_cvt_i32_f32_e32 v13, v10
	;; [unrolled: 1-line block ×3, first 2 shown]
	v_cvt_f32_i32_dpp v12, v12 row_shr:2 row_mask:0xf bank_mask:0xf bound_ctrl:1
	v_cvt_i32_f32_e32 v16, v85
	v_cvt_f32_i32_dpp v11, v11 row_shr:2 row_mask:0xf bank_mask:0xf bound_ctrl:1
	v_cvt_f32_i32_dpp v13, v13 row_shr:2 row_mask:0xf bank_mask:0xf bound_ctrl:1
	;; [unrolled: 1-line block ×3, first 2 shown]
	v_add_f32_e32 v9, v9, v12
	v_cvt_f32_i32_dpp v16, v16 row_shr:8 row_mask:0xf bank_mask:0xf bound_ctrl:1
	v_add_f32_e32 v8, v8, v11
	v_add_f32_e32 v10, v10, v13
	v_cvt_i32_f32_e32 v14, v5
	v_cvt_i32_f32_e32 v12, v9
	v_add_f32_e32 v6, v6, v15
	v_cvt_i32_f32_e32 v11, v8
	v_cvt_i32_f32_e32 v13, v10
	v_cvt_f32_i32_dpp v14, v14 row_shr:2 row_mask:0xf bank_mask:0xf bound_ctrl:1
	v_cvt_f32_i32_dpp v12, v12 row_shr:1 row_mask:0xf bank_mask:0xf bound_ctrl:1
	v_add_f32_e32 v16, v85, v16
	v_cvt_f32_i32_dpp v11, v11 row_shr:1 row_mask:0xf bank_mask:0xf bound_ctrl:1
	v_cvt_f32_i32_dpp v13, v13 row_shr:1 row_mask:0xf bank_mask:0xf bound_ctrl:1
	v_add_f32_e32 v5, v5, v14
	v_add_f32_e32 v18, v9, v12
	v_cvt_i32_f32_e32 v9, v84
	s_waitcnt vmcnt(0)
	v_cvt_i32_f32_e32 v29, v16
	v_add_f32_e32 v13, v10, v13
	v_cvt_i32_f32_e32 v14, v5
	v_cvt_i32_f32_e32 v15, v6
	v_cvt_f32_i32_dpp v9, v9 row_shr:8 row_mask:0xf bank_mask:0xf bound_ctrl:1
	v_cvt_f32_i32_dpp v29, v29 row_shr:4 row_mask:0xf bank_mask:0xf bound_ctrl:1
	ds_bpermute_b32 v28, v7, v27
	v_cvt_f32_i32_dpp v14, v14 row_shr:1 row_mask:0xf bank_mask:0xf bound_ctrl:1
	v_add_f32_e32 v23, v8, v11
	v_cvt_i32_f32_e32 v11, v87
	v_cvt_f32_i32_dpp v15, v15 row_shr:1 row_mask:0xf bank_mask:0xf bound_ctrl:1
	ds_bpermute_b32 v22, v7, v21
	v_add_f32_e32 v10, v5, v14
	v_cvt_i32_f32_e32 v14, v86
	v_cvt_f32_i32_dpp v11, v11 row_shr:8 row_mask:0xf bank_mask:0xf bound_ctrl:1
	v_cvt_i32_f32_e32 v5, v88
	ds_bpermute_b32 v25, v7, v23
	ds_bpermute_b32 v20, v7, v18
	v_cvt_f32_i32_dpp v14, v14 row_shr:8 row_mask:0xf bank_mask:0xf bound_ctrl:1
	v_add_f32_e32 v9, v84, v9
	v_cvt_f32_i32_dpp v5, v5 row_shr:8 row_mask:0xf bank_mask:0xf bound_ctrl:1
	v_add_f32_e32 v6, v6, v15
	ds_bpermute_b32 v15, v7, v13
	v_add_f32_e32 v14, v86, v14
	v_cvt_i32_f32_e32 v19, v9
	v_add_f32_e32 v5, v88, v5
	v_add_f32_e32 v16, v16, v29
	ds_bpermute_b32 v12, v7, v10
	v_cvt_i32_f32_e32 v26, v14
	v_cvt_f32_i32_dpp v19, v19 row_shr:4 row_mask:0xf bank_mask:0xf bound_ctrl:1
	v_cvt_i32_f32_e32 v17, v5
	v_cvt_i32_f32_e32 v29, v16
	ds_bpermute_b32 v8, v7, v6
	v_cvt_f32_i32_dpp v26, v26 row_shr:4 row_mask:0xf bank_mask:0xf bound_ctrl:1
	v_add_f32_e32 v11, v87, v11
	v_add_f32_e32 v9, v9, v19
	v_cvt_f32_i32_dpp v29, v29 row_shr:2 row_mask:0xf bank_mask:0xf bound_ctrl:1
	v_cvt_f32_i32_dpp v17, v17 row_shr:4 row_mask:0xf bank_mask:0xf bound_ctrl:1
	v_add_f32_e32 v14, v14, v26
	v_cvt_i32_f32_e32 v24, v11
	v_cvt_i32_f32_e32 v19, v9
	v_add_f32_e32 v16, v16, v29
	s_delay_alu instid0(VALU_DEP_4) | instskip(NEXT) | instid1(VALU_DEP_4)
	v_cvt_i32_f32_e32 v26, v14
	v_cvt_f32_i32_dpp v24, v24 row_shr:4 row_mask:0xf bank_mask:0xf bound_ctrl:1
	s_delay_alu instid0(VALU_DEP_4) | instskip(NEXT) | instid1(VALU_DEP_4)
	v_cvt_f32_i32_dpp v19, v19 row_shr:2 row_mask:0xf bank_mask:0xf bound_ctrl:1
	v_cvt_i32_f32_e32 v29, v16
	s_delay_alu instid0(VALU_DEP_4) | instskip(NEXT) | instid1(VALU_DEP_4)
	v_cvt_f32_i32_dpp v26, v26 row_shr:2 row_mask:0xf bank_mask:0xf bound_ctrl:1
	v_add_f32_e32 v11, v11, v24
	s_delay_alu instid0(VALU_DEP_4) | instskip(NEXT) | instid1(VALU_DEP_4)
	v_add_f32_e32 v9, v9, v19
	v_cvt_f32_i32_dpp v29, v29 row_shr:1 row_mask:0xf bank_mask:0xf bound_ctrl:1
	s_delay_alu instid0(VALU_DEP_4) | instskip(NEXT) | instid1(VALU_DEP_4)
	v_add_f32_e32 v19, v14, v26
	v_cvt_i32_f32_e32 v24, v11
	s_delay_alu instid0(VALU_DEP_2) | instskip(NEXT) | instid1(VALU_DEP_2)
	v_cvt_i32_f32_e32 v26, v19
	v_cvt_f32_i32_dpp v24, v24 row_shr:2 row_mask:0xf bank_mask:0xf bound_ctrl:1
	s_delay_alu instid0(VALU_DEP_2) | instskip(NEXT) | instid1(VALU_DEP_2)
	v_cvt_f32_i32_dpp v26, v26 row_shr:1 row_mask:0xf bank_mask:0xf bound_ctrl:1
	v_add_f32_e32 v11, v11, v24
	s_delay_alu instid0(VALU_DEP_1) | instskip(NEXT) | instid1(VALU_DEP_1)
	v_cvt_i32_f32_e32 v24, v11
	v_cvt_f32_i32_dpp v30, v24 row_shr:1 row_mask:0xf bank_mask:0xf bound_ctrl:1
	v_add_f32_e32 v5, v5, v17
	s_delay_alu instid0(VALU_DEP_1) | instskip(NEXT) | instid1(VALU_DEP_1)
	v_cvt_i32_f32_e32 v17, v5
	v_cvt_f32_i32_dpp v17, v17 row_shr:2 row_mask:0xf bank_mask:0xf bound_ctrl:1
	s_delay_alu instid0(VALU_DEP_1) | instskip(SKIP_1) | instid1(VALU_DEP_2)
	v_add_f32_e32 v5, v5, v17
	v_cvt_i32_f32_e32 v17, v9
	v_cvt_i32_f32_e32 v14, v5
	s_delay_alu instid0(VALU_DEP_2) | instskip(NEXT) | instid1(VALU_DEP_2)
	v_cvt_f32_i32_dpp v17, v17 row_shr:1 row_mask:0xf bank_mask:0xf bound_ctrl:1
	v_cvt_f32_i32_dpp v14, v14 row_shr:1 row_mask:0xf bank_mask:0xf bound_ctrl:1
	s_delay_alu instid0(VALU_DEP_2) | instskip(SKIP_1) | instid1(VALU_DEP_3)
	v_add_f32_e32 v17, v9, v17
	v_add_f32_e32 v9, v19, v26
	;; [unrolled: 1-line block ×3, first 2 shown]
	v_dual_add_f32 v14, v11, v30 :: v_dual_add_f32 v5, v16, v29
	ds_bpermute_b32 v19, v7, v17
	ds_bpermute_b32 v11, v7, v9
	;; [unrolled: 1-line block ×5, first 2 shown]
	s_and_saveexec_b32 s5, s0
	s_cbranch_execz .LBB81_66
; %bb.51:                               ;   in Loop: Header=BB81_19 Depth=1
	v_dual_mov_b32 v40, 0 :: v_dual_mov_b32 v39, 0
	v_dual_mov_b32 v38, 0 :: v_dual_mov_b32 v37, 0
	;; [unrolled: 1-line block ×6, first 2 shown]
	s_and_not1_b32 vcc_lo, exec_lo, s25
	s_cbranch_vccnz .LBB81_53
; %bb.52:                               ;   in Loop: Header=BB81_19 Depth=1
	v_mul_hi_u32 v29, v61, v81
	v_mul_hi_u32 v30, v66, v81
	;; [unrolled: 1-line block ×4, first 2 shown]
	v_mov_b32_e32 v44, v63
	v_mov_b32_e32 v48, v63
	v_mul_lo_u32 v29, v29, s18
	v_mul_lo_u32 v33, v30, s18
	;; [unrolled: 1-line block ×4, first 2 shown]
	s_delay_alu instid0(VALU_DEP_4) | instskip(NEXT) | instid1(VALU_DEP_4)
	v_sub_nc_u32_e32 v29, v61, v29
	v_sub_nc_u32_e32 v33, v66, v33
	s_delay_alu instid0(VALU_DEP_4) | instskip(NEXT) | instid1(VALU_DEP_4)
	v_sub_nc_u32_e32 v31, v65, v31
	v_sub_nc_u32_e32 v34, v64, v32
	s_delay_alu instid0(VALU_DEP_4)
	v_subrev_nc_u32_e32 v35, s18, v29
	v_cmp_le_u32_e32 vcc_lo, s18, v29
	v_mov_b32_e32 v30, v63
	v_subrev_nc_u32_e32 v36, s18, v33
	v_subrev_nc_u32_e32 v37, s18, v31
	;; [unrolled: 1-line block ×3, first 2 shown]
	v_cndmask_b32_e32 v29, v29, v35, vcc_lo
	v_cmp_le_u32_e32 vcc_lo, s18, v33
	v_mov_b32_e32 v32, v63
	s_delay_alu instid0(VALU_DEP_3) | instskip(SKIP_2) | instid1(VALU_DEP_2)
	v_subrev_nc_u32_e32 v35, s18, v29
	v_cndmask_b32_e32 v33, v33, v36, vcc_lo
	v_cmp_le_u32_e32 vcc_lo, s18, v31
	v_subrev_nc_u32_e32 v36, s18, v33
	v_cndmask_b32_e32 v31, v31, v37, vcc_lo
	v_cmp_le_u32_e32 vcc_lo, s18, v34
	v_dual_cndmask_b32 v37, v34, v38 :: v_dual_mov_b32 v34, v63
	v_cmp_le_u32_e32 vcc_lo, s18, v29
	s_delay_alu instid0(VALU_DEP_2) | instskip(SKIP_3) | instid1(VALU_DEP_3)
	v_subrev_nc_u32_e32 v39, s18, v37
	v_cndmask_b32_e32 v62, v29, v35, vcc_lo
	v_cmp_le_u32_e32 vcc_lo, s18, v33
	v_subrev_nc_u32_e32 v38, s18, v31
	v_add_nc_u32_e32 v43, s27, v62
	v_cndmask_b32_e32 v29, v33, v36, vcc_lo
	v_cmp_le_u32_e32 vcc_lo, s18, v31
	v_lshlrev_b64 v[35:36], 1, v[62:63]
	v_add_nc_u32_e32 v62, s28, v62
	v_cndmask_b32_e32 v31, v31, v38, vcc_lo
	v_cmp_le_u32_e32 vcc_lo, s18, v37
	s_delay_alu instid0(VALU_DEP_2)
	v_add_nc_u32_e32 v47, s27, v31
	v_cndmask_b32_e32 v33, v37, v39, vcc_lo
	v_lshlrev_b64 v[37:38], 1, v[29:30]
	v_lshlrev_b64 v[39:40], 1, v[31:32]
	v_add_co_u32 v35, vcc_lo, s12, v35
	v_add_co_ci_u32_e32 v36, vcc_lo, s13, v36, vcc_lo
	s_delay_alu instid0(VALU_DEP_4)
	v_add_co_u32 v37, vcc_lo, s12, v37
	v_add_co_ci_u32_e32 v38, vcc_lo, s13, v38, vcc_lo
	v_lshlrev_b64 v[41:42], 1, v[33:34]
	v_add_co_u32 v45, vcc_lo, s12, v39
	v_add_co_ci_u32_e32 v46, vcc_lo, s13, v40, vcc_lo
	v_lshlrev_b64 v[39:40], 1, v[43:44]
	v_add_nc_u32_e32 v43, s27, v29
	v_add_co_u32 v41, vcc_lo, s12, v41
	v_add_co_ci_u32_e32 v42, vcc_lo, s13, v42, vcc_lo
	s_delay_alu instid0(VALU_DEP_3)
	v_lshlrev_b64 v[43:44], 1, v[43:44]
	v_add_co_u32 v49, vcc_lo, s12, v39
	v_add_co_ci_u32_e32 v50, vcc_lo, s13, v40, vcc_lo
	v_lshlrev_b64 v[39:40], 1, v[47:48]
	v_add_nc_u32_e32 v47, s27, v33
	v_add_co_u32 v43, vcc_lo, s12, v43
	v_add_co_ci_u32_e32 v44, vcc_lo, s13, v44, vcc_lo
	s_delay_alu instid0(VALU_DEP_3)
	v_lshlrev_b64 v[47:48], 1, v[47:48]
	v_add_co_u32 v51, vcc_lo, s12, v39
	v_add_co_ci_u32_e32 v52, vcc_lo, s13, v40, vcc_lo
	v_lshlrev_b64 v[39:40], 1, v[62:63]
	v_add_nc_u32_e32 v62, s28, v29
	v_add_co_u32 v29, vcc_lo, s12, v47
	v_add_co_ci_u32_e32 v30, vcc_lo, s13, v48, vcc_lo
	s_delay_alu instid0(VALU_DEP_3) | instskip(SKIP_3) | instid1(VALU_DEP_3)
	v_lshlrev_b64 v[47:48], 1, v[62:63]
	v_add_nc_u32_e32 v62, s28, v31
	v_add_co_u32 v31, vcc_lo, s12, v39
	v_add_co_ci_u32_e32 v32, vcc_lo, s13, v40, vcc_lo
	v_lshlrev_b64 v[39:40], 1, v[62:63]
	v_add_nc_u32_e32 v62, s28, v33
	v_add_co_u32 v47, vcc_lo, s12, v47
	v_add_co_ci_u32_e32 v48, vcc_lo, s13, v48, vcc_lo
	s_delay_alu instid0(VALU_DEP_3) | instskip(SKIP_2) | instid1(VALU_DEP_3)
	v_lshlrev_b64 v[33:34], 1, v[62:63]
	v_add_co_u32 v53, vcc_lo, s12, v39
	v_add_co_ci_u32_e32 v54, vcc_lo, s13, v40, vcc_lo
	v_add_co_u32 v55, vcc_lo, s12, v33
	s_delay_alu instid0(VALU_DEP_4)
	v_add_co_ci_u32_e32 v56, vcc_lo, s13, v34, vcc_lo
	s_clause 0xb
	global_load_u16 v40, v[35:36], off
	global_load_u16 v39, v[37:38], off
	;; [unrolled: 1-line block ×12, first 2 shown]
.LBB81_53:                              ;   in Loop: Header=BB81_19 Depth=1
	v_cmp_ne_u32_e32 vcc_lo, 0, v1
	s_and_saveexec_b32 s2, vcc_lo
	s_cbranch_execnz .LBB81_71
; %bb.54:                               ;   in Loop: Header=BB81_19 Depth=1
	s_or_b32 exec_lo, exec_lo, s2
	v_cmp_ne_u32_e64 s1, 0, v2
	s_delay_alu instid0(VALU_DEP_1)
	s_and_saveexec_b32 s3, s1
	s_cbranch_execnz .LBB81_72
.LBB81_55:                              ;   in Loop: Header=BB81_19 Depth=1
	s_or_b32 exec_lo, exec_lo, s3
	v_cmp_ne_u32_e64 s2, 0, v3
	s_delay_alu instid0(VALU_DEP_1)
	s_and_saveexec_b32 s4, s2
	s_cbranch_execnz .LBB81_73
.LBB81_56:                              ;   in Loop: Header=BB81_19 Depth=1
	s_or_b32 exec_lo, exec_lo, s4
	v_cmp_ne_u32_e64 s3, 0, v4
	s_delay_alu instid0(VALU_DEP_1)
	s_and_saveexec_b32 s29, s3
	s_cbranch_execnz .LBB81_74
.LBB81_57:                              ;   in Loop: Header=BB81_19 Depth=1
	s_or_b32 exec_lo, exec_lo, s29
	v_add_nc_u32_e32 v62, s11, v61
	s_and_saveexec_b32 s29, vcc_lo
	s_cbranch_execnz .LBB81_75
.LBB81_58:                              ;   in Loop: Header=BB81_19 Depth=1
	s_or_b32 exec_lo, exec_lo, s29
	s_and_saveexec_b32 s29, s1
	s_cbranch_execnz .LBB81_76
.LBB81_59:                              ;   in Loop: Header=BB81_19 Depth=1
	s_or_b32 exec_lo, exec_lo, s29
	s_and_saveexec_b32 s29, s2
	s_cbranch_execnz .LBB81_77
.LBB81_60:                              ;   in Loop: Header=BB81_19 Depth=1
	s_or_b32 exec_lo, exec_lo, s29
	s_and_saveexec_b32 s29, s3
	s_cbranch_execnz .LBB81_78
.LBB81_61:                              ;   in Loop: Header=BB81_19 Depth=1
	s_or_b32 exec_lo, exec_lo, s29
	v_add_nc_u32_e32 v62, s11, v62
	s_and_saveexec_b32 s4, vcc_lo
	s_cbranch_execnz .LBB81_79
.LBB81_62:                              ;   in Loop: Header=BB81_19 Depth=1
	s_or_b32 exec_lo, exec_lo, s4
	s_and_saveexec_b32 s4, s1
	s_cbranch_execnz .LBB81_80
.LBB81_63:                              ;   in Loop: Header=BB81_19 Depth=1
	s_or_b32 exec_lo, exec_lo, s4
	s_and_saveexec_b32 s1, s2
	s_cbranch_execnz .LBB81_81
.LBB81_64:                              ;   in Loop: Header=BB81_19 Depth=1
	s_or_b32 exec_lo, exec_lo, s1
	s_delay_alu instid0(SALU_CYCLE_1)
	s_and_b32 exec_lo, exec_lo, s3
	s_cbranch_execz .LBB81_66
.LBB81_65:                              ;   in Loop: Header=BB81_19 Depth=1
	s_waitcnt lgkmcnt(0)
	v_dual_add_f32 v5, v5, v7 :: v_dual_add_nc_u32 v62, 3, v62
	s_waitcnt vmcnt(0)
	v_cvt_f32_f16_e32 v6, v29
	s_delay_alu instid0(VALU_DEP_1) | instskip(NEXT) | instid1(VALU_DEP_3)
	v_add_f32_e32 v7, v5, v6
	v_lshlrev_b64 v[5:6], 1, v[62:63]
	s_delay_alu instid0(VALU_DEP_2) | instskip(NEXT) | instid1(VALU_DEP_2)
	v_cvt_f16_f32_e32 v7, v7
	v_add_co_u32 v5, vcc_lo, s14, v5
	s_delay_alu instid0(VALU_DEP_3)
	v_add_co_ci_u32_e32 v6, vcc_lo, s15, v6, vcc_lo
	global_store_b16 v[5:6], v7, off
.LBB81_66:                              ;   in Loop: Header=BB81_19 Depth=1
	s_or_b32 exec_lo, exec_lo, s5
	v_add_nc_u32_e32 v61, s19, v61
	s_delay_alu instid0(VALU_DEP_1) | instskip(SKIP_1) | instid1(VALU_DEP_2)
	v_add_nc_u32_e32 v5, 4, v61
	v_cmp_gt_u32_e32 vcc_lo, s11, v61
	v_cmp_le_u32_e64 s1, s11, v5
	s_delay_alu instid0(VALU_DEP_1) | instskip(NEXT) | instid1(SALU_CYCLE_1)
	s_and_b32 s1, vcc_lo, s1
	s_and_saveexec_b32 s29, s1
	s_cbranch_execz .LBB81_18
; %bb.67:                               ;   in Loop: Header=BB81_19 Depth=1
	s_mov_b32 s30, exec_lo
	v_cmpx_ne_u32_e64 s20, v61
	s_cbranch_execz .LBB81_17
; %bb.68:                               ;   in Loop: Header=BB81_19 Depth=1
	v_subrev_nc_u32_e32 v5, s20, v61
	s_mov_b32 s31, 0
	s_mov_b64 s[4:5], 0
	s_delay_alu instid0(VALU_DEP_1)
	v_cmp_lt_u32_e32 vcc_lo, 1, v5
	v_cndmask_b32_e32 v5, 1, v5, vcc_lo
	.p2align	6
.LBB81_69:                              ;   Parent Loop BB81_19 Depth=1
                                        ; =>  This Inner Loop Header: Depth=2
	s_cmp_lg_u32 s4, 3
	s_cselect_b32 vcc_lo, -1, 0
	s_cmp_lg_u32 s4, 2
	v_cndmask_b32_e32 v4, 0, v4, vcc_lo
	s_cselect_b32 s1, -1, 0
	s_cmp_lg_u32 s4, 1
	v_cndmask_b32_e64 v3, 0, v3, s1
	s_cselect_b32 s2, -1, 0
	s_cmp_lg_u32 s4, 0
	v_cndmask_b32_e64 v2, 0, v2, s2
	s_cselect_b32 s3, -1, 0
	s_add_u32 s4, s4, 1
	v_cndmask_b32_e64 v1, 0, v1, s3
	v_cmp_eq_u32_e32 vcc_lo, s4, v5
	s_addc_u32 s5, s5, 0
	s_or_b32 s31, vcc_lo, s31
	s_delay_alu instid0(SALU_CYCLE_1)
	s_and_not1_b32 exec_lo, exec_lo, s31
	s_cbranch_execnz .LBB81_69
; %bb.70:                               ;   in Loop: Header=BB81_19 Depth=1
	s_or_b32 exec_lo, exec_lo, s31
	s_branch .LBB81_17
.LBB81_71:                              ;   in Loop: Header=BB81_19 Depth=1
	s_waitcnt lgkmcnt(11)
	v_add_f32_e32 v27, v27, v28
	s_waitcnt vmcnt(11)
	v_cvt_f32_f16_e32 v28, v40
	v_mov_b32_e32 v62, v63
	s_delay_alu instid0(VALU_DEP_2) | instskip(NEXT) | instid1(VALU_DEP_2)
	v_add_f32_e32 v40, v27, v28
	v_lshlrev_b64 v[27:28], 1, v[61:62]
	s_delay_alu instid0(VALU_DEP_2) | instskip(NEXT) | instid1(VALU_DEP_2)
	v_cvt_f16_f32_e32 v40, v40
	v_add_co_u32 v27, s1, s14, v27
	s_delay_alu instid0(VALU_DEP_1) | instskip(SKIP_3) | instid1(VALU_DEP_1)
	v_add_co_ci_u32_e64 v28, s1, s15, v28, s1
	global_store_b16 v[27:28], v40, off
	s_or_b32 exec_lo, exec_lo, s2
	v_cmp_ne_u32_e64 s1, 0, v2
	s_and_saveexec_b32 s3, s1
	s_cbranch_execz .LBB81_55
.LBB81_72:                              ;   in Loop: Header=BB81_19 Depth=1
	s_waitcnt lgkmcnt(10)
	v_add_f32_e32 v21, v21, v22
	s_waitcnt vmcnt(10)
	v_cvt_f32_f16_e32 v22, v39
	v_mov_b32_e32 v67, v63
	s_delay_alu instid0(VALU_DEP_2) | instskip(NEXT) | instid1(VALU_DEP_2)
	v_add_f32_e32 v27, v21, v22
	v_lshlrev_b64 v[21:22], 1, v[66:67]
	s_delay_alu instid0(VALU_DEP_2) | instskip(NEXT) | instid1(VALU_DEP_2)
	v_cvt_f16_f32_e32 v27, v27
	v_add_co_u32 v21, s2, s14, v21
	s_delay_alu instid0(VALU_DEP_1) | instskip(SKIP_3) | instid1(VALU_DEP_1)
	v_add_co_ci_u32_e64 v22, s2, s15, v22, s2
	global_store_b16 v[21:22], v27, off
	s_or_b32 exec_lo, exec_lo, s3
	v_cmp_ne_u32_e64 s2, 0, v3
	s_and_saveexec_b32 s4, s2
	s_cbranch_execz .LBB81_56
.LBB81_73:                              ;   in Loop: Header=BB81_19 Depth=1
	s_waitcnt lgkmcnt(9)
	v_add_f32_e32 v21, v23, v25
	s_waitcnt vmcnt(9)
	v_cvt_f32_f16_e32 v22, v38
	s_delay_alu instid0(VALU_DEP_1) | instskip(NEXT) | instid1(VALU_DEP_1)
	v_dual_mov_b32 v66, v63 :: v_dual_add_f32 v23, v21, v22
	v_lshlrev_b64 v[21:22], 1, v[65:66]
	s_delay_alu instid0(VALU_DEP_2) | instskip(NEXT) | instid1(VALU_DEP_2)
	v_cvt_f16_f32_e32 v23, v23
	v_add_co_u32 v21, s3, s14, v21
	s_delay_alu instid0(VALU_DEP_1) | instskip(SKIP_3) | instid1(VALU_DEP_1)
	v_add_co_ci_u32_e64 v22, s3, s15, v22, s3
	global_store_b16 v[21:22], v23, off
	s_or_b32 exec_lo, exec_lo, s4
	v_cmp_ne_u32_e64 s3, 0, v4
	s_and_saveexec_b32 s29, s3
	s_cbranch_execz .LBB81_57
.LBB81_74:                              ;   in Loop: Header=BB81_19 Depth=1
	s_waitcnt lgkmcnt(8)
	v_dual_add_f32 v18, v18, v20 :: v_dual_mov_b32 v65, v63
	s_waitcnt vmcnt(8)
	v_cvt_f32_f16_e32 v20, v37
	s_delay_alu instid0(VALU_DEP_1) | instskip(NEXT) | instid1(VALU_DEP_3)
	v_add_f32_e32 v18, v18, v20
	v_lshlrev_b64 v[20:21], 1, v[64:65]
	s_delay_alu instid0(VALU_DEP_2) | instskip(NEXT) | instid1(VALU_DEP_2)
	v_cvt_f16_f32_e32 v18, v18
	v_add_co_u32 v20, s4, s14, v20
	s_delay_alu instid0(VALU_DEP_1)
	v_add_co_ci_u32_e64 v21, s4, s15, v21, s4
	global_store_b16 v[20:21], v18, off
	s_or_b32 exec_lo, exec_lo, s29
	v_add_nc_u32_e32 v62, s11, v61
	s_and_saveexec_b32 s29, vcc_lo
	s_cbranch_execz .LBB81_58
.LBB81_75:                              ;   in Loop: Header=BB81_19 Depth=1
	s_waitcnt lgkmcnt(7)
	v_add_f32_e32 v13, v13, v15
	s_waitcnt vmcnt(7)
	v_cvt_f32_f16_e32 v15, v36
	v_lshlrev_b64 v[20:21], 1, v[62:63]
	s_delay_alu instid0(VALU_DEP_2) | instskip(NEXT) | instid1(VALU_DEP_2)
	v_add_f32_e32 v13, v13, v15
	v_add_co_u32 v20, s4, s14, v20
	s_delay_alu instid0(VALU_DEP_1) | instskip(NEXT) | instid1(VALU_DEP_3)
	v_add_co_ci_u32_e64 v21, s4, s15, v21, s4
	v_cvt_f16_f32_e32 v13, v13
	global_store_b16 v[20:21], v13, off
	s_or_b32 exec_lo, exec_lo, s29
	s_and_saveexec_b32 s29, s1
	s_cbranch_execz .LBB81_59
.LBB81_76:                              ;   in Loop: Header=BB81_19 Depth=1
	s_waitcnt lgkmcnt(6)
	v_dual_add_f32 v10, v10, v12 :: v_dual_mov_b32 v13, v63
	v_add_nc_u32_e32 v12, 1, v62
	s_waitcnt vmcnt(6)
	v_cvt_f32_f16_e32 v15, v35
	s_delay_alu instid0(VALU_DEP_2) | instskip(NEXT) | instid1(VALU_DEP_2)
	v_lshlrev_b64 v[12:13], 1, v[12:13]
	v_add_f32_e32 v10, v10, v15
	s_delay_alu instid0(VALU_DEP_1) | instskip(NEXT) | instid1(VALU_DEP_3)
	v_cvt_f16_f32_e32 v10, v10
	v_add_co_u32 v12, s4, s14, v12
	s_delay_alu instid0(VALU_DEP_1)
	v_add_co_ci_u32_e64 v13, s4, s15, v13, s4
	global_store_b16 v[12:13], v10, off
	s_or_b32 exec_lo, exec_lo, s29
	s_and_saveexec_b32 s29, s2
	s_cbranch_execz .LBB81_60
.LBB81_77:                              ;   in Loop: Header=BB81_19 Depth=1
	s_waitcnt lgkmcnt(5)
	v_dual_add_f32 v6, v6, v8 :: v_dual_mov_b32 v13, v63
	v_add_nc_u32_e32 v12, 2, v62
	s_waitcnt vmcnt(5)
	v_cvt_f32_f16_e32 v8, v34
	s_delay_alu instid0(VALU_DEP_2) | instskip(NEXT) | instid1(VALU_DEP_2)
	v_lshlrev_b64 v[12:13], 1, v[12:13]
	v_add_f32_e32 v6, v6, v8
	s_delay_alu instid0(VALU_DEP_1) | instskip(NEXT) | instid1(VALU_DEP_3)
	v_cvt_f16_f32_e32 v6, v6
	v_add_co_u32 v12, s4, s14, v12
	s_delay_alu instid0(VALU_DEP_1)
	v_add_co_ci_u32_e64 v13, s4, s15, v13, s4
	global_store_b16 v[12:13], v6, off
	s_or_b32 exec_lo, exec_lo, s29
	s_and_saveexec_b32 s29, s3
	s_cbranch_execz .LBB81_61
.LBB81_78:                              ;   in Loop: Header=BB81_19 Depth=1
	s_waitcnt lgkmcnt(2)
	v_dual_add_f32 v6, v24, v26 :: v_dual_mov_b32 v13, v63
	v_add_nc_u32_e32 v12, 3, v62
	s_waitcnt vmcnt(4)
	v_cvt_f32_f16_e32 v8, v33
	s_delay_alu instid0(VALU_DEP_2) | instskip(NEXT) | instid1(VALU_DEP_2)
	v_lshlrev_b64 v[12:13], 1, v[12:13]
	v_add_f32_e32 v6, v6, v8
	s_delay_alu instid0(VALU_DEP_1) | instskip(NEXT) | instid1(VALU_DEP_3)
	v_cvt_f16_f32_e32 v6, v6
	v_add_co_u32 v12, s4, s14, v12
	s_delay_alu instid0(VALU_DEP_1)
	v_add_co_ci_u32_e64 v13, s4, s15, v13, s4
	global_store_b16 v[12:13], v6, off
	s_or_b32 exec_lo, exec_lo, s29
	v_add_nc_u32_e32 v62, s11, v62
	s_and_saveexec_b32 s4, vcc_lo
	s_cbranch_execz .LBB81_62
.LBB81_79:                              ;   in Loop: Header=BB81_19 Depth=1
	s_waitcnt lgkmcnt(4)
	v_add_f32_e32 v6, v17, v19
	s_waitcnt vmcnt(3)
	v_cvt_f32_f16_e32 v8, v32
	v_lshlrev_b64 v[12:13], 1, v[62:63]
	s_delay_alu instid0(VALU_DEP_2) | instskip(NEXT) | instid1(VALU_DEP_2)
	v_add_f32_e32 v6, v6, v8
	v_add_co_u32 v12, vcc_lo, s14, v12
	s_delay_alu instid0(VALU_DEP_3) | instskip(NEXT) | instid1(VALU_DEP_3)
	v_add_co_ci_u32_e32 v13, vcc_lo, s15, v13, vcc_lo
	v_cvt_f16_f32_e32 v6, v6
	global_store_b16 v[12:13], v6, off
	s_or_b32 exec_lo, exec_lo, s4
	s_and_saveexec_b32 s4, s1
	s_cbranch_execz .LBB81_63
.LBB81_80:                              ;   in Loop: Header=BB81_19 Depth=1
	s_waitcnt lgkmcnt(1)
	v_dual_add_f32 v6, v14, v16 :: v_dual_mov_b32 v13, v63
	v_add_nc_u32_e32 v12, 1, v62
	s_waitcnt vmcnt(2)
	v_cvt_f32_f16_e32 v8, v31
	s_delay_alu instid0(VALU_DEP_2) | instskip(NEXT) | instid1(VALU_DEP_2)
	v_lshlrev_b64 v[12:13], 1, v[12:13]
	v_add_f32_e32 v6, v6, v8
	s_delay_alu instid0(VALU_DEP_1) | instskip(NEXT) | instid1(VALU_DEP_3)
	v_cvt_f16_f32_e32 v6, v6
	v_add_co_u32 v12, vcc_lo, s14, v12
	s_delay_alu instid0(VALU_DEP_4)
	v_add_co_ci_u32_e32 v13, vcc_lo, s15, v13, vcc_lo
	global_store_b16 v[12:13], v6, off
	s_or_b32 exec_lo, exec_lo, s4
	s_and_saveexec_b32 s1, s2
	s_cbranch_execz .LBB81_64
.LBB81_81:                              ;   in Loop: Header=BB81_19 Depth=1
	s_waitcnt lgkmcnt(3)
	v_dual_add_f32 v6, v9, v11 :: v_dual_mov_b32 v9, v63
	v_add_nc_u32_e32 v8, 2, v62
	s_waitcnt vmcnt(1)
	v_cvt_f32_f16_e32 v10, v30
	s_delay_alu instid0(VALU_DEP_2) | instskip(NEXT) | instid1(VALU_DEP_2)
	v_lshlrev_b64 v[8:9], 1, v[8:9]
	v_add_f32_e32 v6, v6, v10
	s_delay_alu instid0(VALU_DEP_1) | instskip(NEXT) | instid1(VALU_DEP_3)
	v_cvt_f16_f32_e32 v6, v6
	v_add_co_u32 v8, vcc_lo, s14, v8
	s_delay_alu instid0(VALU_DEP_4) | instskip(SKIP_2) | instid1(SALU_CYCLE_1)
	v_add_co_ci_u32_e32 v9, vcc_lo, s15, v9, vcc_lo
	global_store_b16 v[8:9], v6, off
	s_or_b32 exec_lo, exec_lo, s1
	s_and_b32 exec_lo, exec_lo, s3
	s_cbranch_execnz .LBB81_65
	s_branch .LBB81_66
.LBB81_82:
	s_nop 0
	s_sendmsg sendmsg(MSG_DEALLOC_VGPRS)
	s_endpgm
	.section	.rodata,"a",@progbits
	.p2align	6, 0x0
	.amdhsa_kernel _Z12wvSplitK_hf_I6__halfLi32ELi4ELi16ELi8ELi2ELi3EEviiiiiiPKT_S3_S3_PS1_ii
		.amdhsa_group_segment_fixed_size 65536
		.amdhsa_private_segment_fixed_size 0
		.amdhsa_kernarg_size 64
		.amdhsa_user_sgpr_count 15
		.amdhsa_user_sgpr_dispatch_ptr 0
		.amdhsa_user_sgpr_queue_ptr 0
		.amdhsa_user_sgpr_kernarg_segment_ptr 1
		.amdhsa_user_sgpr_dispatch_id 0
		.amdhsa_user_sgpr_private_segment_size 0
		.amdhsa_wavefront_size32 1
		.amdhsa_uses_dynamic_stack 0
		.amdhsa_enable_private_segment 0
		.amdhsa_system_sgpr_workgroup_id_x 1
		.amdhsa_system_sgpr_workgroup_id_y 0
		.amdhsa_system_sgpr_workgroup_id_z 0
		.amdhsa_system_sgpr_workgroup_info 0
		.amdhsa_system_vgpr_workitem_id 1
		.amdhsa_next_free_vgpr 97
		.amdhsa_next_free_sgpr 32
		.amdhsa_reserve_vcc 1
		.amdhsa_float_round_mode_32 0
		.amdhsa_float_round_mode_16_64 0
		.amdhsa_float_denorm_mode_32 3
		.amdhsa_float_denorm_mode_16_64 3
		.amdhsa_dx10_clamp 1
		.amdhsa_ieee_mode 1
		.amdhsa_fp16_overflow 0
		.amdhsa_workgroup_processor_mode 1
		.amdhsa_memory_ordered 1
		.amdhsa_forward_progress 0
		.amdhsa_shared_vgpr_count 0
		.amdhsa_exception_fp_ieee_invalid_op 0
		.amdhsa_exception_fp_denorm_src 0
		.amdhsa_exception_fp_ieee_div_zero 0
		.amdhsa_exception_fp_ieee_overflow 0
		.amdhsa_exception_fp_ieee_underflow 0
		.amdhsa_exception_fp_ieee_inexact 0
		.amdhsa_exception_int_div_zero 0
	.end_amdhsa_kernel
	.section	.text._Z12wvSplitK_hf_I6__halfLi32ELi4ELi16ELi8ELi2ELi3EEviiiiiiPKT_S3_S3_PS1_ii,"axG",@progbits,_Z12wvSplitK_hf_I6__halfLi32ELi4ELi16ELi8ELi2ELi3EEviiiiiiPKT_S3_S3_PS1_ii,comdat
.Lfunc_end81:
	.size	_Z12wvSplitK_hf_I6__halfLi32ELi4ELi16ELi8ELi2ELi3EEviiiiiiPKT_S3_S3_PS1_ii, .Lfunc_end81-_Z12wvSplitK_hf_I6__halfLi32ELi4ELi16ELi8ELi2ELi3EEviiiiiiPKT_S3_S3_PS1_ii
                                        ; -- End function
	.section	.AMDGPU.csdata,"",@progbits
; Kernel info:
; codeLenInByte = 7432
; NumSgprs: 34
; NumVgprs: 97
; ScratchSize: 0
; MemoryBound: 0
; FloatMode: 240
; IeeeMode: 1
; LDSByteSize: 65536 bytes/workgroup (compile time only)
; SGPRBlocks: 4
; VGPRBlocks: 12
; NumSGPRsForWavesPerEU: 34
; NumVGPRsForWavesPerEU: 97
; Occupancy: 8
; WaveLimiterHint : 0
; COMPUTE_PGM_RSRC2:SCRATCH_EN: 0
; COMPUTE_PGM_RSRC2:USER_SGPR: 15
; COMPUTE_PGM_RSRC2:TRAP_HANDLER: 0
; COMPUTE_PGM_RSRC2:TGID_X_EN: 1
; COMPUTE_PGM_RSRC2:TGID_Y_EN: 0
; COMPUTE_PGM_RSRC2:TGID_Z_EN: 0
; COMPUTE_PGM_RSRC2:TIDIG_COMP_CNT: 1
	.section	.text._Z16wvSplitK_hf_big_I6__halfLi32ELi4ELi16ELi8ELi2ELi3EEviiiiiiPKT_S3_S3_PS1_ii,"axG",@progbits,_Z16wvSplitK_hf_big_I6__halfLi32ELi4ELi16ELi8ELi2ELi3EEviiiiiiPKT_S3_S3_PS1_ii,comdat
	.protected	_Z16wvSplitK_hf_big_I6__halfLi32ELi4ELi16ELi8ELi2ELi3EEviiiiiiPKT_S3_S3_PS1_ii ; -- Begin function _Z16wvSplitK_hf_big_I6__halfLi32ELi4ELi16ELi8ELi2ELi3EEviiiiiiPKT_S3_S3_PS1_ii
	.globl	_Z16wvSplitK_hf_big_I6__halfLi32ELi4ELi16ELi8ELi2ELi3EEviiiiiiPKT_S3_S3_PS1_ii
	.p2align	8
	.type	_Z16wvSplitK_hf_big_I6__halfLi32ELi4ELi16ELi8ELi2ELi3EEviiiiiiPKT_S3_S3_PS1_ii,@function
_Z16wvSplitK_hf_big_I6__halfLi32ELi4ELi16ELi8ELi2ELi3EEviiiiiiPKT_S3_S3_PS1_ii: ; @_Z16wvSplitK_hf_big_I6__halfLi32ELi4ELi16ELi8ELi2ELi3EEviiiiiiPKT_S3_S3_PS1_ii
; %bb.0:
	s_load_b64 s[20:21], s[0:1], 0x38
	v_bfe_u32 v5, v0, 10, 10
	s_mov_b32 s2, exec_lo
	s_waitcnt lgkmcnt(0)
	s_delay_alu instid0(VALU_DEP_1)
	v_cmpx_gt_u32_e64 s20, v5
	s_cbranch_execz .LBB82_64
; %bb.1:
	s_load_b128 s[16:19], s[0:1], 0x0
	s_mul_i32 s15, s15, s20
	s_mov_b32 s4, 1
	v_add_lshl_u32 v61, s15, v5, 2
	s_mov_b32 s5, s4
	s_mov_b32 s6, s4
	;; [unrolled: 1-line block ×3, first 2 shown]
	s_delay_alu instid0(VALU_DEP_1) | instskip(SKIP_2) | instid1(VALU_DEP_2)
	v_add_nc_u32_e32 v1, 4, v61
	s_waitcnt lgkmcnt(0)
	v_cmp_gt_u32_e32 vcc_lo, s19, v61
	v_cmp_le_u32_e64 s2, s19, v1
	v_dual_mov_b32 v1, s4 :: v_dual_mov_b32 v4, s7
	v_dual_mov_b32 v2, s5 :: v_dual_mov_b32 v3, s6
	s_delay_alu instid0(VALU_DEP_3) | instskip(NEXT) | instid1(SALU_CYCLE_1)
	s_and_b32 s2, vcc_lo, s2
	s_and_saveexec_b32 s8, s2
	s_cbranch_execz .LBB82_7
; %bb.2:
	v_dual_mov_b32 v1, s4 :: v_dual_mov_b32 v2, s5
	v_dual_mov_b32 v3, s6 :: v_dual_mov_b32 v4, s7
	s_add_i32 s9, s19, -4
	s_mov_b32 s10, exec_lo
	v_cmpx_ne_u32_e64 s9, v61
	s_cbranch_execz .LBB82_6
; %bb.3:
	v_subrev_nc_u32_e32 v1, s9, v61
	s_mov_b32 s11, 0
	s_mov_b64 s[2:3], 0
	s_mov_b32 s5, s4
	s_mov_b32 s6, s4
	v_cmp_lt_u32_e32 vcc_lo, 1, v1
	s_mov_b32 s7, s4
	v_cndmask_b32_e32 v6, 1, v1, vcc_lo
	.p2align	6
.LBB82_4:                               ; =>This Inner Loop Header: Depth=1
	s_cmp_lg_u32 s2, 3
	s_cselect_b32 s7, s7, 0
	s_cmp_lg_u32 s2, 2
	s_cselect_b32 s6, s6, 0
	;; [unrolled: 2-line block ×4, first 2 shown]
	s_add_u32 s2, s2, 1
	v_dual_mov_b32 v1, s4 :: v_dual_mov_b32 v2, s5
	v_cmp_eq_u32_e32 vcc_lo, s2, v6
	v_dual_mov_b32 v3, s6 :: v_dual_mov_b32 v4, s7
	s_addc_u32 s3, s3, 0
	s_or_b32 s11, vcc_lo, s11
	s_delay_alu instid0(SALU_CYCLE_1)
	s_and_not1_b32 exec_lo, exec_lo, s11
	s_cbranch_execnz .LBB82_4
; %bb.5:
	s_or_b32 exec_lo, exec_lo, s11
	v_mov_b32_e32 v61, s9
.LBB82_6:
	s_or_b32 exec_lo, exec_lo, s10
.LBB82_7:
	s_delay_alu instid0(SALU_CYCLE_1)
	s_or_b32 exec_lo, exec_lo, s8
	s_lshl_b32 s2, s20, 2
	s_abs_i32 s6, s19
	s_abs_i32 s3, s2
	s_mov_b32 s23, 0
	v_cvt_f32_u32_e32 v6, s3
	s_sub_i32 s5, 0, s3
	s_delay_alu instid0(VALU_DEP_1) | instskip(SKIP_2) | instid1(VALU_DEP_1)
	v_rcp_iflag_f32_e32 v6, v6
	s_waitcnt_depctr 0xfff
	v_mul_f32_e32 v6, 0x4f7ffffe, v6
	v_cvt_u32_f32_e32 v6, v6
	s_delay_alu instid0(VALU_DEP_1) | instskip(NEXT) | instid1(VALU_DEP_1)
	v_readfirstlane_b32 s4, v6
	s_mul_i32 s5, s5, s4
	s_delay_alu instid0(SALU_CYCLE_1) | instskip(NEXT) | instid1(SALU_CYCLE_1)
	s_mul_hi_u32 s5, s4, s5
	s_add_i32 s4, s4, s5
	s_ashr_i32 s5, s19, 31
	s_mul_hi_u32 s4, s6, s4
	s_delay_alu instid0(SALU_CYCLE_1) | instskip(NEXT) | instid1(SALU_CYCLE_1)
	s_mul_i32 s4, s4, s3
	s_sub_i32 s4, s6, s4
	s_delay_alu instid0(SALU_CYCLE_1) | instskip(SKIP_2) | instid1(SALU_CYCLE_1)
	s_sub_i32 s6, s4, s3
	s_cmp_ge_u32 s4, s3
	s_cselect_b32 s4, s6, s4
	s_sub_i32 s6, s4, s3
	s_cmp_ge_u32 s4, s3
	s_cselect_b32 s3, s6, s4
	s_add_i32 s2, s2, s19
	s_xor_b32 s3, s3, s5
	s_delay_alu instid0(SALU_CYCLE_1) | instskip(NEXT) | instid1(SALU_CYCLE_1)
	s_sub_i32 s3, s3, s5
	s_sub_i32 s2, s2, s3
	s_cmp_eq_u32 s3, 0
	s_cselect_b32 s22, s19, s2
	s_delay_alu instid0(SALU_CYCLE_1)
	v_cmp_gt_u32_e32 vcc_lo, s22, v61
	s_and_b32 exec_lo, exec_lo, vcc_lo
	s_cbranch_execz .LBB82_64
; %bb.8:
	s_load_b256 s[8:15], s[0:1], 0x10
	s_min_u32 s24, s18, 0x2a00
	s_cmp_lg_u32 s16, 0
	s_mul_i32 s2, s21, s20
	s_cselect_b32 s25, -1, 0
	s_cmp_lg_u32 s18, 0
	s_load_b64 s[6:7], s[0:1], 0x30
	s_cselect_b32 s21, -1, 0
	s_lshl_b32 s26, s20, 8
	s_add_i32 s27, s16, -8
	s_add_i32 s28, s19, -1
	s_lshl_b32 s29, s2, 2
	v_and_b32_e32 v8, 0x3ff, v0
	v_mbcnt_lo_u32_b32 v0, -1, 0
	s_delay_alu instid0(VALU_DEP_2)
	v_dual_mov_b32 v63, 0 :: v_dual_lshlrev_b32 v72, 3, v8
	v_cmp_eq_u32_e64 s0, 31, v8
	v_lshlrev_b32_e32 v8, 4, v8
	s_waitcnt lgkmcnt(0)
	s_cmp_lg_u64 s[14:15], 0
	v_cvt_f32_u32_e32 v7, s8
	s_cselect_b32 s30, -1, 0
	s_abs_i32 s2, s9
	s_add_i32 s9, s19, -4
	v_cvt_f32_u32_e32 v6, s2
	v_rcp_iflag_f32_e32 v7, v7
	s_sub_i32 s3, 0, s2
	s_sub_i32 s4, 0, s8
	;; [unrolled: 1-line block ×3, first 2 shown]
	v_rcp_iflag_f32_e32 v6, v6
	v_lshl_add_u32 v73, v5, 8, v72
	v_lshl_add_u32 v74, v5, 9, v8
	s_delay_alu instid0(VALU_DEP_2) | instskip(SKIP_3) | instid1(VALU_DEP_1)
	v_lshl_add_u32 v75, s18, 1, v73
	v_add_nc_u32_e32 v76, s18, v73
	s_waitcnt_depctr 0xfff
	v_mul_f32_e32 v6, 0x4f7ffffe, v6
	v_cvt_u32_f32_e32 v6, v6
	s_delay_alu instid0(VALU_DEP_1) | instskip(SKIP_1) | instid1(VALU_DEP_2)
	v_readfirstlane_b32 s1, v6
	v_mul_f32_e32 v6, 0x4f7ffffe, v7
	s_mul_i32 s3, s3, s1
	s_delay_alu instid0(VALU_DEP_1) | instskip(SKIP_1) | instid1(SALU_CYCLE_1)
	v_cvt_u32_f32_e32 v6, v6
	s_mul_hi_u32 s3, s1, s3
	s_add_i32 s1, s1, s3
	s_cmp_lt_u32 s2, 2
	s_delay_alu instid0(VALU_DEP_1) | instskip(SKIP_1) | instid1(SALU_CYCLE_1)
	v_mul_lo_u32 v7, s4, v6
	s_cselect_b32 s3, s5, 1
	s_sub_i32 s4, s3, s2
	s_cmp_ge_u32 s3, s2
	s_cselect_b32 s31, s4, s3
	s_lshr_b32 s1, s1, 31
	s_delay_alu instid0(VALU_DEP_1) | instskip(SKIP_3) | instid1(SALU_CYCLE_1)
	v_mul_hi_u32 v7, v6, v7
	s_mul_i32 s1, s1, s2
	s_mul_i32 s31, s31, s8
	s_sub_i32 s1, 2, s1
	s_sub_i32 s3, s1, s2
	s_cmp_ge_u32 s1, s2
	s_cselect_b32 s1, s3, s1
	s_delay_alu instid0(VALU_DEP_1)
	v_add_nc_u32_e32 v77, v6, v7
	s_sub_i32 s3, s1, s2
	s_cmp_ge_u32 s1, s2
	s_cselect_b32 s36, s3, s1
	s_add_u32 s33, s6, 2
	s_addc_u32 s34, s7, 0
	s_lshl_b32 s35, s24, 2
	s_lshl_b32 s20, s20, 9
	s_mul_i32 s36, s36, s8
	s_lshl_b32 s37, s24, 1
	s_branch .LBB82_12
.LBB82_9:                               ;   in Loop: Header=BB82_12 Depth=1
	s_or_b32 exec_lo, exec_lo, s40
	v_mov_b32_e32 v61, s9
.LBB82_10:                              ;   in Loop: Header=BB82_12 Depth=1
	s_or_b32 exec_lo, exec_lo, s39
.LBB82_11:                              ;   in Loop: Header=BB82_12 Depth=1
	s_delay_alu instid0(SALU_CYCLE_1) | instskip(NEXT) | instid1(VALU_DEP_1)
	s_or_b32 exec_lo, exec_lo, s38
	v_cmp_le_u32_e32 vcc_lo, s22, v61
	s_or_b32 s23, vcc_lo, s23
	s_delay_alu instid0(SALU_CYCLE_1)
	s_and_not1_b32 exec_lo, exec_lo, s23
	s_cbranch_execz .LBB82_64
.LBB82_12:                              ; =>This Loop Header: Depth=1
                                        ;     Child Loop BB82_17 Depth 2
                                        ;       Child Loop BB82_22 Depth 3
                                        ;     Child Loop BB82_51 Depth 2
	v_mov_b32_e32 v89, v63
	v_mov_b32_e32 v88, v63
	;; [unrolled: 1-line block ×12, first 2 shown]
	s_and_not1_b32 vcc_lo, exec_lo, s25
	s_mov_b32 s3, 0
	s_cbranch_vccnz .LBB82_29
; %bb.13:                               ;   in Loop: Header=BB82_12 Depth=1
	v_dual_mov_b32 v79, 0 :: v_dual_add_nc_u32 v6, 2, v61
	v_add_nc_u32_e32 v5, 1, v61
	v_add_nc_u32_e32 v7, 3, v61
	v_min_u32_e32 v8, s28, v61
	s_delay_alu instid0(VALU_DEP_4)
	v_min_u32_e32 v6, s28, v6
	s_waitcnt lgkmcnt(0)
	v_dual_mov_b32 v10, v63 :: v_dual_mov_b32 v81, 0
	v_cmp_gt_u32_e64 s1, s19, v61
	v_mul_lo_u32 v62, v8, s17
	v_mov_b32_e32 v8, v63
	v_min_u32_e32 v9, s28, v7
	v_mul_lo_u32 v7, v6, s17
	v_mov_b32_e32 v6, v63
	v_min_u32_e32 v5, s28, v5
	v_dual_mov_b32 v82, 0 :: v_dual_mov_b32 v83, 0
	v_mul_lo_u32 v9, v9, s17
	v_lshlrev_b64 v[64:65], 1, v[62:63]
	s_delay_alu instid0(VALU_DEP_4)
	v_mul_lo_u32 v5, v5, s17
	v_lshlrev_b64 v[68:69], 1, v[7:8]
	v_dual_mov_b32 v80, 0 :: v_dual_mov_b32 v85, 0
	v_dual_mov_b32 v78, 0 :: v_dual_mov_b32 v87, 0
	v_lshlrev_b64 v[70:71], 1, v[9:10]
	v_dual_mov_b32 v84, 0 :: v_dual_mov_b32 v89, 0
	v_lshlrev_b64 v[66:67], 1, v[5:6]
	v_mov_b32_e32 v86, 0
	v_mov_b32_e32 v88, 0
	s_mov_b32 s4, 0
	s_branch .LBB82_17
.LBB82_14:                              ;   in Loop: Header=BB82_17 Depth=2
	s_or_b32 exec_lo, exec_lo, s38
.LBB82_15:                              ;   in Loop: Header=BB82_17 Depth=2
	s_delay_alu instid0(SALU_CYCLE_1)
	s_or_b32 exec_lo, exec_lo, s5
	s_waitcnt vmcnt(7) lgkmcnt(2)
	;;#ASMSTART
	v_dot2_f32_f16 v89, v57, v45, v89
	;;#ASMEND
	s_waitcnt vmcnt(6)
	;;#ASMSTART
	v_dot2_f32_f16 v88, v57, v37, v88
	;;#ASMEND
	s_waitcnt vmcnt(5)
	;; [unrolled: 4-line block ×3, first 2 shown]
	;;#ASMSTART
	v_dot2_f32_f16 v86, v57, v33, v86
	;;#ASMEND
	s_waitcnt lgkmcnt(1)
	;;#ASMSTART
	v_dot2_f32_f16 v85, v53, v45, v85
	;;#ASMEND
	;;#ASMSTART
	v_dot2_f32_f16 v84, v53, v37, v84
	;;#ASMEND
	;; [unrolled: 3-line block ×4, first 2 shown]
	s_waitcnt lgkmcnt(0)
	;;#ASMSTART
	v_dot2_f32_f16 v79, v49, v45, v79
	;;#ASMEND
	;;#ASMSTART
	v_dot2_f32_f16 v82, v49, v37, v82
	;;#ASMEND
	;; [unrolled: 3-line block ×40, first 2 shown]
	s_waitcnt vmcnt(3)
	;;#ASMSTART
	v_dot2_f32_f16 v89, v29, v17, v89
	;;#ASMEND
	s_waitcnt vmcnt(2)
	;;#ASMSTART
	v_dot2_f32_f16 v88, v29, v13, v88
	;;#ASMEND
	;; [unrolled: 4-line block ×4, first 2 shown]
	;;#ASMSTART
	v_dot2_f32_f16 v85, v25, v17, v85
	;;#ASMEND
	;;#ASMSTART
	v_dot2_f32_f16 v84, v25, v13, v84
	;;#ASMEND
	;; [unrolled: 3-line block ×44, first 2 shown]
.LBB82_16:                              ;   in Loop: Header=BB82_17 Depth=2
	s_or_b32 exec_lo, exec_lo, s2
	s_addk_i32 s4, 0x200
	s_delay_alu instid0(SALU_CYCLE_1)
	s_cmp_ge_u32 s4, s16
	s_cbranch_scc1 .LBB82_29
.LBB82_17:                              ;   Parent Loop BB82_12 Depth=1
                                        ; =>  This Loop Header: Depth=2
                                        ;       Child Loop BB82_22 Depth 3
	s_cmp_eq_u32 s4, 0
	s_cselect_b32 s5, -1, 0
	s_add_i32 s2, s3, s24
	s_delay_alu instid0(SALU_CYCLE_1) | instskip(SKIP_1) | instid1(SALU_CYCLE_1)
	s_cmp_eq_u32 s4, s2
	s_cselect_b32 s38, -1, 0
	s_or_b32 s38, s5, s38
	s_delay_alu instid0(SALU_CYCLE_1)
	s_and_not1_b32 vcc_lo, exec_lo, s38
	s_cbranch_vccz .LBB82_19
; %bb.18:                               ;   in Loop: Header=BB82_17 Depth=2
	s_and_saveexec_b32 s2, s1
	s_cbranch_execz .LBB82_16
	s_branch .LBB82_26
.LBB82_19:                              ;   in Loop: Header=BB82_17 Depth=2
	s_and_b32 s5, s5, exec_lo
	s_cselect_b32 s3, s3, s2
	s_and_not1_b32 vcc_lo, exec_lo, s21
	s_waitcnt vmcnt(0)
	s_waitcnt_vscnt null, 0x0
	s_barrier
	buffer_gl0_inv
	s_cbranch_vccnz .LBB82_25
; %bb.20:                               ;   in Loop: Header=BB82_17 Depth=2
	v_dual_mov_b32 v8, v74 :: v_dual_add_nc_u32 v5, s3, v75
	v_add_nc_u32_e32 v6, s3, v76
	v_add_nc_u32_e32 v7, s3, v73
	s_mov_b32 s5, 0
	s_mov_b32 s38, 0
                                        ; implicit-def: $sgpr39
	s_branch .LBB82_22
.LBB82_21:                              ;   in Loop: Header=BB82_22 Depth=3
	s_or_b32 exec_lo, exec_lo, s2
	s_delay_alu instid0(SALU_CYCLE_1) | instskip(NEXT) | instid1(SALU_CYCLE_1)
	s_and_b32 s2, exec_lo, s39
	s_or_b32 s5, s2, s5
	s_delay_alu instid0(SALU_CYCLE_1)
	s_and_not1_b32 exec_lo, exec_lo, s5
	s_cbranch_execz .LBB82_24
.LBB82_22:                              ;   Parent Loop BB82_12 Depth=1
                                        ;     Parent Loop BB82_17 Depth=2
                                        ; =>    This Inner Loop Header: Depth=3
	s_delay_alu instid0(VALU_DEP_1) | instskip(SKIP_2) | instid1(VALU_DEP_2)
	v_add_nc_u32_e32 v62, s38, v7
	v_add_nc_u32_e32 v9, s38, v73
	s_or_b32 s39, s39, exec_lo
	v_cmp_gt_u32_e32 vcc_lo, s18, v62
	s_delay_alu instid0(VALU_DEP_2) | instskip(NEXT) | instid1(VALU_DEP_1)
	v_cmp_gt_u32_e64 s2, s24, v9
	s_and_b32 s40, s2, vcc_lo
	s_delay_alu instid0(SALU_CYCLE_1)
	s_and_saveexec_b32 s2, s40
	s_cbranch_execz .LBB82_21
; %bb.23:                               ;   in Loop: Header=BB82_22 Depth=3
	v_lshlrev_b64 v[9:10], 1, v[62:63]
	v_add_nc_u32_e32 v62, s38, v6
	v_add_nc_u32_e32 v21, s37, v8
	;; [unrolled: 1-line block ×3, first 2 shown]
	s_delay_alu instid0(VALU_DEP_3) | instskip(SKIP_3) | instid1(VALU_DEP_3)
	v_lshlrev_b64 v[11:12], 1, v[62:63]
	v_add_nc_u32_e32 v62, s38, v5
	v_add_co_u32 v9, vcc_lo, s12, v9
	v_add_co_ci_u32_e32 v10, vcc_lo, s13, v10, vcc_lo
	v_lshlrev_b64 v[13:14], 1, v[62:63]
	v_add_co_u32 v15, vcc_lo, s12, v11
	v_add_co_ci_u32_e32 v16, vcc_lo, s13, v12, vcc_lo
	s_add_i32 s38, s38, s26
	s_delay_alu instid0(VALU_DEP_3) | instskip(NEXT) | instid1(VALU_DEP_4)
	v_add_co_u32 v17, vcc_lo, s12, v13
	v_add_co_ci_u32_e32 v18, vcc_lo, s13, v14, vcc_lo
	s_clause 0x2
	global_load_b128 v[9:12], v[9:10], off
	global_load_b128 v[13:16], v[15:16], off
	;; [unrolled: 1-line block ×3, first 2 shown]
	s_cmp_ge_u32 s38, s24
	s_cselect_b32 s40, -1, 0
	s_and_not1_b32 s39, s39, exec_lo
	s_and_b32 s40, s40, exec_lo
	s_delay_alu instid0(SALU_CYCLE_1)
	s_or_b32 s39, s39, s40
	s_waitcnt vmcnt(2)
	ds_store_b128 v8, v[9:12]
	v_add_nc_u32_e32 v8, s20, v8
	s_waitcnt vmcnt(1)
	ds_store_2addr_b64 v21, v[13:14], v[15:16] offset1:1
	s_waitcnt vmcnt(0)
	ds_store_2addr_b32 v22, v17, v18 offset1:1
	ds_store_2addr_b32 v22, v19, v20 offset0:2 offset1:3
	s_branch .LBB82_21
.LBB82_24:                              ;   in Loop: Header=BB82_17 Depth=2
	s_or_b32 exec_lo, exec_lo, s5
.LBB82_25:                              ;   in Loop: Header=BB82_17 Depth=2
	s_waitcnt lgkmcnt(0)
	s_barrier
	buffer_gl0_inv
	s_and_saveexec_b32 s2, s1
	s_cbranch_execz .LBB82_16
.LBB82_26:                              ;   in Loop: Header=BB82_17 Depth=2
	v_dual_mov_b32 v57, 0 :: v_dual_add_nc_u32 v90, s4, v72
	v_dual_mov_b32 v59, 0 :: v_dual_mov_b32 v60, 0
	v_dual_mov_b32 v29, 0 :: v_dual_mov_b32 v30, 0
	s_delay_alu instid0(VALU_DEP_3) | instskip(SKIP_3) | instid1(VALU_DEP_3)
	v_min_u32_e32 v62, s27, v90
	v_dual_mov_b32 v58, 0 :: v_dual_add_nc_u32 v91, 0x100, v90
	s_waitcnt vmcnt(0)
	v_dual_mov_b32 v31, 0 :: v_dual_mov_b32 v32, 0
	v_lshlrev_b64 v[5:6], 1, v[62:63]
	s_delay_alu instid0(VALU_DEP_3) | instskip(SKIP_2) | instid1(VALU_DEP_4)
	v_min_u32_e32 v62, s27, v91
	v_dual_mov_b32 v53, 0 :: v_dual_mov_b32 v54, 0
	v_dual_mov_b32 v55, 0 :: v_dual_mov_b32 v56, 0
	v_add_co_u32 v13, vcc_lo, s10, v5
	v_add_co_ci_u32_e32 v14, vcc_lo, s11, v6, vcc_lo
	v_lshlrev_b64 v[5:6], 1, v[62:63]
	s_delay_alu instid0(VALU_DEP_3) | instskip(NEXT) | instid1(VALU_DEP_3)
	v_add_co_u32 v7, vcc_lo, v13, v64
	v_add_co_ci_u32_e32 v8, vcc_lo, v14, v65, vcc_lo
	v_add_co_u32 v9, vcc_lo, v13, v66
	v_add_co_ci_u32_e32 v10, vcc_lo, v14, v67, vcc_lo
	;; [unrolled: 2-line block ×5, first 2 shown]
	s_clause 0x1
	global_load_b128 v[45:48], v[7:8], off slc dlc
	global_load_b128 v[37:40], v[9:10], off slc dlc
	v_add_co_u32 v7, vcc_lo, v15, v64
	v_add_co_ci_u32_e32 v8, vcc_lo, v16, v65, vcc_lo
	v_add_co_u32 v9, vcc_lo, v15, v66
	v_add_co_ci_u32_e32 v10, vcc_lo, v16, v67, vcc_lo
	;; [unrolled: 2-line block ×4, first 2 shown]
	s_clause 0x5
	global_load_b128 v[41:44], v[11:12], off slc dlc
	global_load_b128 v[33:36], v[5:6], off slc dlc
	;; [unrolled: 1-line block ×6, first 2 shown]
	v_cmp_gt_u32_e32 vcc_lo, s16, v90
	v_dual_mov_b32 v25, 0 :: v_dual_mov_b32 v26, 0
	v_dual_mov_b32 v27, 0 :: v_dual_mov_b32 v28, 0
	;; [unrolled: 1-line block ×6, first 2 shown]
	s_and_saveexec_b32 s5, vcc_lo
	s_cbranch_execz .LBB82_15
; %bb.27:                               ;   in Loop: Header=BB82_17 Depth=2
	v_subrev_nc_u32_e32 v21, s3, v90
	v_dual_mov_b32 v24, 0 :: v_dual_mov_b32 v25, 0
	v_dual_mov_b32 v22, 0 :: v_dual_mov_b32 v31, 0
	s_delay_alu instid0(VALU_DEP_3) | instskip(SKIP_2) | instid1(VALU_DEP_3)
	v_dual_mov_b32 v23, 0 :: v_dual_lshlrev_b32 v92, 1, v21
	v_dual_mov_b32 v28, 0 :: v_dual_mov_b32 v29, 0
	v_mov_b32_e32 v26, 0
	v_dual_mov_b32 v21, 0 :: v_dual_add_nc_u32 v90, s37, v92
	v_mov_b32_e32 v32, 0
	v_mov_b32_e32 v30, 0
	s_mov_b32 s38, exec_lo
	s_delay_alu instid0(VALU_DEP_3)
	v_dual_mov_b32 v27, 0 :: v_dual_add_nc_u32 v62, s37, v90
	ds_load_b128 v[57:60], v92
	ds_load_b128 v[53:56], v90
	;; [unrolled: 1-line block ×3, first 2 shown]
	v_cmpx_gt_u32_e64 s16, v91
	s_cbranch_execz .LBB82_14
; %bb.28:                               ;   in Loop: Header=BB82_17 Depth=2
	ds_load_b128 v[29:32], v92 offset:512
	ds_load_b128 v[25:28], v90 offset:512
	ds_load_b128 v[21:24], v62 offset:512
	s_branch .LBB82_14
.LBB82_29:                              ;   in Loop: Header=BB82_12 Depth=1
	s_mov_b32 s1, exec_lo
	v_cmpx_le_u32_e64 s19, v61
	s_xor_b32 s1, exec_lo, s1
; %bb.30:                               ;   in Loop: Header=BB82_12 Depth=1
	v_add_nc_u32_e32 v61, s29, v61
                                        ; implicit-def: $vgpr89
                                        ; implicit-def: $vgpr88
                                        ; implicit-def: $vgpr87
                                        ; implicit-def: $vgpr86
                                        ; implicit-def: $vgpr85
                                        ; implicit-def: $vgpr84
                                        ; implicit-def: $vgpr83
                                        ; implicit-def: $vgpr81
                                        ; implicit-def: $vgpr78
                                        ; implicit-def: $vgpr80
                                        ; implicit-def: $vgpr82
                                        ; implicit-def: $vgpr79
; %bb.31:                               ;   in Loop: Header=BB82_12 Depth=1
	s_and_not1_saveexec_b32 s38, s1
	s_cbranch_execz .LBB82_11
; %bb.32:                               ;   in Loop: Header=BB82_12 Depth=1
	v_cvt_i32_f32_e32 v5, v89
	v_cvt_i32_f32_e32 v6, v88
	v_xor_b32_e32 v7, 16, v0
	v_cvt_i32_f32_e32 v8, v87
	v_cvt_i32_f32_e32 v9, v86
	v_cvt_f32_i32_dpp v5, v5 row_shr:8 row_mask:0xf bank_mask:0xf bound_ctrl:1
	v_cvt_f32_i32_dpp v6, v6 row_shr:8 row_mask:0xf bank_mask:0xf bound_ctrl:1
	v_cmp_gt_i32_e32 vcc_lo, 32, v7
	v_cvt_i32_f32_e32 v12, v83
	v_cvt_f32_i32_dpp v8, v8 row_shr:8 row_mask:0xf bank_mask:0xf bound_ctrl:1
	s_delay_alu instid0(VALU_DEP_4) | instskip(SKIP_1) | instid1(VALU_DEP_4)
	v_dual_add_f32 v5, v89, v5 :: v_dual_add_f32 v6, v88, v6
	v_cvt_f32_i32_dpp v9, v9 row_shr:8 row_mask:0xf bank_mask:0xf bound_ctrl:1
	v_cvt_f32_i32_dpp v12, v12 row_shr:8 row_mask:0xf bank_mask:0xf bound_ctrl:1
	s_waitcnt lgkmcnt(0)
	v_cvt_i32_f32_e32 v10, v85
	v_cvt_i32_f32_e32 v13, v5
	v_cvt_i32_f32_e32 v14, v6
	v_cvt_i32_f32_e32 v11, v84
	v_add_f32_e32 v12, v83, v12
	v_cvt_f32_i32_dpp v10, v10 row_shr:8 row_mask:0xf bank_mask:0xf bound_ctrl:1
	v_cvt_f32_i32_dpp v13, v13 row_shr:4 row_mask:0xf bank_mask:0xf bound_ctrl:1
	v_cvt_f32_i32_dpp v14, v14 row_shr:4 row_mask:0xf bank_mask:0xf bound_ctrl:1
	v_cndmask_b32_e32 v7, v0, v7, vcc_lo
	v_cvt_f32_i32_dpp v11, v11 row_shr:8 row_mask:0xf bank_mask:0xf bound_ctrl:1
	s_delay_alu instid0(VALU_DEP_3) | instskip(SKIP_1) | instid1(VALU_DEP_3)
	v_dual_add_f32 v5, v5, v13 :: v_dual_add_f32 v6, v6, v14
	s_waitcnt vmcnt(0)
	v_lshlrev_b32_e32 v31, 2, v7
	s_delay_alu instid0(VALU_DEP_2) | instskip(NEXT) | instid1(VALU_DEP_1)
	v_cvt_i32_f32_e32 v13, v6
	v_cvt_f32_i32_dpp v13, v13 row_shr:2 row_mask:0xf bank_mask:0xf bound_ctrl:1
	v_dual_add_f32 v7, v87, v8 :: v_dual_add_f32 v8, v86, v9
	s_delay_alu instid0(VALU_DEP_2) | instskip(NEXT) | instid1(VALU_DEP_2)
	v_add_f32_e32 v6, v6, v13
	v_cvt_i32_f32_e32 v14, v7
	s_delay_alu instid0(VALU_DEP_3) | instskip(NEXT) | instid1(VALU_DEP_3)
	v_cvt_i32_f32_e32 v15, v8
	v_cvt_i32_f32_e32 v18, v6
	s_delay_alu instid0(VALU_DEP_3) | instskip(NEXT) | instid1(VALU_DEP_3)
	v_cvt_f32_i32_dpp v13, v14 row_shr:4 row_mask:0xf bank_mask:0xf bound_ctrl:1
	v_cvt_f32_i32_dpp v14, v15 row_shr:4 row_mask:0xf bank_mask:0xf bound_ctrl:1
	s_delay_alu instid0(VALU_DEP_3) | instskip(NEXT) | instid1(VALU_DEP_2)
	v_cvt_f32_i32_dpp v18, v18 row_shr:1 row_mask:0xf bank_mask:0xf bound_ctrl:1
	v_dual_add_f32 v13, v7, v13 :: v_dual_add_f32 v8, v8, v14
	v_add_f32_e32 v9, v85, v10
	v_cvt_i32_f32_e32 v10, v5
	s_delay_alu instid0(VALU_DEP_4) | instskip(NEXT) | instid1(VALU_DEP_2)
	v_add_f32_e32 v7, v6, v18
	v_cvt_f32_i32_dpp v10, v10 row_shr:2 row_mask:0xf bank_mask:0xf bound_ctrl:1
	s_delay_alu instid0(VALU_DEP_1) | instskip(SKIP_1) | instid1(VALU_DEP_2)
	v_add_f32_e32 v5, v5, v10
	v_cvt_i32_f32_e32 v10, v12
	v_cvt_i32_f32_e32 v15, v5
	s_delay_alu instid0(VALU_DEP_2) | instskip(NEXT) | instid1(VALU_DEP_2)
	v_cvt_f32_i32_dpp v10, v10 row_shr:4 row_mask:0xf bank_mask:0xf bound_ctrl:1
	v_cvt_f32_i32_dpp v15, v15 row_shr:1 row_mask:0xf bank_mask:0xf bound_ctrl:1
	s_delay_alu instid0(VALU_DEP_2) | instskip(SKIP_1) | instid1(VALU_DEP_3)
	v_add_f32_e32 v6, v12, v10
	v_cvt_i32_f32_e32 v10, v13
	v_add_f32_e32 v29, v5, v15
	s_delay_alu instid0(VALU_DEP_3) | instskip(NEXT) | instid1(VALU_DEP_3)
	v_cvt_i32_f32_e32 v15, v6
	v_cvt_f32_i32_dpp v10, v10 row_shr:2 row_mask:0xf bank_mask:0xf bound_ctrl:1
	v_add_f32_e32 v11, v84, v11
	ds_bpermute_b32 v30, v31, v29
	v_cvt_f32_i32_dpp v15, v15 row_shr:2 row_mask:0xf bank_mask:0xf bound_ctrl:1
	v_add_f32_e32 v10, v13, v10
	v_cvt_i32_f32_e32 v17, v11
	s_delay_alu instid0(VALU_DEP_3) | instskip(NEXT) | instid1(VALU_DEP_2)
	v_add_f32_e32 v6, v6, v15
	v_cvt_f32_i32_dpp v17, v17 row_shr:4 row_mask:0xf bank_mask:0xf bound_ctrl:1
	s_delay_alu instid0(VALU_DEP_2) | instskip(NEXT) | instid1(VALU_DEP_2)
	v_cvt_i32_f32_e32 v15, v6
	v_add_f32_e32 v5, v11, v17
	v_cvt_i32_f32_e32 v11, v8
	s_delay_alu instid0(VALU_DEP_3) | instskip(NEXT) | instid1(VALU_DEP_2)
	v_cvt_f32_i32_dpp v15, v15 row_shr:1 row_mask:0xf bank_mask:0xf bound_ctrl:1
	v_cvt_f32_i32_dpp v11, v11 row_shr:2 row_mask:0xf bank_mask:0xf bound_ctrl:1
	s_delay_alu instid0(VALU_DEP_1) | instskip(SKIP_2) | instid1(VALU_DEP_2)
	v_add_f32_e32 v8, v8, v11
	v_cvt_i32_f32_e32 v16, v9
	v_cvt_i32_f32_e32 v11, v10
	v_cvt_f32_i32_dpp v16, v16 row_shr:4 row_mask:0xf bank_mask:0xf bound_ctrl:1
	s_delay_alu instid0(VALU_DEP_2) | instskip(NEXT) | instid1(VALU_DEP_2)
	v_cvt_f32_i32_dpp v11, v11 row_shr:1 row_mask:0xf bank_mask:0xf bound_ctrl:1
	v_add_f32_e32 v9, v9, v16
	s_delay_alu instid0(VALU_DEP_2) | instskip(SKIP_1) | instid1(VALU_DEP_3)
	v_add_f32_e32 v25, v10, v11
	v_cvt_i32_f32_e32 v10, v80
	v_cvt_i32_f32_e32 v12, v9
	s_delay_alu instid0(VALU_DEP_2) | instskip(NEXT) | instid1(VALU_DEP_2)
	v_cvt_f32_i32_dpp v10, v10 row_shr:8 row_mask:0xf bank_mask:0xf bound_ctrl:1
	v_cvt_f32_i32_dpp v12, v12 row_shr:2 row_mask:0xf bank_mask:0xf bound_ctrl:1
	s_delay_alu instid0(VALU_DEP_1) | instskip(SKIP_1) | instid1(VALU_DEP_2)
	v_dual_add_f32 v10, v80, v10 :: v_dual_add_f32 v9, v9, v12
	v_cvt_i32_f32_e32 v12, v8
	v_cvt_i32_f32_e32 v20, v10
	s_delay_alu instid0(VALU_DEP_3) | instskip(NEXT) | instid1(VALU_DEP_3)
	v_cvt_i32_f32_e32 v13, v9
	v_cvt_f32_i32_dpp v12, v12 row_shr:1 row_mask:0xf bank_mask:0xf bound_ctrl:1
	s_delay_alu instid0(VALU_DEP_3) | instskip(NEXT) | instid1(VALU_DEP_3)
	v_cvt_f32_i32_dpp v20, v20 row_shr:4 row_mask:0xf bank_mask:0xf bound_ctrl:1
	v_cvt_f32_i32_dpp v13, v13 row_shr:1 row_mask:0xf bank_mask:0xf bound_ctrl:1
	s_delay_alu instid0(VALU_DEP_2) | instskip(NEXT) | instid1(VALU_DEP_2)
	v_add_f32_e32 v10, v10, v20
	v_dual_add_f32 v16, v9, v13 :: v_dual_add_f32 v9, v6, v15
	v_cvt_i32_f32_e32 v6, v79
	ds_bpermute_b32 v24, v31, v7
	v_cvt_i32_f32_e32 v20, v10
	ds_bpermute_b32 v18, v31, v16
	v_cvt_f32_i32_dpp v6, v6 row_shr:8 row_mask:0xf bank_mask:0xf bound_ctrl:1
	v_cvt_f32_i32_dpp v20, v20 row_shr:2 row_mask:0xf bank_mask:0xf bound_ctrl:1
	s_delay_alu instid0(VALU_DEP_2) | instskip(NEXT) | instid1(VALU_DEP_1)
	v_add_f32_e32 v6, v79, v6
	v_cvt_i32_f32_e32 v17, v6
	s_delay_alu instid0(VALU_DEP_1) | instskip(SKIP_3) | instid1(VALU_DEP_4)
	v_cvt_f32_i32_dpp v17, v17 row_shr:4 row_mask:0xf bank_mask:0xf bound_ctrl:1
	v_add_f32_e32 v21, v8, v12
	v_cvt_i32_f32_e32 v8, v82
	v_cvt_i32_f32_e32 v12, v78
	v_add_f32_e32 v6, v6, v17
	ds_bpermute_b32 v23, v31, v21
	v_cvt_f32_i32_dpp v8, v8 row_shr:8 row_mask:0xf bank_mask:0xf bound_ctrl:1
	v_cvt_f32_i32_dpp v12, v12 row_shr:8 row_mask:0xf bank_mask:0xf bound_ctrl:1
	v_cvt_i32_f32_e32 v17, v6
	s_delay_alu instid0(VALU_DEP_3) | instskip(SKIP_1) | instid1(VALU_DEP_4)
	v_add_f32_e32 v8, v82, v8
	v_cvt_i32_f32_e32 v14, v5
	v_add_f32_e32 v12, v78, v12
	s_delay_alu instid0(VALU_DEP_4) | instskip(NEXT) | instid1(VALU_DEP_4)
	v_cvt_f32_i32_dpp v17, v17 row_shr:2 row_mask:0xf bank_mask:0xf bound_ctrl:1
	v_cvt_i32_f32_e32 v19, v8
	s_delay_alu instid0(VALU_DEP_4) | instskip(NEXT) | instid1(VALU_DEP_4)
	v_cvt_f32_i32_dpp v14, v14 row_shr:2 row_mask:0xf bank_mask:0xf bound_ctrl:1
	v_cvt_i32_f32_e32 v22, v12
	s_delay_alu instid0(VALU_DEP_4) | instskip(NEXT) | instid1(VALU_DEP_4)
	v_add_f32_e32 v6, v6, v17
	v_cvt_f32_i32_dpp v19, v19 row_shr:4 row_mask:0xf bank_mask:0xf bound_ctrl:1
	s_delay_alu instid0(VALU_DEP_4) | instskip(NEXT) | instid1(VALU_DEP_4)
	v_add_f32_e32 v5, v5, v14
	v_cvt_f32_i32_dpp v22, v22 row_shr:4 row_mask:0xf bank_mask:0xf bound_ctrl:1
	s_delay_alu instid0(VALU_DEP_4) | instskip(NEXT) | instid1(VALU_DEP_4)
	v_cvt_i32_f32_e32 v17, v6
	v_add_f32_e32 v8, v8, v19
	s_delay_alu instid0(VALU_DEP_4) | instskip(NEXT) | instid1(VALU_DEP_4)
	v_cvt_i32_f32_e32 v14, v5
	v_add_f32_e32 v12, v12, v22
	ds_bpermute_b32 v27, v31, v25
	v_cvt_f32_i32_dpp v17, v17 row_shr:1 row_mask:0xf bank_mask:0xf bound_ctrl:1
	v_cvt_i32_f32_e32 v19, v8
	v_cvt_f32_i32_dpp v14, v14 row_shr:1 row_mask:0xf bank_mask:0xf bound_ctrl:1
	v_cvt_i32_f32_e32 v22, v12
	s_delay_alu instid0(VALU_DEP_3) | instskip(NEXT) | instid1(VALU_DEP_3)
	v_cvt_f32_i32_dpp v19, v19 row_shr:2 row_mask:0xf bank_mask:0xf bound_ctrl:1
	v_add_f32_e32 v13, v5, v14
	v_cvt_i32_f32_e32 v5, v81
	s_delay_alu instid0(VALU_DEP_4) | instskip(NEXT) | instid1(VALU_DEP_4)
	v_cvt_f32_i32_dpp v22, v22 row_shr:2 row_mask:0xf bank_mask:0xf bound_ctrl:1
	v_add_f32_e32 v8, v8, v19
	ds_bpermute_b32 v15, v31, v13
	v_cvt_f32_i32_dpp v5, v5 row_shr:8 row_mask:0xf bank_mask:0xf bound_ctrl:1
	v_cvt_i32_f32_e32 v19, v8
	s_delay_alu instid0(VALU_DEP_2) | instskip(NEXT) | instid1(VALU_DEP_2)
	v_add_f32_e32 v5, v81, v5
	v_cvt_f32_i32_dpp v19, v19 row_shr:1 row_mask:0xf bank_mask:0xf bound_ctrl:1
	v_add_f32_e32 v10, v10, v20
	s_delay_alu instid0(VALU_DEP_3) | instskip(NEXT) | instid1(VALU_DEP_2)
	v_cvt_i32_f32_e32 v14, v5
	v_cvt_i32_f32_e32 v20, v10
	s_delay_alu instid0(VALU_DEP_2) | instskip(NEXT) | instid1(VALU_DEP_2)
	v_cvt_f32_i32_dpp v14, v14 row_shr:4 row_mask:0xf bank_mask:0xf bound_ctrl:1
	v_cvt_f32_i32_dpp v28, v20 row_shr:1 row_mask:0xf bank_mask:0xf bound_ctrl:1
	s_delay_alu instid0(VALU_DEP_2) | instskip(SKIP_1) | instid1(VALU_DEP_2)
	v_dual_add_f32 v5, v5, v14 :: v_dual_add_f32 v20, v6, v17
	v_add_f32_e32 v17, v8, v19
	v_cvt_i32_f32_e32 v14, v5
	ds_bpermute_b32 v19, v31, v17
	v_cvt_f32_i32_dpp v14, v14 row_shr:2 row_mask:0xf bank_mask:0xf bound_ctrl:1
	s_delay_alu instid0(VALU_DEP_1) | instskip(SKIP_4) | instid1(VALU_DEP_2)
	v_add_f32_e32 v5, v5, v14
	v_add_f32_e32 v14, v12, v22
	ds_bpermute_b32 v11, v31, v9
	v_cvt_i32_f32_e32 v12, v5
	v_cvt_i32_f32_e32 v22, v14
	v_cvt_f32_i32_dpp v12, v12 row_shr:1 row_mask:0xf bank_mask:0xf bound_ctrl:1
	s_delay_alu instid0(VALU_DEP_2) | instskip(NEXT) | instid1(VALU_DEP_2)
	v_cvt_f32_i32_dpp v22, v22 row_shr:1 row_mask:0xf bank_mask:0xf bound_ctrl:1
	v_add_f32_e32 v26, v5, v12
	v_add_f32_e32 v12, v10, v28
	s_delay_alu instid0(VALU_DEP_3)
	v_add_f32_e32 v8, v14, v22
	ds_bpermute_b32 v22, v31, v20
	ds_bpermute_b32 v28, v31, v26
	;; [unrolled: 1-line block ×4, first 2 shown]
	s_and_saveexec_b32 s5, s0
	s_cbranch_execz .LBB82_48
; %bb.33:                               ;   in Loop: Header=BB82_12 Depth=1
	v_dual_mov_b32 v42, 0 :: v_dual_add_nc_u32 v5, 3, v61
	v_dual_mov_b32 v41, 0 :: v_dual_add_nc_u32 v6, 2, v61
	v_dual_mov_b32 v40, 0 :: v_dual_mov_b32 v39, 0
	v_dual_mov_b32 v38, 0 :: v_dual_mov_b32 v37, 0
	;; [unrolled: 1-line block ×5, first 2 shown]
	s_and_not1_b32 vcc_lo, exec_lo, s30
	s_cbranch_vccnz .LBB82_35
; %bb.34:                               ;   in Loop: Header=BB82_12 Depth=1
	v_mul_hi_u32 v31, v61, v77
	v_mul_hi_u32 v32, v6, v77
	v_add_nc_u32_e32 v33, 1, v61
	v_mul_hi_u32 v34, v5, v77
	v_mov_b32_e32 v48, v63
	v_mov_b32_e32 v52, v63
	v_mul_lo_u32 v31, v31, s8
	v_mul_lo_u32 v36, v32, s8
	v_mov_b32_e32 v32, v63
	v_mul_hi_u32 v35, v33, v77
	v_mul_lo_u32 v37, v34, s8
	v_sub_nc_u32_e32 v31, v61, v31
	v_sub_nc_u32_e32 v38, v6, v36
	s_delay_alu instid0(VALU_DEP_4) | instskip(NEXT) | instid1(VALU_DEP_4)
	v_mul_lo_u32 v35, v35, s8
	v_sub_nc_u32_e32 v37, v5, v37
	s_delay_alu instid0(VALU_DEP_4) | instskip(SKIP_1) | instid1(VALU_DEP_3)
	v_subrev_nc_u32_e32 v39, s8, v31
	v_cmp_le_u32_e32 vcc_lo, s8, v31
	v_subrev_nc_u32_e32 v40, s8, v37
	v_sub_nc_u32_e32 v33, v33, v35
	v_subrev_nc_u32_e32 v35, s8, v38
	v_cndmask_b32_e32 v31, v31, v39, vcc_lo
	v_cmp_le_u32_e32 vcc_lo, s8, v38
	v_mov_b32_e32 v34, v63
	v_subrev_nc_u32_e32 v39, s8, v33
	v_cndmask_b32_e32 v35, v38, v35, vcc_lo
	v_cmp_le_u32_e32 vcc_lo, s8, v37
	v_mov_b32_e32 v36, v63
	v_subrev_nc_u32_e32 v38, s8, v31
	v_cndmask_b32_e32 v37, v37, v40, vcc_lo
	v_cmp_le_u32_e32 vcc_lo, s8, v33
	s_delay_alu instid0(VALU_DEP_2)
	v_subrev_nc_u32_e32 v40, s8, v37
	v_cndmask_b32_e32 v39, v33, v39, vcc_lo
	v_cmp_le_u32_e32 vcc_lo, s8, v31
	v_subrev_nc_u32_e32 v33, s8, v35
	v_cndmask_b32_e32 v62, v31, v38, vcc_lo
	v_cmp_le_u32_e32 vcc_lo, s8, v35
	v_subrev_nc_u32_e32 v31, s8, v39
	s_delay_alu instid0(VALU_DEP_4) | instskip(SKIP_4) | instid1(VALU_DEP_3)
	v_cndmask_b32_e32 v33, v35, v33, vcc_lo
	v_cmp_le_u32_e32 vcc_lo, s8, v37
	v_cndmask_b32_e32 v35, v37, v40, vcc_lo
	v_cmp_le_u32_e32 vcc_lo, s8, v39
	v_lshlrev_b64 v[37:38], 1, v[62:63]
	v_lshlrev_b64 v[41:42], 1, v[35:36]
	v_add_nc_u32_e32 v36, s31, v62
	v_dual_cndmask_b32 v31, v39, v31 :: v_dual_add_nc_u32 v62, s36, v62
	v_lshlrev_b64 v[39:40], 1, v[33:34]
	v_add_co_u32 v45, vcc_lo, s14, v37
	v_mov_b32_e32 v37, v63
	s_delay_alu instid0(VALU_DEP_4) | instskip(SKIP_2) | instid1(VALU_DEP_4)
	v_lshlrev_b64 v[43:44], 1, v[31:32]
	v_add_co_ci_u32_e32 v46, vcc_lo, s15, v38, vcc_lo
	v_add_nc_u32_e32 v47, s31, v31
	v_lshlrev_b64 v[36:37], 1, v[36:37]
	v_add_nc_u32_e32 v51, s31, v35
	v_add_co_u32 v43, vcc_lo, s14, v43
	v_add_co_ci_u32_e32 v44, vcc_lo, s15, v44, vcc_lo
	v_add_co_u32 v38, vcc_lo, s14, v39
	v_add_co_ci_u32_e32 v39, vcc_lo, s15, v40, vcc_lo
	v_add_co_u32 v49, vcc_lo, s14, v41
	v_lshlrev_b64 v[40:41], 1, v[47:48]
	v_add_nc_u32_e32 v47, s31, v33
	v_add_co_ci_u32_e32 v50, vcc_lo, s15, v42, vcc_lo
	v_add_co_u32 v36, vcc_lo, s14, v36
	v_add_co_ci_u32_e32 v37, vcc_lo, s15, v37, vcc_lo
	s_delay_alu instid0(VALU_DEP_4) | instskip(SKIP_3) | instid1(VALU_DEP_4)
	v_lshlrev_b64 v[47:48], 1, v[47:48]
	v_add_co_u32 v53, vcc_lo, s14, v40
	v_add_co_ci_u32_e32 v54, vcc_lo, s15, v41, vcc_lo
	v_lshlrev_b64 v[40:41], 1, v[51:52]
	v_add_co_u32 v47, vcc_lo, s14, v47
	v_lshlrev_b64 v[51:52], 1, v[62:63]
	v_add_nc_u32_e32 v62, s36, v31
	v_add_co_ci_u32_e32 v48, vcc_lo, s15, v48, vcc_lo
	v_add_co_u32 v31, vcc_lo, s14, v40
	v_add_co_ci_u32_e32 v32, vcc_lo, s15, v41, vcc_lo
	s_delay_alu instid0(VALU_DEP_4) | instskip(SKIP_3) | instid1(VALU_DEP_3)
	v_lshlrev_b64 v[40:41], 1, v[62:63]
	v_add_nc_u32_e32 v62, s36, v33
	v_add_co_u32 v33, vcc_lo, s14, v51
	v_add_co_ci_u32_e32 v34, vcc_lo, s15, v52, vcc_lo
	v_lshlrev_b64 v[51:52], 1, v[62:63]
	v_add_nc_u32_e32 v62, s36, v35
	v_add_co_u32 v55, vcc_lo, s14, v40
	v_add_co_ci_u32_e32 v56, vcc_lo, s15, v41, vcc_lo
	s_delay_alu instid0(VALU_DEP_3) | instskip(SKIP_2) | instid1(VALU_DEP_3)
	v_lshlrev_b64 v[40:41], 1, v[62:63]
	v_add_co_u32 v51, vcc_lo, s14, v51
	v_add_co_ci_u32_e32 v52, vcc_lo, s15, v52, vcc_lo
	v_add_co_u32 v57, vcc_lo, s14, v40
	s_delay_alu instid0(VALU_DEP_4)
	v_add_co_ci_u32_e32 v58, vcc_lo, s15, v41, vcc_lo
	s_clause 0xb
	global_load_u16 v42, v[45:46], off
	global_load_u16 v41, v[43:44], off
	;; [unrolled: 1-line block ×12, first 2 shown]
.LBB82_35:                              ;   in Loop: Header=BB82_12 Depth=1
	v_cmp_ne_u32_e32 vcc_lo, 0, v1
	s_and_saveexec_b32 s2, vcc_lo
	s_cbranch_execnz .LBB82_53
; %bb.36:                               ;   in Loop: Header=BB82_12 Depth=1
	s_or_b32 exec_lo, exec_lo, s2
	v_cmp_ne_u32_e64 s1, 0, v2
	s_delay_alu instid0(VALU_DEP_1)
	s_and_saveexec_b32 s3, s1
	s_cbranch_execnz .LBB82_54
.LBB82_37:                              ;   in Loop: Header=BB82_12 Depth=1
	s_or_b32 exec_lo, exec_lo, s3
	v_cmp_ne_u32_e64 s2, 0, v3
	s_delay_alu instid0(VALU_DEP_1)
	s_and_saveexec_b32 s4, s2
	s_cbranch_execnz .LBB82_55
.LBB82_38:                              ;   in Loop: Header=BB82_12 Depth=1
	s_or_b32 exec_lo, exec_lo, s4
	v_cmp_ne_u32_e64 s3, 0, v4
	s_delay_alu instid0(VALU_DEP_1)
	s_and_saveexec_b32 s39, s3
	s_cbranch_execnz .LBB82_56
.LBB82_39:                              ;   in Loop: Header=BB82_12 Depth=1
	s_or_b32 exec_lo, exec_lo, s39
	v_add_nc_u32_e32 v62, s19, v61
	s_and_saveexec_b32 s39, vcc_lo
	s_cbranch_execnz .LBB82_57
.LBB82_40:                              ;   in Loop: Header=BB82_12 Depth=1
	s_or_b32 exec_lo, exec_lo, s39
	s_and_saveexec_b32 s39, s1
	s_cbranch_execnz .LBB82_58
.LBB82_41:                              ;   in Loop: Header=BB82_12 Depth=1
	s_or_b32 exec_lo, exec_lo, s39
	s_and_saveexec_b32 s39, s2
	s_cbranch_execnz .LBB82_59
.LBB82_42:                              ;   in Loop: Header=BB82_12 Depth=1
	s_or_b32 exec_lo, exec_lo, s39
	s_and_saveexec_b32 s39, s3
	s_cbranch_execnz .LBB82_60
.LBB82_43:                              ;   in Loop: Header=BB82_12 Depth=1
	s_or_b32 exec_lo, exec_lo, s39
	v_add_nc_u32_e32 v62, s19, v62
	s_and_saveexec_b32 s4, vcc_lo
	s_cbranch_execnz .LBB82_61
.LBB82_44:                              ;   in Loop: Header=BB82_12 Depth=1
	s_or_b32 exec_lo, exec_lo, s4
	s_and_saveexec_b32 s4, s1
	s_cbranch_execnz .LBB82_62
.LBB82_45:                              ;   in Loop: Header=BB82_12 Depth=1
	s_or_b32 exec_lo, exec_lo, s4
	s_and_saveexec_b32 s1, s2
	s_cbranch_execnz .LBB82_63
.LBB82_46:                              ;   in Loop: Header=BB82_12 Depth=1
	s_or_b32 exec_lo, exec_lo, s1
	s_delay_alu instid0(SALU_CYCLE_1)
	s_and_b32 exec_lo, exec_lo, s3
	s_cbranch_execz .LBB82_48
.LBB82_47:                              ;   in Loop: Header=BB82_12 Depth=1
	s_waitcnt lgkmcnt(0)
	v_add_f32_e32 v5, v8, v10
	s_waitcnt vmcnt(0)
	v_cvt_f32_f16_e32 v6, v31
	v_add_nc_u32_e32 v62, 3, v62
	s_delay_alu instid0(VALU_DEP_2) | instskip(NEXT) | instid1(VALU_DEP_2)
	v_add_f32_e32 v7, v5, v6
	v_lshlrev_b64 v[5:6], 1, v[62:63]
	s_delay_alu instid0(VALU_DEP_2) | instskip(NEXT) | instid1(VALU_DEP_2)
	v_cvt_f16_f32_e32 v7, v7
	v_add_co_u32 v5, vcc_lo, s6, v5
	s_delay_alu instid0(VALU_DEP_3)
	v_add_co_ci_u32_e32 v6, vcc_lo, s7, v6, vcc_lo
	global_store_b16 v[5:6], v7, off
.LBB82_48:                              ;   in Loop: Header=BB82_12 Depth=1
	s_or_b32 exec_lo, exec_lo, s5
	v_add_nc_u32_e32 v61, s29, v61
	s_delay_alu instid0(VALU_DEP_1) | instskip(SKIP_1) | instid1(VALU_DEP_2)
	v_add_nc_u32_e32 v5, 4, v61
	v_cmp_gt_u32_e32 vcc_lo, s19, v61
	v_cmp_le_u32_e64 s1, s19, v5
	s_delay_alu instid0(VALU_DEP_1) | instskip(NEXT) | instid1(SALU_CYCLE_1)
	s_and_b32 s1, vcc_lo, s1
	s_and_saveexec_b32 s39, s1
	s_cbranch_execz .LBB82_10
; %bb.49:                               ;   in Loop: Header=BB82_12 Depth=1
	s_mov_b32 s40, exec_lo
	v_cmpx_ne_u32_e64 s9, v61
	s_cbranch_execz .LBB82_9
; %bb.50:                               ;   in Loop: Header=BB82_12 Depth=1
	v_subrev_nc_u32_e32 v5, s9, v61
	s_mov_b32 s41, 0
	s_mov_b64 s[4:5], 0
	s_delay_alu instid0(VALU_DEP_1)
	v_cmp_lt_u32_e32 vcc_lo, 1, v5
	v_cndmask_b32_e32 v5, 1, v5, vcc_lo
	.p2align	6
.LBB82_51:                              ;   Parent Loop BB82_12 Depth=1
                                        ; =>  This Inner Loop Header: Depth=2
	s_cmp_lg_u32 s4, 3
	s_cselect_b32 vcc_lo, -1, 0
	s_cmp_lg_u32 s4, 2
	v_cndmask_b32_e32 v4, 0, v4, vcc_lo
	s_cselect_b32 s1, -1, 0
	s_cmp_lg_u32 s4, 1
	v_cndmask_b32_e64 v3, 0, v3, s1
	s_cselect_b32 s2, -1, 0
	s_cmp_lg_u32 s4, 0
	v_cndmask_b32_e64 v2, 0, v2, s2
	s_cselect_b32 s3, -1, 0
	s_add_u32 s4, s4, 1
	v_cndmask_b32_e64 v1, 0, v1, s3
	v_cmp_eq_u32_e32 vcc_lo, s4, v5
	s_addc_u32 s5, s5, 0
	s_or_b32 s41, vcc_lo, s41
	s_delay_alu instid0(SALU_CYCLE_1)
	s_and_not1_b32 exec_lo, exec_lo, s41
	s_cbranch_execnz .LBB82_51
; %bb.52:                               ;   in Loop: Header=BB82_12 Depth=1
	s_or_b32 exec_lo, exec_lo, s41
	s_branch .LBB82_9
.LBB82_53:                              ;   in Loop: Header=BB82_12 Depth=1
	s_waitcnt lgkmcnt(11)
	v_dual_add_f32 v29, v29, v30 :: v_dual_mov_b32 v62, v63
	s_waitcnt vmcnt(11)
	v_cvt_f32_f16_e32 v30, v42
	s_delay_alu instid0(VALU_DEP_1) | instskip(NEXT) | instid1(VALU_DEP_3)
	v_add_f32_e32 v42, v29, v30
	v_lshlrev_b64 v[29:30], 1, v[61:62]
	s_delay_alu instid0(VALU_DEP_2) | instskip(NEXT) | instid1(VALU_DEP_2)
	v_cvt_f16_f32_e32 v42, v42
	v_add_co_u32 v29, s1, s6, v29
	s_delay_alu instid0(VALU_DEP_1) | instskip(SKIP_3) | instid1(VALU_DEP_1)
	v_add_co_ci_u32_e64 v30, s1, s7, v30, s1
	global_store_b16 v[29:30], v42, off
	s_or_b32 exec_lo, exec_lo, s2
	v_cmp_ne_u32_e64 s1, 0, v2
	s_and_saveexec_b32 s3, s1
	s_cbranch_execz .LBB82_37
.LBB82_54:                              ;   in Loop: Header=BB82_12 Depth=1
	v_mov_b32_e32 v62, v63
	s_waitcnt lgkmcnt(10)
	v_add_f32_e32 v7, v7, v24
	s_waitcnt vmcnt(10)
	v_cvt_f32_f16_e32 v24, v41
	v_lshlrev_b64 v[29:30], 1, v[61:62]
	s_delay_alu instid0(VALU_DEP_2) | instskip(NEXT) | instid1(VALU_DEP_2)
	v_add_f32_e32 v7, v7, v24
	v_add_co_u32 v29, s2, s33, v29
	s_delay_alu instid0(VALU_DEP_2) | instskip(NEXT) | instid1(VALU_DEP_4)
	v_cvt_f16_f32_e32 v7, v7
	v_add_co_ci_u32_e64 v30, s2, s34, v30, s2
	global_store_b16 v[29:30], v7, off
	s_or_b32 exec_lo, exec_lo, s3
	v_cmp_ne_u32_e64 s2, 0, v3
	s_delay_alu instid0(VALU_DEP_1)
	s_and_saveexec_b32 s4, s2
	s_cbranch_execz .LBB82_38
.LBB82_55:                              ;   in Loop: Header=BB82_12 Depth=1
	s_waitcnt lgkmcnt(7)
	v_dual_add_f32 v24, v25, v27 :: v_dual_mov_b32 v7, v63
	s_waitcnt vmcnt(9)
	v_cvt_f32_f16_e32 v25, v40
	s_delay_alu instid0(VALU_DEP_2) | instskip(NEXT) | instid1(VALU_DEP_2)
	v_lshlrev_b64 v[6:7], 1, v[6:7]
	v_add_f32_e32 v24, v24, v25
	s_delay_alu instid0(VALU_DEP_1) | instskip(NEXT) | instid1(VALU_DEP_3)
	v_cvt_f16_f32_e32 v24, v24
	v_add_co_u32 v6, s3, s6, v6
	s_delay_alu instid0(VALU_DEP_1) | instskip(SKIP_3) | instid1(VALU_DEP_1)
	v_add_co_ci_u32_e64 v7, s3, s7, v7, s3
	global_store_b16 v[6:7], v24, off
	s_or_b32 exec_lo, exec_lo, s4
	v_cmp_ne_u32_e64 s3, 0, v4
	s_and_saveexec_b32 s39, s3
	s_cbranch_execz .LBB82_39
.LBB82_56:                              ;   in Loop: Header=BB82_12 Depth=1
	s_waitcnt lgkmcnt(8)
	v_dual_add_f32 v7, v21, v23 :: v_dual_mov_b32 v6, v63
	s_waitcnt vmcnt(8)
	v_cvt_f32_f16_e32 v21, v39
	s_delay_alu instid0(VALU_DEP_2) | instskip(NEXT) | instid1(VALU_DEP_2)
	v_lshlrev_b64 v[5:6], 1, v[5:6]
	v_add_f32_e32 v7, v7, v21
	s_delay_alu instid0(VALU_DEP_1) | instskip(NEXT) | instid1(VALU_DEP_3)
	v_cvt_f16_f32_e32 v7, v7
	v_add_co_u32 v5, s4, s6, v5
	s_delay_alu instid0(VALU_DEP_1)
	v_add_co_ci_u32_e64 v6, s4, s7, v6, s4
	global_store_b16 v[5:6], v7, off
	s_or_b32 exec_lo, exec_lo, s39
	v_add_nc_u32_e32 v62, s19, v61
	s_and_saveexec_b32 s39, vcc_lo
	s_cbranch_execz .LBB82_40
.LBB82_57:                              ;   in Loop: Header=BB82_12 Depth=1
	s_waitcnt lgkmcnt(9)
	v_add_f32_e32 v5, v16, v18
	s_waitcnt vmcnt(7)
	v_cvt_f32_f16_e32 v6, v38
	s_delay_alu instid0(VALU_DEP_1) | instskip(SKIP_1) | instid1(VALU_DEP_2)
	v_add_f32_e32 v7, v5, v6
	v_lshlrev_b64 v[5:6], 1, v[62:63]
	v_cvt_f16_f32_e32 v7, v7
	s_delay_alu instid0(VALU_DEP_2) | instskip(NEXT) | instid1(VALU_DEP_1)
	v_add_co_u32 v5, s4, s6, v5
	v_add_co_ci_u32_e64 v6, s4, s7, v6, s4
	global_store_b16 v[5:6], v7, off
	s_or_b32 exec_lo, exec_lo, s39
	s_and_saveexec_b32 s39, s1
	s_cbranch_execz .LBB82_41
.LBB82_58:                              ;   in Loop: Header=BB82_12 Depth=1
	s_waitcnt lgkmcnt(6)
	v_dual_add_f32 v7, v13, v15 :: v_dual_mov_b32 v6, v63
	v_add_nc_u32_e32 v5, 1, v62
	s_waitcnt vmcnt(6)
	v_cvt_f32_f16_e32 v13, v37
	s_delay_alu instid0(VALU_DEP_2) | instskip(NEXT) | instid1(VALU_DEP_2)
	v_lshlrev_b64 v[5:6], 1, v[5:6]
	v_add_f32_e32 v7, v7, v13
	s_delay_alu instid0(VALU_DEP_1) | instskip(NEXT) | instid1(VALU_DEP_3)
	v_cvt_f16_f32_e32 v7, v7
	v_add_co_u32 v5, s4, s6, v5
	s_delay_alu instid0(VALU_DEP_1)
	v_add_co_ci_u32_e64 v6, s4, s7, v6, s4
	global_store_b16 v[5:6], v7, off
	s_or_b32 exec_lo, exec_lo, s39
	s_and_saveexec_b32 s39, s2
	s_cbranch_execz .LBB82_42
.LBB82_59:                              ;   in Loop: Header=BB82_12 Depth=1
	s_waitcnt lgkmcnt(4)
	v_dual_add_f32 v7, v9, v11 :: v_dual_mov_b32 v6, v63
	v_add_nc_u32_e32 v5, 2, v62
	s_waitcnt vmcnt(5)
	v_cvt_f32_f16_e32 v9, v36
	s_delay_alu instid0(VALU_DEP_2) | instskip(NEXT) | instid1(VALU_DEP_2)
	v_lshlrev_b64 v[5:6], 1, v[5:6]
	v_add_f32_e32 v7, v7, v9
	s_delay_alu instid0(VALU_DEP_1) | instskip(NEXT) | instid1(VALU_DEP_3)
	v_cvt_f16_f32_e32 v7, v7
	v_add_co_u32 v5, s4, s6, v5
	s_delay_alu instid0(VALU_DEP_1)
	v_add_co_ci_u32_e64 v6, s4, s7, v6, s4
	global_store_b16 v[5:6], v7, off
	s_or_b32 exec_lo, exec_lo, s39
	s_and_saveexec_b32 s39, s3
	s_cbranch_execz .LBB82_43
.LBB82_60:                              ;   in Loop: Header=BB82_12 Depth=1
	s_waitcnt lgkmcnt(2)
	v_dual_add_f32 v7, v26, v28 :: v_dual_mov_b32 v6, v63
	v_add_nc_u32_e32 v5, 3, v62
	s_waitcnt vmcnt(4)
	v_cvt_f32_f16_e32 v9, v35
	s_delay_alu instid0(VALU_DEP_2) | instskip(NEXT) | instid1(VALU_DEP_2)
	v_lshlrev_b64 v[5:6], 1, v[5:6]
	v_add_f32_e32 v7, v7, v9
	s_delay_alu instid0(VALU_DEP_1) | instskip(NEXT) | instid1(VALU_DEP_3)
	v_cvt_f16_f32_e32 v7, v7
	v_add_co_u32 v5, s4, s6, v5
	s_delay_alu instid0(VALU_DEP_1)
	v_add_co_ci_u32_e64 v6, s4, s7, v6, s4
	global_store_b16 v[5:6], v7, off
	s_or_b32 exec_lo, exec_lo, s39
	v_add_nc_u32_e32 v62, s19, v62
	s_and_saveexec_b32 s4, vcc_lo
	s_cbranch_execz .LBB82_44
.LBB82_61:                              ;   in Loop: Header=BB82_12 Depth=1
	s_waitcnt lgkmcnt(3)
	v_add_f32_e32 v5, v20, v22
	s_waitcnt vmcnt(3)
	v_cvt_f32_f16_e32 v6, v34
	s_delay_alu instid0(VALU_DEP_1) | instskip(SKIP_1) | instid1(VALU_DEP_2)
	v_add_f32_e32 v7, v5, v6
	v_lshlrev_b64 v[5:6], 1, v[62:63]
	v_cvt_f16_f32_e32 v7, v7
	s_delay_alu instid0(VALU_DEP_2) | instskip(NEXT) | instid1(VALU_DEP_3)
	v_add_co_u32 v5, vcc_lo, s6, v5
	v_add_co_ci_u32_e32 v6, vcc_lo, s7, v6, vcc_lo
	global_store_b16 v[5:6], v7, off
	s_or_b32 exec_lo, exec_lo, s4
	s_and_saveexec_b32 s4, s1
	s_cbranch_execz .LBB82_45
.LBB82_62:                              ;   in Loop: Header=BB82_12 Depth=1
	s_waitcnt lgkmcnt(5)
	v_dual_add_f32 v7, v17, v19 :: v_dual_mov_b32 v6, v63
	v_add_nc_u32_e32 v5, 1, v62
	s_waitcnt vmcnt(2)
	v_cvt_f32_f16_e32 v9, v33
	s_delay_alu instid0(VALU_DEP_2) | instskip(NEXT) | instid1(VALU_DEP_2)
	v_lshlrev_b64 v[5:6], 1, v[5:6]
	v_add_f32_e32 v7, v7, v9
	s_delay_alu instid0(VALU_DEP_1) | instskip(NEXT) | instid1(VALU_DEP_3)
	v_cvt_f16_f32_e32 v7, v7
	v_add_co_u32 v5, vcc_lo, s6, v5
	s_delay_alu instid0(VALU_DEP_4)
	v_add_co_ci_u32_e32 v6, vcc_lo, s7, v6, vcc_lo
	global_store_b16 v[5:6], v7, off
	s_or_b32 exec_lo, exec_lo, s4
	s_and_saveexec_b32 s1, s2
	s_cbranch_execz .LBB82_46
.LBB82_63:                              ;   in Loop: Header=BB82_12 Depth=1
	s_waitcnt lgkmcnt(1)
	v_dual_add_f32 v7, v12, v14 :: v_dual_mov_b32 v6, v63
	v_add_nc_u32_e32 v5, 2, v62
	s_waitcnt vmcnt(1)
	v_cvt_f32_f16_e32 v9, v32
	s_delay_alu instid0(VALU_DEP_2) | instskip(NEXT) | instid1(VALU_DEP_2)
	v_lshlrev_b64 v[5:6], 1, v[5:6]
	v_add_f32_e32 v7, v7, v9
	s_delay_alu instid0(VALU_DEP_1) | instskip(NEXT) | instid1(VALU_DEP_3)
	v_cvt_f16_f32_e32 v7, v7
	v_add_co_u32 v5, vcc_lo, s6, v5
	s_delay_alu instid0(VALU_DEP_4) | instskip(SKIP_2) | instid1(SALU_CYCLE_1)
	v_add_co_ci_u32_e32 v6, vcc_lo, s7, v6, vcc_lo
	global_store_b16 v[5:6], v7, off
	s_or_b32 exec_lo, exec_lo, s1
	s_and_b32 exec_lo, exec_lo, s3
	s_cbranch_execnz .LBB82_47
	s_branch .LBB82_48
.LBB82_64:
	s_nop 0
	s_sendmsg sendmsg(MSG_DEALLOC_VGPRS)
	s_endpgm
	.section	.rodata,"a",@progbits
	.p2align	6, 0x0
	.amdhsa_kernel _Z16wvSplitK_hf_big_I6__halfLi32ELi4ELi16ELi8ELi2ELi3EEviiiiiiPKT_S3_S3_PS1_ii
		.amdhsa_group_segment_fixed_size 65536
		.amdhsa_private_segment_fixed_size 0
		.amdhsa_kernarg_size 64
		.amdhsa_user_sgpr_count 15
		.amdhsa_user_sgpr_dispatch_ptr 0
		.amdhsa_user_sgpr_queue_ptr 0
		.amdhsa_user_sgpr_kernarg_segment_ptr 1
		.amdhsa_user_sgpr_dispatch_id 0
		.amdhsa_user_sgpr_private_segment_size 0
		.amdhsa_wavefront_size32 1
		.amdhsa_uses_dynamic_stack 0
		.amdhsa_enable_private_segment 0
		.amdhsa_system_sgpr_workgroup_id_x 1
		.amdhsa_system_sgpr_workgroup_id_y 0
		.amdhsa_system_sgpr_workgroup_id_z 0
		.amdhsa_system_sgpr_workgroup_info 0
		.amdhsa_system_vgpr_workitem_id 1
		.amdhsa_next_free_vgpr 93
		.amdhsa_next_free_sgpr 42
		.amdhsa_reserve_vcc 1
		.amdhsa_float_round_mode_32 0
		.amdhsa_float_round_mode_16_64 0
		.amdhsa_float_denorm_mode_32 3
		.amdhsa_float_denorm_mode_16_64 3
		.amdhsa_dx10_clamp 1
		.amdhsa_ieee_mode 1
		.amdhsa_fp16_overflow 0
		.amdhsa_workgroup_processor_mode 1
		.amdhsa_memory_ordered 1
		.amdhsa_forward_progress 0
		.amdhsa_shared_vgpr_count 0
		.amdhsa_exception_fp_ieee_invalid_op 0
		.amdhsa_exception_fp_denorm_src 0
		.amdhsa_exception_fp_ieee_div_zero 0
		.amdhsa_exception_fp_ieee_overflow 0
		.amdhsa_exception_fp_ieee_underflow 0
		.amdhsa_exception_fp_ieee_inexact 0
		.amdhsa_exception_int_div_zero 0
	.end_amdhsa_kernel
	.section	.text._Z16wvSplitK_hf_big_I6__halfLi32ELi4ELi16ELi8ELi2ELi3EEviiiiiiPKT_S3_S3_PS1_ii,"axG",@progbits,_Z16wvSplitK_hf_big_I6__halfLi32ELi4ELi16ELi8ELi2ELi3EEviiiiiiPKT_S3_S3_PS1_ii,comdat
.Lfunc_end82:
	.size	_Z16wvSplitK_hf_big_I6__halfLi32ELi4ELi16ELi8ELi2ELi3EEviiiiiiPKT_S3_S3_PS1_ii, .Lfunc_end82-_Z16wvSplitK_hf_big_I6__halfLi32ELi4ELi16ELi8ELi2ELi3EEviiiiiiPKT_S3_S3_PS1_ii
                                        ; -- End function
	.section	.AMDGPU.csdata,"",@progbits
; Kernel info:
; codeLenInByte = 7156
; NumSgprs: 44
; NumVgprs: 93
; ScratchSize: 0
; MemoryBound: 0
; FloatMode: 240
; IeeeMode: 1
; LDSByteSize: 65536 bytes/workgroup (compile time only)
; SGPRBlocks: 5
; VGPRBlocks: 11
; NumSGPRsForWavesPerEU: 44
; NumVGPRsForWavesPerEU: 93
; Occupancy: 8
; WaveLimiterHint : 0
; COMPUTE_PGM_RSRC2:SCRATCH_EN: 0
; COMPUTE_PGM_RSRC2:USER_SGPR: 15
; COMPUTE_PGM_RSRC2:TRAP_HANDLER: 0
; COMPUTE_PGM_RSRC2:TGID_X_EN: 1
; COMPUTE_PGM_RSRC2:TGID_Y_EN: 0
; COMPUTE_PGM_RSRC2:TGID_Z_EN: 0
; COMPUTE_PGM_RSRC2:TIDIG_COMP_CNT: 1
	.section	.text._Z16wvSplitK_hf_sml_I6__halfLi64ELi1ELi16ELi8ELi4ELi3EEviiiiiiPKT_S3_S3_PS1_ii,"axG",@progbits,_Z16wvSplitK_hf_sml_I6__halfLi64ELi1ELi16ELi8ELi4ELi3EEviiiiiiPKT_S3_S3_PS1_ii,comdat
	.protected	_Z16wvSplitK_hf_sml_I6__halfLi64ELi1ELi16ELi8ELi4ELi3EEviiiiiiPKT_S3_S3_PS1_ii ; -- Begin function _Z16wvSplitK_hf_sml_I6__halfLi64ELi1ELi16ELi8ELi4ELi3EEviiiiiiPKT_S3_S3_PS1_ii
	.globl	_Z16wvSplitK_hf_sml_I6__halfLi64ELi1ELi16ELi8ELi4ELi3EEviiiiiiPKT_S3_S3_PS1_ii
	.p2align	8
	.type	_Z16wvSplitK_hf_sml_I6__halfLi64ELi1ELi16ELi8ELi4ELi3EEviiiiiiPKT_S3_S3_PS1_ii,@function
_Z16wvSplitK_hf_sml_I6__halfLi64ELi1ELi16ELi8ELi4ELi3EEviiiiiiPKT_S3_S3_PS1_ii: ; @_Z16wvSplitK_hf_sml_I6__halfLi64ELi1ELi16ELi8ELi4ELi3EEviiiiiiPKT_S3_S3_PS1_ii
; %bb.0:
	s_clause 0x2
	s_load_b128 s[4:7], s[0:1], 0x0
	s_load_b64 s[8:9], s[0:1], 0x10
	s_load_b64 s[10:11], s[0:1], 0x28
	v_and_b32_e32 v3, 0x3ff, v0
	v_bfe_u32 v0, v0, 10, 10
	s_mov_b32 s12, exec_lo
	s_delay_alu instid0(VALU_DEP_2) | instskip(NEXT) | instid1(VALU_DEP_1)
	v_lshlrev_b32_e32 v66, 3, v3
	v_lshl_add_u32 v4, v0, 9, v66
	s_waitcnt lgkmcnt(0)
	s_mul_i32 s2, s6, 3
	s_delay_alu instid0(SALU_CYCLE_1)
	s_min_u32 s3, s2, 0x8000
	s_delay_alu instid0(VALU_DEP_1) | instid1(SALU_CYCLE_1)
	v_cmpx_gt_u32_e64 s3, v4
	s_cbranch_execz .LBB83_3
; %bb.1:
	s_load_b64 s[16:17], s[0:1], 0x20
	v_lshlrev_b32_e32 v5, 10, v0
	v_lshlrev_b32_e32 v6, 4, v3
	s_mov_b32 s13, 0
	s_delay_alu instid0(VALU_DEP_1) | instskip(NEXT) | instid1(VALU_DEP_1)
	v_add_co_u32 v1, s2, v5, v6
	v_add_co_ci_u32_e64 v2, null, 0, 0, s2
	v_add_nc_u32_e32 v5, v5, v6
	s_waitcnt lgkmcnt(0)
	s_delay_alu instid0(VALU_DEP_3) | instskip(NEXT) | instid1(VALU_DEP_3)
	v_add_co_u32 v1, vcc_lo, s16, v1
	v_add_co_ci_u32_e32 v2, vcc_lo, s17, v2, vcc_lo
	.p2align	6
.LBB83_2:                               ; =>This Inner Loop Header: Depth=1
	global_load_b128 v[6:9], v[1:2], off
	v_add_nc_u32_e32 v4, 0x2000, v4
	v_add_co_u32 v1, vcc_lo, 0x4000, v1
	v_add_co_ci_u32_e32 v2, vcc_lo, 0, v2, vcc_lo
	s_delay_alu instid0(VALU_DEP_3) | instskip(NEXT) | instid1(VALU_DEP_1)
	v_cmp_le_u32_e64 s2, s3, v4
	s_or_b32 s13, s2, s13
	s_waitcnt vmcnt(0)
	ds_store_b128 v5, v[6:9]
	v_add_nc_u32_e32 v5, 0x4000, v5
	s_and_not1_b32 exec_lo, exec_lo, s13
	s_cbranch_execnz .LBB83_2
.LBB83_3:
	s_or_b32 exec_lo, exec_lo, s12
	s_load_b64 s[16:17], s[0:1], 0x38
	s_waitcnt lgkmcnt(0)
	s_barrier
	buffer_gl0_inv
	s_mov_b32 s2, exec_lo
	v_cmpx_gt_u32_e64 s16, v0
	s_cbranch_execz .LBB83_24
; %bb.4:
	v_mad_u64_u32 v[48:49], null, s15, s16, v[0:1]
	s_delay_alu instid0(VALU_DEP_1)
	v_cmp_gt_u32_e32 vcc_lo, s7, v48
	s_and_b32 exec_lo, exec_lo, vcc_lo
	s_cbranch_execz .LBB83_24
; %bb.5:
	s_cmp_lg_u32 s4, 0
	v_cvt_f32_u32_e32 v1, s8
	s_cselect_b32 s14, -1, 0
	s_add_i32 s15, s4, -8
	s_add_i32 s18, s7, -1
	s_cmp_lg_u64 s[10:11], 0
	v_rcp_iflag_f32_e32 v1, v1
	s_cselect_b32 s19, -1, 0
	s_abs_i32 s20, s9
	s_sub_i32 s22, 0, s8
	v_cvt_f32_u32_e32 v0, s20
	s_sub_i32 s21, 0, s20
	s_sub_i32 s23, 1, s20
	s_clause 0x1
	s_load_b64 s[2:3], s[0:1], 0x18
	s_load_b64 s[12:13], s[0:1], 0x30
	v_cmp_eq_u32_e64 s0, 63, v3
	v_rcp_iflag_f32_e32 v0, v0
	v_mbcnt_lo_u32_b32 v68, -1, 0
	s_mov_b32 s1, 0
	v_mov_b32_e32 v51, 0
	s_waitcnt_depctr 0xfff
	v_dual_mul_f32 v0, 0x4f7ffffe, v0 :: v_dual_lshlrev_b32 v67, 4, v3
	s_delay_alu instid0(VALU_DEP_1) | instskip(NEXT) | instid1(VALU_DEP_1)
	v_cvt_u32_f32_e32 v0, v0
	v_readfirstlane_b32 s9, v0
	v_mul_f32_e32 v0, 0x4f7ffffe, v1
	s_delay_alu instid0(VALU_DEP_2) | instskip(NEXT) | instid1(VALU_DEP_1)
	s_mul_i32 s21, s21, s9
	v_cvt_u32_f32_e32 v0, v0
	s_mul_hi_u32 s21, s9, s21
	s_delay_alu instid0(SALU_CYCLE_1) | instskip(SKIP_1) | instid1(VALU_DEP_1)
	s_add_i32 s21, s9, s21
	s_cmp_lt_u32 s20, 2
	v_mul_lo_u32 v1, s22, v0
	s_cselect_b32 s22, s23, 1
	s_mul_i32 s9, s17, s16
	s_sub_i32 s16, s22, s20
	s_cmp_ge_u32 s22, s20
	s_cselect_b32 s16, s16, s22
	s_lshr_b32 s17, s21, 31
	s_delay_alu instid0(VALU_DEP_1) | instskip(SKIP_3) | instid1(SALU_CYCLE_1)
	v_mul_hi_u32 v1, v0, v1
	s_mul_i32 s17, s17, s20
	s_mul_i32 s16, s16, s8
	s_sub_i32 s17, 2, s17
	s_sub_i32 s21, s17, s20
	s_cmp_ge_u32 s17, s20
	s_cselect_b32 s17, s21, s17
	s_delay_alu instid0(VALU_DEP_1)
	v_add_nc_u32_e32 v69, v0, v1
	s_sub_i32 s21, s17, s20
	s_cmp_ge_u32 s17, s20
	s_cselect_b32 s20, s21, s17
	s_lshl_b32 s17, s6, 2
	s_mul_i32 s20, s20, s8
	s_lshl_b32 s6, s6, 1
	s_branch .LBB83_8
.LBB83_6:                               ;   in Loop: Header=BB83_8 Depth=1
	s_waitcnt lgkmcnt(0)
	v_add_f32_e32 v2, v2, v3
	s_waitcnt vmcnt(1)
	v_cvt_f32_f16_e32 v3, v7
	v_add_f32_e32 v4, v4, v5
	v_cvt_f32_f16_e32 v5, v8
	s_delay_alu instid0(VALU_DEP_3) | instskip(NEXT) | instid1(VALU_DEP_2)
	v_dual_add_f32 v7, v2, v3 :: v_dual_add_nc_u32 v50, s7, v48
	v_add_f32_e32 v4, v4, v5
	v_add_f32_e32 v5, v0, v1
	v_lshlrev_b64 v[0:1], 1, v[48:49]
	s_delay_alu instid0(VALU_DEP_4) | instskip(NEXT) | instid1(VALU_DEP_4)
	v_lshlrev_b64 v[2:3], 1, v[50:51]
	v_cvt_f16_f32_e32 v8, v4
	s_waitcnt vmcnt(0)
	v_cvt_f32_f16_e32 v4, v6
	v_add_nc_u32_e32 v50, s7, v50
	v_add_co_u32 v0, vcc_lo, s12, v0
	v_cvt_f16_f32_e32 v6, v7
	s_delay_alu instid0(VALU_DEP_4) | instskip(NEXT) | instid1(VALU_DEP_4)
	v_add_f32_e32 v7, v5, v4
	v_lshlrev_b64 v[4:5], 1, v[50:51]
	v_add_co_ci_u32_e32 v1, vcc_lo, s13, v1, vcc_lo
	v_add_co_u32 v2, vcc_lo, s12, v2
	v_add_co_ci_u32_e32 v3, vcc_lo, s13, v3, vcc_lo
	s_delay_alu instid0(VALU_DEP_4)
	v_add_co_u32 v4, vcc_lo, s12, v4
	v_cvt_f16_f32_e32 v7, v7
	v_add_co_ci_u32_e32 v5, vcc_lo, s13, v5, vcc_lo
	s_clause 0x2
	global_store_b16 v[0:1], v8, off
	global_store_b16 v[2:3], v6, off
	;; [unrolled: 1-line block ×3, first 2 shown]
.LBB83_7:                               ;   in Loop: Header=BB83_8 Depth=1
	s_or_b32 exec_lo, exec_lo, s21
	v_add_nc_u32_e32 v48, s9, v48
	s_delay_alu instid0(VALU_DEP_1) | instskip(SKIP_1) | instid1(SALU_CYCLE_1)
	v_cmp_le_u32_e32 vcc_lo, s7, v48
	s_or_b32 s1, vcc_lo, s1
	s_and_not1_b32 exec_lo, exec_lo, s1
	s_cbranch_execz .LBB83_24
.LBB83_8:                               ; =>This Loop Header: Depth=1
                                        ;     Child Loop BB83_14 Depth 2
	v_mov_b32_e32 v72, v51
	v_mov_b32_e32 v71, v51
	;; [unrolled: 1-line block ×3, first 2 shown]
	s_and_not1_b32 vcc_lo, exec_lo, s14
	s_cbranch_vccnz .LBB83_19
; %bb.9:                                ;   in Loop: Header=BB83_8 Depth=1
	v_min_u32_e32 v0, s18, v48
	v_dual_mov_b32 v70, 0 :: v_dual_mov_b32 v73, v67
	v_dual_mov_b32 v71, 0 :: v_dual_mov_b32 v72, 0
	s_delay_alu instid0(VALU_DEP_3) | instskip(SKIP_2) | instid1(VALU_DEP_1)
	v_mul_lo_u32 v50, v0, s5
	s_mov_b32 s21, 0
	s_waitcnt lgkmcnt(0)
	v_lshlrev_b64 v[0:1], 1, v[50:51]
	s_waitcnt lgkmcnt(0)
	s_delay_alu instid0(VALU_DEP_1) | instskip(NEXT) | instid1(VALU_DEP_2)
	v_add_co_u32 v74, vcc_lo, s2, v0
	v_add_co_ci_u32_e32 v75, vcc_lo, s3, v1, vcc_lo
	s_branch .LBB83_14
.LBB83_10:                              ;   in Loop: Header=BB83_14 Depth=2
	s_or_b32 exec_lo, exec_lo, s25
.LBB83_11:                              ;   in Loop: Header=BB83_14 Depth=2
	s_delay_alu instid0(SALU_CYCLE_1)
	s_or_b32 exec_lo, exec_lo, s24
.LBB83_12:                              ;   in Loop: Header=BB83_14 Depth=2
	s_delay_alu instid0(SALU_CYCLE_1)
	s_or_b32 exec_lo, exec_lo, s23
.LBB83_13:                              ;   in Loop: Header=BB83_14 Depth=2
	s_delay_alu instid0(SALU_CYCLE_1)
	s_or_b32 exec_lo, exec_lo, s22
	s_waitcnt vmcnt(3) lgkmcnt(1)
	;;#ASMSTART
	v_dot2_f32_f16 v72, v24, v12, v72
	;;#ASMEND
	;;#ASMSTART
	v_dot2_f32_f16 v71, v28, v12, v71
	;;#ASMEND
	;; [unrolled: 3-line block ×8, first 2 shown]
	s_waitcnt lgkmcnt(0)
	;;#ASMSTART
	v_dot2_f32_f16 v70, v64, v14, v70
	;;#ASMEND
	;;#ASMSTART
	v_dot2_f32_f16 v72, v27, v15, v72
	;;#ASMEND
	;; [unrolled: 3-line block ×4, first 2 shown]
	s_waitcnt vmcnt(2)
	;;#ASMSTART
	v_dot2_f32_f16 v72, v40, v8, v72
	;;#ASMEND
	;;#ASMSTART
	v_dot2_f32_f16 v71, v32, v8, v71
	;;#ASMEND
	;; [unrolled: 3-line block ×12, first 2 shown]
	s_waitcnt vmcnt(1)
	;;#ASMSTART
	v_dot2_f32_f16 v72, v44, v4, v72
	;;#ASMEND
	;;#ASMSTART
	v_dot2_f32_f16 v71, v20, v4, v71
	;;#ASMEND
	;; [unrolled: 3-line block ×9, first 2 shown]
	v_add_nc_u32_e32 v73, 0x1000, v73
	;;#ASMSTART
	v_dot2_f32_f16 v72, v47, v7, v72
	;;#ASMEND
	;;#ASMSTART
	v_dot2_f32_f16 v71, v23, v7, v71
	;;#ASMEND
	;; [unrolled: 3-line block ×3, first 2 shown]
	s_addk_i32 s21, 0x800
	s_waitcnt vmcnt(0)
	;;#ASMSTART
	v_dot2_f32_f16 v72, v36, v0, v72
	;;#ASMEND
	;;#ASMSTART
	v_dot2_f32_f16 v71, v16, v0, v71
	;;#ASMEND
	;; [unrolled: 3-line block ×6, first 2 shown]
	s_cmp_ge_u32 s21, s4
	;;#ASMSTART
	v_dot2_f32_f16 v72, v38, v2, v72
	;;#ASMEND
	;;#ASMSTART
	v_dot2_f32_f16 v71, v18, v2, v71
	;;#ASMEND
	;;#ASMSTART
	v_dot2_f32_f16 v70, v49, v2, v70
	;;#ASMEND
	;;#ASMSTART
	v_dot2_f32_f16 v72, v39, v3, v72
	;;#ASMEND
	;;#ASMSTART
	v_dot2_f32_f16 v71, v19, v3, v71
	;;#ASMEND
	;;#ASMSTART
	v_dot2_f32_f16 v70, v50, v3, v70
	;;#ASMEND
	s_cbranch_scc1 .LBB83_19
.LBB83_14:                              ;   Parent Loop BB83_8 Depth=1
                                        ; =>  This Inner Loop Header: Depth=2
	v_dual_mov_b32 v25, 0 :: v_dual_add_nc_u32 v18, s21, v66
	v_dual_mov_b32 v40, 0 :: v_dual_mov_b32 v43, 0
	v_dual_mov_b32 v42, 0 :: v_dual_mov_b32 v45, 0
	s_delay_alu instid0(VALU_DEP_3) | instskip(SKIP_2) | instid1(VALU_DEP_3)
	v_min_u32_e32 v50, s15, v18
	v_dual_mov_b32 v27, 0 :: v_dual_add_nc_u32 v80, 0x200, v18
	v_dual_mov_b32 v26, 0 :: v_dual_add_nc_u32 v77, 0x400, v18
	v_lshlrev_b64 v[0:1], 1, v[50:51]
	s_delay_alu instid0(VALU_DEP_3) | instskip(SKIP_2) | instid1(VALU_DEP_3)
	v_min_u32_e32 v50, s15, v80
	v_dual_mov_b32 v41, 0 :: v_dual_add_nc_u32 v76, 0x600, v18
	v_dual_mov_b32 v44, 0 :: v_dual_mov_b32 v47, 0
	v_lshlrev_b64 v[2:3], 1, v[50:51]
	v_min_u32_e32 v50, s15, v77
	v_add_co_u32 v0, vcc_lo, v74, v0
	v_add_co_ci_u32_e32 v1, vcc_lo, v75, v1, vcc_lo
	s_delay_alu instid0(VALU_DEP_3) | instskip(SKIP_3) | instid1(VALU_DEP_3)
	v_lshlrev_b64 v[4:5], 1, v[50:51]
	v_min_u32_e32 v50, s15, v76
	v_add_co_u32 v2, vcc_lo, v74, v2
	v_add_co_ci_u32_e32 v3, vcc_lo, v75, v3, vcc_lo
	v_lshlrev_b64 v[6:7], 1, v[50:51]
	v_add_co_u32 v4, vcc_lo, v74, v4
	v_add_co_ci_u32_e32 v5, vcc_lo, v75, v5, vcc_lo
	v_dual_mov_b32 v46, 0 :: v_dual_mov_b32 v37, 0
	s_delay_alu instid0(VALU_DEP_4)
	v_add_co_u32 v16, vcc_lo, v74, v6
	v_add_co_ci_u32_e32 v17, vcc_lo, v75, v7, vcc_lo
	s_clause 0x3
	global_load_b128 v[12:15], v[0:1], off slc dlc
	global_load_b128 v[8:11], v[2:3], off slc dlc
	;; [unrolled: 1-line block ×4, first 2 shown]
	v_cmp_gt_u32_e32 vcc_lo, s4, v18
	v_dual_mov_b32 v36, 0 :: v_dual_mov_b32 v39, 0
	v_dual_mov_b32 v38, 0 :: v_dual_mov_b32 v29, 0
	;; [unrolled: 1-line block ×17, first 2 shown]
	v_mov_b32_e32 v50, 0
	v_mov_b32_e32 v24, 0
	s_and_saveexec_b32 s22, vcc_lo
	s_cbranch_execz .LBB83_13
; %bb.15:                               ;   in Loop: Header=BB83_14 Depth=2
	v_dual_mov_b32 v49, 0 :: v_dual_add_nc_u32 v78, s6, v73
	v_dual_mov_b32 v50, 0 :: v_dual_add_nc_u32 v79, s17, v73
	v_cmp_gt_u32_e32 vcc_lo, s4, v80
	ds_load_b128 v[28:31], v78
	ds_load_2addr_b32 v[62:63], v79 offset1:1
	ds_load_b128 v[24:27], v73
	ds_load_2addr_b32 v[64:65], v79 offset0:2 offset1:3
	v_dual_mov_b32 v53, 0 :: v_dual_mov_b32 v52, 0
	v_dual_mov_b32 v55, 0 :: v_dual_mov_b32 v54, 0
	;; [unrolled: 1-line block ×17, first 2 shown]
	s_and_saveexec_b32 s23, vcc_lo
	s_cbranch_execz .LBB83_12
; %bb.16:                               ;   in Loop: Header=BB83_14 Depth=2
	v_dual_mov_b32 v49, 0 :: v_dual_add_nc_u32 v16, 0x400, v79
	v_dual_mov_b32 v50, 0 :: v_dual_add_nc_u32 v17, 0x408, v79
	ds_load_b128 v[32:35], v78 offset:1024
	ds_load_2addr_b32 v[60:61], v16 offset1:1
	ds_load_b128 v[40:43], v73 offset:1024
	ds_load_2addr_b32 v[58:59], v17 offset1:1
	v_cmp_gt_u32_e32 vcc_lo, s4, v77
	v_dual_mov_b32 v53, 0 :: v_dual_mov_b32 v52, 0
	v_dual_mov_b32 v55, 0 :: v_dual_mov_b32 v54, 0
	;; [unrolled: 1-line block ×11, first 2 shown]
	s_and_saveexec_b32 s24, vcc_lo
	s_cbranch_execz .LBB83_11
; %bb.17:                               ;   in Loop: Header=BB83_14 Depth=2
	v_dual_mov_b32 v49, 0 :: v_dual_add_nc_u32 v16, 0x800, v79
	v_dual_mov_b32 v50, 0 :: v_dual_add_nc_u32 v17, 0x808, v79
	ds_load_b128 v[20:23], v78 offset:2048
	ds_load_2addr_b32 v[56:57], v16 offset1:1
	ds_load_b128 v[44:47], v73 offset:2048
	ds_load_2addr_b32 v[54:55], v17 offset1:1
	v_dual_mov_b32 v53, 0 :: v_dual_mov_b32 v52, 0
	v_dual_mov_b32 v19, 0 :: v_dual_mov_b32 v18, 0
	;; [unrolled: 1-line block ×5, first 2 shown]
	s_mov_b32 s25, exec_lo
	v_cmpx_gt_u32_e64 s4, v76
	s_cbranch_execz .LBB83_10
; %bb.18:                               ;   in Loop: Header=BB83_14 Depth=2
	v_add_nc_u32_e32 v36, 0xc00, v79
	v_add_nc_u32_e32 v49, 0xc08, v79
	ds_load_b128 v[16:19], v78 offset:3072
	ds_load_2addr_b32 v[52:53], v36 offset1:1
	ds_load_b128 v[36:39], v73 offset:3072
	ds_load_2addr_b32 v[49:50], v49 offset1:1
	s_branch .LBB83_10
.LBB83_19:                              ;   in Loop: Header=BB83_8 Depth=1
	; sched_barrier mask(0x00000000)
	v_cvt_i32_f32_e32 v0, v72
	s_waitcnt lgkmcnt(0)
	v_cvt_i32_f32_e32 v1, v71
	v_cvt_i32_f32_e32 v2, v70
	s_delay_alu instid0(VALU_DEP_3) | instskip(NEXT) | instid1(VALU_DEP_3)
	v_cvt_f32_i32_dpp v0, v0 row_shr:8 row_mask:0xf bank_mask:0xf bound_ctrl:1
	v_cvt_f32_i32_dpp v1, v1 row_shr:8 row_mask:0xf bank_mask:0xf bound_ctrl:1
	s_delay_alu instid0(VALU_DEP_3) | instskip(NEXT) | instid1(VALU_DEP_2)
	v_cvt_f32_i32_dpp v2, v2 row_shr:8 row_mask:0xf bank_mask:0xf bound_ctrl:1
	v_dual_add_f32 v0, v72, v0 :: v_dual_add_f32 v1, v71, v1
	s_delay_alu instid0(VALU_DEP_1) | instskip(NEXT) | instid1(VALU_DEP_2)
	v_cvt_i32_f32_e32 v3, v0
	v_cvt_i32_f32_e32 v4, v1
	s_delay_alu instid0(VALU_DEP_2) | instskip(NEXT) | instid1(VALU_DEP_2)
	v_cvt_f32_i32_dpp v3, v3 row_shr:4 row_mask:0xf bank_mask:0xf bound_ctrl:1
	v_cvt_f32_i32_dpp v4, v4 row_shr:4 row_mask:0xf bank_mask:0xf bound_ctrl:1
	s_delay_alu instid0(VALU_DEP_1) | instskip(NEXT) | instid1(VALU_DEP_1)
	v_dual_add_f32 v2, v70, v2 :: v_dual_add_f32 v1, v1, v4
	v_cvt_i32_f32_e32 v5, v2
	s_delay_alu instid0(VALU_DEP_2) | instskip(NEXT) | instid1(VALU_DEP_2)
	v_cvt_i32_f32_e32 v4, v1
	v_cvt_f32_i32_dpp v5, v5 row_shr:4 row_mask:0xf bank_mask:0xf bound_ctrl:1
	s_delay_alu instid0(VALU_DEP_2) | instskip(SKIP_1) | instid1(VALU_DEP_2)
	v_cvt_f32_i32_dpp v4, v4 row_shr:2 row_mask:0xf bank_mask:0xf bound_ctrl:1
	v_add_f32_e32 v0, v0, v3
	v_dual_add_f32 v2, v2, v5 :: v_dual_add_f32 v1, v1, v4
	s_delay_alu instid0(VALU_DEP_2) | instskip(NEXT) | instid1(VALU_DEP_2)
	v_cvt_i32_f32_e32 v3, v0
	v_cvt_i32_f32_e32 v5, v2
	s_delay_alu instid0(VALU_DEP_2) | instskip(NEXT) | instid1(VALU_DEP_2)
	v_cvt_f32_i32_dpp v3, v3 row_shr:2 row_mask:0xf bank_mask:0xf bound_ctrl:1
	v_cvt_f32_i32_dpp v5, v5 row_shr:2 row_mask:0xf bank_mask:0xf bound_ctrl:1
	s_delay_alu instid0(VALU_DEP_1) | instskip(SKIP_2) | instid1(VALU_DEP_3)
	v_dual_add_f32 v0, v0, v3 :: v_dual_add_f32 v3, v2, v5
	v_xor_b32_e32 v2, 16, v68
	v_cvt_i32_f32_e32 v5, v1
	v_cvt_i32_f32_e32 v4, v0
	s_delay_alu instid0(VALU_DEP_4) | instskip(NEXT) | instid1(VALU_DEP_4)
	v_cvt_i32_f32_e32 v6, v3
	v_cmp_gt_i32_e32 vcc_lo, 32, v2
	s_delay_alu instid0(VALU_DEP_4) | instskip(NEXT) | instid1(VALU_DEP_4)
	v_cvt_f32_i32_dpp v5, v5 row_shr:1 row_mask:0xf bank_mask:0xf bound_ctrl:1
	v_cvt_f32_i32_dpp v4, v4 row_shr:1 row_mask:0xf bank_mask:0xf bound_ctrl:1
	s_delay_alu instid0(VALU_DEP_4) | instskip(SKIP_1) | instid1(VALU_DEP_3)
	v_cvt_f32_i32_dpp v6, v6 row_shr:1 row_mask:0xf bank_mask:0xf bound_ctrl:1
	v_cndmask_b32_e32 v2, v68, v2, vcc_lo
	v_add_f32_e32 v4, v0, v4
	s_delay_alu instid0(VALU_DEP_3) | instskip(NEXT) | instid1(VALU_DEP_3)
	v_add_f32_e32 v0, v3, v6
	v_dual_add_f32 v2, v1, v5 :: v_dual_lshlrev_b32 v7, 2, v2
	ds_bpermute_b32 v5, v7, v4
	ds_bpermute_b32 v3, v7, v2
	;; [unrolled: 1-line block ×3, first 2 shown]
	s_and_saveexec_b32 s21, s0
	s_cbranch_execz .LBB83_7
; %bb.20:                               ;   in Loop: Header=BB83_8 Depth=1
	s_and_b32 vcc_lo, exec_lo, s19
	s_cbranch_vccz .LBB83_22
; %bb.21:                               ;   in Loop: Header=BB83_8 Depth=1
	v_mul_hi_u32 v6, v48, v69
	v_mov_b32_e32 v49, v51
	s_delay_alu instid0(VALU_DEP_2) | instskip(NEXT) | instid1(VALU_DEP_1)
	v_mul_lo_u32 v6, v6, s8
	v_sub_nc_u32_e32 v6, v48, v6
	s_delay_alu instid0(VALU_DEP_1) | instskip(SKIP_1) | instid1(VALU_DEP_2)
	v_subrev_nc_u32_e32 v7, s8, v6
	v_cmp_le_u32_e32 vcc_lo, s8, v6
	v_cndmask_b32_e32 v6, v6, v7, vcc_lo
	s_delay_alu instid0(VALU_DEP_1) | instskip(SKIP_1) | instid1(VALU_DEP_2)
	v_subrev_nc_u32_e32 v7, s8, v6
	v_cmp_le_u32_e32 vcc_lo, s8, v6
	v_dual_cndmask_b32 v50, v6, v7 :: v_dual_mov_b32 v7, v51
	s_delay_alu instid0(VALU_DEP_1) | instskip(SKIP_2) | instid1(VALU_DEP_3)
	v_add_nc_u32_e32 v6, s16, v50
	v_lshlrev_b64 v[8:9], 1, v[50:51]
	v_add_nc_u32_e32 v50, s20, v50
	v_lshlrev_b64 v[6:7], 1, v[6:7]
	s_delay_alu instid0(VALU_DEP_2) | instskip(NEXT) | instid1(VALU_DEP_4)
	v_lshlrev_b64 v[10:11], 1, v[50:51]
	v_add_co_u32 v8, vcc_lo, s10, v8
	v_add_co_ci_u32_e32 v9, vcc_lo, s11, v9, vcc_lo
	s_delay_alu instid0(VALU_DEP_4)
	v_add_co_u32 v6, vcc_lo, s10, v6
	v_add_co_ci_u32_e32 v7, vcc_lo, s11, v7, vcc_lo
	v_add_co_u32 v10, vcc_lo, s10, v10
	v_add_co_ci_u32_e32 v11, vcc_lo, s11, v11, vcc_lo
	s_clause 0x2
	global_load_u16 v8, v[8:9], off
	global_load_u16 v7, v[6:7], off
	;; [unrolled: 1-line block ×3, first 2 shown]
	s_cbranch_execnz .LBB83_6
	s_branch .LBB83_23
.LBB83_22:                              ;   in Loop: Header=BB83_8 Depth=1
                                        ; implicit-def: $vgpr6
                                        ; implicit-def: $vgpr7
                                        ; implicit-def: $vgpr8
.LBB83_23:                              ;   in Loop: Header=BB83_8 Depth=1
	s_waitcnt vmcnt(2)
	v_dual_mov_b32 v49, v51 :: v_dual_mov_b32 v8, 0
	s_waitcnt vmcnt(0)
	v_dual_mov_b32 v7, 0 :: v_dual_mov_b32 v6, 0
	s_branch .LBB83_6
.LBB83_24:
	s_nop 0
	s_sendmsg sendmsg(MSG_DEALLOC_VGPRS)
	s_endpgm
	.section	.rodata,"a",@progbits
	.p2align	6, 0x0
	.amdhsa_kernel _Z16wvSplitK_hf_sml_I6__halfLi64ELi1ELi16ELi8ELi4ELi3EEviiiiiiPKT_S3_S3_PS1_ii
		.amdhsa_group_segment_fixed_size 65536
		.amdhsa_private_segment_fixed_size 0
		.amdhsa_kernarg_size 64
		.amdhsa_user_sgpr_count 15
		.amdhsa_user_sgpr_dispatch_ptr 0
		.amdhsa_user_sgpr_queue_ptr 0
		.amdhsa_user_sgpr_kernarg_segment_ptr 1
		.amdhsa_user_sgpr_dispatch_id 0
		.amdhsa_user_sgpr_private_segment_size 0
		.amdhsa_wavefront_size32 1
		.amdhsa_uses_dynamic_stack 0
		.amdhsa_enable_private_segment 0
		.amdhsa_system_sgpr_workgroup_id_x 1
		.amdhsa_system_sgpr_workgroup_id_y 0
		.amdhsa_system_sgpr_workgroup_id_z 0
		.amdhsa_system_sgpr_workgroup_info 0
		.amdhsa_system_vgpr_workitem_id 1
		.amdhsa_next_free_vgpr 81
		.amdhsa_next_free_sgpr 26
		.amdhsa_reserve_vcc 1
		.amdhsa_float_round_mode_32 0
		.amdhsa_float_round_mode_16_64 0
		.amdhsa_float_denorm_mode_32 3
		.amdhsa_float_denorm_mode_16_64 3
		.amdhsa_dx10_clamp 1
		.amdhsa_ieee_mode 1
		.amdhsa_fp16_overflow 0
		.amdhsa_workgroup_processor_mode 1
		.amdhsa_memory_ordered 1
		.amdhsa_forward_progress 0
		.amdhsa_shared_vgpr_count 0
		.amdhsa_exception_fp_ieee_invalid_op 0
		.amdhsa_exception_fp_denorm_src 0
		.amdhsa_exception_fp_ieee_div_zero 0
		.amdhsa_exception_fp_ieee_overflow 0
		.amdhsa_exception_fp_ieee_underflow 0
		.amdhsa_exception_fp_ieee_inexact 0
		.amdhsa_exception_int_div_zero 0
	.end_amdhsa_kernel
	.section	.text._Z16wvSplitK_hf_sml_I6__halfLi64ELi1ELi16ELi8ELi4ELi3EEviiiiiiPKT_S3_S3_PS1_ii,"axG",@progbits,_Z16wvSplitK_hf_sml_I6__halfLi64ELi1ELi16ELi8ELi4ELi3EEviiiiiiPKT_S3_S3_PS1_ii,comdat
.Lfunc_end83:
	.size	_Z16wvSplitK_hf_sml_I6__halfLi64ELi1ELi16ELi8ELi4ELi3EEviiiiiiPKT_S3_S3_PS1_ii, .Lfunc_end83-_Z16wvSplitK_hf_sml_I6__halfLi64ELi1ELi16ELi8ELi4ELi3EEviiiiiiPKT_S3_S3_PS1_ii
                                        ; -- End function
	.section	.AMDGPU.csdata,"",@progbits
; Kernel info:
; codeLenInByte = 3320
; NumSgprs: 28
; NumVgprs: 81
; ScratchSize: 0
; MemoryBound: 0
; FloatMode: 240
; IeeeMode: 1
; LDSByteSize: 65536 bytes/workgroup (compile time only)
; SGPRBlocks: 3
; VGPRBlocks: 10
; NumSGPRsForWavesPerEU: 28
; NumVGPRsForWavesPerEU: 81
; Occupancy: 16
; WaveLimiterHint : 0
; COMPUTE_PGM_RSRC2:SCRATCH_EN: 0
; COMPUTE_PGM_RSRC2:USER_SGPR: 15
; COMPUTE_PGM_RSRC2:TRAP_HANDLER: 0
; COMPUTE_PGM_RSRC2:TGID_X_EN: 1
; COMPUTE_PGM_RSRC2:TGID_Y_EN: 0
; COMPUTE_PGM_RSRC2:TGID_Z_EN: 0
; COMPUTE_PGM_RSRC2:TIDIG_COMP_CNT: 1
	.section	.text._Z12wvSplitK_hf_I6__halfLi64ELi1ELi16ELi8ELi4ELi3EEviiiiiiPKT_S3_S3_PS1_ii,"axG",@progbits,_Z12wvSplitK_hf_I6__halfLi64ELi1ELi16ELi8ELi4ELi3EEviiiiiiPKT_S3_S3_PS1_ii,comdat
	.protected	_Z12wvSplitK_hf_I6__halfLi64ELi1ELi16ELi8ELi4ELi3EEviiiiiiPKT_S3_S3_PS1_ii ; -- Begin function _Z12wvSplitK_hf_I6__halfLi64ELi1ELi16ELi8ELi4ELi3EEviiiiiiPKT_S3_S3_PS1_ii
	.globl	_Z12wvSplitK_hf_I6__halfLi64ELi1ELi16ELi8ELi4ELi3EEviiiiiiPKT_S3_S3_PS1_ii
	.p2align	8
	.type	_Z12wvSplitK_hf_I6__halfLi64ELi1ELi16ELi8ELi4ELi3EEviiiiiiPKT_S3_S3_PS1_ii,@function
_Z12wvSplitK_hf_I6__halfLi64ELi1ELi16ELi8ELi4ELi3EEviiiiiiPKT_S3_S3_PS1_ii: ; @_Z12wvSplitK_hf_I6__halfLi64ELi1ELi16ELi8ELi4ELi3EEviiiiiiPKT_S3_S3_PS1_ii
; %bb.0:
	s_clause 0x1
	s_load_b64 s[18:19], s[0:1], 0x38
	s_load_b128 s[4:7], s[0:1], 0x0
	v_bfe_u32 v1, v0, 10, 10
	s_clause 0x1
	s_load_b64 s[8:9], s[0:1], 0x20
	s_load_b64 s[10:11], s[0:1], 0x10
	v_mov_b32_e32 v75, 1
	s_waitcnt lgkmcnt(0)
	v_mad_u64_u32 v[64:65], null, s15, s18, v[1:2]
	s_delay_alu instid0(VALU_DEP_1) | instskip(SKIP_1) | instid1(VALU_DEP_2)
	v_add_nc_u32_e32 v2, 1, v64
	v_cmp_gt_u32_e32 vcc_lo, s7, v64
	v_cmp_le_u32_e64 s2, s7, v2
	s_delay_alu instid0(VALU_DEP_1) | instskip(NEXT) | instid1(SALU_CYCLE_1)
	s_and_b32 s3, vcc_lo, s2
	s_and_saveexec_b32 s2, s3
; %bb.1:
	v_subrev_nc_u32_e32 v2, s7, v64
	s_add_i32 s3, s7, -1
	s_delay_alu instid0(SALU_CYCLE_1) | instskip(NEXT) | instid1(VALU_DEP_2)
	v_mov_b32_e32 v64, s3
	v_cmp_eq_u32_e32 vcc_lo, -1, v2
	v_cndmask_b32_e64 v75, 0, 1, vcc_lo
; %bb.2:
	s_or_b32 exec_lo, exec_lo, s2
	s_load_b64 s[12:13], s[0:1], 0x28
	v_and_b32_e32 v0, 0x3ff, v0
	s_mul_i32 s2, s6, 3
	s_mov_b32 s14, exec_lo
	s_min_u32 s3, s2, 0x8000
	s_delay_alu instid0(VALU_DEP_1) | instskip(NEXT) | instid1(VALU_DEP_1)
	v_lshlrev_b32_e32 v76, 3, v0
	v_lshl_add_u32 v4, v1, 9, v76
	s_delay_alu instid0(VALU_DEP_1)
	v_cmpx_gt_u32_e64 s3, v4
	s_cbranch_execz .LBB84_5
; %bb.3:
	v_lshlrev_b32_e32 v5, 10, v1
	v_lshlrev_b32_e32 v6, 4, v0
	s_mov_b32 s15, 0
	s_delay_alu instid0(VALU_DEP_1) | instskip(NEXT) | instid1(VALU_DEP_1)
	v_add_co_u32 v2, s2, v5, v6
	v_add_co_ci_u32_e64 v3, null, 0, 0, s2
	v_add_nc_u32_e32 v5, v5, v6
	s_delay_alu instid0(VALU_DEP_3) | instskip(NEXT) | instid1(VALU_DEP_3)
	v_add_co_u32 v2, vcc_lo, s8, v2
	v_add_co_ci_u32_e32 v3, vcc_lo, s9, v3, vcc_lo
	.p2align	6
.LBB84_4:                               ; =>This Inner Loop Header: Depth=1
	global_load_b128 v[6:9], v[2:3], off
	v_add_nc_u32_e32 v4, 0x2000, v4
	v_add_co_u32 v2, vcc_lo, 0x4000, v2
	v_add_co_ci_u32_e32 v3, vcc_lo, 0, v3, vcc_lo
	s_delay_alu instid0(VALU_DEP_3) | instskip(NEXT) | instid1(VALU_DEP_1)
	v_cmp_le_u32_e64 s2, s3, v4
	s_or_b32 s15, s2, s15
	s_waitcnt vmcnt(0)
	ds_store_b128 v5, v[6:9]
	v_add_nc_u32_e32 v5, 0x4000, v5
	s_and_not1_b32 exec_lo, exec_lo, s15
	s_cbranch_execnz .LBB84_4
.LBB84_5:
	s_or_b32 exec_lo, exec_lo, s14
	v_cmp_gt_u32_e32 vcc_lo, s18, v1
	v_cmp_gt_u32_e64 s2, s7, v64
	s_waitcnt lgkmcnt(0)
	s_barrier
	buffer_gl0_inv
	s_and_b32 s2, vcc_lo, s2
	s_delay_alu instid0(SALU_CYCLE_1)
	s_and_saveexec_b32 s3, s2
	s_cbranch_execz .LBB84_72
; %bb.6:
	s_cmp_lg_u32 s4, 0
	v_cvt_f32_u32_e32 v2, s10
	s_cselect_b32 s3, -1, 0
	s_add_i32 s20, s4, -8
	s_add_i32 s21, s7, -1
	s_cmp_lg_u64 s[12:13], 0
	v_rcp_iflag_f32_e32 v2, v2
	s_cselect_b32 s22, -1, 0
	s_abs_i32 s2, s11
	s_clause 0x1
	s_load_b64 s[14:15], s[0:1], 0x18
	s_load_b64 s[16:17], s[0:1], 0x30
	v_cvt_f32_u32_e32 v1, s2
	s_sub_i32 s25, 0, s2
	s_mul_i32 s18, s19, s18
	s_lshl_b32 s19, s6, 1
	s_sub_i32 s23, s18, s7
	v_rcp_iflag_f32_e32 v1, v1
	s_sub_i32 s24, 0, s10
	s_add_i32 s23, s23, 2
	s_sub_i32 s26, 1, s2
	v_cmp_eq_u32_e64 s0, 63, v0
	v_lshlrev_b32_e32 v77, 4, v0
	v_dual_mov_b32 v67, 0 :: v_dual_add_nc_u32 v78, s6, v76
	v_mbcnt_lo_u32_b32 v79, -1, 0
	s_mov_b32 s11, 0
	s_waitcnt_depctr 0xfff
	v_dual_mul_f32 v1, 0x4f7ffffe, v1 :: v_dual_add_nc_u32 v80, s19, v76
	s_delay_alu instid0(VALU_DEP_1) | instskip(NEXT) | instid1(VALU_DEP_1)
	v_cvt_u32_f32_e32 v1, v1
	v_readfirstlane_b32 s1, v1
	v_mul_f32_e32 v1, 0x4f7ffffe, v2
	s_delay_alu instid0(VALU_DEP_2) | instskip(NEXT) | instid1(VALU_DEP_1)
	s_mul_i32 s25, s25, s1
	v_cvt_u32_f32_e32 v1, v1
	s_mul_hi_u32 s25, s1, s25
	s_delay_alu instid0(SALU_CYCLE_1) | instskip(SKIP_1) | instid1(VALU_DEP_1)
	s_add_i32 s1, s1, s25
	s_cmp_lt_u32 s2, 2
	v_mul_lo_u32 v2, s24, v1
	s_cselect_b32 s25, s26, 1
	s_delay_alu instid0(SALU_CYCLE_1) | instskip(SKIP_3) | instid1(VALU_DEP_1)
	s_sub_i32 s24, s25, s2
	s_cmp_ge_u32 s25, s2
	s_cselect_b32 s24, s24, s25
	s_lshr_b32 s1, s1, 31
	v_mul_hi_u32 v0, v1, v2
	s_mul_i32 s1, s1, s2
	s_mul_i32 s24, s24, s10
	s_sub_i32 s1, 2, s1
	s_delay_alu instid0(SALU_CYCLE_1) | instskip(SKIP_2) | instid1(VALU_DEP_1)
	s_sub_i32 s25, s1, s2
	s_cmp_ge_u32 s1, s2
	s_cselect_b32 s1, s25, s1
	v_add_nc_u32_e32 v81, v1, v0
	s_sub_i32 s25, s1, s2
	s_cmp_ge_u32 s1, s2
	s_cselect_b32 s25, s25, s1
	s_lshl_b32 s6, s6, 2
	s_mul_i32 s25, s25, s10
	s_branch .LBB84_8
.LBB84_7:                               ;   in Loop: Header=BB84_8 Depth=1
	s_or_b32 exec_lo, exec_lo, s1
	v_add_nc_u32_e32 v0, s18, v64
	s_waitcnt lgkmcnt(0)
	s_delay_alu instid0(VALU_DEP_1) | instskip(SKIP_1) | instid1(VALU_DEP_2)
	v_add_nc_u32_e32 v1, 1, v0
	v_cmp_le_u32_e32 vcc_lo, s7, v0
	v_cmp_gt_u32_e64 s1, s7, v1
	v_add_nc_u32_e32 v1, s23, v64
	s_delay_alu instid0(VALU_DEP_2) | instskip(NEXT) | instid1(VALU_DEP_1)
	s_or_b32 vcc_lo, vcc_lo, s1
	v_cmp_eq_u32_e64 s1, 1, v1
	v_cndmask_b32_e32 v64, s21, v0, vcc_lo
	s_delay_alu instid0(VALU_DEP_2) | instskip(NEXT) | instid1(VALU_DEP_1)
	s_or_b32 vcc_lo, vcc_lo, s1
	v_cmp_le_u32_e64 s2, s7, v64
	v_cndmask_b32_e32 v75, 0, v75, vcc_lo
	s_delay_alu instid0(VALU_DEP_2) | instskip(NEXT) | instid1(SALU_CYCLE_1)
	s_or_b32 s11, s2, s11
	s_and_not1_b32 exec_lo, exec_lo, s11
	s_cbranch_execz .LBB84_72
.LBB84_8:                               ; =>This Loop Header: Depth=1
                                        ;     Child Loop BB84_15 Depth 2
	v_mov_b32_e32 v84, v67
	v_mov_b32_e32 v83, v67
	;; [unrolled: 1-line block ×3, first 2 shown]
	s_and_not1_b32 vcc_lo, exec_lo, s3
	s_cbranch_vccnz .LBB84_67
; %bb.9:                                ;   in Loop: Header=BB84_8 Depth=1
	v_min_u32_e32 v0, s21, v64
	v_dual_mov_b32 v82, 0 :: v_dual_mov_b32 v85, v77
	v_dual_mov_b32 v83, 0 :: v_dual_mov_b32 v84, 0
	s_delay_alu instid0(VALU_DEP_3) | instskip(SKIP_1) | instid1(VALU_DEP_1)
	v_mul_lo_u32 v66, v0, s5
	s_mov_b32 s1, 0
	v_lshlrev_b64 v[0:1], 1, v[66:67]
	s_waitcnt lgkmcnt(0)
	s_delay_alu instid0(VALU_DEP_1) | instskip(NEXT) | instid1(VALU_DEP_2)
	v_add_co_u32 v86, vcc_lo, s14, v0
	v_add_co_ci_u32_e32 v87, vcc_lo, s15, v1, vcc_lo
	s_branch .LBB84_15
.LBB84_10:                              ;   in Loop: Header=BB84_15 Depth=2
	s_or_b32 exec_lo, exec_lo, s29
.LBB84_11:                              ;   in Loop: Header=BB84_15 Depth=2
	s_delay_alu instid0(SALU_CYCLE_1)
	s_or_b32 exec_lo, exec_lo, s28
.LBB84_12:                              ;   in Loop: Header=BB84_15 Depth=2
	s_delay_alu instid0(SALU_CYCLE_1)
	s_or_b32 exec_lo, exec_lo, s27
.LBB84_13:                              ;   in Loop: Header=BB84_15 Depth=2
	s_delay_alu instid0(SALU_CYCLE_1)
	s_or_b32 exec_lo, exec_lo, s26
.LBB84_14:                              ;   in Loop: Header=BB84_15 Depth=2
	s_delay_alu instid0(SALU_CYCLE_1)
	s_or_b32 exec_lo, exec_lo, s2
	s_waitcnt vmcnt(0) lgkmcnt(0)
	;;#ASMSTART
	v_dot2_f32_f16 v84, v16, v12, v84
	;;#ASMEND
	;;#ASMSTART
	v_dot2_f32_f16 v83, v24, v12, v83
	;;#ASMEND
	;; [unrolled: 3-line block ×33, first 2 shown]
	v_add_nc_u32_e32 v85, 0x1000, v85
	;;#ASMSTART
	v_dot2_f32_f16 v84, v51, v7, v84
	;;#ASMEND
	;;#ASMSTART
	v_dot2_f32_f16 v83, v47, v7, v83
	;;#ASMEND
	;; [unrolled: 3-line block ×3, first 2 shown]
	s_addk_i32 s1, 0x800
	;;#ASMSTART
	v_dot2_f32_f16 v84, v60, v0, v84
	;;#ASMEND
	;;#ASMSTART
	v_dot2_f32_f16 v83, v56, v0, v83
	;;#ASMEND
	;; [unrolled: 3-line block ×6, first 2 shown]
	s_cmp_ge_u32 s1, s4
	;;#ASMSTART
	v_dot2_f32_f16 v84, v62, v2, v84
	;;#ASMEND
	;;#ASMSTART
	v_dot2_f32_f16 v83, v58, v2, v83
	;;#ASMEND
	;; [unrolled: 3-line block ×6, first 2 shown]
	s_cbranch_scc1 .LBB84_67
.LBB84_15:                              ;   Parent Loop BB84_8 Depth=1
                                        ; =>  This Inner Loop Header: Depth=2
	v_dual_mov_b32 v52, 0 :: v_dual_add_nc_u32 v65, s1, v76
	v_dual_mov_b32 v43, 0 :: v_dual_mov_b32 v42, 0
	v_mov_b32_e32 v41, 0
	s_delay_alu instid0(VALU_DEP_3) | instskip(SKIP_2) | instid1(VALU_DEP_3)
	v_min_u32_e32 v66, s20, v65
	v_dual_mov_b32 v54, 0 :: v_dual_add_nc_u32 v73, 0x200, v65
	v_dual_mov_b32 v55, 0 :: v_dual_add_nc_u32 v72, 0x400, v65
	v_lshlrev_b64 v[0:1], 1, v[66:67]
	s_delay_alu instid0(VALU_DEP_3) | instskip(SKIP_2) | instid1(VALU_DEP_3)
	v_min_u32_e32 v66, s20, v73
	v_dual_mov_b32 v53, 0 :: v_dual_add_nc_u32 v68, 0x600, v65
	v_dual_mov_b32 v40, 0 :: v_dual_mov_b32 v31, 0
	v_lshlrev_b64 v[2:3], 1, v[66:67]
	v_min_u32_e32 v66, s20, v72
	v_add_co_u32 v0, vcc_lo, v86, v0
	v_add_co_ci_u32_e32 v1, vcc_lo, v87, v1, vcc_lo
	s_delay_alu instid0(VALU_DEP_3) | instskip(SKIP_4) | instid1(VALU_DEP_3)
	v_lshlrev_b64 v[4:5], 1, v[66:67]
	v_min_u32_e32 v66, s20, v68
	v_add_co_u32 v2, vcc_lo, v86, v2
	v_add_co_ci_u32_e32 v3, vcc_lo, v87, v3, vcc_lo
	s_waitcnt vmcnt(0)
	v_lshlrev_b64 v[6:7], 1, v[66:67]
	v_add_co_u32 v4, vcc_lo, v86, v4
	v_add_co_ci_u32_e32 v5, vcc_lo, v87, v5, vcc_lo
	v_dual_mov_b32 v30, 0 :: v_dual_mov_b32 v29, 0
	s_delay_alu instid0(VALU_DEP_4)
	v_add_co_u32 v16, vcc_lo, v86, v6
	v_add_co_ci_u32_e32 v17, vcc_lo, v87, v7, vcc_lo
	s_clause 0x3
	global_load_b128 v[12:15], v[0:1], off slc dlc
	global_load_b128 v[8:11], v[2:3], off slc dlc
	;; [unrolled: 1-line block ×4, first 2 shown]
	v_mov_b32_e32 v16, 0
	v_cmp_gt_u32_e32 vcc_lo, s4, v65
	v_dual_mov_b32 v28, 0 :: v_dual_mov_b32 v23, 0
	v_dual_mov_b32 v22, 0 :: v_dual_mov_b32 v21, 0
	;; [unrolled: 1-line block ×18, first 2 shown]
	s_and_saveexec_b32 s2, vcc_lo
	s_cbranch_execz .LBB84_14
; %bb.16:                               ;   in Loop: Header=BB84_15 Depth=2
	s_mov_b32 s26, exec_lo
                                        ; implicit-def: $vgpr16
	v_cmpx_lt_u32_e32 0x7fff, v65
	s_xor_b32 s26, exec_lo, s26
	s_cbranch_execz .LBB84_18
; %bb.17:                               ;   in Loop: Header=BB84_15 Depth=2
	v_mov_b32_e32 v66, v67
	s_delay_alu instid0(VALU_DEP_1) | instskip(NEXT) | instid1(VALU_DEP_1)
	v_lshlrev_b64 v[16:17], 1, v[65:66]
	v_add_co_u32 v16, vcc_lo, s8, v16
	s_delay_alu instid0(VALU_DEP_2)
	v_add_co_ci_u32_e32 v17, vcc_lo, s9, v17, vcc_lo
	global_load_b128 v[16:19], v[16:17], off
.LBB84_18:                              ;   in Loop: Header=BB84_15 Depth=2
	s_and_not1_saveexec_b32 s26, s26
	s_cbranch_execz .LBB84_20
; %bb.19:                               ;   in Loop: Header=BB84_15 Depth=2
	s_waitcnt vmcnt(0)
	ds_load_b128 v[16:19], v85
.LBB84_20:                              ;   in Loop: Header=BB84_15 Depth=2
	s_or_b32 exec_lo, exec_lo, s26
	v_add_nc_u32_e32 v66, s1, v78
	s_mov_b32 s26, exec_lo
                                        ; implicit-def: $vgpr27
	s_delay_alu instid0(VALU_DEP_1)
	v_cmpx_lt_u32_e32 0x7fff, v66
	s_xor_b32 s26, exec_lo, s26
	s_cbranch_execz .LBB84_22
; %bb.21:                               ;   in Loop: Header=BB84_15 Depth=2
	v_lshlrev_b64 v[20:21], 1, v[66:67]
	s_delay_alu instid0(VALU_DEP_1) | instskip(NEXT) | instid1(VALU_DEP_2)
	v_add_co_u32 v20, vcc_lo, s8, v20
	v_add_co_ci_u32_e32 v21, vcc_lo, s9, v21, vcc_lo
	global_load_b128 v[24:27], v[20:21], off
.LBB84_22:                              ;   in Loop: Header=BB84_15 Depth=2
	s_and_not1_saveexec_b32 s26, s26
	s_cbranch_execz .LBB84_24
; %bb.23:                               ;   in Loop: Header=BB84_15 Depth=2
	v_add_nc_u32_e32 v20, s19, v85
	s_waitcnt vmcnt(0)
	ds_load_b128 v[24:27], v20
.LBB84_24:                              ;   in Loop: Header=BB84_15 Depth=2
	s_or_b32 exec_lo, exec_lo, s26
	v_add_nc_u32_e32 v70, s1, v80
	s_mov_b32 s26, exec_lo
                                        ; implicit-def: $vgpr23
	s_delay_alu instid0(VALU_DEP_1)
	v_cmpx_lt_u32_e32 0x7fff, v70
	s_xor_b32 s26, exec_lo, s26
	s_cbranch_execz .LBB84_26
; %bb.25:                               ;   in Loop: Header=BB84_15 Depth=2
	v_mov_b32_e32 v71, v67
	s_delay_alu instid0(VALU_DEP_1) | instskip(NEXT) | instid1(VALU_DEP_1)
	v_lshlrev_b64 v[20:21], 1, v[70:71]
	v_add_co_u32 v20, vcc_lo, s8, v20
	s_delay_alu instid0(VALU_DEP_2)
	v_add_co_ci_u32_e32 v21, vcc_lo, s9, v21, vcc_lo
	global_load_b128 v[20:23], v[20:21], off
.LBB84_26:                              ;   in Loop: Header=BB84_15 Depth=2
	s_and_not1_saveexec_b32 s26, s26
	s_cbranch_execz .LBB84_28
; %bb.27:                               ;   in Loop: Header=BB84_15 Depth=2
	s_waitcnt vmcnt(0)
	v_add_nc_u32_e32 v22, s6, v85
	ds_load_2addr_b32 v[20:21], v22 offset1:1
	ds_load_2addr_b32 v[22:23], v22 offset0:2 offset1:3
.LBB84_28:                              ;   in Loop: Header=BB84_15 Depth=2
	s_or_b32 exec_lo, exec_lo, s26
	v_cmp_gt_u32_e32 vcc_lo, s4, v73
	v_dual_mov_b32 v55, 0 :: v_dual_mov_b32 v54, 0
	v_dual_mov_b32 v53, 0 :: v_dual_mov_b32 v52, 0
	;; [unrolled: 1-line block ×18, first 2 shown]
	s_and_saveexec_b32 s26, vcc_lo
	s_cbranch_execz .LBB84_13
; %bb.29:                               ;   in Loop: Header=BB84_15 Depth=2
	s_mov_b32 s27, exec_lo
                                        ; implicit-def: $vgpr39
	v_cmpx_lt_u32_e32 0x7fff, v73
	s_xor_b32 s27, exec_lo, s27
	s_cbranch_execz .LBB84_31
; %bb.30:                               ;   in Loop: Header=BB84_15 Depth=2
	v_mov_b32_e32 v74, v67
	s_delay_alu instid0(VALU_DEP_1) | instskip(NEXT) | instid1(VALU_DEP_1)
	v_lshlrev_b64 v[28:29], 1, v[73:74]
	v_add_co_u32 v28, vcc_lo, s8, v28
	s_delay_alu instid0(VALU_DEP_2)
	v_add_co_ci_u32_e32 v29, vcc_lo, s9, v29, vcc_lo
	global_load_b128 v[36:39], v[28:29], off
.LBB84_31:                              ;   in Loop: Header=BB84_15 Depth=2
	s_and_not1_saveexec_b32 s27, s27
	s_cbranch_execz .LBB84_33
; %bb.32:                               ;   in Loop: Header=BB84_15 Depth=2
	s_waitcnt vmcnt(0)
	ds_load_b128 v[36:39], v85 offset:1024
.LBB84_33:                              ;   in Loop: Header=BB84_15 Depth=2
	s_or_b32 exec_lo, exec_lo, s27
	v_add_nc_u32_e32 v28, 0x200, v66
	s_mov_b32 s27, exec_lo
                                        ; implicit-def: $vgpr35
	s_delay_alu instid0(VALU_DEP_1)
	v_cmpx_lt_u32_e32 0x7fff, v28
	s_xor_b32 s27, exec_lo, s27
	s_cbranch_execz .LBB84_35
; %bb.34:                               ;   in Loop: Header=BB84_15 Depth=2
	v_mov_b32_e32 v29, v67
	s_delay_alu instid0(VALU_DEP_1) | instskip(NEXT) | instid1(VALU_DEP_1)
	v_lshlrev_b64 v[28:29], 1, v[28:29]
	v_add_co_u32 v28, vcc_lo, s8, v28
	s_delay_alu instid0(VALU_DEP_2)
	v_add_co_ci_u32_e32 v29, vcc_lo, s9, v29, vcc_lo
	global_load_b128 v[32:35], v[28:29], off
.LBB84_35:                              ;   in Loop: Header=BB84_15 Depth=2
	s_and_not1_saveexec_b32 s27, s27
	s_cbranch_execz .LBB84_37
; %bb.36:                               ;   in Loop: Header=BB84_15 Depth=2
	v_add_nc_u32_e32 v28, s19, v85
	s_waitcnt vmcnt(0)
	ds_load_b128 v[32:35], v28 offset:1024
.LBB84_37:                              ;   in Loop: Header=BB84_15 Depth=2
	s_or_b32 exec_lo, exec_lo, s27
	v_add_nc_u32_e32 v28, 0x200, v70
	s_mov_b32 s27, exec_lo
                                        ; implicit-def: $vgpr31
	s_delay_alu instid0(VALU_DEP_1)
	v_cmpx_lt_u32_e32 0x7fff, v28
	s_xor_b32 s27, exec_lo, s27
	s_cbranch_execz .LBB84_39
; %bb.38:                               ;   in Loop: Header=BB84_15 Depth=2
	v_mov_b32_e32 v29, v67
	s_delay_alu instid0(VALU_DEP_1) | instskip(NEXT) | instid1(VALU_DEP_1)
	v_lshlrev_b64 v[28:29], 1, v[28:29]
	v_add_co_u32 v28, vcc_lo, s8, v28
	s_delay_alu instid0(VALU_DEP_2)
	v_add_co_ci_u32_e32 v29, vcc_lo, s9, v29, vcc_lo
	global_load_b128 v[28:31], v[28:29], off
.LBB84_39:                              ;   in Loop: Header=BB84_15 Depth=2
	s_and_not1_saveexec_b32 s27, s27
	s_cbranch_execz .LBB84_41
; %bb.40:                               ;   in Loop: Header=BB84_15 Depth=2
	s_waitcnt vmcnt(0)
	v_add_nc_u32_e32 v28, s6, v85
	s_delay_alu instid0(VALU_DEP_1)
	v_add_nc_u32_e32 v29, 0x400, v28
	v_add_nc_u32_e32 v30, 0x408, v28
	ds_load_2addr_b32 v[28:29], v29 offset1:1
	ds_load_2addr_b32 v[30:31], v30 offset1:1
.LBB84_41:                              ;   in Loop: Header=BB84_15 Depth=2
	s_or_b32 exec_lo, exec_lo, s27
	v_cmp_gt_u32_e32 vcc_lo, s4, v72
	v_dual_mov_b32 v55, 0 :: v_dual_mov_b32 v54, 0
	v_dual_mov_b32 v53, 0 :: v_dual_mov_b32 v52, 0
	v_dual_mov_b32 v43, 0 :: v_dual_mov_b32 v42, 0
	v_dual_mov_b32 v41, 0 :: v_dual_mov_b32 v40, 0
	v_dual_mov_b32 v59, 0 :: v_dual_mov_b32 v58, 0
	v_dual_mov_b32 v57, 0 :: v_dual_mov_b32 v56, 0
	v_dual_mov_b32 v47, 0 :: v_dual_mov_b32 v46, 0
	v_dual_mov_b32 v45, 0 :: v_dual_mov_b32 v44, 0
	v_dual_mov_b32 v63, 0 :: v_dual_mov_b32 v62, 0
	v_dual_mov_b32 v61, 0 :: v_dual_mov_b32 v60, 0
	v_dual_mov_b32 v51, 0 :: v_dual_mov_b32 v50, 0
	v_dual_mov_b32 v49, 0 :: v_dual_mov_b32 v48, 0
	s_and_saveexec_b32 s27, vcc_lo
	s_cbranch_execz .LBB84_12
; %bb.42:                               ;   in Loop: Header=BB84_15 Depth=2
	s_mov_b32 s28, exec_lo
                                        ; implicit-def: $vgpr51
	v_cmpx_lt_u32_e32 0x7fff, v72
	s_xor_b32 s28, exec_lo, s28
	s_cbranch_execz .LBB84_44
; %bb.43:                               ;   in Loop: Header=BB84_15 Depth=2
	v_mov_b32_e32 v73, v67
	s_delay_alu instid0(VALU_DEP_1) | instskip(NEXT) | instid1(VALU_DEP_1)
	v_lshlrev_b64 v[40:41], 1, v[72:73]
	v_add_co_u32 v40, vcc_lo, s8, v40
	s_delay_alu instid0(VALU_DEP_2)
	v_add_co_ci_u32_e32 v41, vcc_lo, s9, v41, vcc_lo
	global_load_b128 v[48:51], v[40:41], off
.LBB84_44:                              ;   in Loop: Header=BB84_15 Depth=2
	s_and_not1_saveexec_b32 s28, s28
	s_cbranch_execz .LBB84_46
; %bb.45:                               ;   in Loop: Header=BB84_15 Depth=2
	s_waitcnt vmcnt(0)
	ds_load_b128 v[48:51], v85 offset:2048
.LBB84_46:                              ;   in Loop: Header=BB84_15 Depth=2
	s_or_b32 exec_lo, exec_lo, s28
	v_add_nc_u32_e32 v40, 0x400, v66
	s_mov_b32 s28, exec_lo
                                        ; implicit-def: $vgpr47
	s_delay_alu instid0(VALU_DEP_1)
	v_cmpx_lt_u32_e32 0x7fff, v40
	s_xor_b32 s28, exec_lo, s28
	s_cbranch_execz .LBB84_48
; %bb.47:                               ;   in Loop: Header=BB84_15 Depth=2
	v_mov_b32_e32 v41, v67
	s_delay_alu instid0(VALU_DEP_1) | instskip(NEXT) | instid1(VALU_DEP_1)
	v_lshlrev_b64 v[40:41], 1, v[40:41]
	v_add_co_u32 v40, vcc_lo, s8, v40
	s_delay_alu instid0(VALU_DEP_2)
	v_add_co_ci_u32_e32 v41, vcc_lo, s9, v41, vcc_lo
	global_load_b128 v[44:47], v[40:41], off
.LBB84_48:                              ;   in Loop: Header=BB84_15 Depth=2
	s_and_not1_saveexec_b32 s28, s28
	s_cbranch_execz .LBB84_50
; %bb.49:                               ;   in Loop: Header=BB84_15 Depth=2
	v_add_nc_u32_e32 v40, s19, v85
	s_waitcnt vmcnt(0)
	ds_load_b128 v[44:47], v40 offset:2048
.LBB84_50:                              ;   in Loop: Header=BB84_15 Depth=2
	s_or_b32 exec_lo, exec_lo, s28
	v_add_nc_u32_e32 v40, 0x400, v70
	s_mov_b32 s28, exec_lo
                                        ; implicit-def: $vgpr43
	s_delay_alu instid0(VALU_DEP_1)
	v_cmpx_lt_u32_e32 0x7fff, v40
	s_xor_b32 s28, exec_lo, s28
	s_cbranch_execz .LBB84_52
; %bb.51:                               ;   in Loop: Header=BB84_15 Depth=2
	v_mov_b32_e32 v41, v67
	s_delay_alu instid0(VALU_DEP_1) | instskip(NEXT) | instid1(VALU_DEP_1)
	v_lshlrev_b64 v[40:41], 1, v[40:41]
	v_add_co_u32 v40, vcc_lo, s8, v40
	s_delay_alu instid0(VALU_DEP_2)
	v_add_co_ci_u32_e32 v41, vcc_lo, s9, v41, vcc_lo
	global_load_b128 v[40:43], v[40:41], off
.LBB84_52:                              ;   in Loop: Header=BB84_15 Depth=2
	s_and_not1_saveexec_b32 s28, s28
	s_cbranch_execz .LBB84_54
; %bb.53:                               ;   in Loop: Header=BB84_15 Depth=2
	s_waitcnt vmcnt(0)
	v_add_nc_u32_e32 v40, s6, v85
	s_delay_alu instid0(VALU_DEP_1)
	v_add_nc_u32_e32 v41, 0x800, v40
	v_add_nc_u32_e32 v42, 0x808, v40
	ds_load_2addr_b32 v[40:41], v41 offset1:1
	ds_load_2addr_b32 v[42:43], v42 offset1:1
.LBB84_54:                              ;   in Loop: Header=BB84_15 Depth=2
	s_or_b32 exec_lo, exec_lo, s28
	v_dual_mov_b32 v55, 0 :: v_dual_mov_b32 v54, 0
	v_dual_mov_b32 v53, 0 :: v_dual_mov_b32 v52, 0
	;; [unrolled: 1-line block ×6, first 2 shown]
	s_mov_b32 s28, exec_lo
	v_cmpx_gt_u32_e64 s4, v68
	s_cbranch_execz .LBB84_11
; %bb.55:                               ;   in Loop: Header=BB84_15 Depth=2
	s_mov_b32 s29, exec_lo
                                        ; implicit-def: $vgpr63
	v_cmpx_lt_u32_e32 0x7fff, v68
	s_xor_b32 s29, exec_lo, s29
	s_cbranch_execz .LBB84_57
; %bb.56:                               ;   in Loop: Header=BB84_15 Depth=2
	v_mov_b32_e32 v69, v67
	s_delay_alu instid0(VALU_DEP_1) | instskip(NEXT) | instid1(VALU_DEP_1)
	v_lshlrev_b64 v[52:53], 1, v[68:69]
	v_add_co_u32 v52, vcc_lo, s8, v52
	s_delay_alu instid0(VALU_DEP_2)
	v_add_co_ci_u32_e32 v53, vcc_lo, s9, v53, vcc_lo
	global_load_b128 v[60:63], v[52:53], off
.LBB84_57:                              ;   in Loop: Header=BB84_15 Depth=2
	s_and_not1_saveexec_b32 s29, s29
	s_cbranch_execz .LBB84_59
; %bb.58:                               ;   in Loop: Header=BB84_15 Depth=2
	s_waitcnt vmcnt(0)
	ds_load_b128 v[60:63], v85 offset:3072
.LBB84_59:                              ;   in Loop: Header=BB84_15 Depth=2
	s_or_b32 exec_lo, exec_lo, s29
	v_add_nc_u32_e32 v66, 0x600, v66
	s_mov_b32 s29, exec_lo
                                        ; implicit-def: $vgpr59
	s_delay_alu instid0(VALU_DEP_1)
	v_cmpx_lt_u32_e32 0x7fff, v66
	s_xor_b32 s29, exec_lo, s29
	s_cbranch_execz .LBB84_61
; %bb.60:                               ;   in Loop: Header=BB84_15 Depth=2
	v_lshlrev_b64 v[52:53], 1, v[66:67]
	s_delay_alu instid0(VALU_DEP_1) | instskip(NEXT) | instid1(VALU_DEP_2)
	v_add_co_u32 v52, vcc_lo, s8, v52
	v_add_co_ci_u32_e32 v53, vcc_lo, s9, v53, vcc_lo
	global_load_b128 v[56:59], v[52:53], off
.LBB84_61:                              ;   in Loop: Header=BB84_15 Depth=2
	s_and_not1_saveexec_b32 s29, s29
	s_cbranch_execz .LBB84_63
; %bb.62:                               ;   in Loop: Header=BB84_15 Depth=2
	v_add_nc_u32_e32 v52, s19, v85
	s_waitcnt vmcnt(0)
	ds_load_b128 v[56:59], v52 offset:3072
.LBB84_63:                              ;   in Loop: Header=BB84_15 Depth=2
	s_or_b32 exec_lo, exec_lo, s29
	v_add_nc_u32_e32 v66, 0x600, v70
	s_mov_b32 s29, exec_lo
                                        ; implicit-def: $vgpr55
	s_delay_alu instid0(VALU_DEP_1)
	v_cmpx_lt_u32_e32 0x7fff, v66
	s_xor_b32 s29, exec_lo, s29
	s_cbranch_execz .LBB84_65
; %bb.64:                               ;   in Loop: Header=BB84_15 Depth=2
	v_lshlrev_b64 v[52:53], 1, v[66:67]
	s_delay_alu instid0(VALU_DEP_1) | instskip(NEXT) | instid1(VALU_DEP_2)
	v_add_co_u32 v52, vcc_lo, s8, v52
	v_add_co_ci_u32_e32 v53, vcc_lo, s9, v53, vcc_lo
	global_load_b128 v[52:55], v[52:53], off
.LBB84_65:                              ;   in Loop: Header=BB84_15 Depth=2
	s_and_not1_saveexec_b32 s29, s29
	s_cbranch_execz .LBB84_10
; %bb.66:                               ;   in Loop: Header=BB84_15 Depth=2
	s_waitcnt vmcnt(0)
	v_add_nc_u32_e32 v52, s6, v85
	s_delay_alu instid0(VALU_DEP_1)
	v_add_nc_u32_e32 v53, 0xc00, v52
	v_add_nc_u32_e32 v54, 0xc08, v52
	ds_load_2addr_b32 v[52:53], v53 offset1:1
	ds_load_2addr_b32 v[54:55], v54 offset1:1
	s_branch .LBB84_10
.LBB84_67:                              ;   in Loop: Header=BB84_8 Depth=1
	v_cvt_i32_f32_e32 v0, v84
	v_cvt_i32_f32_e32 v1, v83
	;; [unrolled: 1-line block ×3, first 2 shown]
	s_delay_alu instid0(VALU_DEP_3) | instskip(NEXT) | instid1(VALU_DEP_3)
	v_cvt_f32_i32_dpp v0, v0 row_shr:8 row_mask:0xf bank_mask:0xf bound_ctrl:1
	v_cvt_f32_i32_dpp v1, v1 row_shr:8 row_mask:0xf bank_mask:0xf bound_ctrl:1
	s_delay_alu instid0(VALU_DEP_3) | instskip(NEXT) | instid1(VALU_DEP_2)
	v_cvt_f32_i32_dpp v2, v2 row_shr:8 row_mask:0xf bank_mask:0xf bound_ctrl:1
	v_dual_add_f32 v0, v84, v0 :: v_dual_add_f32 v1, v83, v1
	s_delay_alu instid0(VALU_DEP_1) | instskip(NEXT) | instid1(VALU_DEP_2)
	v_cvt_i32_f32_e32 v3, v0
	v_cvt_i32_f32_e32 v4, v1
	s_delay_alu instid0(VALU_DEP_2) | instskip(NEXT) | instid1(VALU_DEP_2)
	v_cvt_f32_i32_dpp v3, v3 row_shr:4 row_mask:0xf bank_mask:0xf bound_ctrl:1
	v_cvt_f32_i32_dpp v4, v4 row_shr:4 row_mask:0xf bank_mask:0xf bound_ctrl:1
	s_delay_alu instid0(VALU_DEP_1) | instskip(NEXT) | instid1(VALU_DEP_1)
	v_dual_add_f32 v2, v82, v2 :: v_dual_add_f32 v1, v1, v4
	v_cvt_i32_f32_e32 v5, v2
	s_delay_alu instid0(VALU_DEP_2) | instskip(NEXT) | instid1(VALU_DEP_2)
	v_cvt_i32_f32_e32 v4, v1
	v_cvt_f32_i32_dpp v5, v5 row_shr:4 row_mask:0xf bank_mask:0xf bound_ctrl:1
	s_delay_alu instid0(VALU_DEP_2) | instskip(SKIP_1) | instid1(VALU_DEP_2)
	v_cvt_f32_i32_dpp v4, v4 row_shr:2 row_mask:0xf bank_mask:0xf bound_ctrl:1
	v_add_f32_e32 v0, v0, v3
	v_dual_add_f32 v2, v2, v5 :: v_dual_add_f32 v1, v1, v4
	s_delay_alu instid0(VALU_DEP_2) | instskip(NEXT) | instid1(VALU_DEP_2)
	v_cvt_i32_f32_e32 v3, v0
	v_cvt_i32_f32_e32 v5, v2
	s_delay_alu instid0(VALU_DEP_2) | instskip(NEXT) | instid1(VALU_DEP_2)
	v_cvt_f32_i32_dpp v3, v3 row_shr:2 row_mask:0xf bank_mask:0xf bound_ctrl:1
	v_cvt_f32_i32_dpp v5, v5 row_shr:2 row_mask:0xf bank_mask:0xf bound_ctrl:1
	s_delay_alu instid0(VALU_DEP_1) | instskip(SKIP_2) | instid1(VALU_DEP_3)
	v_dual_add_f32 v0, v0, v3 :: v_dual_add_f32 v3, v2, v5
	v_xor_b32_e32 v2, 16, v79
	v_cvt_i32_f32_e32 v5, v1
	v_cvt_i32_f32_e32 v4, v0
	s_waitcnt vmcnt(0)
	v_cvt_i32_f32_e32 v6, v3
	v_cmp_gt_i32_e32 vcc_lo, 32, v2
	v_cvt_f32_i32_dpp v5, v5 row_shr:1 row_mask:0xf bank_mask:0xf bound_ctrl:1
	v_cvt_f32_i32_dpp v4, v4 row_shr:1 row_mask:0xf bank_mask:0xf bound_ctrl:1
	s_delay_alu instid0(VALU_DEP_4) | instskip(SKIP_1) | instid1(VALU_DEP_3)
	v_cvt_f32_i32_dpp v6, v6 row_shr:1 row_mask:0xf bank_mask:0xf bound_ctrl:1
	v_cndmask_b32_e32 v2, v79, v2, vcc_lo
	v_add_f32_e32 v4, v0, v4
	s_delay_alu instid0(VALU_DEP_3) | instskip(NEXT) | instid1(VALU_DEP_3)
	v_add_f32_e32 v0, v3, v6
	v_dual_add_f32 v2, v1, v5 :: v_dual_lshlrev_b32 v7, 2, v2
	ds_bpermute_b32 v5, v7, v4
	ds_bpermute_b32 v3, v7, v2
	;; [unrolled: 1-line block ×3, first 2 shown]
	s_and_saveexec_b32 s1, s0
	s_cbranch_execz .LBB84_7
; %bb.68:                               ;   in Loop: Header=BB84_8 Depth=1
	v_dual_mov_b32 v8, 0 :: v_dual_mov_b32 v7, 0
	v_mov_b32_e32 v6, 0
	s_and_not1_b32 vcc_lo, exec_lo, s22
	s_cbranch_vccnz .LBB84_70
; %bb.69:                               ;   in Loop: Header=BB84_8 Depth=1
	v_mul_hi_u32 v6, v64, v81
	s_delay_alu instid0(VALU_DEP_1) | instskip(NEXT) | instid1(VALU_DEP_1)
	v_mul_lo_u32 v6, v6, s10
	v_sub_nc_u32_e32 v6, v64, v6
	s_delay_alu instid0(VALU_DEP_1) | instskip(SKIP_1) | instid1(VALU_DEP_2)
	v_subrev_nc_u32_e32 v7, s10, v6
	v_cmp_le_u32_e32 vcc_lo, s10, v6
	v_cndmask_b32_e32 v6, v6, v7, vcc_lo
	s_delay_alu instid0(VALU_DEP_1) | instskip(SKIP_1) | instid1(VALU_DEP_2)
	v_subrev_nc_u32_e32 v7, s10, v6
	v_cmp_le_u32_e32 vcc_lo, s10, v6
	v_dual_cndmask_b32 v66, v6, v7 :: v_dual_mov_b32 v7, v67
	s_delay_alu instid0(VALU_DEP_1) | instskip(SKIP_2) | instid1(VALU_DEP_3)
	v_add_nc_u32_e32 v6, s24, v66
	v_lshlrev_b64 v[8:9], 1, v[66:67]
	v_add_nc_u32_e32 v66, s25, v66
	v_lshlrev_b64 v[6:7], 1, v[6:7]
	s_delay_alu instid0(VALU_DEP_2) | instskip(NEXT) | instid1(VALU_DEP_4)
	v_lshlrev_b64 v[10:11], 1, v[66:67]
	v_add_co_u32 v8, vcc_lo, s12, v8
	v_add_co_ci_u32_e32 v9, vcc_lo, s13, v9, vcc_lo
	s_delay_alu instid0(VALU_DEP_4)
	v_add_co_u32 v6, vcc_lo, s12, v6
	v_add_co_ci_u32_e32 v7, vcc_lo, s13, v7, vcc_lo
	v_add_co_u32 v10, vcc_lo, s12, v10
	v_add_co_ci_u32_e32 v11, vcc_lo, s13, v11, vcc_lo
	s_clause 0x2
	global_load_u16 v8, v[8:9], off
	global_load_u16 v7, v[6:7], off
	;; [unrolled: 1-line block ×3, first 2 shown]
.LBB84_70:                              ;   in Loop: Header=BB84_8 Depth=1
	v_cmp_ne_u32_e32 vcc_lo, 0, v75
	s_and_b32 exec_lo, exec_lo, vcc_lo
	s_cbranch_execz .LBB84_7
; %bb.71:                               ;   in Loop: Header=BB84_8 Depth=1
	s_waitcnt lgkmcnt(0)
	v_dual_add_f32 v4, v4, v5 :: v_dual_mov_b32 v65, v67
	s_waitcnt vmcnt(2)
	v_cvt_f32_f16_e32 v5, v8
	v_add_f32_e32 v2, v2, v3
	s_waitcnt vmcnt(1)
	v_cvt_f32_f16_e32 v3, v7
	v_add_nc_u32_e32 v66, s7, v64
	v_add_f32_e32 v4, v4, v5
	v_add_f32_e32 v5, v0, v1
	s_delay_alu instid0(VALU_DEP_4)
	v_add_f32_e32 v7, v2, v3
	v_lshlrev_b64 v[0:1], 1, v[64:65]
	v_lshlrev_b64 v[2:3], 1, v[66:67]
	v_cvt_f16_f32_e32 v8, v4
	s_waitcnt vmcnt(0)
	v_cvt_f32_f16_e32 v4, v6
	v_add_nc_u32_e32 v66, s7, v66
	v_cvt_f16_f32_e32 v6, v7
	v_add_co_u32 v0, vcc_lo, s16, v0
	s_delay_alu instid0(VALU_DEP_4) | instskip(NEXT) | instid1(VALU_DEP_4)
	v_add_f32_e32 v7, v5, v4
	v_lshlrev_b64 v[4:5], 1, v[66:67]
	v_add_co_ci_u32_e32 v1, vcc_lo, s17, v1, vcc_lo
	v_add_co_u32 v2, vcc_lo, s16, v2
	v_add_co_ci_u32_e32 v3, vcc_lo, s17, v3, vcc_lo
	s_delay_alu instid0(VALU_DEP_4)
	v_add_co_u32 v4, vcc_lo, s16, v4
	v_cvt_f16_f32_e32 v7, v7
	v_add_co_ci_u32_e32 v5, vcc_lo, s17, v5, vcc_lo
	s_clause 0x2
	global_store_b16 v[0:1], v8, off
	global_store_b16 v[2:3], v6, off
	;; [unrolled: 1-line block ×3, first 2 shown]
	s_branch .LBB84_7
.LBB84_72:
	s_nop 0
	s_sendmsg sendmsg(MSG_DEALLOC_VGPRS)
	s_endpgm
	.section	.rodata,"a",@progbits
	.p2align	6, 0x0
	.amdhsa_kernel _Z12wvSplitK_hf_I6__halfLi64ELi1ELi16ELi8ELi4ELi3EEviiiiiiPKT_S3_S3_PS1_ii
		.amdhsa_group_segment_fixed_size 65536
		.amdhsa_private_segment_fixed_size 0
		.amdhsa_kernarg_size 64
		.amdhsa_user_sgpr_count 15
		.amdhsa_user_sgpr_dispatch_ptr 0
		.amdhsa_user_sgpr_queue_ptr 0
		.amdhsa_user_sgpr_kernarg_segment_ptr 1
		.amdhsa_user_sgpr_dispatch_id 0
		.amdhsa_user_sgpr_private_segment_size 0
		.amdhsa_wavefront_size32 1
		.amdhsa_uses_dynamic_stack 0
		.amdhsa_enable_private_segment 0
		.amdhsa_system_sgpr_workgroup_id_x 1
		.amdhsa_system_sgpr_workgroup_id_y 0
		.amdhsa_system_sgpr_workgroup_id_z 0
		.amdhsa_system_sgpr_workgroup_info 0
		.amdhsa_system_vgpr_workitem_id 1
		.amdhsa_next_free_vgpr 88
		.amdhsa_next_free_sgpr 30
		.amdhsa_reserve_vcc 1
		.amdhsa_float_round_mode_32 0
		.amdhsa_float_round_mode_16_64 0
		.amdhsa_float_denorm_mode_32 3
		.amdhsa_float_denorm_mode_16_64 3
		.amdhsa_dx10_clamp 1
		.amdhsa_ieee_mode 1
		.amdhsa_fp16_overflow 0
		.amdhsa_workgroup_processor_mode 1
		.amdhsa_memory_ordered 1
		.amdhsa_forward_progress 0
		.amdhsa_shared_vgpr_count 0
		.amdhsa_exception_fp_ieee_invalid_op 0
		.amdhsa_exception_fp_denorm_src 0
		.amdhsa_exception_fp_ieee_div_zero 0
		.amdhsa_exception_fp_ieee_overflow 0
		.amdhsa_exception_fp_ieee_underflow 0
		.amdhsa_exception_fp_ieee_inexact 0
		.amdhsa_exception_int_div_zero 0
	.end_amdhsa_kernel
	.section	.text._Z12wvSplitK_hf_I6__halfLi64ELi1ELi16ELi8ELi4ELi3EEviiiiiiPKT_S3_S3_PS1_ii,"axG",@progbits,_Z12wvSplitK_hf_I6__halfLi64ELi1ELi16ELi8ELi4ELi3EEviiiiiiPKT_S3_S3_PS1_ii,comdat
.Lfunc_end84:
	.size	_Z12wvSplitK_hf_I6__halfLi64ELi1ELi16ELi8ELi4ELi3EEviiiiiiPKT_S3_S3_PS1_ii, .Lfunc_end84-_Z12wvSplitK_hf_I6__halfLi64ELi1ELi16ELi8ELi4ELi3EEviiiiiiPKT_S3_S3_PS1_ii
                                        ; -- End function
	.section	.AMDGPU.csdata,"",@progbits
; Kernel info:
; codeLenInByte = 4444
; NumSgprs: 32
; NumVgprs: 88
; ScratchSize: 0
; MemoryBound: 0
; FloatMode: 240
; IeeeMode: 1
; LDSByteSize: 65536 bytes/workgroup (compile time only)
; SGPRBlocks: 3
; VGPRBlocks: 10
; NumSGPRsForWavesPerEU: 32
; NumVGPRsForWavesPerEU: 88
; Occupancy: 16
; WaveLimiterHint : 0
; COMPUTE_PGM_RSRC2:SCRATCH_EN: 0
; COMPUTE_PGM_RSRC2:USER_SGPR: 15
; COMPUTE_PGM_RSRC2:TRAP_HANDLER: 0
; COMPUTE_PGM_RSRC2:TGID_X_EN: 1
; COMPUTE_PGM_RSRC2:TGID_Y_EN: 0
; COMPUTE_PGM_RSRC2:TGID_Z_EN: 0
; COMPUTE_PGM_RSRC2:TIDIG_COMP_CNT: 1
	.section	.text._Z16wvSplitK_hf_big_I6__halfLi64ELi1ELi16ELi8ELi4ELi3EEviiiiiiPKT_S3_S3_PS1_ii,"axG",@progbits,_Z16wvSplitK_hf_big_I6__halfLi64ELi1ELi16ELi8ELi4ELi3EEviiiiiiPKT_S3_S3_PS1_ii,comdat
	.protected	_Z16wvSplitK_hf_big_I6__halfLi64ELi1ELi16ELi8ELi4ELi3EEviiiiiiPKT_S3_S3_PS1_ii ; -- Begin function _Z16wvSplitK_hf_big_I6__halfLi64ELi1ELi16ELi8ELi4ELi3EEviiiiiiPKT_S3_S3_PS1_ii
	.globl	_Z16wvSplitK_hf_big_I6__halfLi64ELi1ELi16ELi8ELi4ELi3EEviiiiiiPKT_S3_S3_PS1_ii
	.p2align	8
	.type	_Z16wvSplitK_hf_big_I6__halfLi64ELi1ELi16ELi8ELi4ELi3EEviiiiiiPKT_S3_S3_PS1_ii,@function
_Z16wvSplitK_hf_big_I6__halfLi64ELi1ELi16ELi8ELi4ELi3EEviiiiiiPKT_S3_S3_PS1_ii: ; @_Z16wvSplitK_hf_big_I6__halfLi64ELi1ELi16ELi8ELi4ELi3EEviiiiiiPKT_S3_S3_PS1_ii
; %bb.0:
	s_load_b64 s[20:21], s[0:1], 0x38
	v_bfe_u32 v1, v0, 10, 10
	s_mov_b32 s2, exec_lo
	s_waitcnt lgkmcnt(0)
	s_delay_alu instid0(VALU_DEP_1)
	v_cmpx_gt_u32_e64 s20, v1
	s_cbranch_execz .LBB85_38
; %bb.1:
	s_load_b128 s[16:19], s[0:1], 0x0
	v_mad_u64_u32 v[64:65], null, s15, s20, v[1:2]
	v_mov_b32_e32 v68, 1
	s_delay_alu instid0(VALU_DEP_2) | instskip(SKIP_2) | instid1(VALU_DEP_2)
	v_add_nc_u32_e32 v2, 1, v64
	s_waitcnt lgkmcnt(0)
	v_cmp_gt_u32_e32 vcc_lo, s19, v64
	v_cmp_le_u32_e64 s2, s19, v2
	s_delay_alu instid0(VALU_DEP_1) | instskip(NEXT) | instid1(SALU_CYCLE_1)
	s_and_b32 s3, vcc_lo, s2
	s_and_saveexec_b32 s2, s3
; %bb.2:
	v_subrev_nc_u32_e32 v2, s19, v64
	s_add_i32 s3, s19, -1
	s_delay_alu instid0(SALU_CYCLE_1) | instskip(NEXT) | instid1(VALU_DEP_2)
	v_mov_b32_e32 v64, s3
	v_cmp_eq_u32_e32 vcc_lo, -1, v2
	v_cndmask_b32_e64 v68, 0, 1, vcc_lo
; %bb.3:
	s_or_b32 exec_lo, exec_lo, s2
	s_abs_i32 s2, s20
	s_abs_i32 s5, s19
	v_cvt_f32_u32_e32 v2, s2
	s_sub_i32 s4, 0, s2
	s_mov_b32 s14, 0
	s_delay_alu instid0(VALU_DEP_1) | instskip(SKIP_2) | instid1(VALU_DEP_1)
	v_rcp_iflag_f32_e32 v2, v2
	s_waitcnt_depctr 0xfff
	v_mul_f32_e32 v2, 0x4f7ffffe, v2
	v_cvt_u32_f32_e32 v2, v2
	s_delay_alu instid0(VALU_DEP_1) | instskip(NEXT) | instid1(VALU_DEP_1)
	v_readfirstlane_b32 s3, v2
	s_mul_i32 s4, s4, s3
	s_delay_alu instid0(SALU_CYCLE_1) | instskip(NEXT) | instid1(SALU_CYCLE_1)
	s_mul_hi_u32 s4, s3, s4
	s_add_i32 s3, s3, s4
	s_ashr_i32 s4, s19, 31
	s_mul_hi_u32 s3, s5, s3
	s_delay_alu instid0(SALU_CYCLE_1) | instskip(NEXT) | instid1(SALU_CYCLE_1)
	s_mul_i32 s3, s3, s2
	s_sub_i32 s3, s5, s3
	s_delay_alu instid0(SALU_CYCLE_1) | instskip(SKIP_2) | instid1(SALU_CYCLE_1)
	s_sub_i32 s5, s3, s2
	s_cmp_ge_u32 s3, s2
	s_cselect_b32 s3, s5, s3
	s_sub_i32 s5, s3, s2
	s_cmp_ge_u32 s3, s2
	s_cselect_b32 s2, s5, s3
	s_add_i32 s3, s20, s19
	s_xor_b32 s2, s2, s4
	s_delay_alu instid0(SALU_CYCLE_1) | instskip(NEXT) | instid1(SALU_CYCLE_1)
	s_sub_i32 s2, s2, s4
	s_sub_i32 s3, s3, s2
	s_cmp_eq_u32 s2, 0
	s_cselect_b32 s3, s19, s3
	s_delay_alu instid0(SALU_CYCLE_1)
	v_cmp_gt_u32_e32 vcc_lo, s3, v64
	s_and_b32 exec_lo, exec_lo, vcc_lo
	s_cbranch_execz .LBB85_38
; %bb.4:
	s_load_b256 s[4:11], s[0:1], 0x10
	s_min_u32 s15, s18, 0x2800
	s_cmp_lg_u32 s16, 0
	s_load_b64 s[12:13], s[0:1], 0x30
	s_cselect_b32 s22, -1, 0
	s_cmp_lg_u32 s18, 0
	v_dual_mov_b32 v67, 0 :: v_dual_and_b32 v0, 0x3ff, v0
	s_cselect_b32 s23, -1, 0
	s_lshl_b32 s24, s20, 9
	s_add_i32 s25, s16, -8
	s_add_i32 s26, s19, -1
	v_lshlrev_b32_e32 v70, 3, v0
	v_cmp_eq_u32_e64 s0, 63, v0
	v_lshlrev_b32_e32 v0, 4, v0
	v_mbcnt_lo_u32_b32 v69, -1, 0
	s_delay_alu instid0(VALU_DEP_4) | instskip(NEXT) | instid1(VALU_DEP_3)
	v_lshl_add_u32 v71, v1, 9, v70
	v_lshl_add_u32 v72, v1, 10, v0
	s_waitcnt lgkmcnt(0)
	s_cmp_lg_u64 s[10:11], 0
	v_cvt_f32_u32_e32 v3, s4
	s_cselect_b32 s27, -1, 0
	s_abs_i32 s2, s5
	s_mul_i32 s5, s21, s20
	v_cvt_f32_u32_e32 v2, s2
	v_rcp_iflag_f32_e32 v3, v3
	s_sub_i32 s29, 0, s2
	s_sub_i32 s21, s5, s19
	;; [unrolled: 1-line block ×3, first 2 shown]
	v_rcp_iflag_f32_e32 v2, v2
	s_add_i32 s21, s21, 2
	s_sub_i32 s30, 1, s2
	v_lshl_add_u32 v73, s18, 1, v71
	v_add_nc_u32_e32 v74, s18, v71
	s_waitcnt_depctr 0xfff
	v_mul_f32_e32 v2, 0x4f7ffffe, v2
	s_delay_alu instid0(VALU_DEP_1) | instskip(NEXT) | instid1(VALU_DEP_1)
	v_cvt_u32_f32_e32 v2, v2
	v_readfirstlane_b32 s1, v2
	v_mul_f32_e32 v2, 0x4f7ffffe, v3
	s_delay_alu instid0(VALU_DEP_2) | instskip(NEXT) | instid1(VALU_DEP_1)
	s_mul_i32 s29, s29, s1
	v_cvt_u32_f32_e32 v2, v2
	s_mul_hi_u32 s29, s1, s29
	s_delay_alu instid0(SALU_CYCLE_1) | instskip(SKIP_1) | instid1(VALU_DEP_1)
	s_add_i32 s1, s1, s29
	s_cmp_lt_u32 s2, 2
	v_mul_lo_u32 v3, s28, v2
	s_cselect_b32 s28, s30, 1
	s_delay_alu instid0(SALU_CYCLE_1) | instskip(SKIP_3) | instid1(VALU_DEP_1)
	s_sub_i32 s29, s28, s2
	s_cmp_ge_u32 s28, s2
	s_cselect_b32 s28, s29, s28
	s_lshr_b32 s1, s1, 31
	v_mul_hi_u32 v3, v2, v3
	s_mul_i32 s1, s1, s2
	s_mul_i32 s28, s28, s4
	s_sub_i32 s1, 2, s1
	s_delay_alu instid0(SALU_CYCLE_1) | instskip(SKIP_2) | instid1(VALU_DEP_1)
	s_sub_i32 s29, s1, s2
	s_cmp_ge_u32 s1, s2
	s_cselect_b32 s1, s29, s1
	v_add_nc_u32_e32 v75, v2, v3
	s_sub_i32 s29, s1, s2
	s_cmp_ge_u32 s1, s2
	s_cselect_b32 s30, s29, s1
	s_lshl_b32 s29, s15, 2
	s_lshl_b32 s20, s20, 10
	s_mul_i32 s30, s30, s4
	s_lshl_b32 s31, s15, 1
	s_branch .LBB85_7
.LBB85_5:                               ;   in Loop: Header=BB85_7 Depth=1
	s_or_b32 exec_lo, exec_lo, s1
.LBB85_6:                               ;   in Loop: Header=BB85_7 Depth=1
	s_delay_alu instid0(SALU_CYCLE_1) | instskip(NEXT) | instid1(VALU_DEP_1)
	s_or_b32 exec_lo, exec_lo, s2
	v_cmp_le_u32_e32 vcc_lo, s3, v0
	v_mov_b32_e32 v64, v0
	s_or_b32 s14, vcc_lo, s14
	s_delay_alu instid0(SALU_CYCLE_1)
	s_and_not1_b32 exec_lo, exec_lo, s14
	s_cbranch_execz .LBB85_38
.LBB85_7:                               ; =>This Loop Header: Depth=1
                                        ;     Child Loop BB85_14 Depth 2
                                        ;       Child Loop BB85_19 Depth 3
	v_mov_b32_e32 v77, v67
	v_mov_b32_e32 v76, v67
	;; [unrolled: 1-line block ×3, first 2 shown]
	s_and_not1_b32 vcc_lo, exec_lo, s22
	s_mov_b32 s33, 0
	s_cbranch_vccnz .LBB85_28
; %bb.8:                                ;   in Loop: Header=BB85_7 Depth=1
	v_min_u32_e32 v0, s26, v64
	v_cmp_gt_u32_e64 s1, s19, v64
	v_dual_mov_b32 v65, 0 :: v_dual_mov_b32 v76, 0
	v_mov_b32_e32 v77, 0
	s_delay_alu instid0(VALU_DEP_4) | instskip(SKIP_1) | instid1(VALU_DEP_1)
	v_mul_lo_u32 v66, v0, s17
	s_mov_b32 s34, 0
	v_lshlrev_b64 v[0:1], 1, v[66:67]
	s_delay_alu instid0(VALU_DEP_1) | instskip(NEXT) | instid1(VALU_DEP_2)
	v_add_co_u32 v78, vcc_lo, s6, v0
	v_add_co_ci_u32_e32 v79, vcc_lo, s7, v1, vcc_lo
	s_branch .LBB85_14
.LBB85_9:                               ;   in Loop: Header=BB85_14 Depth=2
	s_or_b32 exec_lo, exec_lo, s38
.LBB85_10:                              ;   in Loop: Header=BB85_14 Depth=2
	s_delay_alu instid0(SALU_CYCLE_1)
	s_or_b32 exec_lo, exec_lo, s37
.LBB85_11:                              ;   in Loop: Header=BB85_14 Depth=2
	s_delay_alu instid0(SALU_CYCLE_1)
	s_or_b32 exec_lo, exec_lo, s36
.LBB85_12:                              ;   in Loop: Header=BB85_14 Depth=2
	s_delay_alu instid0(SALU_CYCLE_1)
	s_or_b32 exec_lo, exec_lo, s35
	s_waitcnt vmcnt(3) lgkmcnt(2)
	;;#ASMSTART
	v_dot2_f32_f16 v77, v60, v32, v77
	;;#ASMEND
	s_waitcnt lgkmcnt(1)
	;;#ASMSTART
	v_dot2_f32_f16 v76, v52, v32, v76
	;;#ASMEND
	s_waitcnt lgkmcnt(0)
	;;#ASMSTART
	v_dot2_f32_f16 v65, v56, v32, v65
	;;#ASMEND
	;;#ASMSTART
	v_dot2_f32_f16 v77, v61, v33, v77
	;;#ASMEND
	;;#ASMSTART
	v_dot2_f32_f16 v76, v53, v33, v76
	;;#ASMEND
	;;#ASMSTART
	v_dot2_f32_f16 v65, v57, v33, v65
	;;#ASMEND
	;;#ASMSTART
	v_dot2_f32_f16 v77, v62, v34, v77
	;;#ASMEND
	;;#ASMSTART
	v_dot2_f32_f16 v76, v54, v34, v76
	;;#ASMEND
	;;#ASMSTART
	v_dot2_f32_f16 v65, v58, v34, v65
	;;#ASMEND
	;;#ASMSTART
	v_dot2_f32_f16 v77, v63, v35, v77
	;;#ASMEND
	;;#ASMSTART
	v_dot2_f32_f16 v76, v55, v35, v76
	;;#ASMEND
	;;#ASMSTART
	v_dot2_f32_f16 v65, v59, v35, v65
	;;#ASMEND
	s_waitcnt vmcnt(2)
	;;#ASMSTART
	v_dot2_f32_f16 v77, v48, v16, v77
	;;#ASMEND
	;;#ASMSTART
	v_dot2_f32_f16 v76, v44, v16, v76
	;;#ASMEND
	;;#ASMSTART
	v_dot2_f32_f16 v65, v36, v16, v65
	;;#ASMEND
	;;#ASMSTART
	v_dot2_f32_f16 v77, v49, v17, v77
	;;#ASMEND
	;;#ASMSTART
	v_dot2_f32_f16 v76, v45, v17, v76
	;;#ASMEND
	;;#ASMSTART
	v_dot2_f32_f16 v65, v37, v17, v65
	;;#ASMEND
	;;#ASMSTART
	v_dot2_f32_f16 v77, v50, v18, v77
	;;#ASMEND
	;;#ASMSTART
	v_dot2_f32_f16 v76, v46, v18, v76
	;;#ASMEND
	;;#ASMSTART
	v_dot2_f32_f16 v65, v38, v18, v65
	;;#ASMEND
	;;#ASMSTART
	v_dot2_f32_f16 v77, v51, v19, v77
	;;#ASMEND
	;;#ASMSTART
	v_dot2_f32_f16 v76, v47, v19, v76
	;;#ASMEND
	;;#ASMSTART
	v_dot2_f32_f16 v65, v39, v19, v65
	;;#ASMEND
	s_waitcnt vmcnt(1)
	;;#ASMSTART
	v_dot2_f32_f16 v77, v40, v4, v77
	;;#ASMEND
	;;#ASMSTART
	v_dot2_f32_f16 v76, v28, v4, v76
	;;#ASMEND
	;; [unrolled: 37-line block ×3, first 2 shown]
	;;#ASMSTART
	v_dot2_f32_f16 v65, v8, v0, v65
	;;#ASMEND
	;;#ASMSTART
	v_dot2_f32_f16 v77, v25, v1, v77
	;;#ASMEND
	;; [unrolled: 3-line block ×10, first 2 shown]
.LBB85_13:                              ;   in Loop: Header=BB85_14 Depth=2
	s_or_b32 exec_lo, exec_lo, s2
	s_addk_i32 s34, 0x800
	s_delay_alu instid0(SALU_CYCLE_1)
	s_cmp_ge_u32 s34, s16
	s_cbranch_scc1 .LBB85_28
.LBB85_14:                              ;   Parent Loop BB85_7 Depth=1
                                        ; =>  This Loop Header: Depth=2
                                        ;       Child Loop BB85_19 Depth 3
	s_cmp_eq_u32 s34, 0
	s_cselect_b32 s35, -1, 0
	s_add_i32 s2, s33, s15
	s_delay_alu instid0(SALU_CYCLE_1) | instskip(SKIP_1) | instid1(SALU_CYCLE_1)
	s_cmp_eq_u32 s34, s2
	s_cselect_b32 s36, -1, 0
	s_or_b32 s36, s35, s36
	s_delay_alu instid0(SALU_CYCLE_1)
	s_and_not1_b32 vcc_lo, exec_lo, s36
	s_cbranch_vccz .LBB85_16
; %bb.15:                               ;   in Loop: Header=BB85_14 Depth=2
	s_and_saveexec_b32 s2, s1
	s_cbranch_execz .LBB85_13
	s_branch .LBB85_23
.LBB85_16:                              ;   in Loop: Header=BB85_14 Depth=2
	s_and_b32 s35, s35, exec_lo
	s_cselect_b32 s33, s33, s2
	s_and_not1_b32 vcc_lo, exec_lo, s23
	s_waitcnt vmcnt(0)
	s_waitcnt_vscnt null, 0x0
	s_barrier
	buffer_gl0_inv
	s_cbranch_vccnz .LBB85_22
; %bb.17:                               ;   in Loop: Header=BB85_14 Depth=2
	v_dual_mov_b32 v3, v72 :: v_dual_add_nc_u32 v0, s33, v73
	v_add_nc_u32_e32 v1, s33, v74
	v_add_nc_u32_e32 v2, s33, v71
	s_mov_b32 s35, 0
	s_mov_b32 s36, 0
                                        ; implicit-def: $sgpr37
	s_branch .LBB85_19
.LBB85_18:                              ;   in Loop: Header=BB85_19 Depth=3
	s_or_b32 exec_lo, exec_lo, s2
	s_delay_alu instid0(SALU_CYCLE_1) | instskip(NEXT) | instid1(SALU_CYCLE_1)
	s_and_b32 s2, exec_lo, s37
	s_or_b32 s35, s2, s35
	s_delay_alu instid0(SALU_CYCLE_1)
	s_and_not1_b32 exec_lo, exec_lo, s35
	s_cbranch_execz .LBB85_21
.LBB85_19:                              ;   Parent Loop BB85_7 Depth=1
                                        ;     Parent Loop BB85_14 Depth=2
                                        ; =>    This Inner Loop Header: Depth=3
	s_delay_alu instid0(VALU_DEP_1) | instskip(SKIP_2) | instid1(VALU_DEP_2)
	v_add_nc_u32_e32 v66, s36, v2
	v_add_nc_u32_e32 v4, s36, v71
	s_or_b32 s37, s37, exec_lo
	v_cmp_gt_u32_e32 vcc_lo, s18, v66
	s_delay_alu instid0(VALU_DEP_2) | instskip(NEXT) | instid1(VALU_DEP_1)
	v_cmp_gt_u32_e64 s2, s15, v4
	s_and_b32 s38, s2, vcc_lo
	s_delay_alu instid0(SALU_CYCLE_1)
	s_and_saveexec_b32 s2, s38
	s_cbranch_execz .LBB85_18
; %bb.20:                               ;   in Loop: Header=BB85_19 Depth=3
	v_lshlrev_b64 v[4:5], 1, v[66:67]
	v_add_nc_u32_e32 v66, s36, v1
	v_add_nc_u32_e32 v16, s31, v3
	;; [unrolled: 1-line block ×3, first 2 shown]
	s_delay_alu instid0(VALU_DEP_3) | instskip(SKIP_3) | instid1(VALU_DEP_3)
	v_lshlrev_b64 v[6:7], 1, v[66:67]
	v_add_nc_u32_e32 v66, s36, v0
	v_add_co_u32 v4, vcc_lo, s8, v4
	v_add_co_ci_u32_e32 v5, vcc_lo, s9, v5, vcc_lo
	v_lshlrev_b64 v[8:9], 1, v[66:67]
	v_add_co_u32 v10, vcc_lo, s8, v6
	v_add_co_ci_u32_e32 v11, vcc_lo, s9, v7, vcc_lo
	s_add_i32 s36, s36, s24
	s_delay_alu instid0(VALU_DEP_3) | instskip(NEXT) | instid1(VALU_DEP_4)
	v_add_co_u32 v12, vcc_lo, s8, v8
	v_add_co_ci_u32_e32 v13, vcc_lo, s9, v9, vcc_lo
	s_clause 0x2
	global_load_b128 v[4:7], v[4:5], off
	global_load_b128 v[8:11], v[10:11], off
	;; [unrolled: 1-line block ×3, first 2 shown]
	s_cmp_ge_u32 s36, s15
	s_cselect_b32 s38, -1, 0
	s_and_not1_b32 s37, s37, exec_lo
	s_and_b32 s38, s38, exec_lo
	s_delay_alu instid0(SALU_CYCLE_1)
	s_or_b32 s37, s37, s38
	s_waitcnt vmcnt(2)
	ds_store_b128 v3, v[4:7]
	v_add_nc_u32_e32 v3, s20, v3
	s_waitcnt vmcnt(1)
	ds_store_2addr_b64 v16, v[8:9], v[10:11] offset1:1
	s_waitcnt vmcnt(0)
	ds_store_2addr_b32 v17, v12, v13 offset1:1
	ds_store_2addr_b32 v17, v14, v15 offset0:2 offset1:3
	s_branch .LBB85_18
.LBB85_21:                              ;   in Loop: Header=BB85_14 Depth=2
	s_or_b32 exec_lo, exec_lo, s35
.LBB85_22:                              ;   in Loop: Header=BB85_14 Depth=2
	s_waitcnt lgkmcnt(0)
	s_barrier
	buffer_gl0_inv
	s_and_saveexec_b32 s2, s1
	s_cbranch_execz .LBB85_13
.LBB85_23:                              ;   in Loop: Header=BB85_14 Depth=2
	v_dual_mov_b32 v61, 0 :: v_dual_add_nc_u32 v82, s34, v70
	v_dual_mov_b32 v49, 0 :: v_dual_mov_b32 v50, 0
	v_dual_mov_b32 v51, 0 :: v_dual_mov_b32 v40, 0
	s_delay_alu instid0(VALU_DEP_3) | instskip(SKIP_2) | instid1(VALU_DEP_3)
	v_min_u32_e32 v66, s25, v82
	v_dual_mov_b32 v62, 0 :: v_dual_add_nc_u32 v83, 0x200, v82
	v_dual_mov_b32 v48, 0 :: v_dual_add_nc_u32 v81, 0x400, v82
	v_lshlrev_b64 v[0:1], 1, v[66:67]
	s_delay_alu instid0(VALU_DEP_3) | instskip(SKIP_2) | instid1(VALU_DEP_3)
	v_min_u32_e32 v66, s25, v83
	v_dual_mov_b32 v63, 0 :: v_dual_add_nc_u32 v80, 0x600, v82
	v_dual_mov_b32 v41, 0 :: v_dual_mov_b32 v42, 0
	v_lshlrev_b64 v[2:3], 1, v[66:67]
	v_min_u32_e32 v66, s25, v81
	v_add_co_u32 v0, vcc_lo, v78, v0
	v_add_co_ci_u32_e32 v1, vcc_lo, v79, v1, vcc_lo
	s_delay_alu instid0(VALU_DEP_3) | instskip(SKIP_4) | instid1(VALU_DEP_3)
	v_lshlrev_b64 v[4:5], 1, v[66:67]
	v_min_u32_e32 v66, s25, v80
	v_add_co_u32 v2, vcc_lo, v78, v2
	v_add_co_ci_u32_e32 v3, vcc_lo, v79, v3, vcc_lo
	s_waitcnt vmcnt(0)
	v_lshlrev_b64 v[6:7], 1, v[66:67]
	v_add_co_u32 v4, vcc_lo, v78, v4
	v_add_co_ci_u32_e32 v5, vcc_lo, v79, v5, vcc_lo
	v_dual_mov_b32 v43, 0 :: v_dual_mov_b32 v24, 0
	s_delay_alu instid0(VALU_DEP_4)
	v_add_co_u32 v8, vcc_lo, v78, v6
	v_add_co_ci_u32_e32 v9, vcc_lo, v79, v7, vcc_lo
	s_clause 0x3
	global_load_b128 v[32:35], v[0:1], off slc dlc
	global_load_b128 v[16:19], v[2:3], off slc dlc
	;; [unrolled: 1-line block ×4, first 2 shown]
	v_cmp_gt_u32_e32 vcc_lo, s16, v82
	v_dual_mov_b32 v25, 0 :: v_dual_mov_b32 v26, 0
	v_dual_mov_b32 v27, 0 :: v_dual_mov_b32 v52, 0
	;; [unrolled: 1-line block ×18, first 2 shown]
	s_and_saveexec_b32 s35, vcc_lo
	s_cbranch_execz .LBB85_12
; %bb.24:                               ;   in Loop: Header=BB85_14 Depth=2
	v_subrev_nc_u32_e32 v8, s33, v82
	v_mov_b32_e32 v9, 0
	v_cmp_gt_u32_e32 vcc_lo, s16, v83
	v_dual_mov_b32 v11, 0 :: v_dual_mov_b32 v10, 0
	s_delay_alu instid0(VALU_DEP_4) | instskip(SKIP_2) | instid1(VALU_DEP_3)
	v_lshlrev_b32_e32 v66, 1, v8
	v_dual_mov_b32 v8, 0 :: v_dual_mov_b32 v23, 0
	v_dual_mov_b32 v22, 0 :: v_dual_mov_b32 v21, 0
	v_dual_mov_b32 v39, 0 :: v_dual_add_nc_u32 v82, s31, v66
	v_mov_b32_e32 v38, 0
	v_dual_mov_b32 v20, 0 :: v_dual_mov_b32 v37, 0
	s_delay_alu instid0(VALU_DEP_3)
	v_dual_mov_b32 v36, 0 :: v_dual_add_nc_u32 v83, s31, v82
	v_mov_b32_e32 v15, 0
	ds_load_b128 v[60:63], v66
	ds_load_b128 v[52:55], v82
	;; [unrolled: 1-line block ×3, first 2 shown]
	v_dual_mov_b32 v14, 0 :: v_dual_mov_b32 v13, 0
	v_dual_mov_b32 v12, 0 :: v_dual_mov_b32 v31, 0
	;; [unrolled: 1-line block ×11, first 2 shown]
	v_mov_b32_e32 v48, 0
	s_and_saveexec_b32 s36, vcc_lo
	s_cbranch_execz .LBB85_11
; %bb.25:                               ;   in Loop: Header=BB85_14 Depth=2
	ds_load_b128 v[48:51], v66 offset:1024
	ds_load_b128 v[44:47], v82 offset:1024
	;; [unrolled: 1-line block ×3, first 2 shown]
	v_cmp_gt_u32_e32 vcc_lo, s16, v81
	v_dual_mov_b32 v11, 0 :: v_dual_mov_b32 v10, 0
	v_dual_mov_b32 v9, 0 :: v_dual_mov_b32 v8, 0
	;; [unrolled: 1-line block ×12, first 2 shown]
	s_and_saveexec_b32 s37, vcc_lo
	s_cbranch_execz .LBB85_10
; %bb.26:                               ;   in Loop: Header=BB85_14 Depth=2
	ds_load_b128 v[40:43], v66 offset:2048
	ds_load_b128 v[28:31], v82 offset:2048
	;; [unrolled: 1-line block ×3, first 2 shown]
	v_dual_mov_b32 v11, 0 :: v_dual_mov_b32 v10, 0
	v_dual_mov_b32 v9, 0 :: v_dual_mov_b32 v8, 0
	;; [unrolled: 1-line block ×6, first 2 shown]
	s_mov_b32 s38, exec_lo
	v_cmpx_gt_u32_e64 s16, v80
	s_cbranch_execz .LBB85_9
; %bb.27:                               ;   in Loop: Header=BB85_14 Depth=2
	ds_load_b128 v[24:27], v66 offset:3072
	ds_load_b128 v[12:15], v82 offset:3072
	;; [unrolled: 1-line block ×3, first 2 shown]
	s_branch .LBB85_9
.LBB85_28:                              ;   in Loop: Header=BB85_7 Depth=1
	s_mov_b32 s1, exec_lo
                                        ; implicit-def: $vgpr0
	v_cmpx_le_u32_e64 s19, v64
	s_xor_b32 s1, exec_lo, s1
; %bb.29:                               ;   in Loop: Header=BB85_7 Depth=1
	v_add_nc_u32_e32 v0, s5, v64
                                        ; implicit-def: $vgpr64
                                        ; implicit-def: $vgpr77
                                        ; implicit-def: $vgpr76
                                        ; implicit-def: $vgpr65
; %bb.30:                               ;   in Loop: Header=BB85_7 Depth=1
	s_and_not1_saveexec_b32 s2, s1
	s_cbranch_execz .LBB85_6
; %bb.31:                               ;   in Loop: Header=BB85_7 Depth=1
	v_cvt_i32_f32_e32 v0, v77
	v_cvt_i32_f32_e32 v1, v76
	;; [unrolled: 1-line block ×3, first 2 shown]
	s_delay_alu instid0(VALU_DEP_3) | instskip(NEXT) | instid1(VALU_DEP_3)
	v_cvt_f32_i32_dpp v0, v0 row_shr:8 row_mask:0xf bank_mask:0xf bound_ctrl:1
	v_cvt_f32_i32_dpp v1, v1 row_shr:8 row_mask:0xf bank_mask:0xf bound_ctrl:1
	s_delay_alu instid0(VALU_DEP_3) | instskip(NEXT) | instid1(VALU_DEP_2)
	v_cvt_f32_i32_dpp v2, v2 row_shr:8 row_mask:0xf bank_mask:0xf bound_ctrl:1
	v_dual_add_f32 v0, v77, v0 :: v_dual_add_f32 v1, v76, v1
	s_delay_alu instid0(VALU_DEP_2) | instskip(NEXT) | instid1(VALU_DEP_2)
	v_add_f32_e32 v2, v65, v2
	v_cvt_i32_f32_e32 v3, v0
	s_delay_alu instid0(VALU_DEP_3) | instskip(NEXT) | instid1(VALU_DEP_3)
	v_cvt_i32_f32_e32 v4, v1
	v_cvt_i32_f32_e32 v5, v2
	s_delay_alu instid0(VALU_DEP_3) | instskip(NEXT) | instid1(VALU_DEP_3)
	v_cvt_f32_i32_dpp v3, v3 row_shr:4 row_mask:0xf bank_mask:0xf bound_ctrl:1
	v_cvt_f32_i32_dpp v4, v4 row_shr:4 row_mask:0xf bank_mask:0xf bound_ctrl:1
	s_delay_alu instid0(VALU_DEP_3) | instskip(NEXT) | instid1(VALU_DEP_2)
	v_cvt_f32_i32_dpp v5, v5 row_shr:4 row_mask:0xf bank_mask:0xf bound_ctrl:1
	v_dual_add_f32 v0, v0, v3 :: v_dual_add_f32 v1, v1, v4
	s_delay_alu instid0(VALU_DEP_1) | instskip(NEXT) | instid1(VALU_DEP_2)
	v_cvt_i32_f32_e32 v3, v0
	v_cvt_i32_f32_e32 v4, v1
	s_delay_alu instid0(VALU_DEP_2) | instskip(NEXT) | instid1(VALU_DEP_2)
	v_cvt_f32_i32_dpp v3, v3 row_shr:2 row_mask:0xf bank_mask:0xf bound_ctrl:1
	v_cvt_f32_i32_dpp v4, v4 row_shr:2 row_mask:0xf bank_mask:0xf bound_ctrl:1
	s_delay_alu instid0(VALU_DEP_1) | instskip(NEXT) | instid1(VALU_DEP_1)
	v_dual_add_f32 v2, v2, v5 :: v_dual_add_f32 v1, v1, v4
	v_cvt_i32_f32_e32 v5, v2
	s_delay_alu instid0(VALU_DEP_1) | instskip(NEXT) | instid1(VALU_DEP_1)
	v_cvt_f32_i32_dpp v5, v5 row_shr:2 row_mask:0xf bank_mask:0xf bound_ctrl:1
	v_dual_add_f32 v0, v0, v3 :: v_dual_add_f32 v3, v2, v5
	v_xor_b32_e32 v2, 16, v69
	s_delay_alu instid0(VALU_DEP_2)
	v_cvt_i32_f32_e32 v4, v0
	v_cvt_i32_f32_e32 v5, v1
	s_waitcnt vmcnt(0)
	v_cvt_i32_f32_e32 v6, v3
	v_cmp_gt_i32_e32 vcc_lo, 32, v2
	v_cvt_f32_i32_dpp v4, v4 row_shr:1 row_mask:0xf bank_mask:0xf bound_ctrl:1
	v_cvt_f32_i32_dpp v5, v5 row_shr:1 row_mask:0xf bank_mask:0xf bound_ctrl:1
	s_delay_alu instid0(VALU_DEP_4) | instskip(SKIP_1) | instid1(VALU_DEP_4)
	v_cvt_f32_i32_dpp v6, v6 row_shr:1 row_mask:0xf bank_mask:0xf bound_ctrl:1
	v_cndmask_b32_e32 v2, v69, v2, vcc_lo
	v_add_f32_e32 v4, v0, v4
	s_delay_alu instid0(VALU_DEP_3) | instskip(NEXT) | instid1(VALU_DEP_3)
	v_add_f32_e32 v0, v3, v6
	v_dual_add_f32 v2, v1, v5 :: v_dual_lshlrev_b32 v7, 2, v2
	ds_bpermute_b32 v5, v7, v4
	ds_bpermute_b32 v3, v7, v2
	;; [unrolled: 1-line block ×3, first 2 shown]
	s_and_saveexec_b32 s1, s0
	s_cbranch_execz .LBB85_36
; %bb.32:                               ;   in Loop: Header=BB85_7 Depth=1
	v_dual_mov_b32 v8, 0 :: v_dual_mov_b32 v7, 0
	v_mov_b32_e32 v6, 0
	s_and_not1_b32 vcc_lo, exec_lo, s27
	s_cbranch_vccnz .LBB85_34
; %bb.33:                               ;   in Loop: Header=BB85_7 Depth=1
	v_mul_hi_u32 v6, v64, v75
	s_delay_alu instid0(VALU_DEP_1) | instskip(NEXT) | instid1(VALU_DEP_1)
	v_mul_lo_u32 v6, v6, s4
	v_sub_nc_u32_e32 v6, v64, v6
	s_delay_alu instid0(VALU_DEP_1) | instskip(SKIP_1) | instid1(VALU_DEP_2)
	v_subrev_nc_u32_e32 v7, s4, v6
	v_cmp_le_u32_e32 vcc_lo, s4, v6
	v_cndmask_b32_e32 v6, v6, v7, vcc_lo
	s_delay_alu instid0(VALU_DEP_1) | instskip(SKIP_1) | instid1(VALU_DEP_2)
	v_subrev_nc_u32_e32 v7, s4, v6
	v_cmp_le_u32_e32 vcc_lo, s4, v6
	v_dual_cndmask_b32 v66, v6, v7 :: v_dual_mov_b32 v7, v67
	s_delay_alu instid0(VALU_DEP_1) | instskip(SKIP_2) | instid1(VALU_DEP_3)
	v_add_nc_u32_e32 v6, s28, v66
	v_lshlrev_b64 v[8:9], 1, v[66:67]
	v_add_nc_u32_e32 v66, s30, v66
	v_lshlrev_b64 v[6:7], 1, v[6:7]
	s_delay_alu instid0(VALU_DEP_2) | instskip(NEXT) | instid1(VALU_DEP_4)
	v_lshlrev_b64 v[10:11], 1, v[66:67]
	v_add_co_u32 v8, vcc_lo, s10, v8
	v_add_co_ci_u32_e32 v9, vcc_lo, s11, v9, vcc_lo
	s_delay_alu instid0(VALU_DEP_4)
	v_add_co_u32 v6, vcc_lo, s10, v6
	v_add_co_ci_u32_e32 v7, vcc_lo, s11, v7, vcc_lo
	v_add_co_u32 v10, vcc_lo, s10, v10
	v_add_co_ci_u32_e32 v11, vcc_lo, s11, v11, vcc_lo
	s_clause 0x2
	global_load_u16 v8, v[8:9], off
	global_load_u16 v7, v[6:7], off
	;; [unrolled: 1-line block ×3, first 2 shown]
.LBB85_34:                              ;   in Loop: Header=BB85_7 Depth=1
	v_cmp_ne_u32_e32 vcc_lo, 0, v68
	s_and_b32 exec_lo, exec_lo, vcc_lo
	s_cbranch_execz .LBB85_36
; %bb.35:                               ;   in Loop: Header=BB85_7 Depth=1
	s_waitcnt lgkmcnt(2)
	v_dual_add_f32 v4, v4, v5 :: v_dual_mov_b32 v65, v67
	s_waitcnt vmcnt(2)
	v_cvt_f32_f16_e32 v5, v8
	s_waitcnt lgkmcnt(1)
	v_add_f32_e32 v2, v2, v3
	s_waitcnt vmcnt(1)
	v_cvt_f32_f16_e32 v3, v7
	v_add_nc_u32_e32 v66, s19, v64
	v_add_f32_e32 v4, v4, v5
	s_waitcnt lgkmcnt(0)
	v_add_f32_e32 v5, v0, v1
	v_add_f32_e32 v7, v2, v3
	v_lshlrev_b64 v[0:1], 1, v[64:65]
	v_lshlrev_b64 v[2:3], 1, v[66:67]
	v_cvt_f16_f32_e32 v8, v4
	s_waitcnt vmcnt(0)
	v_cvt_f32_f16_e32 v4, v6
	v_add_nc_u32_e32 v66, s19, v66
	v_cvt_f16_f32_e32 v6, v7
	v_add_co_u32 v0, vcc_lo, s12, v0
	s_delay_alu instid0(VALU_DEP_4) | instskip(NEXT) | instid1(VALU_DEP_4)
	v_add_f32_e32 v7, v5, v4
	v_lshlrev_b64 v[4:5], 1, v[66:67]
	v_add_co_ci_u32_e32 v1, vcc_lo, s13, v1, vcc_lo
	v_add_co_u32 v2, vcc_lo, s12, v2
	v_add_co_ci_u32_e32 v3, vcc_lo, s13, v3, vcc_lo
	s_delay_alu instid0(VALU_DEP_4)
	v_add_co_u32 v4, vcc_lo, s12, v4
	v_cvt_f16_f32_e32 v7, v7
	v_add_co_ci_u32_e32 v5, vcc_lo, s13, v5, vcc_lo
	s_clause 0x2
	global_store_b16 v[0:1], v8, off
	global_store_b16 v[2:3], v6, off
	;; [unrolled: 1-line block ×3, first 2 shown]
.LBB85_36:                              ;   in Loop: Header=BB85_7 Depth=1
	s_or_b32 exec_lo, exec_lo, s1
	v_add_nc_u32_e32 v0, s5, v64
	s_waitcnt lgkmcnt(0)
	s_delay_alu instid0(VALU_DEP_1) | instskip(SKIP_1) | instid1(VALU_DEP_2)
	v_add_nc_u32_e32 v1, 1, v0
	v_cmp_gt_u32_e32 vcc_lo, s19, v0
	v_cmp_le_u32_e64 s1, s19, v1
	s_delay_alu instid0(VALU_DEP_1) | instskip(NEXT) | instid1(SALU_CYCLE_1)
	s_and_b32 s33, vcc_lo, s1
	s_and_saveexec_b32 s1, s33
	s_cbranch_execz .LBB85_5
; %bb.37:                               ;   in Loop: Header=BB85_7 Depth=1
	v_add_nc_u32_e32 v0, s21, v64
	s_delay_alu instid0(VALU_DEP_1)
	v_cmp_eq_u32_e32 vcc_lo, 1, v0
	v_mov_b32_e32 v0, s26
	v_cndmask_b32_e32 v68, 0, v68, vcc_lo
	s_branch .LBB85_5
.LBB85_38:
	s_nop 0
	s_sendmsg sendmsg(MSG_DEALLOC_VGPRS)
	s_endpgm
	.section	.rodata,"a",@progbits
	.p2align	6, 0x0
	.amdhsa_kernel _Z16wvSplitK_hf_big_I6__halfLi64ELi1ELi16ELi8ELi4ELi3EEviiiiiiPKT_S3_S3_PS1_ii
		.amdhsa_group_segment_fixed_size 65536
		.amdhsa_private_segment_fixed_size 0
		.amdhsa_kernarg_size 64
		.amdhsa_user_sgpr_count 15
		.amdhsa_user_sgpr_dispatch_ptr 0
		.amdhsa_user_sgpr_queue_ptr 0
		.amdhsa_user_sgpr_kernarg_segment_ptr 1
		.amdhsa_user_sgpr_dispatch_id 0
		.amdhsa_user_sgpr_private_segment_size 0
		.amdhsa_wavefront_size32 1
		.amdhsa_uses_dynamic_stack 0
		.amdhsa_enable_private_segment 0
		.amdhsa_system_sgpr_workgroup_id_x 1
		.amdhsa_system_sgpr_workgroup_id_y 0
		.amdhsa_system_sgpr_workgroup_id_z 0
		.amdhsa_system_sgpr_workgroup_info 0
		.amdhsa_system_vgpr_workitem_id 1
		.amdhsa_next_free_vgpr 84
		.amdhsa_next_free_sgpr 39
		.amdhsa_reserve_vcc 1
		.amdhsa_float_round_mode_32 0
		.amdhsa_float_round_mode_16_64 0
		.amdhsa_float_denorm_mode_32 3
		.amdhsa_float_denorm_mode_16_64 3
		.amdhsa_dx10_clamp 1
		.amdhsa_ieee_mode 1
		.amdhsa_fp16_overflow 0
		.amdhsa_workgroup_processor_mode 1
		.amdhsa_memory_ordered 1
		.amdhsa_forward_progress 0
		.amdhsa_shared_vgpr_count 0
		.amdhsa_exception_fp_ieee_invalid_op 0
		.amdhsa_exception_fp_denorm_src 0
		.amdhsa_exception_fp_ieee_div_zero 0
		.amdhsa_exception_fp_ieee_overflow 0
		.amdhsa_exception_fp_ieee_underflow 0
		.amdhsa_exception_fp_ieee_inexact 0
		.amdhsa_exception_int_div_zero 0
	.end_amdhsa_kernel
	.section	.text._Z16wvSplitK_hf_big_I6__halfLi64ELi1ELi16ELi8ELi4ELi3EEviiiiiiPKT_S3_S3_PS1_ii,"axG",@progbits,_Z16wvSplitK_hf_big_I6__halfLi64ELi1ELi16ELi8ELi4ELi3EEviiiiiiPKT_S3_S3_PS1_ii,comdat
.Lfunc_end85:
	.size	_Z16wvSplitK_hf_big_I6__halfLi64ELi1ELi16ELi8ELi4ELi3EEviiiiiiPKT_S3_S3_PS1_ii, .Lfunc_end85-_Z16wvSplitK_hf_big_I6__halfLi64ELi1ELi16ELi8ELi4ELi3EEviiiiiiPKT_S3_S3_PS1_ii
                                        ; -- End function
	.section	.AMDGPU.csdata,"",@progbits
; Kernel info:
; codeLenInByte = 3824
; NumSgprs: 41
; NumVgprs: 84
; ScratchSize: 0
; MemoryBound: 0
; FloatMode: 240
; IeeeMode: 1
; LDSByteSize: 65536 bytes/workgroup (compile time only)
; SGPRBlocks: 5
; VGPRBlocks: 10
; NumSGPRsForWavesPerEU: 41
; NumVGPRsForWavesPerEU: 84
; Occupancy: 16
; WaveLimiterHint : 0
; COMPUTE_PGM_RSRC2:SCRATCH_EN: 0
; COMPUTE_PGM_RSRC2:USER_SGPR: 15
; COMPUTE_PGM_RSRC2:TRAP_HANDLER: 0
; COMPUTE_PGM_RSRC2:TGID_X_EN: 1
; COMPUTE_PGM_RSRC2:TGID_Y_EN: 0
; COMPUTE_PGM_RSRC2:TGID_Z_EN: 0
; COMPUTE_PGM_RSRC2:TIDIG_COMP_CNT: 1
	.section	.text._Z16wvSplitK_hf_sml_I6__halfLi64ELi2ELi16ELi8ELi2ELi3EEviiiiiiPKT_S3_S3_PS1_ii,"axG",@progbits,_Z16wvSplitK_hf_sml_I6__halfLi64ELi2ELi16ELi8ELi2ELi3EEviiiiiiPKT_S3_S3_PS1_ii,comdat
	.protected	_Z16wvSplitK_hf_sml_I6__halfLi64ELi2ELi16ELi8ELi2ELi3EEviiiiiiPKT_S3_S3_PS1_ii ; -- Begin function _Z16wvSplitK_hf_sml_I6__halfLi64ELi2ELi16ELi8ELi2ELi3EEviiiiiiPKT_S3_S3_PS1_ii
	.globl	_Z16wvSplitK_hf_sml_I6__halfLi64ELi2ELi16ELi8ELi2ELi3EEviiiiiiPKT_S3_S3_PS1_ii
	.p2align	8
	.type	_Z16wvSplitK_hf_sml_I6__halfLi64ELi2ELi16ELi8ELi2ELi3EEviiiiiiPKT_S3_S3_PS1_ii,@function
_Z16wvSplitK_hf_sml_I6__halfLi64ELi2ELi16ELi8ELi2ELi3EEviiiiiiPKT_S3_S3_PS1_ii: ; @_Z16wvSplitK_hf_sml_I6__halfLi64ELi2ELi16ELi8ELi2ELi3EEviiiiiiPKT_S3_S3_PS1_ii
; %bb.0:
	s_clause 0x2
	s_load_b128 s[4:7], s[0:1], 0x0
	s_load_b64 s[8:9], s[0:1], 0x10
	s_load_b64 s[10:11], s[0:1], 0x28
	v_and_b32_e32 v2, 0x3ff, v0
	v_bfe_u32 v3, v0, 10, 10
	s_mov_b32 s12, exec_lo
	s_delay_alu instid0(VALU_DEP_2) | instskip(NEXT) | instid1(VALU_DEP_1)
	v_lshlrev_b32_e32 v46, 3, v2
	v_lshl_add_u32 v4, v3, 9, v46
	s_waitcnt lgkmcnt(0)
	s_mul_i32 s2, s6, 3
	s_delay_alu instid0(SALU_CYCLE_1)
	s_min_u32 s3, s2, 0x8000
	s_delay_alu instid0(VALU_DEP_1) | instid1(SALU_CYCLE_1)
	v_cmpx_gt_u32_e64 s3, v4
	s_cbranch_execz .LBB86_3
; %bb.1:
	s_load_b64 s[16:17], s[0:1], 0x20
	v_lshlrev_b32_e32 v5, 10, v3
	v_lshlrev_b32_e32 v6, 4, v2
	s_mov_b32 s13, 0
	s_delay_alu instid0(VALU_DEP_1) | instskip(NEXT) | instid1(VALU_DEP_1)
	v_add_co_u32 v0, s2, v5, v6
	v_add_co_ci_u32_e64 v1, null, 0, 0, s2
	v_add_nc_u32_e32 v5, v5, v6
	s_waitcnt lgkmcnt(0)
	s_delay_alu instid0(VALU_DEP_3) | instskip(NEXT) | instid1(VALU_DEP_3)
	v_add_co_u32 v0, vcc_lo, s16, v0
	v_add_co_ci_u32_e32 v1, vcc_lo, s17, v1, vcc_lo
	.p2align	6
.LBB86_2:                               ; =>This Inner Loop Header: Depth=1
	global_load_b128 v[6:9], v[0:1], off
	v_add_nc_u32_e32 v4, 0x2000, v4
	v_add_co_u32 v0, vcc_lo, 0x4000, v0
	v_add_co_ci_u32_e32 v1, vcc_lo, 0, v1, vcc_lo
	s_delay_alu instid0(VALU_DEP_3) | instskip(NEXT) | instid1(VALU_DEP_1)
	v_cmp_le_u32_e64 s2, s3, v4
	s_or_b32 s13, s2, s13
	s_waitcnt vmcnt(0)
	ds_store_b128 v5, v[6:9]
	v_add_nc_u32_e32 v5, 0x4000, v5
	s_and_not1_b32 exec_lo, exec_lo, s13
	s_cbranch_execnz .LBB86_2
.LBB86_3:
	s_or_b32 exec_lo, exec_lo, s12
	s_load_b64 s[16:17], s[0:1], 0x38
	s_waitcnt lgkmcnt(0)
	s_barrier
	buffer_gl0_inv
	s_mov_b32 s2, exec_lo
	v_cmpx_gt_u32_e64 s16, v3
	s_cbranch_execz .LBB86_20
; %bb.4:
	s_mul_i32 s15, s15, s16
	s_delay_alu instid0(SALU_CYCLE_1) | instskip(NEXT) | instid1(VALU_DEP_1)
	v_add_lshl_u32 v32, s15, v3, 1
	v_cmp_gt_u32_e32 vcc_lo, s7, v32
	s_and_b32 exec_lo, exec_lo, vcc_lo
	s_cbranch_execz .LBB86_20
; %bb.5:
	s_cmp_lg_u32 s4, 0
	v_cvt_f32_u32_e32 v1, s8
	s_cselect_b32 s14, -1, 0
	s_add_i32 s15, s4, -8
	s_add_i32 s18, s7, -1
	s_cmp_lg_u64 s[10:11], 0
	v_rcp_iflag_f32_e32 v1, v1
	s_cselect_b32 s19, -1, 0
	s_abs_i32 s20, s9
	s_clause 0x1
	s_load_b64 s[2:3], s[0:1], 0x18
	s_load_b64 s[12:13], s[0:1], 0x30
	v_cvt_f32_u32_e32 v0, s20
	s_mul_i32 s0, s16, s17
	s_sub_i32 s17, 0, s8
	s_lshl_b32 s9, s0, 1
	s_sub_i32 s0, 0, s20
	v_rcp_iflag_f32_e32 v0, v0
	s_sub_i32 s21, 1, s20
	v_mbcnt_lo_u32_b32 v48, -1, 0
	s_mov_b32 s1, 0
	v_mov_b32_e32 v35, 0
	s_waitcnt_depctr 0xfff
	v_dual_mul_f32 v0, 0x4f7ffffe, v0 :: v_dual_lshlrev_b32 v47, 4, v2
	s_delay_alu instid0(VALU_DEP_1) | instskip(NEXT) | instid1(VALU_DEP_1)
	v_cvt_u32_f32_e32 v0, v0
	v_readfirstlane_b32 s16, v0
	v_mul_f32_e32 v0, 0x4f7ffffe, v1
	s_delay_alu instid0(VALU_DEP_2) | instskip(NEXT) | instid1(VALU_DEP_1)
	s_mul_i32 s0, s0, s16
	v_cvt_u32_f32_e32 v0, v0
	s_mul_hi_u32 s0, s16, s0
	s_delay_alu instid0(SALU_CYCLE_1) | instskip(SKIP_1) | instid1(VALU_DEP_1)
	s_add_i32 s16, s16, s0
	s_cmp_lt_u32 s20, 2
	v_mul_lo_u32 v1, s17, v0
	s_cselect_b32 s17, s21, 1
	v_cmp_eq_u32_e64 s0, 63, v2
	s_sub_i32 s21, s17, s20
	s_cmp_ge_u32 s17, s20
	s_cselect_b32 s17, s21, s17
	s_lshr_b32 s16, s16, 31
	s_delay_alu instid0(VALU_DEP_2) | instskip(SKIP_1) | instid1(SALU_CYCLE_1)
	v_mul_hi_u32 v1, v0, v1
	s_mul_i32 s16, s16, s20
	s_sub_i32 s16, 2, s16
	s_delay_alu instid0(SALU_CYCLE_1) | instskip(SKIP_2) | instid1(VALU_DEP_1)
	s_sub_i32 s21, s16, s20
	s_cmp_ge_u32 s16, s20
	s_cselect_b32 s21, s21, s16
	v_add_nc_u32_e32 v49, v0, v1
	s_sub_i32 s22, s21, s20
	s_cmp_ge_u32 s21, s20
	s_mul_i32 s16, s17, s8
	s_cselect_b32 s20, s22, s21
	s_lshl_b32 s17, s6, 2
	s_mul_i32 s20, s20, s8
	s_lshl_b32 s6, s6, 1
	s_branch .LBB86_8
.LBB86_6:                               ;   in Loop: Header=BB86_8 Depth=1
	s_waitcnt lgkmcnt(0)
	v_add_f32_e32 v0, v0, v4
	v_add_f32_e32 v4, v8, v10
	s_waitcnt vmcnt(4)
	v_cvt_f32_f16_e32 v10, v16
	v_add_f32_e32 v8, v9, v11
	v_cvt_f32_f16_e32 v9, v17
	v_dual_add_f32 v11, v1, v5 :: v_dual_add_f32 v6, v2, v6
	s_delay_alu instid0(VALU_DEP_4) | instskip(NEXT) | instid1(VALU_DEP_3)
	v_dual_add_f32 v16, v3, v7 :: v_dual_add_f32 v3, v4, v10
	v_add_f32_e32 v2, v0, v9
	s_waitcnt vmcnt(3)
	v_cvt_f32_f16_e32 v4, v15
	v_lshlrev_b64 v[0:1], 1, v[32:33]
	s_waitcnt vmcnt(1)
	v_cvt_f32_f16_e32 v10, v13
	v_cvt_f16_f32_e32 v7, v3
	v_cvt_f16_f32_e32 v5, v2
	v_add_f32_e32 v4, v8, v4
	v_add_co_u32 v0, vcc_lo, s12, v0
	s_delay_alu instid0(VALU_DEP_3) | instskip(SKIP_1) | instid1(VALU_DEP_4)
	v_pack_b32_f16 v8, v5, v7
	v_cvt_f32_f16_e32 v7, v14
	v_cvt_f16_f32_e32 v9, v4
	v_mov_b32_e32 v5, v35
	v_add_co_ci_u32_e32 v1, vcc_lo, s13, v1, vcc_lo
	s_delay_alu instid0(VALU_DEP_4)
	v_add_f32_e32 v7, v11, v7
	s_waitcnt vmcnt(0)
	v_cvt_f32_f16_e32 v11, v12
	v_add_nc_u32_e32 v34, s7, v32
	v_add_f32_e32 v10, v6, v10
	v_cvt_f16_f32_e32 v12, v7
	s_delay_alu instid0(VALU_DEP_3) | instskip(SKIP_3) | instid1(VALU_DEP_4)
	v_dual_add_f32 v11, v16, v11 :: v_dual_add_nc_u32 v4, 1, v34
	v_lshlrev_b64 v[2:3], 1, v[34:35]
	v_add_nc_u32_e32 v34, s7, v34
	v_cvt_f16_f32_e32 v10, v10
	v_cvt_f16_f32_e32 v11, v11
	v_lshlrev_b64 v[4:5], 1, v[4:5]
	v_add_co_u32 v2, vcc_lo, s12, v2
	v_lshlrev_b64 v[6:7], 1, v[34:35]
	v_add_co_ci_u32_e32 v3, vcc_lo, s13, v3, vcc_lo
	s_delay_alu instid0(VALU_DEP_4) | instskip(SKIP_1) | instid1(VALU_DEP_4)
	v_add_co_u32 v4, vcc_lo, s12, v4
	v_add_co_ci_u32_e32 v5, vcc_lo, s13, v5, vcc_lo
	v_add_co_u32 v6, vcc_lo, s12, v6
	v_add_co_ci_u32_e32 v7, vcc_lo, s13, v7, vcc_lo
	v_pack_b32_f16 v10, v10, v11
	s_clause 0x3
	global_store_b32 v[0:1], v8, off
	global_store_b16 v[2:3], v9, off
	global_store_b16 v[4:5], v12, off
	global_store_b32 v[6:7], v10, off
.LBB86_7:                               ;   in Loop: Header=BB86_8 Depth=1
	s_or_b32 exec_lo, exec_lo, s21
	v_add_nc_u32_e32 v32, s9, v32
	s_delay_alu instid0(VALU_DEP_1) | instskip(SKIP_1) | instid1(SALU_CYCLE_1)
	v_cmp_le_u32_e32 vcc_lo, s7, v32
	s_or_b32 s1, vcc_lo, s1
	s_and_not1_b32 exec_lo, exec_lo, s1
	s_cbranch_execz .LBB86_20
.LBB86_8:                               ; =>This Loop Header: Depth=1
                                        ;     Child Loop BB86_12 Depth 2
	v_mov_b32_e32 v55, v35
	v_mov_b32_e32 v54, v35
	;; [unrolled: 1-line block ×6, first 2 shown]
	s_and_not1_b32 vcc_lo, exec_lo, s14
	s_cbranch_vccnz .LBB86_15
; %bb.9:                                ;   in Loop: Header=BB86_8 Depth=1
	v_or_b32_e32 v0, 1, v32
	v_min_u32_e32 v1, s18, v32
	v_dual_mov_b32 v56, v47 :: v_dual_mov_b32 v51, 0
	v_dual_mov_b32 v52, 0 :: v_dual_mov_b32 v53, 0
	s_delay_alu instid0(VALU_DEP_4) | instskip(NEXT) | instid1(VALU_DEP_4)
	v_min_u32_e32 v0, s18, v0
	v_mul_lo_u32 v34, v1, s5
	v_dual_mov_b32 v1, v35 :: v_dual_mov_b32 v50, 0
	v_dual_mov_b32 v54, 0 :: v_dual_mov_b32 v55, 0
	s_delay_alu instid0(VALU_DEP_4) | instskip(SKIP_1) | instid1(VALU_DEP_4)
	v_mul_lo_u32 v0, v0, s5
	s_mov_b32 s21, 0
	v_lshlrev_b64 v[36:37], 1, v[34:35]
	s_delay_alu instid0(VALU_DEP_2)
	v_lshlrev_b64 v[38:39], 1, v[0:1]
	s_branch .LBB86_12
.LBB86_10:                              ;   in Loop: Header=BB86_12 Depth=2
	s_or_b32 exec_lo, exec_lo, s23
.LBB86_11:                              ;   in Loop: Header=BB86_12 Depth=2
	s_delay_alu instid0(SALU_CYCLE_1)
	s_or_b32 exec_lo, exec_lo, s22
	s_waitcnt vmcnt(3) lgkmcnt(1)
	;;#ASMSTART
	v_dot2_f32_f16 v55, v28, v16, v55
	;;#ASMEND
	s_waitcnt vmcnt(2)
	;;#ASMSTART
	v_dot2_f32_f16 v54, v28, v12, v54
	;;#ASMEND
	;;#ASMSTART
	v_dot2_f32_f16 v53, v24, v16, v53
	;;#ASMEND
	;; [unrolled: 3-line block ×15, first 2 shown]
	s_waitcnt lgkmcnt(0)
	;;#ASMSTART
	v_dot2_f32_f16 v50, v44, v18, v50
	;;#ASMEND
	;;#ASMSTART
	v_dot2_f32_f16 v51, v44, v14, v51
	;;#ASMEND
	v_add_nc_u32_e32 v56, 0x800, v56
	;;#ASMSTART
	v_dot2_f32_f16 v55, v31, v19, v55
	;;#ASMEND
	;;#ASMSTART
	v_dot2_f32_f16 v54, v31, v15, v54
	;;#ASMEND
	;; [unrolled: 3-line block ×6, first 2 shown]
	s_addk_i32 s21, 0x400
	s_waitcnt vmcnt(1)
	;;#ASMSTART
	v_dot2_f32_f16 v55, v20, v4, v55
	;;#ASMEND
	s_waitcnt vmcnt(0)
	;;#ASMSTART
	v_dot2_f32_f16 v54, v20, v0, v54
	;;#ASMEND
	;;#ASMSTART
	v_dot2_f32_f16 v53, v8, v4, v53
	;;#ASMEND
	;; [unrolled: 3-line block ×11, first 2 shown]
	s_cmp_ge_u32 s21, s4
	;;#ASMSTART
	v_dot2_f32_f16 v55, v22, v6, v55
	;;#ASMEND
	;;#ASMSTART
	v_dot2_f32_f16 v54, v22, v2, v54
	;;#ASMEND
	;;#ASMSTART
	v_dot2_f32_f16 v53, v10, v6, v53
	;;#ASMEND
	;;#ASMSTART
	v_dot2_f32_f16 v52, v10, v2, v52
	;;#ASMEND
	;;#ASMSTART
	v_dot2_f32_f16 v50, v33, v6, v50
	;;#ASMEND
	;;#ASMSTART
	v_dot2_f32_f16 v51, v33, v2, v51
	;;#ASMEND
	;;#ASMSTART
	v_dot2_f32_f16 v55, v23, v7, v55
	;;#ASMEND
	;;#ASMSTART
	v_dot2_f32_f16 v54, v23, v3, v54
	;;#ASMEND
	;;#ASMSTART
	v_dot2_f32_f16 v53, v11, v7, v53
	;;#ASMEND
	;;#ASMSTART
	v_dot2_f32_f16 v52, v11, v3, v52
	;;#ASMEND
	;;#ASMSTART
	v_dot2_f32_f16 v50, v34, v7, v50
	;;#ASMEND
	;;#ASMSTART
	v_dot2_f32_f16 v51, v34, v3, v51
	;;#ASMEND
	s_cbranch_scc1 .LBB86_15
.LBB86_12:                              ;   Parent Loop BB86_8 Depth=1
                                        ; =>  This Inner Loop Header: Depth=2
	s_waitcnt lgkmcnt(0)
	v_dual_mov_b32 v29, 0 :: v_dual_add_nc_u32 v10, s21, v46
	v_dual_mov_b32 v30, 0 :: v_dual_mov_b32 v31, 0
	v_dual_mov_b32 v20, 0 :: v_dual_mov_b32 v21, 0
	s_delay_alu instid0(VALU_DEP_3) | instskip(SKIP_2) | instid1(VALU_DEP_3)
	v_min_u32_e32 v34, s15, v10
	v_dual_mov_b32 v28, 0 :: v_dual_add_nc_u32 v57, 0x200, v10
	v_dual_mov_b32 v22, 0 :: v_dual_mov_b32 v23, 0
	v_lshlrev_b64 v[0:1], 1, v[34:35]
	s_delay_alu instid0(VALU_DEP_3) | instskip(SKIP_3) | instid1(VALU_DEP_4)
	v_min_u32_e32 v34, s15, v57
	v_dual_mov_b32 v24, 0 :: v_dual_mov_b32 v25, 0
	v_dual_mov_b32 v26, 0 :: v_dual_mov_b32 v27, 0
	s_waitcnt lgkmcnt(0)
	v_add_co_u32 v4, vcc_lo, s2, v0
	v_add_co_ci_u32_e32 v5, vcc_lo, s3, v1, vcc_lo
	v_lshlrev_b64 v[0:1], 1, v[34:35]
	s_delay_alu instid0(VALU_DEP_3) | instskip(NEXT) | instid1(VALU_DEP_3)
	v_add_co_u32 v2, vcc_lo, v4, v36
	v_add_co_ci_u32_e32 v3, vcc_lo, v5, v37, vcc_lo
	v_dual_mov_b32 v42, 0 :: v_dual_mov_b32 v43, 0
	s_delay_alu instid0(VALU_DEP_4) | instskip(SKIP_3) | instid1(VALU_DEP_4)
	v_add_co_u32 v6, vcc_lo, s2, v0
	v_add_co_ci_u32_e32 v7, vcc_lo, s3, v1, vcc_lo
	v_add_co_u32 v0, vcc_lo, v4, v38
	v_add_co_ci_u32_e32 v1, vcc_lo, v5, v39, vcc_lo
	v_add_co_u32 v4, vcc_lo, v6, v36
	s_delay_alu instid0(VALU_DEP_4)
	v_add_co_ci_u32_e32 v5, vcc_lo, v7, v37, vcc_lo
	v_add_co_u32 v8, vcc_lo, v6, v38
	v_add_co_ci_u32_e32 v9, vcc_lo, v7, v39, vcc_lo
	s_clause 0x3
	global_load_b128 v[16:19], v[2:3], off slc dlc
	global_load_b128 v[12:15], v[0:1], off slc dlc
	;; [unrolled: 1-line block ×4, first 2 shown]
	v_cmp_gt_u32_e32 vcc_lo, s4, v10
	v_dual_mov_b32 v8, 0 :: v_dual_mov_b32 v9, 0
	v_dual_mov_b32 v10, 0 :: v_dual_mov_b32 v11, 0
	;; [unrolled: 1-line block ×5, first 2 shown]
	s_and_saveexec_b32 s22, vcc_lo
	s_cbranch_execz .LBB86_11
; %bb.13:                               ;   in Loop: Header=BB86_12 Depth=2
	v_dual_mov_b32 v33, 0 :: v_dual_add_nc_u32 v58, s6, v56
	v_dual_mov_b32 v34, 0 :: v_dual_add_nc_u32 v59, s17, v56
	v_dual_mov_b32 v41, 0 :: v_dual_mov_b32 v40, 0
	ds_load_b128 v[24:27], v58
	ds_load_2addr_b32 v[42:43], v59 offset1:1
	ds_load_b128 v[28:31], v56
	ds_load_2addr_b32 v[44:45], v59 offset0:2 offset1:3
	v_dual_mov_b32 v11, 0 :: v_dual_mov_b32 v10, 0
	v_dual_mov_b32 v9, 0 :: v_dual_mov_b32 v8, 0
	;; [unrolled: 1-line block ×4, first 2 shown]
	s_mov_b32 s23, exec_lo
	v_cmpx_gt_u32_e64 s4, v57
	s_cbranch_execz .LBB86_10
; %bb.14:                               ;   in Loop: Header=BB86_12 Depth=2
	v_add_nc_u32_e32 v20, 0x400, v59
	v_add_nc_u32_e32 v33, 0x408, v59
	ds_load_b128 v[8:11], v58 offset:1024
	ds_load_2addr_b32 v[40:41], v20 offset1:1
	ds_load_b128 v[20:23], v56 offset:1024
	ds_load_2addr_b32 v[33:34], v33 offset1:1
	s_branch .LBB86_10
.LBB86_15:                              ;   in Loop: Header=BB86_8 Depth=1
	; sched_barrier mask(0x00000000)
	v_cvt_i32_f32_e32 v0, v55
	v_xor_b32_e32 v1, 16, v48
	v_cvt_i32_f32_e32 v2, v54
	v_cvt_i32_f32_e32 v3, v53
	s_waitcnt lgkmcnt(0)
	v_cvt_i32_f32_e32 v4, v52
	v_cvt_f32_i32_dpp v0, v0 row_shr:8 row_mask:0xf bank_mask:0xf bound_ctrl:1
	v_cmp_gt_i32_e32 vcc_lo, 32, v1
	v_cvt_f32_i32_dpp v2, v2 row_shr:8 row_mask:0xf bank_mask:0xf bound_ctrl:1
	v_cvt_i32_f32_e32 v5, v50
	v_cvt_f32_i32_dpp v3, v3 row_shr:8 row_mask:0xf bank_mask:0xf bound_ctrl:1
	v_dual_add_f32 v0, v55, v0 :: v_dual_cndmask_b32 v1, v48, v1
	v_cvt_f32_i32_dpp v4, v4 row_shr:8 row_mask:0xf bank_mask:0xf bound_ctrl:1
	s_delay_alu instid0(VALU_DEP_4) | instskip(SKIP_1) | instid1(VALU_DEP_4)
	v_cvt_f32_i32_dpp v5, v5 row_shr:8 row_mask:0xf bank_mask:0xf bound_ctrl:1
	v_cvt_i32_f32_e32 v6, v51
	v_cvt_i32_f32_e32 v7, v0
	v_dual_add_f32 v1, v54, v2 :: v_dual_lshlrev_b32 v12, 2, v1
	s_delay_alu instid0(VALU_DEP_4) | instskip(NEXT) | instid1(VALU_DEP_3)
	v_dual_add_f32 v2, v53, v3 :: v_dual_add_f32 v5, v50, v5
	v_cvt_f32_i32_dpp v3, v7 row_shr:4 row_mask:0xf bank_mask:0xf bound_ctrl:1
	v_cvt_f32_i32_dpp v6, v6 row_shr:8 row_mask:0xf bank_mask:0xf bound_ctrl:1
	s_delay_alu instid0(VALU_DEP_4) | instskip(NEXT) | instid1(VALU_DEP_4)
	v_cvt_i32_f32_e32 v7, v1
	v_cvt_i32_f32_e32 v9, v5
	s_delay_alu instid0(VALU_DEP_2) | instskip(SKIP_1) | instid1(VALU_DEP_3)
	v_cvt_f32_i32_dpp v7, v7 row_shr:4 row_mask:0xf bank_mask:0xf bound_ctrl:1
	v_add_f32_e32 v4, v52, v4
	v_cvt_f32_i32_dpp v9, v9 row_shr:4 row_mask:0xf bank_mask:0xf bound_ctrl:1
	s_delay_alu instid0(VALU_DEP_3) | instskip(NEXT) | instid1(VALU_DEP_3)
	v_add_f32_e32 v1, v1, v7
	v_cvt_i32_f32_e32 v8, v4
	s_delay_alu instid0(VALU_DEP_1) | instskip(SKIP_3) | instid1(VALU_DEP_1)
	v_cvt_f32_i32_dpp v8, v8 row_shr:4 row_mask:0xf bank_mask:0xf bound_ctrl:1
	v_add_f32_e32 v6, v51, v6
	v_add_f32_e32 v0, v0, v3
	v_cvt_i32_f32_e32 v3, v2
	v_cvt_f32_i32_dpp v3, v3 row_shr:4 row_mask:0xf bank_mask:0xf bound_ctrl:1
	s_delay_alu instid0(VALU_DEP_1) | instskip(SKIP_2) | instid1(VALU_DEP_3)
	v_dual_add_f32 v2, v2, v3 :: v_dual_add_f32 v3, v4, v8
	v_cvt_i32_f32_e32 v10, v6
	v_add_f32_e32 v4, v5, v9
	v_cvt_i32_f32_e32 v9, v3
	s_delay_alu instid0(VALU_DEP_3) | instskip(NEXT) | instid1(VALU_DEP_2)
	v_cvt_f32_i32_dpp v10, v10 row_shr:4 row_mask:0xf bank_mask:0xf bound_ctrl:1
	v_cvt_f32_i32_dpp v9, v9 row_shr:2 row_mask:0xf bank_mask:0xf bound_ctrl:1
	s_delay_alu instid0(VALU_DEP_2) | instskip(SKIP_2) | instid1(VALU_DEP_4)
	v_add_f32_e32 v5, v6, v10
	v_cvt_i32_f32_e32 v11, v0
	v_cvt_i32_f32_e32 v6, v1
	v_add_f32_e32 v3, v3, v9
	s_delay_alu instid0(VALU_DEP_3) | instskip(NEXT) | instid1(VALU_DEP_3)
	v_cvt_f32_i32_dpp v11, v11 row_shr:2 row_mask:0xf bank_mask:0xf bound_ctrl:1
	v_cvt_f32_i32_dpp v6, v6 row_shr:2 row_mask:0xf bank_mask:0xf bound_ctrl:1
	s_delay_alu instid0(VALU_DEP_3) | instskip(NEXT) | instid1(VALU_DEP_2)
	v_cvt_i32_f32_e32 v9, v3
	v_dual_add_f32 v0, v0, v11 :: v_dual_add_f32 v1, v1, v6
	v_cvt_i32_f32_e32 v7, v2
	v_cvt_i32_f32_e32 v11, v5
	s_delay_alu instid0(VALU_DEP_4) | instskip(NEXT) | instid1(VALU_DEP_4)
	v_cvt_f32_i32_dpp v14, v9 row_shr:1 row_mask:0xf bank_mask:0xf bound_ctrl:1
	v_cvt_i32_f32_e32 v8, v0
	s_delay_alu instid0(VALU_DEP_4) | instskip(NEXT) | instid1(VALU_DEP_4)
	v_cvt_f32_i32_dpp v7, v7 row_shr:2 row_mask:0xf bank_mask:0xf bound_ctrl:1
	v_cvt_f32_i32_dpp v11, v11 row_shr:2 row_mask:0xf bank_mask:0xf bound_ctrl:1
	s_delay_alu instid0(VALU_DEP_3) | instskip(NEXT) | instid1(VALU_DEP_3)
	v_cvt_f32_i32_dpp v8, v8 row_shr:1 row_mask:0xf bank_mask:0xf bound_ctrl:1
	v_add_f32_e32 v2, v2, v7
	v_cvt_i32_f32_e32 v7, v1
	s_delay_alu instid0(VALU_DEP_3) | instskip(NEXT) | instid1(VALU_DEP_3)
	v_dual_add_f32 v5, v5, v11 :: v_dual_add_f32 v0, v0, v8
	v_cvt_i32_f32_e32 v8, v2
	s_delay_alu instid0(VALU_DEP_3) | instskip(NEXT) | instid1(VALU_DEP_3)
	v_cvt_f32_i32_dpp v7, v7 row_shr:1 row_mask:0xf bank_mask:0xf bound_ctrl:1
	v_cvt_i32_f32_e32 v11, v5
	s_delay_alu instid0(VALU_DEP_3) | instskip(NEXT) | instid1(VALU_DEP_3)
	v_cvt_f32_i32_dpp v13, v8 row_shr:1 row_mask:0xf bank_mask:0xf bound_ctrl:1
	v_dual_add_f32 v8, v1, v7 :: v_dual_add_f32 v1, v3, v14
	v_cvt_i32_f32_e32 v10, v4
	s_delay_alu instid0(VALU_DEP_4) | instskip(NEXT) | instid1(VALU_DEP_4)
	v_cvt_f32_i32_dpp v11, v11 row_shr:1 row_mask:0xf bank_mask:0xf bound_ctrl:1
	v_add_f32_e32 v9, v2, v13
	s_delay_alu instid0(VALU_DEP_3) | instskip(NEXT) | instid1(VALU_DEP_3)
	v_cvt_f32_i32_dpp v10, v10 row_shr:2 row_mask:0xf bank_mask:0xf bound_ctrl:1
	v_add_f32_e32 v3, v5, v11
	ds_bpermute_b32 v11, v12, v9
	ds_bpermute_b32 v5, v12, v1
	v_add_f32_e32 v6, v4, v10
	ds_bpermute_b32 v4, v12, v0
	ds_bpermute_b32 v7, v12, v3
	v_cvt_i32_f32_e32 v10, v6
	s_delay_alu instid0(VALU_DEP_1) | instskip(NEXT) | instid1(VALU_DEP_1)
	v_cvt_f32_i32_dpp v10, v10 row_shr:1 row_mask:0xf bank_mask:0xf bound_ctrl:1
	v_add_f32_e32 v2, v6, v10
	ds_bpermute_b32 v10, v12, v8
	ds_bpermute_b32 v6, v12, v2
	s_and_saveexec_b32 s21, s0
	s_cbranch_execz .LBB86_7
; %bb.16:                               ;   in Loop: Header=BB86_8 Depth=1
	s_and_b32 vcc_lo, exec_lo, s19
	s_cbranch_vccz .LBB86_18
; %bb.17:                               ;   in Loop: Header=BB86_8 Depth=1
	v_or_b32_e32 v12, 1, v32
	v_mul_hi_u32 v13, v32, v49
	v_mov_b32_e32 v19, v35
	v_mov_b32_e32 v33, v35
	s_delay_alu instid0(VALU_DEP_4) | instskip(NEXT) | instid1(VALU_DEP_4)
	v_mul_hi_u32 v14, v12, v49
	v_mul_lo_u32 v13, v13, s8
	s_delay_alu instid0(VALU_DEP_2) | instskip(NEXT) | instid1(VALU_DEP_2)
	v_mul_lo_u32 v14, v14, s8
	v_sub_nc_u32_e32 v13, v32, v13
	s_delay_alu instid0(VALU_DEP_2) | instskip(NEXT) | instid1(VALU_DEP_2)
	v_sub_nc_u32_e32 v12, v12, v14
	v_subrev_nc_u32_e32 v14, s8, v13
	v_cmp_le_u32_e32 vcc_lo, s8, v13
	s_delay_alu instid0(VALU_DEP_3) | instskip(NEXT) | instid1(VALU_DEP_3)
	v_subrev_nc_u32_e32 v15, s8, v12
	v_cndmask_b32_e32 v13, v13, v14, vcc_lo
	v_cmp_le_u32_e32 vcc_lo, s8, v12
	s_delay_alu instid0(VALU_DEP_3) | instskip(NEXT) | instid1(VALU_DEP_3)
	v_cndmask_b32_e32 v12, v12, v15, vcc_lo
	v_subrev_nc_u32_e32 v14, s8, v13
	v_cmp_le_u32_e32 vcc_lo, s8, v13
	s_delay_alu instid0(VALU_DEP_3) | instskip(NEXT) | instid1(VALU_DEP_3)
	v_subrev_nc_u32_e32 v16, s8, v12
	v_dual_cndmask_b32 v34, v13, v14 :: v_dual_mov_b32 v13, v35
	v_cmp_le_u32_e32 vcc_lo, s8, v12
	s_delay_alu instid0(VALU_DEP_2) | instskip(NEXT) | instid1(VALU_DEP_4)
	v_dual_mov_b32 v15, v35 :: v_dual_add_nc_u32 v14, s16, v34
	v_cndmask_b32_e32 v12, v12, v16, vcc_lo
	v_lshlrev_b64 v[16:17], 1, v[34:35]
	v_add_nc_u32_e32 v34, s20, v34
	s_delay_alu instid0(VALU_DEP_3)
	v_lshlrev_b64 v[20:21], 1, v[12:13]
	v_add_nc_u32_e32 v18, s16, v12
	v_lshlrev_b64 v[13:14], 1, v[14:15]
	v_add_co_u32 v15, vcc_lo, s10, v16
	v_add_co_ci_u32_e32 v16, vcc_lo, s11, v17, vcc_lo
	v_lshlrev_b64 v[22:23], 1, v[34:35]
	v_lshlrev_b64 v[17:18], 1, v[18:19]
	v_add_co_u32 v19, vcc_lo, s10, v20
	v_add_nc_u32_e32 v34, s20, v12
	v_add_co_ci_u32_e32 v20, vcc_lo, s11, v21, vcc_lo
	v_add_co_u32 v12, vcc_lo, s10, v13
	v_add_co_ci_u32_e32 v13, vcc_lo, s11, v14, vcc_lo
	s_delay_alu instid0(VALU_DEP_4)
	v_lshlrev_b64 v[24:25], 1, v[34:35]
	v_add_co_u32 v21, vcc_lo, s10, v22
	v_add_co_ci_u32_e32 v22, vcc_lo, s11, v23, vcc_lo
	v_add_co_u32 v26, vcc_lo, s10, v17
	v_add_co_ci_u32_e32 v27, vcc_lo, s11, v18, vcc_lo
	;; [unrolled: 2-line block ×3, first 2 shown]
	s_clause 0x5
	global_load_u16 v17, v[15:16], off
	global_load_u16 v16, v[19:20], off
	;; [unrolled: 1-line block ×6, first 2 shown]
	s_cbranch_execnz .LBB86_6
	s_branch .LBB86_19
.LBB86_18:                              ;   in Loop: Header=BB86_8 Depth=1
                                        ; implicit-def: $vgpr12
                                        ; implicit-def: $vgpr13
                                        ; implicit-def: $vgpr14
                                        ; implicit-def: $vgpr15
                                        ; implicit-def: $vgpr16
                                        ; implicit-def: $vgpr17
.LBB86_19:                              ;   in Loop: Header=BB86_8 Depth=1
	s_waitcnt vmcnt(4)
	v_dual_mov_b32 v33, v35 :: v_dual_mov_b32 v16, 0
	s_waitcnt vmcnt(2)
	v_dual_mov_b32 v17, 0 :: v_dual_mov_b32 v14, 0
	;; [unrolled: 2-line block ×3, first 2 shown]
	v_mov_b32_e32 v13, 0
	s_branch .LBB86_6
.LBB86_20:
	s_nop 0
	s_sendmsg sendmsg(MSG_DEALLOC_VGPRS)
	s_endpgm
	.section	.rodata,"a",@progbits
	.p2align	6, 0x0
	.amdhsa_kernel _Z16wvSplitK_hf_sml_I6__halfLi64ELi2ELi16ELi8ELi2ELi3EEviiiiiiPKT_S3_S3_PS1_ii
		.amdhsa_group_segment_fixed_size 65536
		.amdhsa_private_segment_fixed_size 0
		.amdhsa_kernarg_size 64
		.amdhsa_user_sgpr_count 15
		.amdhsa_user_sgpr_dispatch_ptr 0
		.amdhsa_user_sgpr_queue_ptr 0
		.amdhsa_user_sgpr_kernarg_segment_ptr 1
		.amdhsa_user_sgpr_dispatch_id 0
		.amdhsa_user_sgpr_private_segment_size 0
		.amdhsa_wavefront_size32 1
		.amdhsa_uses_dynamic_stack 0
		.amdhsa_enable_private_segment 0
		.amdhsa_system_sgpr_workgroup_id_x 1
		.amdhsa_system_sgpr_workgroup_id_y 0
		.amdhsa_system_sgpr_workgroup_id_z 0
		.amdhsa_system_sgpr_workgroup_info 0
		.amdhsa_system_vgpr_workitem_id 1
		.amdhsa_next_free_vgpr 60
		.amdhsa_next_free_sgpr 24
		.amdhsa_reserve_vcc 1
		.amdhsa_float_round_mode_32 0
		.amdhsa_float_round_mode_16_64 0
		.amdhsa_float_denorm_mode_32 3
		.amdhsa_float_denorm_mode_16_64 3
		.amdhsa_dx10_clamp 1
		.amdhsa_ieee_mode 1
		.amdhsa_fp16_overflow 0
		.amdhsa_workgroup_processor_mode 1
		.amdhsa_memory_ordered 1
		.amdhsa_forward_progress 0
		.amdhsa_shared_vgpr_count 0
		.amdhsa_exception_fp_ieee_invalid_op 0
		.amdhsa_exception_fp_denorm_src 0
		.amdhsa_exception_fp_ieee_div_zero 0
		.amdhsa_exception_fp_ieee_overflow 0
		.amdhsa_exception_fp_ieee_underflow 0
		.amdhsa_exception_fp_ieee_inexact 0
		.amdhsa_exception_int_div_zero 0
	.end_amdhsa_kernel
	.section	.text._Z16wvSplitK_hf_sml_I6__halfLi64ELi2ELi16ELi8ELi2ELi3EEviiiiiiPKT_S3_S3_PS1_ii,"axG",@progbits,_Z16wvSplitK_hf_sml_I6__halfLi64ELi2ELi16ELi8ELi2ELi3EEviiiiiiPKT_S3_S3_PS1_ii,comdat
.Lfunc_end86:
	.size	_Z16wvSplitK_hf_sml_I6__halfLi64ELi2ELi16ELi8ELi2ELi3EEviiiiiiPKT_S3_S3_PS1_ii, .Lfunc_end86-_Z16wvSplitK_hf_sml_I6__halfLi64ELi2ELi16ELi8ELi2ELi3EEviiiiiiPKT_S3_S3_PS1_ii
                                        ; -- End function
	.section	.AMDGPU.csdata,"",@progbits
; Kernel info:
; codeLenInByte = 3416
; NumSgprs: 26
; NumVgprs: 60
; ScratchSize: 0
; MemoryBound: 0
; FloatMode: 240
; IeeeMode: 1
; LDSByteSize: 65536 bytes/workgroup (compile time only)
; SGPRBlocks: 3
; VGPRBlocks: 7
; NumSGPRsForWavesPerEU: 26
; NumVGPRsForWavesPerEU: 60
; Occupancy: 16
; WaveLimiterHint : 0
; COMPUTE_PGM_RSRC2:SCRATCH_EN: 0
; COMPUTE_PGM_RSRC2:USER_SGPR: 15
; COMPUTE_PGM_RSRC2:TRAP_HANDLER: 0
; COMPUTE_PGM_RSRC2:TGID_X_EN: 1
; COMPUTE_PGM_RSRC2:TGID_Y_EN: 0
; COMPUTE_PGM_RSRC2:TGID_Z_EN: 0
; COMPUTE_PGM_RSRC2:TIDIG_COMP_CNT: 1
	.section	.text._Z12wvSplitK_hf_I6__halfLi64ELi2ELi16ELi8ELi2ELi3EEviiiiiiPKT_S3_S3_PS1_ii,"axG",@progbits,_Z12wvSplitK_hf_I6__halfLi64ELi2ELi16ELi8ELi2ELi3EEviiiiiiPKT_S3_S3_PS1_ii,comdat
	.protected	_Z12wvSplitK_hf_I6__halfLi64ELi2ELi16ELi8ELi2ELi3EEviiiiiiPKT_S3_S3_PS1_ii ; -- Begin function _Z12wvSplitK_hf_I6__halfLi64ELi2ELi16ELi8ELi2ELi3EEviiiiiiPKT_S3_S3_PS1_ii
	.globl	_Z12wvSplitK_hf_I6__halfLi64ELi2ELi16ELi8ELi2ELi3EEviiiiiiPKT_S3_S3_PS1_ii
	.p2align	8
	.type	_Z12wvSplitK_hf_I6__halfLi64ELi2ELi16ELi8ELi2ELi3EEviiiiiiPKT_S3_S3_PS1_ii,@function
_Z12wvSplitK_hf_I6__halfLi64ELi2ELi16ELi8ELi2ELi3EEviiiiiiPKT_S3_S3_PS1_ii: ; @_Z12wvSplitK_hf_I6__halfLi64ELi2ELi16ELi8ELi2ELi3EEviiiiiiPKT_S3_S3_PS1_ii
; %bb.0:
	s_clause 0x1
	s_load_b64 s[18:19], s[0:1], 0x38
	s_load_b128 s[4:7], s[0:1], 0x0
	v_bfe_u32 v2, v0, 10, 10
	s_clause 0x1
	s_load_b64 s[8:9], s[0:1], 0x20
	s_load_b64 s[10:11], s[0:1], 0x10
	s_mov_b32 s12, 1
	s_delay_alu instid0(SALU_CYCLE_1) | instskip(NEXT) | instid1(SALU_CYCLE_1)
	s_mov_b32 s13, s12
	v_dual_mov_b32 v41, s13 :: v_dual_mov_b32 v40, s12
	s_waitcnt lgkmcnt(0)
	s_mul_i32 s15, s15, s18
	s_delay_alu instid0(SALU_CYCLE_1) | instskip(NEXT) | instid1(VALU_DEP_1)
	v_add_lshl_u32 v42, s15, v2, 1
	v_add_nc_u32_e32 v1, 2, v42
	v_cmp_gt_u32_e32 vcc_lo, s7, v42
	s_delay_alu instid0(VALU_DEP_2) | instskip(NEXT) | instid1(VALU_DEP_1)
	v_cmp_le_u32_e64 s2, s7, v1
	s_and_b32 s2, vcc_lo, s2
	s_delay_alu instid0(SALU_CYCLE_1)
	s_and_saveexec_b32 s14, s2
	s_cbranch_execz .LBB87_6
; %bb.1:
	v_dual_mov_b32 v41, s13 :: v_dual_mov_b32 v40, s12
	s_add_i32 s15, s7, -2
	s_mov_b32 s16, exec_lo
	v_cmpx_ne_u32_e64 s15, v42
	s_cbranch_execz .LBB87_5
; %bb.2:
	v_subrev_nc_u32_e32 v1, s15, v42
	s_mov_b32 s2, 1
	s_mov_b32 s17, 0
	s_mov_b64 s[12:13], 0
	s_mov_b32 s3, s2
	v_cmp_lt_u32_e32 vcc_lo, 1, v1
	v_cndmask_b32_e32 v1, 1, v1, vcc_lo
.LBB87_3:                               ; =>This Inner Loop Header: Depth=1
	s_cmp_lg_u32 s12, 1
	s_cselect_b32 s3, s3, 0
	s_cmp_lg_u32 s12, 0
	s_cselect_b32 s2, s2, 0
	s_add_u32 s12, s12, 1
	v_dual_mov_b32 v41, s3 :: v_dual_mov_b32 v40, s2
	v_cmp_eq_u32_e32 vcc_lo, s12, v1
	s_addc_u32 s13, s13, 0
	s_or_b32 s17, vcc_lo, s17
	s_delay_alu instid0(SALU_CYCLE_1)
	s_and_not1_b32 exec_lo, exec_lo, s17
	s_cbranch_execnz .LBB87_3
; %bb.4:
	s_or_b32 exec_lo, exec_lo, s17
	v_mov_b32_e32 v42, s15
.LBB87_5:
	s_or_b32 exec_lo, exec_lo, s16
.LBB87_6:
	s_delay_alu instid0(SALU_CYCLE_1)
	s_or_b32 exec_lo, exec_lo, s14
	s_load_b64 s[12:13], s[0:1], 0x28
	v_and_b32_e32 v3, 0x3ff, v0
	s_mul_i32 s2, s6, 3
	s_mov_b32 s14, exec_lo
	s_min_u32 s3, s2, 0x8000
	s_delay_alu instid0(VALU_DEP_1) | instskip(NEXT) | instid1(VALU_DEP_1)
	v_lshlrev_b32_e32 v54, 3, v3
	v_lshl_add_u32 v4, v2, 9, v54
	s_delay_alu instid0(VALU_DEP_1)
	v_cmpx_gt_u32_e64 s3, v4
	s_cbranch_execz .LBB87_9
; %bb.7:
	v_lshlrev_b32_e32 v5, 10, v2
	v_lshlrev_b32_e32 v6, 4, v3
	s_mov_b32 s15, 0
	s_delay_alu instid0(VALU_DEP_1) | instskip(NEXT) | instid1(VALU_DEP_1)
	v_add_co_u32 v0, s2, v5, v6
	v_add_co_ci_u32_e64 v1, null, 0, 0, s2
	v_add_nc_u32_e32 v5, v5, v6
	s_delay_alu instid0(VALU_DEP_3) | instskip(NEXT) | instid1(VALU_DEP_3)
	v_add_co_u32 v0, vcc_lo, s8, v0
	v_add_co_ci_u32_e32 v1, vcc_lo, s9, v1, vcc_lo
	.p2align	6
.LBB87_8:                               ; =>This Inner Loop Header: Depth=1
	global_load_b128 v[6:9], v[0:1], off
	v_add_nc_u32_e32 v4, 0x2000, v4
	v_add_co_u32 v0, vcc_lo, 0x4000, v0
	v_add_co_ci_u32_e32 v1, vcc_lo, 0, v1, vcc_lo
	s_delay_alu instid0(VALU_DEP_3) | instskip(NEXT) | instid1(VALU_DEP_1)
	v_cmp_le_u32_e64 s2, s3, v4
	s_or_b32 s15, s2, s15
	s_waitcnt vmcnt(0)
	ds_store_b128 v5, v[6:9]
	v_add_nc_u32_e32 v5, 0x4000, v5
	s_and_not1_b32 exec_lo, exec_lo, s15
	s_cbranch_execnz .LBB87_8
.LBB87_9:
	s_or_b32 exec_lo, exec_lo, s14
	v_cmp_gt_u32_e32 vcc_lo, s18, v2
	v_cmp_gt_u32_e64 s2, s7, v42
	s_waitcnt lgkmcnt(0)
	s_barrier
	buffer_gl0_inv
	s_and_b32 s2, vcc_lo, s2
	s_delay_alu instid0(SALU_CYCLE_1)
	s_and_saveexec_b32 s3, s2
	s_cbranch_execz .LBB87_64
; %bb.10:
	s_cmp_lg_u32 s4, 0
	v_cvt_f32_u32_e32 v1, s10
	s_cselect_b32 s3, -1, 0
	s_add_i32 s20, s4, -8
	s_add_i32 s21, s7, -1
	s_cmp_lg_u64 s[12:13], 0
	v_rcp_iflag_f32_e32 v1, v1
	s_cselect_b32 s22, -1, 0
	s_abs_i32 s2, s11
	s_clause 0x1
	s_load_b64 s[14:15], s[0:1], 0x18
	s_load_b64 s[16:17], s[0:1], 0x30
	v_cvt_f32_u32_e32 v0, s2
	s_mul_i32 s0, s18, s19
	s_add_i32 s23, s7, -2
	s_lshl_b32 s11, s0, 1
	s_sub_i32 s0, 0, s2
	v_rcp_iflag_f32_e32 v0, v0
	s_sub_i32 s18, 0, s10
	s_sub_i32 s19, 1, s2
	v_add_nc_u32_e32 v56, s6, v54
	v_mbcnt_lo_u32_b32 v59, -1, 0
	s_mov_b32 s24, 0
	s_waitcnt_depctr 0xfff
	v_dual_mul_f32 v0, 0x4f7ffffe, v0 :: v_dual_lshlrev_b32 v55, 4, v3
	s_delay_alu instid0(VALU_DEP_1) | instskip(NEXT) | instid1(VALU_DEP_1)
	v_cvt_u32_f32_e32 v0, v0
	v_readfirstlane_b32 s1, v0
	v_mul_f32_e32 v0, 0x4f7ffffe, v1
	s_delay_alu instid0(VALU_DEP_2) | instskip(NEXT) | instid1(VALU_DEP_1)
	s_mul_i32 s0, s0, s1
	v_cvt_u32_f32_e32 v0, v0
	s_mul_hi_u32 s0, s1, s0
	s_delay_alu instid0(SALU_CYCLE_1) | instskip(SKIP_1) | instid1(VALU_DEP_1)
	s_add_i32 s1, s1, s0
	s_cmp_lt_u32 s2, 2
	v_mul_lo_u32 v1, s18, v0
	s_cselect_b32 s0, s19, 1
	s_delay_alu instid0(SALU_CYCLE_1) | instskip(SKIP_3) | instid1(VALU_DEP_1)
	s_sub_i32 s19, s0, s2
	s_cmp_ge_u32 s0, s2
	s_cselect_b32 s26, s19, s0
	s_lshr_b32 s1, s1, 31
	v_mul_hi_u32 v1, v0, v1
	s_mul_i32 s1, s1, s2
	v_cmp_eq_u32_e64 s0, 63, v3
	s_sub_i32 s1, 2, s1
	v_mov_b32_e32 v44, 0
	s_sub_i32 s18, s1, s2
	s_cmp_ge_u32 s1, s2
	s_mul_i32 s26, s26, s10
	v_add_nc_u32_e32 v57, v0, v1
	s_cselect_b32 s1, s18, s1
	s_delay_alu instid0(SALU_CYCLE_1)
	s_sub_i32 s18, s1, s2
	s_cmp_ge_u32 s1, s2
	s_cselect_b32 s27, s18, s1
	s_lshl_b32 s25, s6, 1
	s_mul_i32 s27, s27, s10
	v_add_nc_u32_e32 v58, s25, v54
	s_lshl_b32 s6, s6, 2
	s_branch .LBB87_13
.LBB87_11:                              ;   in Loop: Header=BB87_13 Depth=1
	s_or_b32 exec_lo, exec_lo, s29
	v_mov_b32_e32 v42, s23
.LBB87_12:                              ;   in Loop: Header=BB87_13 Depth=1
	s_or_b32 exec_lo, exec_lo, s28
	s_delay_alu instid0(VALU_DEP_1) | instskip(SKIP_1) | instid1(SALU_CYCLE_1)
	v_cmp_le_u32_e32 vcc_lo, s7, v42
	s_or_b32 s24, vcc_lo, s24
	s_and_not1_b32 exec_lo, exec_lo, s24
	s_cbranch_execz .LBB87_64
.LBB87_13:                              ; =>This Loop Header: Depth=1
                                        ;     Child Loop BB87_18 Depth 2
                                        ;     Child Loop BB87_57 Depth 2
	v_dual_mov_b32 v64, v44 :: v_dual_add_nc_u32 v45, 1, v42
	v_mov_b32_e32 v65, v44
	v_mov_b32_e32 v63, v44
	;; [unrolled: 1-line block ×5, first 2 shown]
	s_and_not1_b32 vcc_lo, exec_lo, s3
	s_cbranch_vccnz .LBB87_44
; %bb.14:                               ;   in Loop: Header=BB87_13 Depth=1
	v_min_u32_e32 v0, s21, v42
	s_waitcnt lgkmcnt(0)
	v_min_u32_e32 v1, s21, v45
	v_dual_mov_b32 v66, v55 :: v_dual_mov_b32 v61, 0
	v_dual_mov_b32 v62, 0 :: v_dual_mov_b32 v63, 0
	v_mul_lo_u32 v43, v0, s5
	s_delay_alu instid0(VALU_DEP_4) | instskip(SKIP_3) | instid1(VALU_DEP_4)
	v_mul_lo_u32 v0, v1, s5
	v_dual_mov_b32 v1, v44 :: v_dual_mov_b32 v60, 0
	v_dual_mov_b32 v64, 0 :: v_dual_mov_b32 v65, 0
	s_mov_b32 s1, 0
	v_lshlrev_b64 v[46:47], 1, v[43:44]
	s_delay_alu instid0(VALU_DEP_3)
	v_lshlrev_b64 v[48:49], 1, v[0:1]
	s_branch .LBB87_18
.LBB87_15:                              ;   in Loop: Header=BB87_18 Depth=2
	s_or_b32 exec_lo, exec_lo, s19
.LBB87_16:                              ;   in Loop: Header=BB87_18 Depth=2
	s_delay_alu instid0(SALU_CYCLE_1)
	s_or_b32 exec_lo, exec_lo, s18
.LBB87_17:                              ;   in Loop: Header=BB87_18 Depth=2
	s_delay_alu instid0(SALU_CYCLE_1)
	s_or_b32 exec_lo, exec_lo, s2
	s_waitcnt vmcnt(0) lgkmcnt(0)
	;;#ASMSTART
	v_dot2_f32_f16 v65, v24, v12, v65
	;;#ASMEND
	;;#ASMSTART
	v_dot2_f32_f16 v64, v24, v8, v64
	;;#ASMEND
	;; [unrolled: 3-line block ×18, first 2 shown]
	v_add_nc_u32_e32 v66, 0x800, v66
	;;#ASMSTART
	v_dot2_f32_f16 v65, v27, v15, v65
	;;#ASMEND
	;;#ASMSTART
	v_dot2_f32_f16 v64, v27, v11, v64
	;;#ASMEND
	;; [unrolled: 3-line block ×6, first 2 shown]
	s_addk_i32 s1, 0x400
	;;#ASMSTART
	v_dot2_f32_f16 v65, v36, v4, v65
	;;#ASMEND
	;;#ASMSTART
	v_dot2_f32_f16 v64, v36, v0, v64
	;;#ASMEND
	;; [unrolled: 3-line block ×12, first 2 shown]
	s_cmp_ge_u32 s1, s4
	;;#ASMSTART
	v_dot2_f32_f16 v65, v38, v6, v65
	;;#ASMEND
	;;#ASMSTART
	v_dot2_f32_f16 v64, v38, v2, v64
	;;#ASMEND
	;; [unrolled: 3-line block ×12, first 2 shown]
	s_cbranch_scc1 .LBB87_44
.LBB87_18:                              ;   Parent Loop BB87_13 Depth=1
                                        ; =>  This Inner Loop Header: Depth=2
	v_dual_mov_b32 v30, 0 :: v_dual_add_nc_u32 v51, s1, v54
	v_dual_mov_b32 v29, 0 :: v_dual_mov_b32 v28, 0
	v_dual_mov_b32 v23, 0 :: v_dual_mov_b32 v22, 0
	s_delay_alu instid0(VALU_DEP_3) | instskip(SKIP_2) | instid1(VALU_DEP_3)
	v_min_u32_e32 v43, s20, v51
	v_dual_mov_b32 v31, 0 :: v_dual_add_nc_u32 v50, 0x200, v51
	v_dual_mov_b32 v21, 0 :: v_dual_mov_b32 v20, 0
	v_lshlrev_b64 v[0:1], 1, v[43:44]
	s_delay_alu instid0(VALU_DEP_3) | instskip(SKIP_3) | instid1(VALU_DEP_4)
	v_min_u32_e32 v43, s20, v50
	v_dual_mov_b32 v35, 0 :: v_dual_mov_b32 v34, 0
	v_dual_mov_b32 v33, 0 :: v_dual_mov_b32 v32, 0
	s_waitcnt lgkmcnt(0)
	v_add_co_u32 v4, vcc_lo, s14, v0
	v_add_co_ci_u32_e32 v5, vcc_lo, s15, v1, vcc_lo
	v_lshlrev_b64 v[0:1], 1, v[43:44]
	s_delay_alu instid0(VALU_DEP_3) | instskip(NEXT) | instid1(VALU_DEP_3)
	v_add_co_u32 v2, vcc_lo, v4, v46
	v_add_co_ci_u32_e32 v3, vcc_lo, v5, v47, vcc_lo
	v_dual_mov_b32 v19, 0 :: v_dual_mov_b32 v18, 0
	s_delay_alu instid0(VALU_DEP_4) | instskip(SKIP_3) | instid1(VALU_DEP_4)
	v_add_co_u32 v6, vcc_lo, s14, v0
	v_add_co_ci_u32_e32 v7, vcc_lo, s15, v1, vcc_lo
	v_add_co_u32 v0, vcc_lo, v4, v48
	v_add_co_ci_u32_e32 v1, vcc_lo, v5, v49, vcc_lo
	v_add_co_u32 v4, vcc_lo, v6, v46
	s_delay_alu instid0(VALU_DEP_4)
	v_add_co_ci_u32_e32 v5, vcc_lo, v7, v47, vcc_lo
	s_waitcnt vmcnt(4)
	v_add_co_u32 v16, vcc_lo, v6, v48
	v_add_co_ci_u32_e32 v17, vcc_lo, v7, v49, vcc_lo
	s_clause 0x3
	global_load_b128 v[12:15], v[2:3], off slc dlc
	global_load_b128 v[8:11], v[0:1], off slc dlc
	;; [unrolled: 1-line block ×4, first 2 shown]
	v_cmp_gt_u32_e32 vcc_lo, s4, v51
	v_dual_mov_b32 v17, 0 :: v_dual_mov_b32 v16, 0
	v_dual_mov_b32 v39, 0 :: v_dual_mov_b32 v38, 0
	;; [unrolled: 1-line block ×5, first 2 shown]
	s_and_saveexec_b32 s2, vcc_lo
	s_cbranch_execz .LBB87_17
; %bb.19:                               ;   in Loop: Header=BB87_18 Depth=2
	s_mov_b32 s18, exec_lo
                                        ; implicit-def: $vgpr27
	v_cmpx_lt_u32_e32 0x7fff, v51
	s_xor_b32 s18, exec_lo, s18
	s_cbranch_execz .LBB87_21
; %bb.20:                               ;   in Loop: Header=BB87_18 Depth=2
	v_mov_b32_e32 v52, v44
	s_delay_alu instid0(VALU_DEP_1) | instskip(NEXT) | instid1(VALU_DEP_1)
	v_lshlrev_b64 v[16:17], 1, v[51:52]
	v_add_co_u32 v16, vcc_lo, s8, v16
	s_delay_alu instid0(VALU_DEP_2)
	v_add_co_ci_u32_e32 v17, vcc_lo, s9, v17, vcc_lo
	global_load_b128 v[24:27], v[16:17], off
.LBB87_21:                              ;   in Loop: Header=BB87_18 Depth=2
	s_and_not1_saveexec_b32 s18, s18
	s_cbranch_execz .LBB87_23
; %bb.22:                               ;   in Loop: Header=BB87_18 Depth=2
	s_waitcnt vmcnt(0)
	ds_load_b128 v[24:27], v66
.LBB87_23:                              ;   in Loop: Header=BB87_18 Depth=2
	s_or_b32 exec_lo, exec_lo, s18
	v_add_nc_u32_e32 v43, s1, v56
	s_mov_b32 s18, exec_lo
                                        ; implicit-def: $vgpr19
	s_delay_alu instid0(VALU_DEP_1)
	v_cmpx_lt_u32_e32 0x7fff, v43
	s_xor_b32 s18, exec_lo, s18
	s_cbranch_execz .LBB87_25
; %bb.24:                               ;   in Loop: Header=BB87_18 Depth=2
	v_lshlrev_b64 v[16:17], 1, v[43:44]
	s_delay_alu instid0(VALU_DEP_1) | instskip(NEXT) | instid1(VALU_DEP_2)
	v_add_co_u32 v16, vcc_lo, s8, v16
	v_add_co_ci_u32_e32 v17, vcc_lo, s9, v17, vcc_lo
	global_load_b128 v[16:19], v[16:17], off
.LBB87_25:                              ;   in Loop: Header=BB87_18 Depth=2
	s_and_not1_saveexec_b32 s18, s18
	s_cbranch_execz .LBB87_27
; %bb.26:                               ;   in Loop: Header=BB87_18 Depth=2
	s_waitcnt vmcnt(0)
	v_add_nc_u32_e32 v16, s25, v66
	ds_load_b128 v[16:19], v16
.LBB87_27:                              ;   in Loop: Header=BB87_18 Depth=2
	s_or_b32 exec_lo, exec_lo, s18
	v_add_nc_u32_e32 v52, s1, v58
	s_mov_b32 s18, exec_lo
                                        ; implicit-def: $vgpr23
	s_delay_alu instid0(VALU_DEP_1)
	v_cmpx_lt_u32_e32 0x7fff, v52
	s_xor_b32 s18, exec_lo, s18
	s_cbranch_execz .LBB87_29
; %bb.28:                               ;   in Loop: Header=BB87_18 Depth=2
	v_mov_b32_e32 v53, v44
	s_delay_alu instid0(VALU_DEP_1) | instskip(NEXT) | instid1(VALU_DEP_1)
	v_lshlrev_b64 v[20:21], 1, v[52:53]
	v_add_co_u32 v20, vcc_lo, s8, v20
	s_delay_alu instid0(VALU_DEP_2)
	v_add_co_ci_u32_e32 v21, vcc_lo, s9, v21, vcc_lo
	global_load_b128 v[20:23], v[20:21], off
.LBB87_29:                              ;   in Loop: Header=BB87_18 Depth=2
	s_and_not1_saveexec_b32 s18, s18
	s_cbranch_execz .LBB87_31
; %bb.30:                               ;   in Loop: Header=BB87_18 Depth=2
	s_waitcnt vmcnt(0)
	v_add_nc_u32_e32 v22, s6, v66
	ds_load_2addr_b32 v[20:21], v22 offset1:1
	ds_load_2addr_b32 v[22:23], v22 offset0:2 offset1:3
.LBB87_31:                              ;   in Loop: Header=BB87_18 Depth=2
	s_or_b32 exec_lo, exec_lo, s18
	v_dual_mov_b32 v31, 0 :: v_dual_mov_b32 v30, 0
	v_dual_mov_b32 v29, 0 :: v_dual_mov_b32 v28, 0
	;; [unrolled: 1-line block ×6, first 2 shown]
	s_mov_b32 s18, exec_lo
	v_cmpx_gt_u32_e64 s4, v50
	s_cbranch_execz .LBB87_16
; %bb.32:                               ;   in Loop: Header=BB87_18 Depth=2
	s_mov_b32 s19, exec_lo
                                        ; implicit-def: $vgpr39
	v_cmpx_lt_u32_e32 0x7fff, v50
	s_xor_b32 s19, exec_lo, s19
	s_cbranch_execz .LBB87_34
; %bb.33:                               ;   in Loop: Header=BB87_18 Depth=2
	v_mov_b32_e32 v51, v44
	s_delay_alu instid0(VALU_DEP_1) | instskip(NEXT) | instid1(VALU_DEP_1)
	v_lshlrev_b64 v[28:29], 1, v[50:51]
	v_add_co_u32 v28, vcc_lo, s8, v28
	s_delay_alu instid0(VALU_DEP_2)
	v_add_co_ci_u32_e32 v29, vcc_lo, s9, v29, vcc_lo
	global_load_b128 v[36:39], v[28:29], off
.LBB87_34:                              ;   in Loop: Header=BB87_18 Depth=2
	s_and_not1_saveexec_b32 s19, s19
	s_cbranch_execz .LBB87_36
; %bb.35:                               ;   in Loop: Header=BB87_18 Depth=2
	s_waitcnt vmcnt(0)
	ds_load_b128 v[36:39], v66 offset:1024
.LBB87_36:                              ;   in Loop: Header=BB87_18 Depth=2
	s_or_b32 exec_lo, exec_lo, s19
	v_add_nc_u32_e32 v43, 0x200, v43
	s_mov_b32 s19, exec_lo
                                        ; implicit-def: $vgpr35
	s_delay_alu instid0(VALU_DEP_1)
	v_cmpx_lt_u32_e32 0x7fff, v43
	s_xor_b32 s19, exec_lo, s19
	s_cbranch_execz .LBB87_38
; %bb.37:                               ;   in Loop: Header=BB87_18 Depth=2
	v_lshlrev_b64 v[28:29], 1, v[43:44]
	s_delay_alu instid0(VALU_DEP_1) | instskip(NEXT) | instid1(VALU_DEP_2)
	v_add_co_u32 v28, vcc_lo, s8, v28
	v_add_co_ci_u32_e32 v29, vcc_lo, s9, v29, vcc_lo
	global_load_b128 v[32:35], v[28:29], off
.LBB87_38:                              ;   in Loop: Header=BB87_18 Depth=2
	s_and_not1_saveexec_b32 s19, s19
	s_cbranch_execz .LBB87_40
; %bb.39:                               ;   in Loop: Header=BB87_18 Depth=2
	v_add_nc_u32_e32 v28, s25, v66
	s_waitcnt vmcnt(0)
	ds_load_b128 v[32:35], v28 offset:1024
.LBB87_40:                              ;   in Loop: Header=BB87_18 Depth=2
	s_or_b32 exec_lo, exec_lo, s19
	v_add_nc_u32_e32 v43, 0x200, v52
	s_mov_b32 s19, exec_lo
                                        ; implicit-def: $vgpr31
	s_delay_alu instid0(VALU_DEP_1)
	v_cmpx_lt_u32_e32 0x7fff, v43
	s_xor_b32 s19, exec_lo, s19
	s_cbranch_execz .LBB87_42
; %bb.41:                               ;   in Loop: Header=BB87_18 Depth=2
	v_lshlrev_b64 v[28:29], 1, v[43:44]
	s_delay_alu instid0(VALU_DEP_1) | instskip(NEXT) | instid1(VALU_DEP_2)
	v_add_co_u32 v28, vcc_lo, s8, v28
	v_add_co_ci_u32_e32 v29, vcc_lo, s9, v29, vcc_lo
	global_load_b128 v[28:31], v[28:29], off
.LBB87_42:                              ;   in Loop: Header=BB87_18 Depth=2
	s_and_not1_saveexec_b32 s19, s19
	s_cbranch_execz .LBB87_15
; %bb.43:                               ;   in Loop: Header=BB87_18 Depth=2
	s_waitcnt vmcnt(0)
	v_add_nc_u32_e32 v28, s6, v66
	s_delay_alu instid0(VALU_DEP_1)
	v_add_nc_u32_e32 v29, 0x400, v28
	v_add_nc_u32_e32 v30, 0x408, v28
	ds_load_2addr_b32 v[28:29], v29 offset1:1
	ds_load_2addr_b32 v[30:31], v30 offset1:1
	s_branch .LBB87_15
.LBB87_44:                              ;   in Loop: Header=BB87_13 Depth=1
	v_cvt_i32_f32_e32 v0, v65
	s_waitcnt lgkmcnt(0)
	v_xor_b32_e32 v1, 16, v59
	v_cvt_i32_f32_e32 v5, v60
	v_cvt_i32_f32_e32 v6, v61
	;; [unrolled: 1-line block ×3, first 2 shown]
	v_cvt_f32_i32_dpp v0, v0 row_shr:8 row_mask:0xf bank_mask:0xf bound_ctrl:1
	v_cmp_gt_i32_e32 vcc_lo, 32, v1
	v_cvt_f32_i32_dpp v5, v5 row_shr:8 row_mask:0xf bank_mask:0xf bound_ctrl:1
	v_cvt_i32_f32_e32 v3, v63
	v_cvt_i32_f32_e32 v4, v62
	v_dual_add_f32 v0, v65, v0 :: v_dual_cndmask_b32 v1, v59, v1
	v_cvt_f32_i32_dpp v6, v6 row_shr:8 row_mask:0xf bank_mask:0xf bound_ctrl:1
	v_add_f32_e32 v5, v60, v5
	v_cvt_f32_i32_dpp v2, v2 row_shr:8 row_mask:0xf bank_mask:0xf bound_ctrl:1
	s_delay_alu instid0(VALU_DEP_4)
	v_cvt_i32_f32_e32 v7, v0
	v_cvt_f32_i32_dpp v3, v3 row_shr:8 row_mask:0xf bank_mask:0xf bound_ctrl:1
	v_add_f32_e32 v6, v61, v6
	v_cvt_f32_i32_dpp v4, v4 row_shr:8 row_mask:0xf bank_mask:0xf bound_ctrl:1
	v_cvt_i32_f32_e32 v10, v5
	v_cvt_f32_i32_dpp v7, v7 row_shr:4 row_mask:0xf bank_mask:0xf bound_ctrl:1
	v_dual_add_f32 v2, v64, v2 :: v_dual_lshlrev_b32 v1, 2, v1
	s_delay_alu instid0(VALU_DEP_4)
	v_dual_add_f32 v3, v63, v3 :: v_dual_add_f32 v4, v62, v4
	v_cvt_i32_f32_e32 v11, v6
	v_cvt_f32_i32_dpp v10, v10 row_shr:4 row_mask:0xf bank_mask:0xf bound_ctrl:1
	v_add_f32_e32 v0, v0, v7
	v_cvt_i32_f32_e32 v8, v2
	v_cvt_i32_f32_e32 v7, v3
	;; [unrolled: 1-line block ×3, first 2 shown]
	v_add_f32_e32 v5, v5, v10
	s_waitcnt vmcnt(0)
	v_cvt_i32_f32_e32 v12, v0
	v_cvt_f32_i32_dpp v11, v11 row_shr:4 row_mask:0xf bank_mask:0xf bound_ctrl:1
	v_cvt_f32_i32_dpp v8, v8 row_shr:4 row_mask:0xf bank_mask:0xf bound_ctrl:1
	;; [unrolled: 1-line block ×5, first 2 shown]
	v_add_f32_e32 v6, v6, v11
	v_cvt_i32_f32_e32 v11, v5
	v_dual_add_f32 v2, v2, v8 :: v_dual_add_f32 v3, v3, v7
	s_delay_alu instid0(VALU_DEP_4) | instskip(NEXT) | instid1(VALU_DEP_3)
	v_add_f32_e32 v0, v0, v12
	v_cvt_f32_i32_dpp v11, v11 row_shr:2 row_mask:0xf bank_mask:0xf bound_ctrl:1
	v_add_f32_e32 v4, v4, v9
	s_delay_alu instid0(VALU_DEP_4)
	v_cvt_i32_f32_e32 v7, v2
	v_cvt_i32_f32_e32 v8, v3
	;; [unrolled: 1-line block ×3, first 2 shown]
	v_add_f32_e32 v5, v5, v11
	v_cvt_i32_f32_e32 v10, v4
	v_cvt_f32_i32_dpp v7, v7 row_shr:2 row_mask:0xf bank_mask:0xf bound_ctrl:1
	v_cvt_f32_i32_dpp v8, v8 row_shr:2 row_mask:0xf bank_mask:0xf bound_ctrl:1
	;; [unrolled: 1-line block ×3, first 2 shown]
	s_delay_alu instid0(VALU_DEP_4) | instskip(NEXT) | instid1(VALU_DEP_2)
	v_cvt_f32_i32_dpp v13, v10 row_shr:2 row_mask:0xf bank_mask:0xf bound_ctrl:1
	v_add_f32_e32 v10, v0, v9
	v_add_f32_e32 v0, v2, v7
	s_delay_alu instid0(VALU_DEP_3) | instskip(SKIP_2) | instid1(VALU_DEP_4)
	v_dual_add_f32 v2, v3, v8 :: v_dual_add_f32 v3, v4, v13
	v_cvt_i32_f32_e32 v12, v6
	v_cvt_i32_f32_e32 v9, v5
	;; [unrolled: 1-line block ×3, first 2 shown]
	s_delay_alu instid0(VALU_DEP_4) | instskip(NEXT) | instid1(VALU_DEP_4)
	v_cvt_i32_f32_e32 v8, v3
	v_cvt_f32_i32_dpp v12, v12 row_shr:2 row_mask:0xf bank_mask:0xf bound_ctrl:1
	s_delay_alu instid0(VALU_DEP_4) | instskip(NEXT) | instid1(VALU_DEP_4)
	v_cvt_f32_i32_dpp v9, v9 row_shr:1 row_mask:0xf bank_mask:0xf bound_ctrl:1
	v_cvt_f32_i32_dpp v4, v4 row_shr:1 row_mask:0xf bank_mask:0xf bound_ctrl:1
	s_delay_alu instid0(VALU_DEP_4) | instskip(NEXT) | instid1(VALU_DEP_4)
	v_cvt_f32_i32_dpp v13, v8 row_shr:1 row_mask:0xf bank_mask:0xf bound_ctrl:1
	v_add_f32_e32 v7, v6, v12
	v_cvt_i32_f32_e32 v6, v2
	s_delay_alu instid0(VALU_DEP_4) | instskip(SKIP_4) | instid1(VALU_DEP_2)
	v_add_f32_e32 v8, v0, v4
	ds_bpermute_b32 v11, v1, v10
	v_add_f32_e32 v4, v3, v13
	v_cvt_i32_f32_e32 v12, v7
	v_cvt_f32_i32_dpp v6, v6 row_shr:1 row_mask:0xf bank_mask:0xf bound_ctrl:1
	v_cvt_f32_i32_dpp v12, v12 row_shr:1 row_mask:0xf bank_mask:0xf bound_ctrl:1
	s_delay_alu instid0(VALU_DEP_2)
	v_add_f32_e32 v6, v2, v6
	v_add_f32_e32 v2, v5, v9
	ds_bpermute_b32 v9, v1, v8
	ds_bpermute_b32 v5, v1, v4
	v_add_f32_e32 v0, v7, v12
	ds_bpermute_b32 v7, v1, v6
	ds_bpermute_b32 v3, v1, v2
	ds_bpermute_b32 v1, v1, v0
	s_and_saveexec_b32 s18, s0
	s_cbranch_execz .LBB87_54
; %bb.45:                               ;   in Loop: Header=BB87_13 Depth=1
	v_dual_mov_b32 v17, 0 :: v_dual_mov_b32 v16, 0
	v_dual_mov_b32 v15, 0 :: v_dual_mov_b32 v14, 0
	;; [unrolled: 1-line block ×3, first 2 shown]
	s_and_not1_b32 vcc_lo, exec_lo, s22
	s_cbranch_vccnz .LBB87_47
; %bb.46:                               ;   in Loop: Header=BB87_13 Depth=1
	v_mul_hi_u32 v12, v42, v57
	v_mul_hi_u32 v13, v45, v57
	s_delay_alu instid0(VALU_DEP_2) | instskip(NEXT) | instid1(VALU_DEP_2)
	v_mul_lo_u32 v12, v12, s10
	v_mul_lo_u32 v13, v13, s10
	s_delay_alu instid0(VALU_DEP_2) | instskip(NEXT) | instid1(VALU_DEP_2)
	v_sub_nc_u32_e32 v12, v42, v12
	v_sub_nc_u32_e32 v13, v45, v13
	s_delay_alu instid0(VALU_DEP_2) | instskip(SKIP_1) | instid1(VALU_DEP_3)
	v_subrev_nc_u32_e32 v14, s10, v12
	v_cmp_le_u32_e32 vcc_lo, s10, v12
	v_subrev_nc_u32_e32 v15, s10, v13
	s_delay_alu instid0(VALU_DEP_3) | instskip(SKIP_1) | instid1(VALU_DEP_3)
	v_cndmask_b32_e32 v12, v12, v14, vcc_lo
	v_cmp_le_u32_e32 vcc_lo, s10, v13
	v_dual_cndmask_b32 v14, v13, v15 :: v_dual_mov_b32 v13, v44
	s_delay_alu instid0(VALU_DEP_3) | instskip(SKIP_1) | instid1(VALU_DEP_3)
	v_subrev_nc_u32_e32 v15, s10, v12
	v_cmp_le_u32_e32 vcc_lo, s10, v12
	v_subrev_nc_u32_e32 v16, s10, v14
	s_delay_alu instid0(VALU_DEP_3) | instskip(SKIP_1) | instid1(VALU_DEP_3)
	v_cndmask_b32_e32 v43, v12, v15, vcc_lo
	v_cmp_le_u32_e32 vcc_lo, s10, v14
	v_dual_mov_b32 v15, v44 :: v_dual_cndmask_b32 v12, v14, v16
	s_delay_alu instid0(VALU_DEP_3)
	v_add_nc_u32_e32 v14, s26, v43
	v_lshlrev_b64 v[18:19], 1, v[43:44]
	v_mov_b32_e32 v17, v44
	v_add_nc_u32_e32 v43, s27, v43
	v_add_nc_u32_e32 v16, s26, v12
	v_lshlrev_b64 v[20:21], 1, v[12:13]
	v_lshlrev_b64 v[13:14], 1, v[14:15]
	s_delay_alu instid0(VALU_DEP_4) | instskip(NEXT) | instid1(VALU_DEP_4)
	v_lshlrev_b64 v[22:23], 1, v[43:44]
	v_lshlrev_b64 v[15:16], 1, v[16:17]
	v_add_co_u32 v17, vcc_lo, s12, v18
	v_add_co_ci_u32_e32 v18, vcc_lo, s13, v19, vcc_lo
	v_add_co_u32 v19, vcc_lo, s12, v20
	v_add_nc_u32_e32 v43, s27, v12
	v_add_co_ci_u32_e32 v20, vcc_lo, s13, v21, vcc_lo
	v_add_co_u32 v12, vcc_lo, s12, v13
	v_add_co_ci_u32_e32 v13, vcc_lo, s13, v14, vcc_lo
	s_delay_alu instid0(VALU_DEP_4)
	v_lshlrev_b64 v[24:25], 1, v[43:44]
	v_add_co_u32 v26, vcc_lo, s12, v15
	v_add_co_ci_u32_e32 v27, vcc_lo, s13, v16, vcc_lo
	v_add_co_u32 v21, vcc_lo, s12, v22
	v_add_co_ci_u32_e32 v22, vcc_lo, s13, v23, vcc_lo
	;; [unrolled: 2-line block ×3, first 2 shown]
	s_clause 0x5
	global_load_u16 v17, v[17:18], off
	global_load_u16 v16, v[19:20], off
	;; [unrolled: 1-line block ×6, first 2 shown]
.LBB87_47:                              ;   in Loop: Header=BB87_13 Depth=1
	v_cmp_ne_u32_e32 vcc_lo, 0, v40
	s_and_saveexec_b32 s2, vcc_lo
	s_cbranch_execnz .LBB87_59
; %bb.48:                               ;   in Loop: Header=BB87_13 Depth=1
	s_or_b32 exec_lo, exec_lo, s2
	v_cmp_ne_u32_e64 s1, 0, v41
	s_delay_alu instid0(VALU_DEP_1)
	s_and_saveexec_b32 s19, s1
	s_cbranch_execnz .LBB87_60
.LBB87_49:                              ;   in Loop: Header=BB87_13 Depth=1
	s_or_b32 exec_lo, exec_lo, s19
	v_add_nc_u32_e32 v43, s7, v42
	s_and_saveexec_b32 s19, vcc_lo
	s_cbranch_execnz .LBB87_61
.LBB87_50:                              ;   in Loop: Header=BB87_13 Depth=1
	s_or_b32 exec_lo, exec_lo, s19
	s_and_saveexec_b32 s19, s1
	s_cbranch_execnz .LBB87_62
.LBB87_51:                              ;   in Loop: Header=BB87_13 Depth=1
	s_or_b32 exec_lo, exec_lo, s19
	v_add_nc_u32_e32 v43, s7, v43
	s_and_saveexec_b32 s2, vcc_lo
	s_cbranch_execnz .LBB87_63
.LBB87_52:                              ;   in Loop: Header=BB87_13 Depth=1
	s_or_b32 exec_lo, exec_lo, s2
	s_delay_alu instid0(SALU_CYCLE_1)
	s_and_b32 exec_lo, exec_lo, s1
	s_cbranch_execz .LBB87_54
.LBB87_53:                              ;   in Loop: Header=BB87_13 Depth=1
	s_waitcnt lgkmcnt(0)
	v_dual_add_f32 v0, v0, v1 :: v_dual_add_nc_u32 v43, 1, v43
	s_waitcnt vmcnt(0)
	v_cvt_f32_f16_e32 v1, v12
	s_delay_alu instid0(VALU_DEP_1) | instskip(NEXT) | instid1(VALU_DEP_3)
	v_add_f32_e32 v2, v0, v1
	v_lshlrev_b64 v[0:1], 1, v[43:44]
	s_delay_alu instid0(VALU_DEP_2) | instskip(NEXT) | instid1(VALU_DEP_2)
	v_cvt_f16_f32_e32 v2, v2
	v_add_co_u32 v0, vcc_lo, s16, v0
	s_delay_alu instid0(VALU_DEP_3)
	v_add_co_ci_u32_e32 v1, vcc_lo, s17, v1, vcc_lo
	global_store_b16 v[0:1], v2, off
.LBB87_54:                              ;   in Loop: Header=BB87_13 Depth=1
	s_or_b32 exec_lo, exec_lo, s18
	v_add_nc_u32_e32 v42, s11, v42
	s_delay_alu instid0(VALU_DEP_1) | instskip(SKIP_1) | instid1(VALU_DEP_2)
	v_add_nc_u32_e32 v0, 2, v42
	v_cmp_gt_u32_e32 vcc_lo, s7, v42
	v_cmp_le_u32_e64 s1, s7, v0
	s_delay_alu instid0(VALU_DEP_1) | instskip(NEXT) | instid1(SALU_CYCLE_1)
	s_and_b32 s1, vcc_lo, s1
	s_and_saveexec_b32 s28, s1
	s_cbranch_execz .LBB87_12
; %bb.55:                               ;   in Loop: Header=BB87_13 Depth=1
	s_mov_b32 s29, exec_lo
	v_cmpx_ne_u32_e64 s23, v42
	s_cbranch_execz .LBB87_11
; %bb.56:                               ;   in Loop: Header=BB87_13 Depth=1
	v_subrev_nc_u32_e32 v0, s23, v42
	s_mov_b32 s30, 0
	s_mov_b64 s[18:19], 0
	s_delay_alu instid0(VALU_DEP_1)
	v_cmp_lt_u32_e32 vcc_lo, 1, v0
	v_cndmask_b32_e32 v0, 1, v0, vcc_lo
.LBB87_57:                              ;   Parent Loop BB87_13 Depth=1
                                        ; =>  This Inner Loop Header: Depth=2
	s_cmp_lg_u32 s18, 1
	s_cselect_b32 vcc_lo, -1, 0
	s_cmp_lg_u32 s18, 0
	v_cndmask_b32_e32 v41, 0, v41, vcc_lo
	s_cselect_b32 s1, -1, 0
	s_add_u32 s18, s18, 1
	v_cndmask_b32_e64 v40, 0, v40, s1
	v_cmp_eq_u32_e64 s2, s18, v0
	s_addc_u32 s19, s19, 0
	s_delay_alu instid0(VALU_DEP_1) | instskip(NEXT) | instid1(SALU_CYCLE_1)
	s_or_b32 s30, s2, s30
	s_and_not1_b32 exec_lo, exec_lo, s30
	s_cbranch_execnz .LBB87_57
; %bb.58:                               ;   in Loop: Header=BB87_13 Depth=1
	s_or_b32 exec_lo, exec_lo, s30
	s_branch .LBB87_11
.LBB87_59:                              ;   in Loop: Header=BB87_13 Depth=1
	s_waitcnt lgkmcnt(0)
	v_dual_add_f32 v10, v10, v11 :: v_dual_mov_b32 v43, v44
	s_waitcnt vmcnt(5)
	v_cvt_f32_f16_e32 v11, v17
	s_delay_alu instid0(VALU_DEP_1) | instskip(NEXT) | instid1(VALU_DEP_3)
	v_add_f32_e32 v17, v10, v11
	v_lshlrev_b64 v[10:11], 1, v[42:43]
	s_delay_alu instid0(VALU_DEP_2) | instskip(NEXT) | instid1(VALU_DEP_2)
	v_cvt_f16_f32_e32 v17, v17
	v_add_co_u32 v10, s1, s16, v10
	s_delay_alu instid0(VALU_DEP_1) | instskip(SKIP_3) | instid1(VALU_DEP_1)
	v_add_co_ci_u32_e64 v11, s1, s17, v11, s1
	global_store_b16 v[10:11], v17, off
	s_or_b32 exec_lo, exec_lo, s2
	v_cmp_ne_u32_e64 s1, 0, v41
	s_and_saveexec_b32 s19, s1
	s_cbranch_execz .LBB87_49
.LBB87_60:                              ;   in Loop: Header=BB87_13 Depth=1
	s_waitcnt lgkmcnt(0)
	v_add_f32_e32 v8, v8, v9
	s_waitcnt vmcnt(4)
	v_cvt_f32_f16_e32 v9, v16
	v_mov_b32_e32 v46, v44
	s_delay_alu instid0(VALU_DEP_2) | instskip(NEXT) | instid1(VALU_DEP_2)
	v_add_f32_e32 v10, v8, v9
	v_lshlrev_b64 v[8:9], 1, v[45:46]
	s_delay_alu instid0(VALU_DEP_2) | instskip(NEXT) | instid1(VALU_DEP_2)
	v_cvt_f16_f32_e32 v10, v10
	v_add_co_u32 v8, s2, s16, v8
	s_delay_alu instid0(VALU_DEP_1)
	v_add_co_ci_u32_e64 v9, s2, s17, v9, s2
	global_store_b16 v[8:9], v10, off
	s_or_b32 exec_lo, exec_lo, s19
	v_add_nc_u32_e32 v43, s7, v42
	s_and_saveexec_b32 s19, vcc_lo
	s_cbranch_execz .LBB87_50
.LBB87_61:                              ;   in Loop: Header=BB87_13 Depth=1
	s_waitcnt lgkmcnt(0)
	v_add_f32_e32 v6, v6, v7
	s_waitcnt vmcnt(3)
	v_cvt_f32_f16_e32 v7, v15
	s_delay_alu instid0(VALU_DEP_1) | instskip(SKIP_1) | instid1(VALU_DEP_2)
	v_add_f32_e32 v8, v6, v7
	v_lshlrev_b64 v[6:7], 1, v[43:44]
	v_cvt_f16_f32_e32 v8, v8
	s_delay_alu instid0(VALU_DEP_2) | instskip(NEXT) | instid1(VALU_DEP_1)
	v_add_co_u32 v6, s2, s16, v6
	v_add_co_ci_u32_e64 v7, s2, s17, v7, s2
	global_store_b16 v[6:7], v8, off
	s_or_b32 exec_lo, exec_lo, s19
	s_and_saveexec_b32 s19, s1
	s_cbranch_execz .LBB87_51
.LBB87_62:                              ;   in Loop: Header=BB87_13 Depth=1
	s_waitcnt lgkmcnt(0)
	v_add_f32_e32 v6, v4, v5
	v_dual_mov_b32 v5, v44 :: v_dual_add_nc_u32 v4, 1, v43
	s_waitcnt vmcnt(2)
	v_cvt_f32_f16_e32 v7, v14
	s_delay_alu instid0(VALU_DEP_2) | instskip(NEXT) | instid1(VALU_DEP_2)
	v_lshlrev_b64 v[4:5], 1, v[4:5]
	v_add_f32_e32 v6, v6, v7
	s_delay_alu instid0(VALU_DEP_1) | instskip(NEXT) | instid1(VALU_DEP_3)
	v_cvt_f16_f32_e32 v6, v6
	v_add_co_u32 v4, s2, s16, v4
	s_delay_alu instid0(VALU_DEP_1)
	v_add_co_ci_u32_e64 v5, s2, s17, v5, s2
	global_store_b16 v[4:5], v6, off
	s_or_b32 exec_lo, exec_lo, s19
	v_add_nc_u32_e32 v43, s7, v43
	s_and_saveexec_b32 s2, vcc_lo
	s_cbranch_execz .LBB87_52
.LBB87_63:                              ;   in Loop: Header=BB87_13 Depth=1
	s_waitcnt lgkmcnt(0)
	v_add_f32_e32 v2, v2, v3
	s_waitcnt vmcnt(1)
	v_cvt_f32_f16_e32 v3, v13
	s_delay_alu instid0(VALU_DEP_1) | instskip(SKIP_1) | instid1(VALU_DEP_2)
	v_add_f32_e32 v4, v2, v3
	v_lshlrev_b64 v[2:3], 1, v[43:44]
	v_cvt_f16_f32_e32 v4, v4
	s_delay_alu instid0(VALU_DEP_2) | instskip(NEXT) | instid1(VALU_DEP_3)
	v_add_co_u32 v2, vcc_lo, s16, v2
	v_add_co_ci_u32_e32 v3, vcc_lo, s17, v3, vcc_lo
	global_store_b16 v[2:3], v4, off
	s_or_b32 exec_lo, exec_lo, s2
	s_delay_alu instid0(SALU_CYCLE_1)
	s_and_b32 exec_lo, exec_lo, s1
	s_cbranch_execnz .LBB87_53
	s_branch .LBB87_54
.LBB87_64:
	s_nop 0
	s_sendmsg sendmsg(MSG_DEALLOC_VGPRS)
	s_endpgm
	.section	.rodata,"a",@progbits
	.p2align	6, 0x0
	.amdhsa_kernel _Z12wvSplitK_hf_I6__halfLi64ELi2ELi16ELi8ELi2ELi3EEviiiiiiPKT_S3_S3_PS1_ii
		.amdhsa_group_segment_fixed_size 65536
		.amdhsa_private_segment_fixed_size 0
		.amdhsa_kernarg_size 64
		.amdhsa_user_sgpr_count 15
		.amdhsa_user_sgpr_dispatch_ptr 0
		.amdhsa_user_sgpr_queue_ptr 0
		.amdhsa_user_sgpr_kernarg_segment_ptr 1
		.amdhsa_user_sgpr_dispatch_id 0
		.amdhsa_user_sgpr_private_segment_size 0
		.amdhsa_wavefront_size32 1
		.amdhsa_uses_dynamic_stack 0
		.amdhsa_enable_private_segment 0
		.amdhsa_system_sgpr_workgroup_id_x 1
		.amdhsa_system_sgpr_workgroup_id_y 0
		.amdhsa_system_sgpr_workgroup_id_z 0
		.amdhsa_system_sgpr_workgroup_info 0
		.amdhsa_system_vgpr_workitem_id 1
		.amdhsa_next_free_vgpr 67
		.amdhsa_next_free_sgpr 31
		.amdhsa_reserve_vcc 1
		.amdhsa_float_round_mode_32 0
		.amdhsa_float_round_mode_16_64 0
		.amdhsa_float_denorm_mode_32 3
		.amdhsa_float_denorm_mode_16_64 3
		.amdhsa_dx10_clamp 1
		.amdhsa_ieee_mode 1
		.amdhsa_fp16_overflow 0
		.amdhsa_workgroup_processor_mode 1
		.amdhsa_memory_ordered 1
		.amdhsa_forward_progress 0
		.amdhsa_shared_vgpr_count 0
		.amdhsa_exception_fp_ieee_invalid_op 0
		.amdhsa_exception_fp_denorm_src 0
		.amdhsa_exception_fp_ieee_div_zero 0
		.amdhsa_exception_fp_ieee_overflow 0
		.amdhsa_exception_fp_ieee_underflow 0
		.amdhsa_exception_fp_ieee_inexact 0
		.amdhsa_exception_int_div_zero 0
	.end_amdhsa_kernel
	.section	.text._Z12wvSplitK_hf_I6__halfLi64ELi2ELi16ELi8ELi2ELi3EEviiiiiiPKT_S3_S3_PS1_ii,"axG",@progbits,_Z12wvSplitK_hf_I6__halfLi64ELi2ELi16ELi8ELi2ELi3EEviiiiiiPKT_S3_S3_PS1_ii,comdat
.Lfunc_end87:
	.size	_Z12wvSplitK_hf_I6__halfLi64ELi2ELi16ELi8ELi2ELi3EEviiiiiiPKT_S3_S3_PS1_ii, .Lfunc_end87-_Z12wvSplitK_hf_I6__halfLi64ELi2ELi16ELi8ELi2ELi3EEviiiiiiPKT_S3_S3_PS1_ii
                                        ; -- End function
	.section	.AMDGPU.csdata,"",@progbits
; Kernel info:
; codeLenInByte = 4476
; NumSgprs: 33
; NumVgprs: 67
; ScratchSize: 0
; MemoryBound: 0
; FloatMode: 240
; IeeeMode: 1
; LDSByteSize: 65536 bytes/workgroup (compile time only)
; SGPRBlocks: 4
; VGPRBlocks: 8
; NumSGPRsForWavesPerEU: 33
; NumVGPRsForWavesPerEU: 67
; Occupancy: 16
; WaveLimiterHint : 0
; COMPUTE_PGM_RSRC2:SCRATCH_EN: 0
; COMPUTE_PGM_RSRC2:USER_SGPR: 15
; COMPUTE_PGM_RSRC2:TRAP_HANDLER: 0
; COMPUTE_PGM_RSRC2:TGID_X_EN: 1
; COMPUTE_PGM_RSRC2:TGID_Y_EN: 0
; COMPUTE_PGM_RSRC2:TGID_Z_EN: 0
; COMPUTE_PGM_RSRC2:TIDIG_COMP_CNT: 1
	.section	.text._Z16wvSplitK_hf_big_I6__halfLi64ELi2ELi16ELi8ELi2ELi3EEviiiiiiPKT_S3_S3_PS1_ii,"axG",@progbits,_Z16wvSplitK_hf_big_I6__halfLi64ELi2ELi16ELi8ELi2ELi3EEviiiiiiPKT_S3_S3_PS1_ii,comdat
	.protected	_Z16wvSplitK_hf_big_I6__halfLi64ELi2ELi16ELi8ELi2ELi3EEviiiiiiPKT_S3_S3_PS1_ii ; -- Begin function _Z16wvSplitK_hf_big_I6__halfLi64ELi2ELi16ELi8ELi2ELi3EEviiiiiiPKT_S3_S3_PS1_ii
	.globl	_Z16wvSplitK_hf_big_I6__halfLi64ELi2ELi16ELi8ELi2ELi3EEviiiiiiPKT_S3_S3_PS1_ii
	.p2align	8
	.type	_Z16wvSplitK_hf_big_I6__halfLi64ELi2ELi16ELi8ELi2ELi3EEviiiiiiPKT_S3_S3_PS1_ii,@function
_Z16wvSplitK_hf_big_I6__halfLi64ELi2ELi16ELi8ELi2ELi3EEviiiiiiPKT_S3_S3_PS1_ii: ; @_Z16wvSplitK_hf_big_I6__halfLi64ELi2ELi16ELi8ELi2ELi3EEviiiiiiPKT_S3_S3_PS1_ii
; %bb.0:
	s_load_b64 s[20:21], s[0:1], 0x38
	v_bfe_u32 v1, v0, 10, 10
	s_mov_b32 s2, exec_lo
	s_waitcnt lgkmcnt(0)
	s_delay_alu instid0(VALU_DEP_1)
	v_cmpx_gt_u32_e64 s20, v1
	s_cbranch_execz .LBB88_52
; %bb.1:
	s_load_b128 s[16:19], s[0:1], 0x0
	s_mul_i32 s15, s15, s20
	s_mov_b32 s4, 1
	v_add_lshl_u32 v42, s15, v1, 1
	s_mov_b32 s5, s4
	s_delay_alu instid0(SALU_CYCLE_1) | instskip(NEXT) | instid1(VALU_DEP_2)
	v_dual_mov_b32 v41, s5 :: v_dual_mov_b32 v40, s4
	v_add_nc_u32_e32 v2, 2, v42
	s_waitcnt lgkmcnt(0)
	v_cmp_gt_u32_e32 vcc_lo, s19, v42
	s_delay_alu instid0(VALU_DEP_2) | instskip(NEXT) | instid1(VALU_DEP_1)
	v_cmp_le_u32_e64 s2, s19, v2
	s_and_b32 s2, vcc_lo, s2
	s_delay_alu instid0(SALU_CYCLE_1)
	s_and_saveexec_b32 s6, s2
	s_cbranch_execz .LBB88_7
; %bb.2:
	v_dual_mov_b32 v41, s5 :: v_dual_mov_b32 v40, s4
	s_add_i32 s7, s19, -2
	s_mov_b32 s8, exec_lo
	v_cmpx_ne_u32_e64 s7, v42
	s_cbranch_execz .LBB88_6
; %bb.3:
	v_subrev_nc_u32_e32 v2, s7, v42
	s_mov_b32 s2, 1
	s_mov_b32 s9, 0
	s_mov_b64 s[4:5], 0
	s_mov_b32 s3, s2
	v_cmp_lt_u32_e32 vcc_lo, 1, v2
	v_cndmask_b32_e32 v2, 1, v2, vcc_lo
.LBB88_4:                               ; =>This Inner Loop Header: Depth=1
	s_cmp_lg_u32 s4, 1
	s_cselect_b32 s3, s3, 0
	s_cmp_lg_u32 s4, 0
	s_cselect_b32 s2, s2, 0
	s_add_u32 s4, s4, 1
	v_dual_mov_b32 v41, s3 :: v_dual_mov_b32 v40, s2
	v_cmp_eq_u32_e32 vcc_lo, s4, v2
	s_addc_u32 s5, s5, 0
	s_or_b32 s9, vcc_lo, s9
	s_delay_alu instid0(SALU_CYCLE_1)
	s_and_not1_b32 exec_lo, exec_lo, s9
	s_cbranch_execnz .LBB88_4
; %bb.5:
	s_or_b32 exec_lo, exec_lo, s9
	v_mov_b32_e32 v42, s7
.LBB88_6:
	s_or_b32 exec_lo, exec_lo, s8
.LBB88_7:
	s_delay_alu instid0(SALU_CYCLE_1)
	s_or_b32 exec_lo, exec_lo, s6
	s_lshl_b32 s2, s20, 1
	s_abs_i32 s6, s19
	s_abs_i32 s3, s2
	s_mov_b32 s22, 0
	v_cvt_f32_u32_e32 v2, s3
	s_sub_i32 s5, 0, s3
	s_delay_alu instid0(VALU_DEP_1) | instskip(SKIP_2) | instid1(VALU_DEP_1)
	v_rcp_iflag_f32_e32 v2, v2
	s_waitcnt_depctr 0xfff
	v_mul_f32_e32 v2, 0x4f7ffffe, v2
	v_cvt_u32_f32_e32 v2, v2
	s_delay_alu instid0(VALU_DEP_1) | instskip(NEXT) | instid1(VALU_DEP_1)
	v_readfirstlane_b32 s4, v2
	s_mul_i32 s5, s5, s4
	s_delay_alu instid0(SALU_CYCLE_1) | instskip(NEXT) | instid1(SALU_CYCLE_1)
	s_mul_hi_u32 s5, s4, s5
	s_add_i32 s4, s4, s5
	s_ashr_i32 s5, s19, 31
	s_mul_hi_u32 s4, s6, s4
	s_delay_alu instid0(SALU_CYCLE_1) | instskip(NEXT) | instid1(SALU_CYCLE_1)
	s_mul_i32 s4, s4, s3
	s_sub_i32 s4, s6, s4
	s_delay_alu instid0(SALU_CYCLE_1) | instskip(SKIP_2) | instid1(SALU_CYCLE_1)
	s_sub_i32 s6, s4, s3
	s_cmp_ge_u32 s4, s3
	s_cselect_b32 s4, s6, s4
	s_sub_i32 s6, s4, s3
	s_cmp_ge_u32 s4, s3
	s_cselect_b32 s3, s6, s4
	s_add_i32 s2, s2, s19
	s_xor_b32 s3, s3, s5
	s_delay_alu instid0(SALU_CYCLE_1) | instskip(NEXT) | instid1(SALU_CYCLE_1)
	s_sub_i32 s3, s3, s5
	s_sub_i32 s2, s2, s3
	s_cmp_eq_u32 s3, 0
	s_cselect_b32 s3, s19, s2
	s_delay_alu instid0(SALU_CYCLE_1)
	v_cmp_gt_u32_e32 vcc_lo, s3, v42
	s_and_b32 exec_lo, exec_lo, vcc_lo
	s_cbranch_execz .LBB88_52
; %bb.8:
	s_load_b256 s[4:11], s[0:1], 0x10
	s_min_u32 s23, s18, 0x2800
	s_cmp_lg_u32 s16, 0
	s_mul_i32 s2, s21, s20
	s_cselect_b32 s24, -1, 0
	s_cmp_lg_u32 s18, 0
	s_load_b64 s[12:13], s[0:1], 0x30
	s_cselect_b32 s21, -1, 0
	s_lshl_b32 s25, s20, 9
	s_add_i32 s26, s16, -8
	s_add_i32 s27, s19, -1
	s_lshl_b32 s28, s2, 1
	v_and_b32_e32 v0, 0x3ff, v0
	v_mbcnt_lo_u32_b32 v49, -1, 0
	s_delay_alu instid0(VALU_DEP_2)
	v_lshlrev_b32_e32 v50, 3, v0
	v_cmp_eq_u32_e64 s0, 63, v0
	v_lshlrev_b32_e32 v0, 4, v0
	s_waitcnt lgkmcnt(0)
	s_cmp_lg_u64 s[10:11], 0
	v_cvt_f32_u32_e32 v3, s4
	s_cselect_b32 s29, -1, 0
	s_abs_i32 s2, s5
	s_add_i32 s5, s19, -2
	v_cvt_f32_u32_e32 v2, s2
	v_rcp_iflag_f32_e32 v3, v3
	s_sub_i32 s14, 0, s2
	s_sub_i32 s15, 0, s4
	s_sub_i32 s30, 1, s2
	v_rcp_iflag_f32_e32 v2, v2
	v_lshl_add_u32 v51, v1, 9, v50
	v_lshl_add_u32 v52, v1, 10, v0
	s_delay_alu instid0(VALU_DEP_2) | instskip(SKIP_3) | instid1(VALU_DEP_1)
	v_lshl_add_u32 v53, s18, 1, v51
	v_add_nc_u32_e32 v54, s18, v51
	s_waitcnt_depctr 0xfff
	v_mul_f32_e32 v2, 0x4f7ffffe, v2
	v_cvt_u32_f32_e32 v2, v2
	s_delay_alu instid0(VALU_DEP_1) | instskip(SKIP_1) | instid1(VALU_DEP_2)
	v_readfirstlane_b32 s1, v2
	v_mul_f32_e32 v2, 0x4f7ffffe, v3
	s_mul_i32 s14, s14, s1
	s_delay_alu instid0(VALU_DEP_1) | instskip(SKIP_1) | instid1(SALU_CYCLE_1)
	v_cvt_u32_f32_e32 v2, v2
	s_mul_hi_u32 s14, s1, s14
	s_add_i32 s1, s1, s14
	s_cmp_lt_u32 s2, 2
	s_delay_alu instid0(VALU_DEP_1) | instskip(SKIP_1) | instid1(SALU_CYCLE_1)
	v_mul_lo_u32 v3, s15, v2
	s_cselect_b32 s14, s30, 1
	s_sub_i32 s15, s14, s2
	s_cmp_ge_u32 s14, s2
	s_cselect_b32 s30, s15, s14
	s_lshr_b32 s1, s1, 31
	s_delay_alu instid0(VALU_DEP_1)
	v_mul_hi_u32 v3, v2, v3
	s_mul_i32 s1, s1, s2
	v_mov_b32_e32 v44, 0
	s_sub_i32 s1, 2, s1
	s_mul_i32 s30, s30, s4
	s_sub_i32 s14, s1, s2
	s_cmp_ge_u32 s1, s2
	s_delay_alu instid0(VALU_DEP_2) | instskip(SKIP_1) | instid1(SALU_CYCLE_1)
	v_add_nc_u32_e32 v55, v2, v3
	s_cselect_b32 s1, s14, s1
	s_sub_i32 s14, s1, s2
	s_cmp_ge_u32 s1, s2
	s_cselect_b32 s35, s14, s1
	s_add_u32 s31, s12, 2
	s_addc_u32 s33, s13, 0
	s_lshl_b32 s34, s23, 2
	s_lshl_b32 s20, s20, 10
	s_mul_i32 s35, s35, s4
	s_lshl_b32 s36, s23, 1
	s_branch .LBB88_12
.LBB88_9:                               ;   in Loop: Header=BB88_12 Depth=1
	s_or_b32 exec_lo, exec_lo, s39
	v_mov_b32_e32 v42, s5
.LBB88_10:                              ;   in Loop: Header=BB88_12 Depth=1
	s_or_b32 exec_lo, exec_lo, s38
.LBB88_11:                              ;   in Loop: Header=BB88_12 Depth=1
	s_delay_alu instid0(SALU_CYCLE_1) | instskip(NEXT) | instid1(VALU_DEP_1)
	s_or_b32 exec_lo, exec_lo, s37
	v_cmp_le_u32_e32 vcc_lo, s3, v42
	s_or_b32 s22, vcc_lo, s22
	s_delay_alu instid0(SALU_CYCLE_1)
	s_and_not1_b32 exec_lo, exec_lo, s22
	s_cbranch_execz .LBB88_52
.LBB88_12:                              ; =>This Loop Header: Depth=1
                                        ;     Child Loop BB88_17 Depth 2
                                        ;       Child Loop BB88_22 Depth 3
                                        ;     Child Loop BB88_45 Depth 2
	v_mov_b32_e32 v61, v44
	v_mov_b32_e32 v60, v44
	;; [unrolled: 1-line block ×6, first 2 shown]
	s_and_not1_b32 vcc_lo, exec_lo, s24
	s_mov_b32 s14, 0
	s_cbranch_vccnz .LBB88_29
; %bb.13:                               ;   in Loop: Header=BB88_12 Depth=1
	v_add_nc_u32_e32 v0, 1, v42
	s_waitcnt lgkmcnt(0)
	v_min_u32_e32 v1, s27, v42
	v_cmp_gt_u32_e64 s1, s19, v42
	v_dual_mov_b32 v56, 0 :: v_dual_mov_b32 v57, 0
	v_dual_mov_b32 v58, 0 :: v_dual_mov_b32 v59, 0
	s_delay_alu instid0(VALU_DEP_4) | instskip(SKIP_4) | instid1(VALU_DEP_2)
	v_mul_lo_u32 v43, v1, s17
	v_mov_b32_e32 v1, v44
	v_min_u32_e32 v0, s27, v0
	v_dual_mov_b32 v60, 0 :: v_dual_mov_b32 v61, 0
	s_mov_b32 s15, 0
	v_mul_lo_u32 v0, v0, s17
	v_lshlrev_b64 v[45:46], 1, v[43:44]
	s_delay_alu instid0(VALU_DEP_2)
	v_lshlrev_b64 v[47:48], 1, v[0:1]
	s_branch .LBB88_17
.LBB88_14:                              ;   in Loop: Header=BB88_17 Depth=2
	s_or_b32 exec_lo, exec_lo, s38
.LBB88_15:                              ;   in Loop: Header=BB88_17 Depth=2
	s_delay_alu instid0(SALU_CYCLE_1)
	s_or_b32 exec_lo, exec_lo, s37
	s_waitcnt vmcnt(3) lgkmcnt(2)
	;;#ASMSTART
	v_dot2_f32_f16 v61, v36, v24, v61
	;;#ASMEND
	s_waitcnt vmcnt(2)
	;;#ASMSTART
	v_dot2_f32_f16 v60, v36, v20, v60
	;;#ASMEND
	s_waitcnt lgkmcnt(1)
	;;#ASMSTART
	v_dot2_f32_f16 v59, v32, v24, v59
	;;#ASMEND
	;;#ASMSTART
	v_dot2_f32_f16 v58, v32, v20, v58
	;;#ASMEND
	s_waitcnt lgkmcnt(0)
	;;#ASMSTART
	v_dot2_f32_f16 v56, v28, v24, v56
	;;#ASMEND
	;;#ASMSTART
	v_dot2_f32_f16 v57, v28, v20, v57
	;;#ASMEND
	;; [unrolled: 3-line block ×20, first 2 shown]
	s_waitcnt vmcnt(1)
	;;#ASMSTART
	v_dot2_f32_f16 v61, v16, v4, v61
	;;#ASMEND
	s_waitcnt vmcnt(0)
	;;#ASMSTART
	v_dot2_f32_f16 v60, v16, v0, v60
	;;#ASMEND
	;;#ASMSTART
	v_dot2_f32_f16 v59, v12, v4, v59
	;;#ASMEND
	;; [unrolled: 3-line block ×23, first 2 shown]
.LBB88_16:                              ;   in Loop: Header=BB88_17 Depth=2
	s_or_b32 exec_lo, exec_lo, s2
	s_addk_i32 s15, 0x400
	s_delay_alu instid0(SALU_CYCLE_1)
	s_cmp_ge_u32 s15, s16
	s_cbranch_scc1 .LBB88_29
.LBB88_17:                              ;   Parent Loop BB88_12 Depth=1
                                        ; =>  This Loop Header: Depth=2
                                        ;       Child Loop BB88_22 Depth 3
	s_cmp_eq_u32 s15, 0
	s_cselect_b32 s37, -1, 0
	s_add_i32 s2, s14, s23
	s_delay_alu instid0(SALU_CYCLE_1) | instskip(SKIP_1) | instid1(SALU_CYCLE_1)
	s_cmp_eq_u32 s15, s2
	s_cselect_b32 s38, -1, 0
	s_or_b32 s38, s37, s38
	s_delay_alu instid0(SALU_CYCLE_1)
	s_and_not1_b32 vcc_lo, exec_lo, s38
	s_cbranch_vccz .LBB88_19
; %bb.18:                               ;   in Loop: Header=BB88_17 Depth=2
	s_and_saveexec_b32 s2, s1
	s_cbranch_execz .LBB88_16
	s_branch .LBB88_26
.LBB88_19:                              ;   in Loop: Header=BB88_17 Depth=2
	s_and_b32 s37, s37, exec_lo
	s_cselect_b32 s14, s14, s2
	s_and_not1_b32 vcc_lo, exec_lo, s21
	s_waitcnt vmcnt(0)
	s_waitcnt_vscnt null, 0x0
	s_barrier
	buffer_gl0_inv
	s_cbranch_vccnz .LBB88_25
; %bb.20:                               ;   in Loop: Header=BB88_17 Depth=2
	v_dual_mov_b32 v3, v52 :: v_dual_add_nc_u32 v0, s14, v53
	v_add_nc_u32_e32 v1, s14, v54
	v_add_nc_u32_e32 v2, s14, v51
	s_mov_b32 s37, 0
	s_mov_b32 s38, 0
                                        ; implicit-def: $sgpr39
	s_branch .LBB88_22
.LBB88_21:                              ;   in Loop: Header=BB88_22 Depth=3
	s_or_b32 exec_lo, exec_lo, s2
	s_delay_alu instid0(SALU_CYCLE_1) | instskip(NEXT) | instid1(SALU_CYCLE_1)
	s_and_b32 s2, exec_lo, s39
	s_or_b32 s37, s2, s37
	s_delay_alu instid0(SALU_CYCLE_1)
	s_and_not1_b32 exec_lo, exec_lo, s37
	s_cbranch_execz .LBB88_24
.LBB88_22:                              ;   Parent Loop BB88_12 Depth=1
                                        ;     Parent Loop BB88_17 Depth=2
                                        ; =>    This Inner Loop Header: Depth=3
	s_delay_alu instid0(VALU_DEP_1) | instskip(SKIP_2) | instid1(VALU_DEP_2)
	v_add_nc_u32_e32 v43, s38, v2
	v_add_nc_u32_e32 v4, s38, v51
	s_or_b32 s39, s39, exec_lo
	v_cmp_gt_u32_e32 vcc_lo, s18, v43
	s_delay_alu instid0(VALU_DEP_2) | instskip(NEXT) | instid1(VALU_DEP_1)
	v_cmp_gt_u32_e64 s2, s23, v4
	s_and_b32 s40, s2, vcc_lo
	s_delay_alu instid0(SALU_CYCLE_1)
	s_and_saveexec_b32 s2, s40
	s_cbranch_execz .LBB88_21
; %bb.23:                               ;   in Loop: Header=BB88_22 Depth=3
	v_lshlrev_b64 v[4:5], 1, v[43:44]
	v_add_nc_u32_e32 v43, s38, v1
	v_add_nc_u32_e32 v16, s36, v3
	v_add_nc_u32_e32 v17, s34, v3
	s_delay_alu instid0(VALU_DEP_3) | instskip(SKIP_3) | instid1(VALU_DEP_3)
	v_lshlrev_b64 v[6:7], 1, v[43:44]
	v_add_nc_u32_e32 v43, s38, v0
	v_add_co_u32 v4, vcc_lo, s8, v4
	v_add_co_ci_u32_e32 v5, vcc_lo, s9, v5, vcc_lo
	v_lshlrev_b64 v[8:9], 1, v[43:44]
	v_add_co_u32 v10, vcc_lo, s8, v6
	v_add_co_ci_u32_e32 v11, vcc_lo, s9, v7, vcc_lo
	s_add_i32 s38, s38, s25
	s_delay_alu instid0(VALU_DEP_3) | instskip(NEXT) | instid1(VALU_DEP_4)
	v_add_co_u32 v12, vcc_lo, s8, v8
	v_add_co_ci_u32_e32 v13, vcc_lo, s9, v9, vcc_lo
	s_clause 0x2
	global_load_b128 v[4:7], v[4:5], off
	global_load_b128 v[8:11], v[10:11], off
	;; [unrolled: 1-line block ×3, first 2 shown]
	s_cmp_ge_u32 s38, s23
	s_cselect_b32 s40, -1, 0
	s_and_not1_b32 s39, s39, exec_lo
	s_and_b32 s40, s40, exec_lo
	s_delay_alu instid0(SALU_CYCLE_1)
	s_or_b32 s39, s39, s40
	s_waitcnt vmcnt(2)
	ds_store_b128 v3, v[4:7]
	v_add_nc_u32_e32 v3, s20, v3
	s_waitcnt vmcnt(1)
	ds_store_2addr_b64 v16, v[8:9], v[10:11] offset1:1
	s_waitcnt vmcnt(0)
	ds_store_2addr_b32 v17, v12, v13 offset1:1
	ds_store_2addr_b32 v17, v14, v15 offset0:2 offset1:3
	s_branch .LBB88_21
.LBB88_24:                              ;   in Loop: Header=BB88_17 Depth=2
	s_or_b32 exec_lo, exec_lo, s37
.LBB88_25:                              ;   in Loop: Header=BB88_17 Depth=2
	s_waitcnt lgkmcnt(0)
	s_barrier
	buffer_gl0_inv
	s_and_saveexec_b32 s2, s1
	s_cbranch_execz .LBB88_16
.LBB88_26:                              ;   in Loop: Header=BB88_17 Depth=2
	v_dual_mov_b32 v37, 0 :: v_dual_add_nc_u32 v62, s15, v50
	v_dual_mov_b32 v38, 0 :: v_dual_mov_b32 v39, 0
	s_waitcnt vmcnt(4)
	v_dual_mov_b32 v16, 0 :: v_dual_mov_b32 v17, 0
	s_delay_alu instid0(VALU_DEP_3) | instskip(SKIP_2) | instid1(VALU_DEP_3)
	v_min_u32_e32 v43, s26, v62
	v_dual_mov_b32 v36, 0 :: v_dual_add_nc_u32 v63, 0x200, v62
	v_dual_mov_b32 v18, 0 :: v_dual_mov_b32 v19, 0
	v_lshlrev_b64 v[0:1], 1, v[43:44]
	s_delay_alu instid0(VALU_DEP_3) | instskip(SKIP_2) | instid1(VALU_DEP_4)
	v_min_u32_e32 v43, s26, v63
	v_dual_mov_b32 v32, 0 :: v_dual_mov_b32 v33, 0
	v_dual_mov_b32 v34, 0 :: v_dual_mov_b32 v35, 0
	v_add_co_u32 v4, vcc_lo, s6, v0
	v_add_co_ci_u32_e32 v5, vcc_lo, s7, v1, vcc_lo
	v_lshlrev_b64 v[0:1], 1, v[43:44]
	s_delay_alu instid0(VALU_DEP_3) | instskip(NEXT) | instid1(VALU_DEP_3)
	v_add_co_u32 v2, vcc_lo, v4, v45
	v_add_co_ci_u32_e32 v3, vcc_lo, v5, v46, vcc_lo
	s_waitcnt vmcnt(0)
	v_dual_mov_b32 v12, 0 :: v_dual_mov_b32 v13, 0
	s_delay_alu instid0(VALU_DEP_4) | instskip(SKIP_3) | instid1(VALU_DEP_4)
	v_add_co_u32 v6, vcc_lo, s6, v0
	v_add_co_ci_u32_e32 v7, vcc_lo, s7, v1, vcc_lo
	v_add_co_u32 v0, vcc_lo, v4, v47
	v_add_co_ci_u32_e32 v1, vcc_lo, v5, v48, vcc_lo
	v_add_co_u32 v4, vcc_lo, v6, v45
	s_delay_alu instid0(VALU_DEP_4)
	v_add_co_ci_u32_e32 v5, vcc_lo, v7, v46, vcc_lo
	v_add_co_u32 v8, vcc_lo, v6, v47
	v_add_co_ci_u32_e32 v9, vcc_lo, v7, v48, vcc_lo
	s_clause 0x3
	global_load_b128 v[24:27], v[2:3], off slc dlc
	global_load_b128 v[20:23], v[0:1], off slc dlc
	;; [unrolled: 1-line block ×4, first 2 shown]
	v_cmp_gt_u32_e32 vcc_lo, s16, v62
	v_dual_mov_b32 v14, 0 :: v_dual_mov_b32 v15, 0
	v_dual_mov_b32 v28, 0 :: v_dual_mov_b32 v29, 0
	;; [unrolled: 1-line block ×5, first 2 shown]
	s_and_saveexec_b32 s37, vcc_lo
	s_cbranch_execz .LBB88_15
; %bb.27:                               ;   in Loop: Header=BB88_17 Depth=2
	v_subrev_nc_u32_e32 v8, s14, v62
	v_dual_mov_b32 v14, 0 :: v_dual_mov_b32 v13, 0
	v_dual_mov_b32 v12, 0 :: v_dual_mov_b32 v19, 0
	s_delay_alu instid0(VALU_DEP_3) | instskip(SKIP_2) | instid1(VALU_DEP_3)
	v_dual_mov_b32 v11, 0 :: v_dual_lshlrev_b32 v64, 1, v8
	v_dual_mov_b32 v8, 0 :: v_dual_mov_b32 v15, 0
	v_dual_mov_b32 v18, 0 :: v_dual_mov_b32 v17, 0
	v_dual_mov_b32 v9, 0 :: v_dual_add_nc_u32 v62, s36, v64
	v_mov_b32_e32 v16, 0
	s_mov_b32 s38, exec_lo
	s_delay_alu instid0(VALU_DEP_2)
	v_dual_mov_b32 v10, 0 :: v_dual_add_nc_u32 v43, s36, v62
	ds_load_b128 v[36:39], v64
	ds_load_b128 v[32:35], v62
	;; [unrolled: 1-line block ×3, first 2 shown]
	v_cmpx_gt_u32_e64 s16, v63
	s_cbranch_execz .LBB88_14
; %bb.28:                               ;   in Loop: Header=BB88_17 Depth=2
	ds_load_b128 v[16:19], v64 offset:1024
	ds_load_b128 v[12:15], v62 offset:1024
	;; [unrolled: 1-line block ×3, first 2 shown]
	s_branch .LBB88_14
.LBB88_29:                              ;   in Loop: Header=BB88_12 Depth=1
	s_mov_b32 s1, exec_lo
	v_cmpx_le_u32_e64 s19, v42
	s_xor_b32 s1, exec_lo, s1
; %bb.30:                               ;   in Loop: Header=BB88_12 Depth=1
	v_add_nc_u32_e32 v42, s28, v42
                                        ; implicit-def: $vgpr61
                                        ; implicit-def: $vgpr60
                                        ; implicit-def: $vgpr59
                                        ; implicit-def: $vgpr58
                                        ; implicit-def: $vgpr56
                                        ; implicit-def: $vgpr57
; %bb.31:                               ;   in Loop: Header=BB88_12 Depth=1
	s_and_not1_saveexec_b32 s37, s1
	s_cbranch_execz .LBB88_11
; %bb.32:                               ;   in Loop: Header=BB88_12 Depth=1
	v_cvt_i32_f32_e32 v0, v61
	s_waitcnt lgkmcnt(0)
	v_xor_b32_e32 v1, 16, v49
	v_cvt_i32_f32_e32 v2, v60
	v_cvt_i32_f32_e32 v5, v56
	;; [unrolled: 1-line block ×3, first 2 shown]
	v_cvt_f32_i32_dpp v0, v0 row_shr:8 row_mask:0xf bank_mask:0xf bound_ctrl:1
	v_cmp_gt_i32_e32 vcc_lo, 32, v1
	v_cvt_f32_i32_dpp v2, v2 row_shr:8 row_mask:0xf bank_mask:0xf bound_ctrl:1
	v_cvt_f32_i32_dpp v5, v5 row_shr:8 row_mask:0xf bank_mask:0xf bound_ctrl:1
	v_cvt_i32_f32_e32 v3, v59
	v_cvt_i32_f32_e32 v4, v58
	s_delay_alu instid0(VALU_DEP_4) | instskip(SKIP_3) | instid1(VALU_DEP_4)
	v_dual_cndmask_b32 v1, v49, v1 :: v_dual_add_f32 v2, v60, v2
	v_add_f32_e32 v0, v61, v0
	v_cvt_f32_i32_dpp v6, v6 row_shr:8 row_mask:0xf bank_mask:0xf bound_ctrl:1
	v_add_f32_e32 v5, v56, v5
	v_lshlrev_b32_e32 v1, 2, v1
	v_cvt_f32_i32_dpp v3, v3 row_shr:8 row_mask:0xf bank_mask:0xf bound_ctrl:1
	v_cvt_i32_f32_e32 v7, v0
	v_add_f32_e32 v6, v57, v6
	v_cvt_f32_i32_dpp v4, v4 row_shr:8 row_mask:0xf bank_mask:0xf bound_ctrl:1
	v_cvt_i32_f32_e32 v10, v5
	v_add_f32_e32 v3, v59, v3
	;; [unrolled: 3-line block ×4, first 2 shown]
	v_cvt_i32_f32_e32 v7, v3
	v_cvt_i32_f32_e32 v9, v4
	v_add_f32_e32 v5, v5, v10
	v_cvt_f32_i32_dpp v11, v11 row_shr:4 row_mask:0xf bank_mask:0xf bound_ctrl:1
	s_waitcnt vmcnt(0)
	v_cvt_i32_f32_e32 v12, v0
	v_cvt_f32_i32_dpp v8, v8 row_shr:4 row_mask:0xf bank_mask:0xf bound_ctrl:1
	v_cvt_f32_i32_dpp v7, v7 row_shr:4 row_mask:0xf bank_mask:0xf bound_ctrl:1
	;; [unrolled: 1-line block ×3, first 2 shown]
	v_add_f32_e32 v6, v6, v11
	v_cvt_f32_i32_dpp v12, v12 row_shr:2 row_mask:0xf bank_mask:0xf bound_ctrl:1
	v_cvt_i32_f32_e32 v11, v5
	v_dual_add_f32 v2, v2, v8 :: v_dual_add_f32 v3, v3, v7
	s_delay_alu instid0(VALU_DEP_3) | instskip(NEXT) | instid1(VALU_DEP_3)
	v_add_f32_e32 v0, v0, v12
	v_cvt_f32_i32_dpp v11, v11 row_shr:2 row_mask:0xf bank_mask:0xf bound_ctrl:1
	v_add_f32_e32 v4, v4, v9
	s_delay_alu instid0(VALU_DEP_4)
	v_cvt_i32_f32_e32 v7, v2
	v_cvt_i32_f32_e32 v8, v3
	;; [unrolled: 1-line block ×3, first 2 shown]
	v_add_f32_e32 v5, v5, v11
	v_cvt_i32_f32_e32 v10, v4
	v_cvt_f32_i32_dpp v7, v7 row_shr:2 row_mask:0xf bank_mask:0xf bound_ctrl:1
	v_cvt_f32_i32_dpp v8, v8 row_shr:2 row_mask:0xf bank_mask:0xf bound_ctrl:1
	;; [unrolled: 1-line block ×3, first 2 shown]
	s_delay_alu instid0(VALU_DEP_4) | instskip(NEXT) | instid1(VALU_DEP_2)
	v_cvt_f32_i32_dpp v13, v10 row_shr:2 row_mask:0xf bank_mask:0xf bound_ctrl:1
	v_add_f32_e32 v10, v0, v9
	v_add_f32_e32 v0, v2, v7
	s_delay_alu instid0(VALU_DEP_3) | instskip(SKIP_2) | instid1(VALU_DEP_4)
	v_dual_add_f32 v2, v3, v8 :: v_dual_add_f32 v3, v4, v13
	v_cvt_i32_f32_e32 v12, v6
	v_cvt_i32_f32_e32 v9, v5
	;; [unrolled: 1-line block ×3, first 2 shown]
	s_delay_alu instid0(VALU_DEP_4) | instskip(NEXT) | instid1(VALU_DEP_4)
	v_cvt_i32_f32_e32 v8, v3
	v_cvt_f32_i32_dpp v12, v12 row_shr:2 row_mask:0xf bank_mask:0xf bound_ctrl:1
	s_delay_alu instid0(VALU_DEP_4) | instskip(NEXT) | instid1(VALU_DEP_4)
	v_cvt_f32_i32_dpp v9, v9 row_shr:1 row_mask:0xf bank_mask:0xf bound_ctrl:1
	v_cvt_f32_i32_dpp v4, v4 row_shr:1 row_mask:0xf bank_mask:0xf bound_ctrl:1
	s_delay_alu instid0(VALU_DEP_4) | instskip(NEXT) | instid1(VALU_DEP_4)
	v_cvt_f32_i32_dpp v13, v8 row_shr:1 row_mask:0xf bank_mask:0xf bound_ctrl:1
	v_add_f32_e32 v7, v6, v12
	v_cvt_i32_f32_e32 v6, v2
	s_delay_alu instid0(VALU_DEP_4) | instskip(SKIP_4) | instid1(VALU_DEP_2)
	v_add_f32_e32 v8, v0, v4
	ds_bpermute_b32 v11, v1, v10
	v_add_f32_e32 v4, v3, v13
	v_cvt_i32_f32_e32 v12, v7
	v_cvt_f32_i32_dpp v6, v6 row_shr:1 row_mask:0xf bank_mask:0xf bound_ctrl:1
	v_cvt_f32_i32_dpp v12, v12 row_shr:1 row_mask:0xf bank_mask:0xf bound_ctrl:1
	s_delay_alu instid0(VALU_DEP_2)
	v_add_f32_e32 v6, v2, v6
	v_add_f32_e32 v2, v5, v9
	ds_bpermute_b32 v9, v1, v8
	ds_bpermute_b32 v5, v1, v4
	v_add_f32_e32 v0, v7, v12
	ds_bpermute_b32 v7, v1, v6
	ds_bpermute_b32 v3, v1, v2
	;; [unrolled: 1-line block ×3, first 2 shown]
	s_and_saveexec_b32 s14, s0
	s_cbranch_execz .LBB88_42
; %bb.33:                               ;   in Loop: Header=BB88_12 Depth=1
	v_dual_mov_b32 v17, 0 :: v_dual_mov_b32 v16, 0
	v_dual_mov_b32 v15, 0 :: v_dual_mov_b32 v14, 0
	v_dual_mov_b32 v13, 0 :: v_dual_mov_b32 v12, 0
	s_and_not1_b32 vcc_lo, exec_lo, s29
	s_cbranch_vccnz .LBB88_35
; %bb.34:                               ;   in Loop: Header=BB88_12 Depth=1
	v_add_nc_u32_e32 v12, 1, v42
	v_mul_hi_u32 v13, v42, v55
	s_delay_alu instid0(VALU_DEP_2) | instskip(NEXT) | instid1(VALU_DEP_2)
	v_mul_hi_u32 v14, v12, v55
	v_mul_lo_u32 v13, v13, s4
	s_delay_alu instid0(VALU_DEP_2) | instskip(NEXT) | instid1(VALU_DEP_2)
	v_mul_lo_u32 v14, v14, s4
	v_sub_nc_u32_e32 v13, v42, v13
	s_delay_alu instid0(VALU_DEP_2) | instskip(NEXT) | instid1(VALU_DEP_2)
	v_sub_nc_u32_e32 v12, v12, v14
	v_subrev_nc_u32_e32 v14, s4, v13
	v_cmp_le_u32_e32 vcc_lo, s4, v13
	s_delay_alu instid0(VALU_DEP_3) | instskip(NEXT) | instid1(VALU_DEP_3)
	v_subrev_nc_u32_e32 v15, s4, v12
	v_cndmask_b32_e32 v13, v13, v14, vcc_lo
	v_cmp_le_u32_e32 vcc_lo, s4, v12
	s_delay_alu instid0(VALU_DEP_3) | instskip(NEXT) | instid1(VALU_DEP_3)
	v_cndmask_b32_e32 v12, v12, v15, vcc_lo
	v_subrev_nc_u32_e32 v14, s4, v13
	v_cmp_le_u32_e32 vcc_lo, s4, v13
	s_delay_alu instid0(VALU_DEP_3) | instskip(NEXT) | instid1(VALU_DEP_3)
	v_subrev_nc_u32_e32 v16, s4, v12
	v_cndmask_b32_e32 v43, v13, v14, vcc_lo
	v_cmp_le_u32_e32 vcc_lo, s4, v12
	v_mov_b32_e32 v13, v44
	s_delay_alu instid0(VALU_DEP_4) | instskip(NEXT) | instid1(VALU_DEP_4)
	v_cndmask_b32_e32 v12, v12, v16, vcc_lo
	v_lshlrev_b64 v[16:17], 1, v[43:44]
	v_dual_mov_b32 v15, v44 :: v_dual_add_nc_u32 v14, s30, v43
	v_add_nc_u32_e32 v43, s35, v43
	s_delay_alu instid0(VALU_DEP_4) | instskip(SKIP_1) | instid1(VALU_DEP_4)
	v_lshlrev_b64 v[20:21], 1, v[12:13]
	v_dual_mov_b32 v19, v44 :: v_dual_add_nc_u32 v18, s30, v12
	v_lshlrev_b64 v[13:14], 1, v[14:15]
	v_add_co_u32 v15, vcc_lo, s10, v16
	v_add_co_ci_u32_e32 v16, vcc_lo, s11, v17, vcc_lo
	v_lshlrev_b64 v[22:23], 1, v[43:44]
	v_lshlrev_b64 v[17:18], 1, v[18:19]
	v_add_co_u32 v19, vcc_lo, s10, v20
	v_add_nc_u32_e32 v43, s35, v12
	v_add_co_ci_u32_e32 v20, vcc_lo, s11, v21, vcc_lo
	v_add_co_u32 v12, vcc_lo, s10, v13
	v_add_co_ci_u32_e32 v13, vcc_lo, s11, v14, vcc_lo
	s_delay_alu instid0(VALU_DEP_4)
	v_lshlrev_b64 v[24:25], 1, v[43:44]
	v_add_co_u32 v21, vcc_lo, s10, v22
	v_add_co_ci_u32_e32 v22, vcc_lo, s11, v23, vcc_lo
	v_add_co_u32 v26, vcc_lo, s10, v17
	v_add_co_ci_u32_e32 v27, vcc_lo, s11, v18, vcc_lo
	;; [unrolled: 2-line block ×3, first 2 shown]
	s_clause 0x5
	global_load_u16 v17, v[15:16], off
	global_load_u16 v16, v[19:20], off
	;; [unrolled: 1-line block ×6, first 2 shown]
.LBB88_35:                              ;   in Loop: Header=BB88_12 Depth=1
	v_cmp_ne_u32_e32 vcc_lo, 0, v40
	s_and_saveexec_b32 s2, vcc_lo
	s_cbranch_execnz .LBB88_47
; %bb.36:                               ;   in Loop: Header=BB88_12 Depth=1
	s_or_b32 exec_lo, exec_lo, s2
	v_cmp_ne_u32_e64 s1, 0, v41
	s_delay_alu instid0(VALU_DEP_1)
	s_and_saveexec_b32 s15, s1
	s_cbranch_execnz .LBB88_48
.LBB88_37:                              ;   in Loop: Header=BB88_12 Depth=1
	s_or_b32 exec_lo, exec_lo, s15
	v_add_nc_u32_e32 v43, s19, v42
	s_and_saveexec_b32 s15, vcc_lo
	s_cbranch_execnz .LBB88_49
.LBB88_38:                              ;   in Loop: Header=BB88_12 Depth=1
	s_or_b32 exec_lo, exec_lo, s15
	s_and_saveexec_b32 s15, s1
	s_cbranch_execnz .LBB88_50
.LBB88_39:                              ;   in Loop: Header=BB88_12 Depth=1
	s_or_b32 exec_lo, exec_lo, s15
	v_add_nc_u32_e32 v43, s19, v43
	s_and_saveexec_b32 s2, vcc_lo
	s_cbranch_execnz .LBB88_51
.LBB88_40:                              ;   in Loop: Header=BB88_12 Depth=1
	s_or_b32 exec_lo, exec_lo, s2
	s_delay_alu instid0(SALU_CYCLE_1)
	s_and_b32 exec_lo, exec_lo, s1
	s_cbranch_execz .LBB88_42
.LBB88_41:                              ;   in Loop: Header=BB88_12 Depth=1
	s_waitcnt lgkmcnt(0)
	v_dual_add_f32 v0, v0, v1 :: v_dual_add_nc_u32 v43, 1, v43
	s_waitcnt vmcnt(0)
	v_cvt_f32_f16_e32 v1, v12
	s_delay_alu instid0(VALU_DEP_1) | instskip(NEXT) | instid1(VALU_DEP_3)
	v_add_f32_e32 v2, v0, v1
	v_lshlrev_b64 v[0:1], 1, v[43:44]
	s_delay_alu instid0(VALU_DEP_2) | instskip(NEXT) | instid1(VALU_DEP_2)
	v_cvt_f16_f32_e32 v2, v2
	v_add_co_u32 v0, vcc_lo, s12, v0
	s_delay_alu instid0(VALU_DEP_3)
	v_add_co_ci_u32_e32 v1, vcc_lo, s13, v1, vcc_lo
	global_store_b16 v[0:1], v2, off
.LBB88_42:                              ;   in Loop: Header=BB88_12 Depth=1
	s_or_b32 exec_lo, exec_lo, s14
	v_add_nc_u32_e32 v42, s28, v42
	s_delay_alu instid0(VALU_DEP_1) | instskip(SKIP_1) | instid1(VALU_DEP_2)
	v_add_nc_u32_e32 v0, 2, v42
	v_cmp_gt_u32_e32 vcc_lo, s19, v42
	v_cmp_le_u32_e64 s1, s19, v0
	s_delay_alu instid0(VALU_DEP_1) | instskip(NEXT) | instid1(SALU_CYCLE_1)
	s_and_b32 s1, vcc_lo, s1
	s_and_saveexec_b32 s38, s1
	s_cbranch_execz .LBB88_10
; %bb.43:                               ;   in Loop: Header=BB88_12 Depth=1
	s_mov_b32 s39, exec_lo
	v_cmpx_ne_u32_e64 s5, v42
	s_cbranch_execz .LBB88_9
; %bb.44:                               ;   in Loop: Header=BB88_12 Depth=1
	v_subrev_nc_u32_e32 v0, s5, v42
	s_mov_b32 s40, 0
	s_mov_b64 s[14:15], 0
	s_delay_alu instid0(VALU_DEP_1)
	v_cmp_lt_u32_e32 vcc_lo, 1, v0
	v_cndmask_b32_e32 v0, 1, v0, vcc_lo
.LBB88_45:                              ;   Parent Loop BB88_12 Depth=1
                                        ; =>  This Inner Loop Header: Depth=2
	s_cmp_lg_u32 s14, 1
	s_cselect_b32 vcc_lo, -1, 0
	s_cmp_lg_u32 s14, 0
	v_cndmask_b32_e32 v41, 0, v41, vcc_lo
	s_cselect_b32 s1, -1, 0
	s_add_u32 s14, s14, 1
	v_cndmask_b32_e64 v40, 0, v40, s1
	v_cmp_eq_u32_e64 s2, s14, v0
	s_addc_u32 s15, s15, 0
	s_delay_alu instid0(VALU_DEP_1) | instskip(NEXT) | instid1(SALU_CYCLE_1)
	s_or_b32 s40, s2, s40
	s_and_not1_b32 exec_lo, exec_lo, s40
	s_cbranch_execnz .LBB88_45
; %bb.46:                               ;   in Loop: Header=BB88_12 Depth=1
	s_or_b32 exec_lo, exec_lo, s40
	s_branch .LBB88_9
.LBB88_47:                              ;   in Loop: Header=BB88_12 Depth=1
	s_waitcnt lgkmcnt(5)
	v_dual_add_f32 v10, v10, v11 :: v_dual_mov_b32 v43, v44
	s_waitcnt vmcnt(5)
	v_cvt_f32_f16_e32 v11, v17
	s_delay_alu instid0(VALU_DEP_1) | instskip(NEXT) | instid1(VALU_DEP_3)
	v_add_f32_e32 v17, v10, v11
	v_lshlrev_b64 v[10:11], 1, v[42:43]
	s_delay_alu instid0(VALU_DEP_2) | instskip(NEXT) | instid1(VALU_DEP_2)
	v_cvt_f16_f32_e32 v17, v17
	v_add_co_u32 v10, s1, s12, v10
	s_delay_alu instid0(VALU_DEP_1) | instskip(SKIP_3) | instid1(VALU_DEP_1)
	v_add_co_ci_u32_e64 v11, s1, s13, v11, s1
	global_store_b16 v[10:11], v17, off
	s_or_b32 exec_lo, exec_lo, s2
	v_cmp_ne_u32_e64 s1, 0, v41
	s_and_saveexec_b32 s15, s1
	s_cbranch_execz .LBB88_37
.LBB88_48:                              ;   in Loop: Header=BB88_12 Depth=1
	s_waitcnt lgkmcnt(4)
	v_add_f32_e32 v8, v8, v9
	s_waitcnt vmcnt(4)
	v_cvt_f32_f16_e32 v9, v16
	v_mov_b32_e32 v43, v44
	s_delay_alu instid0(VALU_DEP_2) | instskip(NEXT) | instid1(VALU_DEP_2)
	v_add_f32_e32 v10, v8, v9
	v_lshlrev_b64 v[8:9], 1, v[42:43]
	s_delay_alu instid0(VALU_DEP_2) | instskip(NEXT) | instid1(VALU_DEP_2)
	v_cvt_f16_f32_e32 v10, v10
	v_add_co_u32 v8, s2, s31, v8
	s_delay_alu instid0(VALU_DEP_1)
	v_add_co_ci_u32_e64 v9, s2, s33, v9, s2
	global_store_b16 v[8:9], v10, off
	s_or_b32 exec_lo, exec_lo, s15
	v_add_nc_u32_e32 v43, s19, v42
	s_and_saveexec_b32 s15, vcc_lo
	s_cbranch_execz .LBB88_38
.LBB88_49:                              ;   in Loop: Header=BB88_12 Depth=1
	s_waitcnt lgkmcnt(2)
	v_add_f32_e32 v6, v6, v7
	s_waitcnt vmcnt(3)
	v_cvt_f32_f16_e32 v7, v15
	s_delay_alu instid0(VALU_DEP_1) | instskip(SKIP_1) | instid1(VALU_DEP_2)
	v_add_f32_e32 v8, v6, v7
	v_lshlrev_b64 v[6:7], 1, v[43:44]
	v_cvt_f16_f32_e32 v8, v8
	s_delay_alu instid0(VALU_DEP_2) | instskip(NEXT) | instid1(VALU_DEP_1)
	v_add_co_u32 v6, s2, s12, v6
	v_add_co_ci_u32_e64 v7, s2, s13, v7, s2
	global_store_b16 v[6:7], v8, off
	s_or_b32 exec_lo, exec_lo, s15
	s_and_saveexec_b32 s15, s1
	s_cbranch_execz .LBB88_39
.LBB88_50:                              ;   in Loop: Header=BB88_12 Depth=1
	s_waitcnt lgkmcnt(3)
	v_add_f32_e32 v6, v4, v5
	v_dual_mov_b32 v5, v44 :: v_dual_add_nc_u32 v4, 1, v43
	s_waitcnt vmcnt(2) lgkmcnt(2)
	v_cvt_f32_f16_e32 v7, v14
	s_delay_alu instid0(VALU_DEP_2) | instskip(NEXT) | instid1(VALU_DEP_2)
	v_lshlrev_b64 v[4:5], 1, v[4:5]
	v_add_f32_e32 v6, v6, v7
	s_delay_alu instid0(VALU_DEP_1) | instskip(NEXT) | instid1(VALU_DEP_3)
	v_cvt_f16_f32_e32 v6, v6
	v_add_co_u32 v4, s2, s12, v4
	s_delay_alu instid0(VALU_DEP_1)
	v_add_co_ci_u32_e64 v5, s2, s13, v5, s2
	global_store_b16 v[4:5], v6, off
	s_or_b32 exec_lo, exec_lo, s15
	v_add_nc_u32_e32 v43, s19, v43
	s_and_saveexec_b32 s2, vcc_lo
	s_cbranch_execz .LBB88_40
.LBB88_51:                              ;   in Loop: Header=BB88_12 Depth=1
	s_waitcnt lgkmcnt(1)
	v_add_f32_e32 v2, v2, v3
	s_waitcnt vmcnt(1)
	v_cvt_f32_f16_e32 v3, v13
	s_delay_alu instid0(VALU_DEP_1) | instskip(SKIP_1) | instid1(VALU_DEP_2)
	v_add_f32_e32 v4, v2, v3
	v_lshlrev_b64 v[2:3], 1, v[43:44]
	v_cvt_f16_f32_e32 v4, v4
	s_delay_alu instid0(VALU_DEP_2) | instskip(NEXT) | instid1(VALU_DEP_3)
	v_add_co_u32 v2, vcc_lo, s12, v2
	v_add_co_ci_u32_e32 v3, vcc_lo, s13, v3, vcc_lo
	global_store_b16 v[2:3], v4, off
	s_or_b32 exec_lo, exec_lo, s2
	s_delay_alu instid0(SALU_CYCLE_1)
	s_and_b32 exec_lo, exec_lo, s1
	s_cbranch_execnz .LBB88_41
	s_branch .LBB88_42
.LBB88_52:
	s_nop 0
	s_sendmsg sendmsg(MSG_DEALLOC_VGPRS)
	s_endpgm
	.section	.rodata,"a",@progbits
	.p2align	6, 0x0
	.amdhsa_kernel _Z16wvSplitK_hf_big_I6__halfLi64ELi2ELi16ELi8ELi2ELi3EEviiiiiiPKT_S3_S3_PS1_ii
		.amdhsa_group_segment_fixed_size 65536
		.amdhsa_private_segment_fixed_size 0
		.amdhsa_kernarg_size 64
		.amdhsa_user_sgpr_count 15
		.amdhsa_user_sgpr_dispatch_ptr 0
		.amdhsa_user_sgpr_queue_ptr 0
		.amdhsa_user_sgpr_kernarg_segment_ptr 1
		.amdhsa_user_sgpr_dispatch_id 0
		.amdhsa_user_sgpr_private_segment_size 0
		.amdhsa_wavefront_size32 1
		.amdhsa_uses_dynamic_stack 0
		.amdhsa_enable_private_segment 0
		.amdhsa_system_sgpr_workgroup_id_x 1
		.amdhsa_system_sgpr_workgroup_id_y 0
		.amdhsa_system_sgpr_workgroup_id_z 0
		.amdhsa_system_sgpr_workgroup_info 0
		.amdhsa_system_vgpr_workitem_id 1
		.amdhsa_next_free_vgpr 65
		.amdhsa_next_free_sgpr 41
		.amdhsa_reserve_vcc 1
		.amdhsa_float_round_mode_32 0
		.amdhsa_float_round_mode_16_64 0
		.amdhsa_float_denorm_mode_32 3
		.amdhsa_float_denorm_mode_16_64 3
		.amdhsa_dx10_clamp 1
		.amdhsa_ieee_mode 1
		.amdhsa_fp16_overflow 0
		.amdhsa_workgroup_processor_mode 1
		.amdhsa_memory_ordered 1
		.amdhsa_forward_progress 0
		.amdhsa_shared_vgpr_count 0
		.amdhsa_exception_fp_ieee_invalid_op 0
		.amdhsa_exception_fp_denorm_src 0
		.amdhsa_exception_fp_ieee_div_zero 0
		.amdhsa_exception_fp_ieee_overflow 0
		.amdhsa_exception_fp_ieee_underflow 0
		.amdhsa_exception_fp_ieee_inexact 0
		.amdhsa_exception_int_div_zero 0
	.end_amdhsa_kernel
	.section	.text._Z16wvSplitK_hf_big_I6__halfLi64ELi2ELi16ELi8ELi2ELi3EEviiiiiiPKT_S3_S3_PS1_ii,"axG",@progbits,_Z16wvSplitK_hf_big_I6__halfLi64ELi2ELi16ELi8ELi2ELi3EEviiiiiiPKT_S3_S3_PS1_ii,comdat
.Lfunc_end88:
	.size	_Z16wvSplitK_hf_big_I6__halfLi64ELi2ELi16ELi8ELi2ELi3EEviiiiiiPKT_S3_S3_PS1_ii, .Lfunc_end88-_Z16wvSplitK_hf_big_I6__halfLi64ELi2ELi16ELi8ELi2ELi3EEviiiiiiPKT_S3_S3_PS1_ii
                                        ; -- End function
	.section	.AMDGPU.csdata,"",@progbits
; Kernel info:
; codeLenInByte = 4436
; NumSgprs: 43
; NumVgprs: 65
; ScratchSize: 0
; MemoryBound: 0
; FloatMode: 240
; IeeeMode: 1
; LDSByteSize: 65536 bytes/workgroup (compile time only)
; SGPRBlocks: 5
; VGPRBlocks: 8
; NumSGPRsForWavesPerEU: 43
; NumVGPRsForWavesPerEU: 65
; Occupancy: 16
; WaveLimiterHint : 0
; COMPUTE_PGM_RSRC2:SCRATCH_EN: 0
; COMPUTE_PGM_RSRC2:USER_SGPR: 15
; COMPUTE_PGM_RSRC2:TRAP_HANDLER: 0
; COMPUTE_PGM_RSRC2:TGID_X_EN: 1
; COMPUTE_PGM_RSRC2:TGID_Y_EN: 0
; COMPUTE_PGM_RSRC2:TGID_Z_EN: 0
; COMPUTE_PGM_RSRC2:TIDIG_COMP_CNT: 1
	.section	.text._Z16wvSplitK_hf_sml_I6__halfLi64ELi3ELi16ELi8ELi2ELi3EEviiiiiiPKT_S3_S3_PS1_ii,"axG",@progbits,_Z16wvSplitK_hf_sml_I6__halfLi64ELi3ELi16ELi8ELi2ELi3EEviiiiiiPKT_S3_S3_PS1_ii,comdat
	.protected	_Z16wvSplitK_hf_sml_I6__halfLi64ELi3ELi16ELi8ELi2ELi3EEviiiiiiPKT_S3_S3_PS1_ii ; -- Begin function _Z16wvSplitK_hf_sml_I6__halfLi64ELi3ELi16ELi8ELi2ELi3EEviiiiiiPKT_S3_S3_PS1_ii
	.globl	_Z16wvSplitK_hf_sml_I6__halfLi64ELi3ELi16ELi8ELi2ELi3EEviiiiiiPKT_S3_S3_PS1_ii
	.p2align	8
	.type	_Z16wvSplitK_hf_sml_I6__halfLi64ELi3ELi16ELi8ELi2ELi3EEviiiiiiPKT_S3_S3_PS1_ii,@function
_Z16wvSplitK_hf_sml_I6__halfLi64ELi3ELi16ELi8ELi2ELi3EEviiiiiiPKT_S3_S3_PS1_ii: ; @_Z16wvSplitK_hf_sml_I6__halfLi64ELi3ELi16ELi8ELi2ELi3EEviiiiiiPKT_S3_S3_PS1_ii
; %bb.0:
	s_clause 0x2
	s_load_b128 s[4:7], s[0:1], 0x0
	s_load_b64 s[8:9], s[0:1], 0x10
	s_load_b64 s[10:11], s[0:1], 0x28
	v_and_b32_e32 v3, 0x3ff, v0
	v_bfe_u32 v0, v0, 10, 10
	s_mov_b32 s12, exec_lo
	s_delay_alu instid0(VALU_DEP_2) | instskip(NEXT) | instid1(VALU_DEP_1)
	v_lshlrev_b32_e32 v60, 3, v3
	v_lshl_add_u32 v4, v0, 9, v60
	s_waitcnt lgkmcnt(0)
	s_mul_i32 s2, s6, 3
	s_delay_alu instid0(SALU_CYCLE_1)
	s_min_u32 s3, s2, 0x8000
	s_delay_alu instid0(VALU_DEP_1) | instid1(SALU_CYCLE_1)
	v_cmpx_gt_u32_e64 s3, v4
	s_cbranch_execz .LBB89_3
; %bb.1:
	s_load_b64 s[16:17], s[0:1], 0x20
	v_lshlrev_b32_e32 v5, 10, v0
	v_lshlrev_b32_e32 v6, 4, v3
	s_mov_b32 s13, 0
	s_delay_alu instid0(VALU_DEP_1) | instskip(NEXT) | instid1(VALU_DEP_1)
	v_add_co_u32 v1, s2, v5, v6
	v_add_co_ci_u32_e64 v2, null, 0, 0, s2
	v_add_nc_u32_e32 v5, v5, v6
	s_waitcnt lgkmcnt(0)
	s_delay_alu instid0(VALU_DEP_3) | instskip(NEXT) | instid1(VALU_DEP_3)
	v_add_co_u32 v1, vcc_lo, s16, v1
	v_add_co_ci_u32_e32 v2, vcc_lo, s17, v2, vcc_lo
	.p2align	6
.LBB89_2:                               ; =>This Inner Loop Header: Depth=1
	global_load_b128 v[6:9], v[1:2], off
	v_add_nc_u32_e32 v4, 0x2000, v4
	v_add_co_u32 v1, vcc_lo, 0x4000, v1
	v_add_co_ci_u32_e32 v2, vcc_lo, 0, v2, vcc_lo
	s_delay_alu instid0(VALU_DEP_3) | instskip(NEXT) | instid1(VALU_DEP_1)
	v_cmp_le_u32_e64 s2, s3, v4
	s_or_b32 s13, s2, s13
	s_waitcnt vmcnt(0)
	ds_store_b128 v5, v[6:9]
	v_add_nc_u32_e32 v5, 0x4000, v5
	s_and_not1_b32 exec_lo, exec_lo, s13
	s_cbranch_execnz .LBB89_2
.LBB89_3:
	s_or_b32 exec_lo, exec_lo, s12
	s_load_b64 s[16:17], s[0:1], 0x38
	s_waitcnt lgkmcnt(0)
	s_barrier
	buffer_gl0_inv
	s_mov_b32 s2, exec_lo
	v_cmpx_gt_u32_e64 s16, v0
	s_cbranch_execz .LBB89_20
; %bb.4:
	v_mad_u64_u32 v[1:2], null, s15, s16, v[0:1]
	s_delay_alu instid0(VALU_DEP_1) | instskip(NEXT) | instid1(VALU_DEP_1)
	v_lshl_add_u32 v40, v1, 1, v1
	v_cmp_gt_u32_e32 vcc_lo, s7, v40
	s_and_b32 exec_lo, exec_lo, vcc_lo
	s_cbranch_execz .LBB89_20
; %bb.5:
	s_cmp_lg_u32 s4, 0
	v_cvt_f32_u32_e32 v1, s8
	s_cselect_b32 s14, -1, 0
	s_add_i32 s15, s4, -8
	s_add_i32 s18, s7, -1
	s_cmp_lg_u64 s[10:11], 0
	v_rcp_iflag_f32_e32 v1, v1
	s_cselect_b32 s19, -1, 0
	s_abs_i32 s20, s9
	s_mul_i32 s9, s16, s17
	v_cvt_f32_u32_e32 v0, s20
	s_sub_i32 s17, 0, s20
	s_sub_i32 s21, 0, s8
	;; [unrolled: 1-line block ×3, first 2 shown]
	s_clause 0x1
	s_load_b64 s[2:3], s[0:1], 0x18
	s_load_b64 s[12:13], s[0:1], 0x30
	v_rcp_iflag_f32_e32 v0, v0
	v_cmp_eq_u32_e64 s0, 63, v3
	v_mbcnt_lo_u32_b32 v62, -1, 0
	s_mov_b32 s1, 0
	s_mul_i32 s9, s9, 3
	s_waitcnt_depctr 0xfff
	v_dual_mul_f32 v0, 0x4f7ffffe, v0 :: v_dual_lshlrev_b32 v61, 4, v3
	s_delay_alu instid0(VALU_DEP_1) | instskip(NEXT) | instid1(VALU_DEP_1)
	v_cvt_u32_f32_e32 v0, v0
	v_readfirstlane_b32 s16, v0
	v_mul_f32_e32 v0, 0x4f7ffffe, v1
	s_delay_alu instid0(VALU_DEP_2) | instskip(NEXT) | instid1(VALU_DEP_1)
	s_mul_i32 s17, s17, s16
	v_cvt_u32_f32_e32 v0, v0
	s_mul_hi_u32 s17, s16, s17
	s_delay_alu instid0(SALU_CYCLE_1) | instskip(SKIP_1) | instid1(VALU_DEP_1)
	s_add_i32 s16, s16, s17
	s_cmp_lt_u32 s20, 2
	v_mul_lo_u32 v1, s21, v0
	s_cselect_b32 s17, s22, 1
	s_delay_alu instid0(SALU_CYCLE_1) | instskip(SKIP_3) | instid1(VALU_DEP_1)
	s_sub_i32 s21, s17, s20
	s_cmp_ge_u32 s17, s20
	s_cselect_b32 s17, s21, s17
	s_lshr_b32 s16, s16, 31
	v_mul_hi_u32 v1, v0, v1
	s_mul_i32 s16, s16, s20
	v_mov_b32_e32 v42, 0
	s_sub_i32 s16, 2, s16
	s_delay_alu instid0(SALU_CYCLE_1) | instskip(SKIP_1) | instid1(VALU_DEP_2)
	s_sub_i32 s21, s16, s20
	s_cmp_ge_u32 s16, s20
	v_add_nc_u32_e32 v63, v0, v1
	s_cselect_b32 s21, s21, s16
	s_mul_i32 s16, s17, s8
	s_sub_i32 s22, s21, s20
	s_cmp_ge_u32 s21, s20
	s_cselect_b32 s20, s22, s21
	s_lshl_b32 s17, s6, 2
	s_mul_i32 s20, s20, s8
	s_lshl_b32 s6, s6, 1
	s_branch .LBB89_8
.LBB89_6:                               ;   in Loop: Header=BB89_8 Depth=1
	s_waitcnt lgkmcnt(0)
	v_dual_add_f32 v3, v3, v7 :: v_dual_add_f32 v4, v0, v4
	s_waitcnt vmcnt(8)
	v_cvt_f32_f16_e32 v7, v26
	v_dual_add_f32 v5, v1, v5 :: v_dual_add_f32 v6, v2, v6
	v_add_f32_e32 v13, v13, v17
	v_lshlrev_b64 v[0:1], 1, v[40:41]
	s_delay_alu instid0(VALU_DEP_4)
	v_dual_add_f32 v2, v3, v7 :: v_dual_add_f32 v7, v12, v16
	v_add_f32_e32 v10, v10, v14
	s_waitcnt vmcnt(6)
	v_cvt_f32_f16_e32 v14, v24
	v_add_nc_u32_e32 v41, s7, v40
	v_cvt_f16_f32_e32 v12, v2
	v_cvt_f32_f16_e32 v2, v25
	v_add_co_u32 v0, vcc_lo, s12, v0
	v_add_co_ci_u32_e32 v1, vcc_lo, s13, v1, vcc_lo
	s_delay_alu instid0(VALU_DEP_3)
	v_dual_add_f32 v11, v11, v15 :: v_dual_add_f32 v4, v4, v2
	v_lshlrev_b64 v[2:3], 1, v[45:46]
	global_store_b16 v[0:1], v12, off
	v_lshlrev_b64 v[0:1], 1, v[43:44]
	v_add_f32_e32 v5, v5, v14
	v_add_f32_e32 v15, v8, v9
	s_waitcnt vmcnt(5)
	v_cvt_f32_f16_e32 v8, v23
	v_add_co_u32 v2, vcc_lo, s12, v2
	v_add_co_ci_u32_e32 v3, vcc_lo, s13, v3, vcc_lo
	s_delay_alu instid0(VALU_DEP_3)
	v_add_f32_e32 v6, v6, v8
	v_add_co_u32 v0, vcc_lo, s12, v0
	v_cvt_f16_f32_e32 v4, v4
	v_cvt_f16_f32_e32 v5, v5
	v_add_co_ci_u32_e32 v1, vcc_lo, s13, v1, vcc_lo
	s_waitcnt vmcnt(4)
	v_cvt_f32_f16_e32 v8, v22
	s_clause 0x1
	global_store_b16 v[2:3], v4, off
	global_store_b16 v[0:1], v5, off
	s_waitcnt vmcnt(3)
	v_cvt_f32_f16_e32 v5, v21
	v_cvt_f16_f32_e32 v12, v6
	v_dual_add_f32 v4, v13, v8 :: v_dual_mov_b32 v3, v42
	s_delay_alu instid0(VALU_DEP_3)
	v_add_f32_e32 v6, v7, v5
	v_add_nc_u32_e32 v2, 1, v41
	s_waitcnt vmcnt(2)
	v_cvt_f32_f16_e32 v7, v20
	v_lshlrev_b64 v[0:1], 1, v[41:42]
	v_cvt_f16_f32_e32 v13, v4
	v_dual_mov_b32 v5, v42 :: v_dual_add_nc_u32 v4, 2, v41
	s_delay_alu instid0(VALU_DEP_4)
	v_dual_add_f32 v8, v10, v7 :: v_dual_add_nc_u32 v41, s7, v41
	v_lshlrev_b64 v[2:3], 1, v[2:3]
	s_waitcnt vmcnt(1)
	v_cvt_f32_f16_e32 v10, v19
	v_add_co_u32 v0, vcc_lo, s12, v0
	v_lshlrev_b64 v[4:5], 1, v[4:5]
	v_cvt_f16_f32_e32 v14, v6
	v_dual_mov_b32 v7, v42 :: v_dual_add_nc_u32 v6, 1, v41
	v_add_co_ci_u32_e32 v1, vcc_lo, s13, v1, vcc_lo
	v_add_co_u32 v2, vcc_lo, s12, v2
	v_cvt_f16_f32_e32 v16, v8
	v_lshlrev_b64 v[8:9], 1, v[41:42]
	v_dual_add_f32 v10, v11, v10 :: v_dual_add_nc_u32 v41, 2, v41
	s_waitcnt vmcnt(0)
	v_cvt_f32_f16_e32 v11, v18
	v_add_co_ci_u32_e32 v3, vcc_lo, s13, v3, vcc_lo
	v_add_co_u32 v4, vcc_lo, s12, v4
	v_lshlrev_b64 v[6:7], 1, v[6:7]
	v_add_co_ci_u32_e32 v5, vcc_lo, s13, v5, vcc_lo
	v_add_co_u32 v8, vcc_lo, s12, v8
	v_cvt_f16_f32_e32 v17, v10
	v_add_f32_e32 v15, v15, v11
	v_lshlrev_b64 v[10:11], 1, v[41:42]
	v_add_co_ci_u32_e32 v9, vcc_lo, s13, v9, vcc_lo
	v_add_co_u32 v6, vcc_lo, s12, v6
	v_add_co_ci_u32_e32 v7, vcc_lo, s13, v7, vcc_lo
	s_delay_alu instid0(VALU_DEP_4)
	v_add_co_u32 v10, vcc_lo, s12, v10
	v_cvt_f16_f32_e32 v15, v15
	v_add_co_ci_u32_e32 v11, vcc_lo, s13, v11, vcc_lo
	s_clause 0x5
	global_store_b16 v[0:1], v12, off
	global_store_b16 v[2:3], v13, off
	;; [unrolled: 1-line block ×6, first 2 shown]
.LBB89_7:                               ;   in Loop: Header=BB89_8 Depth=1
	s_or_b32 exec_lo, exec_lo, s21
	v_add_nc_u32_e32 v40, s9, v40
	s_delay_alu instid0(VALU_DEP_1) | instskip(SKIP_1) | instid1(SALU_CYCLE_1)
	v_cmp_le_u32_e32 vcc_lo, s7, v40
	s_or_b32 s1, vcc_lo, s1
	s_and_not1_b32 exec_lo, exec_lo, s1
	s_cbranch_execz .LBB89_20
.LBB89_8:                               ; =>This Loop Header: Depth=1
                                        ;     Child Loop BB89_12 Depth 2
	v_dual_mov_b32 v70, v42 :: v_dual_add_nc_u32 v45, 1, v40
	v_dual_mov_b32 v68, v42 :: v_dual_add_nc_u32 v43, 2, v40
	v_mov_b32_e32 v71, v42
	v_mov_b32_e32 v69, v42
	;; [unrolled: 1-line block ×7, first 2 shown]
	s_and_not1_b32 vcc_lo, exec_lo, s14
	s_cbranch_vccnz .LBB89_15
; %bb.9:                                ;   in Loop: Header=BB89_8 Depth=1
	v_min_u32_e32 v0, s18, v40
	v_min_u32_e32 v1, s18, v45
	;; [unrolled: 1-line block ×3, first 2 shown]
	v_dual_mov_b32 v3, v42 :: v_dual_mov_b32 v72, v61
	s_delay_alu instid0(VALU_DEP_4) | instskip(NEXT) | instid1(VALU_DEP_4)
	v_mul_lo_u32 v41, v0, s5
	v_mul_lo_u32 v0, v1, s5
	s_delay_alu instid0(VALU_DEP_4) | instskip(SKIP_4) | instid1(VALU_DEP_4)
	v_mul_lo_u32 v2, v2, s5
	v_dual_mov_b32 v1, v42 :: v_dual_mov_b32 v44, 0
	v_dual_mov_b32 v64, 0 :: v_dual_mov_b32 v65, 0
	v_dual_mov_b32 v66, 0 :: v_dual_mov_b32 v67, 0
	v_lshlrev_b64 v[46:47], 1, v[41:42]
	v_lshlrev_b64 v[48:49], 1, v[0:1]
	;; [unrolled: 1-line block ×3, first 2 shown]
	v_dual_mov_b32 v68, 0 :: v_dual_mov_b32 v69, 0
	v_dual_mov_b32 v70, 0 :: v_dual_mov_b32 v71, 0
	s_mov_b32 s21, 0
	s_branch .LBB89_12
.LBB89_10:                              ;   in Loop: Header=BB89_12 Depth=2
	s_or_b32 exec_lo, exec_lo, s23
.LBB89_11:                              ;   in Loop: Header=BB89_12 Depth=2
	s_delay_alu instid0(SALU_CYCLE_1)
	s_or_b32 exec_lo, exec_lo, s22
	s_waitcnt vmcnt(5) lgkmcnt(1)
	;;#ASMSTART
	v_dot2_f32_f16 v71, v36, v28, v71
	;;#ASMEND
	s_waitcnt vmcnt(4)
	;;#ASMSTART
	v_dot2_f32_f16 v70, v36, v24, v70
	;;#ASMEND
	s_waitcnt vmcnt(3)
	;;#ASMSTART
	v_dot2_f32_f16 v69, v36, v16, v69
	;;#ASMEND
	;;#ASMSTART
	v_dot2_f32_f16 v68, v32, v28, v68
	;;#ASMEND
	;; [unrolled: 3-line block ×22, first 2 shown]
	s_waitcnt lgkmcnt(0)
	;;#ASMSTART
	v_dot2_f32_f16 v44, v58, v30, v44
	;;#ASMEND
	;;#ASMSTART
	v_dot2_f32_f16 v64, v58, v26, v64
	;;#ASMEND
	;; [unrolled: 3-line block ×3, first 2 shown]
	v_add_nc_u32_e32 v72, 0x800, v72
	;;#ASMSTART
	v_dot2_f32_f16 v71, v39, v31, v71
	;;#ASMEND
	;;#ASMSTART
	v_dot2_f32_f16 v70, v39, v27, v70
	;;#ASMEND
	;; [unrolled: 3-line block ×9, first 2 shown]
	s_addk_i32 s21, 0x400
	s_waitcnt vmcnt(2)
	;;#ASMSTART
	v_dot2_f32_f16 v71, v20, v8, v71
	;;#ASMEND
	s_waitcnt vmcnt(1)
	;;#ASMSTART
	v_dot2_f32_f16 v70, v20, v4, v70
	;;#ASMEND
	;; [unrolled: 4-line block ×3, first 2 shown]
	;;#ASMSTART
	v_dot2_f32_f16 v68, v12, v8, v68
	;;#ASMEND
	;;#ASMSTART
	v_dot2_f32_f16 v67, v12, v4, v67
	;;#ASMEND
	;; [unrolled: 3-line block ×15, first 2 shown]
	s_cmp_ge_u32 s21, s4
	;;#ASMSTART
	v_dot2_f32_f16 v71, v22, v10, v71
	;;#ASMEND
	;;#ASMSTART
	v_dot2_f32_f16 v70, v22, v6, v70
	;;#ASMEND
	;;#ASMSTART
	v_dot2_f32_f16 v69, v22, v2, v69
	;;#ASMEND
	;;#ASMSTART
	v_dot2_f32_f16 v68, v14, v10, v68
	;;#ASMEND
	;;#ASMSTART
	v_dot2_f32_f16 v67, v14, v6, v67
	;;#ASMEND
	;;#ASMSTART
	v_dot2_f32_f16 v66, v14, v2, v66
	;;#ASMEND
	;;#ASMSTART
	v_dot2_f32_f16 v44, v52, v10, v44
	;;#ASMEND
	;;#ASMSTART
	v_dot2_f32_f16 v64, v52, v6, v64
	;;#ASMEND
	;;#ASMSTART
	v_dot2_f32_f16 v65, v52, v2, v65
	;;#ASMEND
	;;#ASMSTART
	v_dot2_f32_f16 v71, v23, v11, v71
	;;#ASMEND
	;;#ASMSTART
	v_dot2_f32_f16 v70, v23, v7, v70
	;;#ASMEND
	;;#ASMSTART
	v_dot2_f32_f16 v69, v23, v3, v69
	;;#ASMEND
	;;#ASMSTART
	v_dot2_f32_f16 v68, v15, v11, v68
	;;#ASMEND
	;;#ASMSTART
	v_dot2_f32_f16 v67, v15, v7, v67
	;;#ASMEND
	;;#ASMSTART
	v_dot2_f32_f16 v66, v15, v3, v66
	;;#ASMEND
	;;#ASMSTART
	v_dot2_f32_f16 v44, v53, v11, v44
	;;#ASMEND
	;;#ASMSTART
	v_dot2_f32_f16 v64, v53, v7, v64
	;;#ASMEND
	;;#ASMSTART
	v_dot2_f32_f16 v65, v53, v3, v65
	;;#ASMEND
	s_cbranch_scc1 .LBB89_15
.LBB89_12:                              ;   Parent Loop BB89_8 Depth=1
                                        ; =>  This Inner Loop Header: Depth=2
	v_dual_mov_b32 v37, 0 :: v_dual_add_nc_u32 v20, s21, v60
	v_dual_mov_b32 v38, 0 :: v_dual_mov_b32 v39, 0
	v_dual_mov_b32 v22, 0 :: v_dual_mov_b32 v23, 0
	s_delay_alu instid0(VALU_DEP_3) | instskip(SKIP_2) | instid1(VALU_DEP_3)
	v_min_u32_e32 v41, s15, v20
	v_dual_mov_b32 v36, 0 :: v_dual_add_nc_u32 v73, 0x200, v20
	v_dual_mov_b32 v32, 0 :: v_dual_mov_b32 v33, 0
	v_lshlrev_b64 v[0:1], 1, v[41:42]
	s_delay_alu instid0(VALU_DEP_3) | instskip(SKIP_3) | instid1(VALU_DEP_4)
	v_min_u32_e32 v41, s15, v73
	v_dual_mov_b32 v34, 0 :: v_dual_mov_b32 v35, 0
	v_dual_mov_b32 v56, 0 :: v_dual_mov_b32 v57, 0
	s_waitcnt lgkmcnt(0)
	v_add_co_u32 v6, vcc_lo, s2, v0
	v_add_co_ci_u32_e32 v7, vcc_lo, s3, v1, vcc_lo
	v_lshlrev_b64 v[0:1], 1, v[41:42]
	s_delay_alu instid0(VALU_DEP_3) | instskip(NEXT) | instid1(VALU_DEP_3)
	v_add_co_u32 v2, vcc_lo, v6, v46
	v_add_co_ci_u32_e32 v3, vcc_lo, v7, v47, vcc_lo
	v_add_co_u32 v4, vcc_lo, v6, v48
	v_add_co_ci_u32_e32 v5, vcc_lo, v7, v49, vcc_lo
	;; [unrolled: 2-line block ×4, first 2 shown]
	s_delay_alu instid0(VALU_DEP_4) | instskip(NEXT) | instid1(VALU_DEP_4)
	v_add_co_u32 v6, vcc_lo, v8, v46
	v_add_co_ci_u32_e32 v7, vcc_lo, v9, v47, vcc_lo
	v_add_co_u32 v12, vcc_lo, v8, v48
	v_add_co_ci_u32_e32 v13, vcc_lo, v9, v49, vcc_lo
	;; [unrolled: 2-line block ×3, first 2 shown]
	s_clause 0x5
	global_load_b128 v[28:31], v[2:3], off slc dlc
	global_load_b128 v[24:27], v[4:5], off slc dlc
	;; [unrolled: 1-line block ×6, first 2 shown]
	v_cmp_gt_u32_e32 vcc_lo, s4, v20
	v_dual_mov_b32 v20, 0 :: v_dual_mov_b32 v21, 0
	v_dual_mov_b32 v12, 0 :: v_dual_mov_b32 v13, 0
	;; [unrolled: 1-line block ×6, first 2 shown]
	s_and_saveexec_b32 s22, vcc_lo
	s_cbranch_execz .LBB89_11
; %bb.13:                               ;   in Loop: Header=BB89_12 Depth=2
	v_dual_mov_b32 v52, 0 :: v_dual_add_nc_u32 v41, s6, v72
	v_dual_mov_b32 v53, 0 :: v_dual_add_nc_u32 v74, s17, v72
	v_dual_mov_b32 v55, 0 :: v_dual_mov_b32 v54, 0
	ds_load_b128 v[32:35], v41
	ds_load_2addr_b32 v[56:57], v74 offset1:1
	ds_load_b128 v[36:39], v72
	ds_load_2addr_b32 v[58:59], v74 offset0:2 offset1:3
	v_dual_mov_b32 v15, 0 :: v_dual_mov_b32 v14, 0
	v_dual_mov_b32 v13, 0 :: v_dual_mov_b32 v12, 0
	;; [unrolled: 1-line block ×4, first 2 shown]
	s_mov_b32 s23, exec_lo
	v_cmpx_gt_u32_e64 s4, v73
	s_cbranch_execz .LBB89_10
; %bb.14:                               ;   in Loop: Header=BB89_12 Depth=2
	v_add_nc_u32_e32 v20, 0x400, v74
	v_add_nc_u32_e32 v52, 0x408, v74
	ds_load_b128 v[12:15], v41 offset:1024
	ds_load_2addr_b32 v[54:55], v20 offset1:1
	ds_load_b128 v[20:23], v72 offset:1024
	ds_load_2addr_b32 v[52:53], v52 offset1:1
	s_branch .LBB89_10
.LBB89_15:                              ;   in Loop: Header=BB89_8 Depth=1
	; sched_barrier mask(0x00000000)
	v_cvt_i32_f32_e32 v0, v71
	v_cvt_i32_f32_e32 v1, v70
	;; [unrolled: 1-line block ×4, first 2 shown]
	v_xor_b32_e32 v8, 16, v62
	v_cvt_f32_i32_dpp v0, v0 row_shr:8 row_mask:0xf bank_mask:0xf bound_ctrl:1
	v_cvt_f32_i32_dpp v1, v1 row_shr:8 row_mask:0xf bank_mask:0xf bound_ctrl:1
	v_cvt_f32_i32_dpp v2, v2 row_shr:8 row_mask:0xf bank_mask:0xf bound_ctrl:1
	v_cvt_f32_i32_dpp v3, v3 row_shr:8 row_mask:0xf bank_mask:0xf bound_ctrl:1
	s_waitcnt lgkmcnt(0)
	v_cvt_i32_f32_e32 v9, v67
	v_dual_add_f32 v0, v71, v0 :: v_dual_add_f32 v1, v70, v1
	s_delay_alu instid0(VALU_DEP_3) | instskip(SKIP_1) | instid1(VALU_DEP_3)
	v_dual_add_f32 v2, v69, v2 :: v_dual_add_f32 v3, v68, v3
	v_cvt_i32_f32_e32 v11, v44
	v_cvt_i32_f32_e32 v4, v0
	s_delay_alu instid0(VALU_DEP_4) | instskip(NEXT) | instid1(VALU_DEP_4)
	v_cvt_i32_f32_e32 v5, v1
	v_cvt_i32_f32_e32 v6, v2
	v_cvt_i32_f32_e32 v7, v3
	v_cmp_gt_i32_e32 vcc_lo, 32, v8
	v_cvt_f32_i32_dpp v4, v4 row_shr:4 row_mask:0xf bank_mask:0xf bound_ctrl:1
	v_cvt_f32_i32_dpp v5, v5 row_shr:4 row_mask:0xf bank_mask:0xf bound_ctrl:1
	;; [unrolled: 1-line block ×5, first 2 shown]
	s_delay_alu instid0(VALU_DEP_4) | instskip(NEXT) | instid1(VALU_DEP_3)
	v_dual_add_f32 v0, v0, v4 :: v_dual_add_f32 v1, v1, v5
	v_dual_add_f32 v2, v2, v6 :: v_dual_add_f32 v3, v3, v7
	s_delay_alu instid0(VALU_DEP_3) | instskip(NEXT) | instid1(VALU_DEP_3)
	v_dual_cndmask_b32 v8, v62, v8 :: v_dual_add_f32 v9, v67, v9
	v_cvt_i32_f32_e32 v4, v0
	s_delay_alu instid0(VALU_DEP_4) | instskip(NEXT) | instid1(VALU_DEP_4)
	v_cvt_i32_f32_e32 v5, v1
	v_cvt_i32_f32_e32 v7, v3
	;; [unrolled: 1-line block ×3, first 2 shown]
	v_cvt_f32_i32_dpp v11, v11 row_shr:8 row_mask:0xf bank_mask:0xf bound_ctrl:1
	v_cvt_f32_i32_dpp v4, v4 row_shr:2 row_mask:0xf bank_mask:0xf bound_ctrl:1
	;; [unrolled: 1-line block ×5, first 2 shown]
	v_dual_add_f32 v11, v44, v11 :: v_dual_lshlrev_b32 v18, 2, v8
	s_delay_alu instid0(VALU_DEP_4) | instskip(NEXT) | instid1(VALU_DEP_4)
	v_dual_add_f32 v0, v0, v4 :: v_dual_add_f32 v1, v1, v5
	v_add_f32_e32 v4, v3, v7
	v_cvt_i32_f32_e32 v13, v9
	s_delay_alu instid0(VALU_DEP_4) | instskip(NEXT) | instid1(VALU_DEP_4)
	v_cvt_i32_f32_e32 v15, v11
	v_cvt_i32_f32_e32 v3, v0
	;; [unrolled: 1-line block ×4, first 2 shown]
	v_cvt_f32_i32_dpp v13, v13 row_shr:4 row_mask:0xf bank_mask:0xf bound_ctrl:1
	v_cvt_f32_i32_dpp v15, v15 row_shr:4 row_mask:0xf bank_mask:0xf bound_ctrl:1
	;; [unrolled: 1-line block ×3, first 2 shown]
	v_add_f32_e32 v2, v2, v6
	v_cvt_f32_i32_dpp v5, v5 row_shr:1 row_mask:0xf bank_mask:0xf bound_ctrl:1
	v_cvt_i32_f32_e32 v12, v64
	v_add_f32_e32 v11, v11, v15
	v_add_f32_e32 v3, v0, v3
	v_cvt_i32_f32_e32 v6, v2
	v_add_f32_e32 v0, v1, v5
	v_cvt_f32_i32_dpp v10, v10 row_shr:8 row_mask:0xf bank_mask:0xf bound_ctrl:1
	v_cvt_f32_i32_dpp v12, v12 row_shr:8 row_mask:0xf bank_mask:0xf bound_ctrl:1
	v_cvt_i32_f32_e32 v15, v11
	v_cvt_f32_i32_dpp v6, v6 row_shr:1 row_mask:0xf bank_mask:0xf bound_ctrl:1
	v_cvt_i32_f32_e32 v8, v65
	v_add_f32_e32 v9, v9, v13
	s_delay_alu instid0(VALU_DEP_4) | instskip(NEXT) | instid1(VALU_DEP_4)
	v_cvt_f32_i32_dpp v15, v15 row_shr:2 row_mask:0xf bank_mask:0xf bound_ctrl:1
	v_add_f32_e32 v1, v2, v6
	v_cvt_i32_f32_e32 v7, v4
	v_add_f32_e32 v12, v64, v12
	v_cvt_f32_i32_dpp v8, v8 row_shr:8 row_mask:0xf bank_mask:0xf bound_ctrl:1
	v_add_f32_e32 v11, v11, v15
	ds_bpermute_b32 v5, v18, v1
	v_cvt_f32_i32_dpp v7, v7 row_shr:1 row_mask:0xf bank_mask:0xf bound_ctrl:1
	v_cvt_i32_f32_e32 v16, v12
	v_add_f32_e32 v8, v65, v8
	v_cvt_i32_f32_e32 v15, v11
	v_cvt_i32_f32_e32 v13, v9
	v_add_f32_e32 v2, v4, v7
	v_cvt_f32_i32_dpp v16, v16 row_shr:4 row_mask:0xf bank_mask:0xf bound_ctrl:1
	v_cvt_i32_f32_e32 v17, v8
	v_cvt_f32_i32_dpp v15, v15 row_shr:1 row_mask:0xf bank_mask:0xf bound_ctrl:1
	ds_bpermute_b32 v7, v18, v3
	ds_bpermute_b32 v4, v18, v0
	v_cvt_f32_i32_dpp v13, v13 row_shr:2 row_mask:0xf bank_mask:0xf bound_ctrl:1
	v_add_f32_e32 v10, v66, v10
	v_add_f32_e32 v12, v12, v16
	v_cvt_f32_i32_dpp v17, v17 row_shr:4 row_mask:0xf bank_mask:0xf bound_ctrl:1
	ds_bpermute_b32 v6, v18, v2
	v_add_f32_e32 v9, v9, v13
	v_cvt_i32_f32_e32 v14, v10
	v_cvt_i32_f32_e32 v16, v12
	s_delay_alu instid0(VALU_DEP_2) | instskip(NEXT) | instid1(VALU_DEP_2)
	v_cvt_f32_i32_dpp v14, v14 row_shr:4 row_mask:0xf bank_mask:0xf bound_ctrl:1
	v_cvt_f32_i32_dpp v16, v16 row_shr:2 row_mask:0xf bank_mask:0xf bound_ctrl:1
	s_delay_alu instid0(VALU_DEP_2) | instskip(NEXT) | instid1(VALU_DEP_1)
	v_add_f32_e32 v10, v10, v14
	v_cvt_i32_f32_e32 v14, v10
	s_delay_alu instid0(VALU_DEP_1) | instskip(NEXT) | instid1(VALU_DEP_1)
	v_cvt_f32_i32_dpp v14, v14 row_shr:2 row_mask:0xf bank_mask:0xf bound_ctrl:1
	v_add_f32_e32 v10, v10, v14
	v_add_f32_e32 v14, v12, v16
	v_cvt_i32_f32_e32 v12, v9
	s_delay_alu instid0(VALU_DEP_3) | instskip(NEXT) | instid1(VALU_DEP_3)
	v_cvt_i32_f32_e32 v13, v10
	v_cvt_i32_f32_e32 v16, v14
	s_delay_alu instid0(VALU_DEP_3) | instskip(NEXT) | instid1(VALU_DEP_3)
	v_cvt_f32_i32_dpp v12, v12 row_shr:1 row_mask:0xf bank_mask:0xf bound_ctrl:1
	v_cvt_f32_i32_dpp v19, v13 row_shr:1 row_mask:0xf bank_mask:0xf bound_ctrl:1
	s_delay_alu instid0(VALU_DEP_3) | instskip(NEXT) | instid1(VALU_DEP_3)
	v_cvt_f32_i32_dpp v16, v16 row_shr:1 row_mask:0xf bank_mask:0xf bound_ctrl:1
	v_dual_add_f32 v13, v9, v12 :: v_dual_add_f32 v8, v8, v17
	s_delay_alu instid0(VALU_DEP_3) | instskip(NEXT) | instid1(VALU_DEP_3)
	v_add_f32_e32 v12, v10, v19
	v_dual_add_f32 v10, v11, v15 :: v_dual_add_f32 v11, v14, v16
	s_delay_alu instid0(VALU_DEP_3) | instskip(SKIP_4) | instid1(VALU_DEP_1)
	v_cvt_i32_f32_e32 v17, v8
	ds_bpermute_b32 v16, v18, v12
	ds_bpermute_b32 v14, v18, v10
	;; [unrolled: 1-line block ×3, first 2 shown]
	v_cvt_f32_i32_dpp v17, v17 row_shr:2 row_mask:0xf bank_mask:0xf bound_ctrl:1
	v_add_f32_e32 v8, v8, v17
	s_delay_alu instid0(VALU_DEP_1) | instskip(NEXT) | instid1(VALU_DEP_1)
	v_cvt_i32_f32_e32 v17, v8
	v_cvt_f32_i32_dpp v17, v17 row_shr:1 row_mask:0xf bank_mask:0xf bound_ctrl:1
	s_delay_alu instid0(VALU_DEP_1)
	v_add_f32_e32 v8, v8, v17
	ds_bpermute_b32 v17, v18, v13
	ds_bpermute_b32 v9, v18, v8
	s_and_saveexec_b32 s21, s0
	s_cbranch_execz .LBB89_7
; %bb.16:                               ;   in Loop: Header=BB89_8 Depth=1
	s_and_b32 vcc_lo, exec_lo, s19
	s_cbranch_vccz .LBB89_18
; %bb.17:                               ;   in Loop: Header=BB89_8 Depth=1
	v_mul_hi_u32 v18, v40, v63
	v_mul_hi_u32 v19, v45, v63
	;; [unrolled: 1-line block ×3, first 2 shown]
	v_mov_b32_e32 v44, v42
	v_mov_b32_e32 v33, v42
	;; [unrolled: 1-line block ×3, first 2 shown]
	v_mul_lo_u32 v18, v18, s8
	v_mul_lo_u32 v19, v19, s8
	;; [unrolled: 1-line block ×3, first 2 shown]
	s_delay_alu instid0(VALU_DEP_3) | instskip(NEXT) | instid1(VALU_DEP_3)
	v_sub_nc_u32_e32 v18, v40, v18
	v_sub_nc_u32_e32 v21, v45, v19
	s_delay_alu instid0(VALU_DEP_3) | instskip(NEXT) | instid1(VALU_DEP_3)
	v_sub_nc_u32_e32 v20, v43, v20
	v_subrev_nc_u32_e32 v22, s8, v18
	v_cmp_le_u32_e32 vcc_lo, s8, v18
	s_delay_alu instid0(VALU_DEP_4) | instskip(NEXT) | instid1(VALU_DEP_4)
	v_subrev_nc_u32_e32 v23, s8, v21
	v_subrev_nc_u32_e32 v24, s8, v20
	s_delay_alu instid0(VALU_DEP_4) | instskip(SKIP_1) | instid1(VALU_DEP_4)
	v_cndmask_b32_e32 v18, v18, v22, vcc_lo
	v_cmp_le_u32_e32 vcc_lo, s8, v21
	v_dual_mov_b32 v19, v42 :: v_dual_cndmask_b32 v22, v21, v23
	v_cmp_le_u32_e32 vcc_lo, s8, v20
	v_mov_b32_e32 v21, v42
	s_delay_alu instid0(VALU_DEP_3) | instskip(SKIP_3) | instid1(VALU_DEP_3)
	v_subrev_nc_u32_e32 v25, s8, v22
	v_cndmask_b32_e32 v20, v20, v24, vcc_lo
	v_subrev_nc_u32_e32 v24, s8, v18
	v_cmp_le_u32_e32 vcc_lo, s8, v18
	v_subrev_nc_u32_e32 v26, s8, v20
	s_delay_alu instid0(VALU_DEP_3) | instskip(SKIP_3) | instid1(VALU_DEP_2)
	v_cndmask_b32_e32 v41, v18, v24, vcc_lo
	v_cmp_le_u32_e32 vcc_lo, s8, v22
	v_cndmask_b32_e32 v18, v22, v25, vcc_lo
	v_cmp_le_u32_e32 vcc_lo, s8, v20
	v_dual_mov_b32 v23, v42 :: v_dual_add_nc_u32 v24, s16, v18
	v_cndmask_b32_e32 v20, v20, v26, vcc_lo
	v_lshlrev_b64 v[26:27], 1, v[41:42]
	v_lshlrev_b64 v[28:29], 1, v[18:19]
	v_dual_mov_b32 v25, v42 :: v_dual_add_nc_u32 v22, s16, v41
	s_delay_alu instid0(VALU_DEP_4)
	v_lshlrev_b64 v[30:31], 1, v[20:21]
	v_add_nc_u32_e32 v32, s16, v20
	v_add_co_u32 v26, vcc_lo, s10, v26
	v_add_co_ci_u32_e32 v27, vcc_lo, s11, v27, vcc_lo
	v_lshlrev_b64 v[21:22], 1, v[22:23]
	v_add_co_u32 v28, vcc_lo, s10, v28
	v_add_co_ci_u32_e32 v29, vcc_lo, s11, v29, vcc_lo
	v_add_co_u32 v30, vcc_lo, s10, v30
	v_lshlrev_b64 v[23:24], 1, v[24:25]
	v_add_co_ci_u32_e32 v31, vcc_lo, s11, v31, vcc_lo
	v_add_co_u32 v21, vcc_lo, s10, v21
	v_add_nc_u32_e32 v41, s20, v41
	v_add_co_ci_u32_e32 v22, vcc_lo, s11, v22, vcc_lo
	v_lshlrev_b64 v[32:33], 1, v[32:33]
	v_add_co_u32 v34, vcc_lo, s10, v23
	v_add_co_ci_u32_e32 v35, vcc_lo, s11, v24, vcc_lo
	v_lshlrev_b64 v[23:24], 1, v[41:42]
	v_add_nc_u32_e32 v41, s20, v18
	v_add_co_u32 v18, vcc_lo, s10, v32
	v_add_co_ci_u32_e32 v19, vcc_lo, s11, v33, vcc_lo
	s_delay_alu instid0(VALU_DEP_3) | instskip(SKIP_3) | instid1(VALU_DEP_3)
	v_lshlrev_b64 v[32:33], 1, v[41:42]
	v_add_nc_u32_e32 v41, s20, v20
	v_add_co_u32 v36, vcc_lo, s10, v23
	v_add_co_ci_u32_e32 v37, vcc_lo, s11, v24, vcc_lo
	v_lshlrev_b64 v[23:24], 1, v[41:42]
	v_add_co_u32 v32, vcc_lo, s10, v32
	v_add_co_ci_u32_e32 v33, vcc_lo, s11, v33, vcc_lo
	v_mov_b32_e32 v41, v42
	s_delay_alu instid0(VALU_DEP_4)
	v_add_co_u32 v38, vcc_lo, s10, v23
	v_add_co_ci_u32_e32 v39, vcc_lo, s11, v24, vcc_lo
	s_clause 0x8
	global_load_u16 v26, v[26:27], off
	global_load_u16 v25, v[28:29], off
	global_load_u16 v24, v[30:31], off
	global_load_u16 v23, v[21:22], off
	global_load_u16 v22, v[34:35], off
	global_load_u16 v21, v[18:19], off
	global_load_u16 v20, v[36:37], off
	global_load_u16 v19, v[32:33], off
	global_load_u16 v18, v[38:39], off
	s_cbranch_execnz .LBB89_6
	s_branch .LBB89_19
.LBB89_18:                              ;   in Loop: Header=BB89_8 Depth=1
                                        ; implicit-def: $vgpr18
                                        ; implicit-def: $vgpr19
                                        ; implicit-def: $vgpr20
                                        ; implicit-def: $vgpr21
                                        ; implicit-def: $vgpr22
                                        ; implicit-def: $vgpr23
                                        ; implicit-def: $vgpr24
                                        ; implicit-def: $vgpr25
                                        ; implicit-def: $vgpr26
.LBB89_19:                              ;   in Loop: Header=BB89_8 Depth=1
	s_waitcnt vmcnt(8)
	v_dual_mov_b32 v41, v42 :: v_dual_mov_b32 v26, 0
	s_waitcnt vmcnt(7)
	v_dual_mov_b32 v46, v42 :: v_dual_mov_b32 v25, 0
	;; [unrolled: 2-line block ×5, first 2 shown]
	v_mov_b32_e32 v20, 0
	s_waitcnt vmcnt(0)
	v_mov_b32_e32 v18, 0
	s_branch .LBB89_6
.LBB89_20:
	s_nop 0
	s_sendmsg sendmsg(MSG_DEALLOC_VGPRS)
	s_endpgm
	.section	.rodata,"a",@progbits
	.p2align	6, 0x0
	.amdhsa_kernel _Z16wvSplitK_hf_sml_I6__halfLi64ELi3ELi16ELi8ELi2ELi3EEviiiiiiPKT_S3_S3_PS1_ii
		.amdhsa_group_segment_fixed_size 65536
		.amdhsa_private_segment_fixed_size 0
		.amdhsa_kernarg_size 64
		.amdhsa_user_sgpr_count 15
		.amdhsa_user_sgpr_dispatch_ptr 0
		.amdhsa_user_sgpr_queue_ptr 0
		.amdhsa_user_sgpr_kernarg_segment_ptr 1
		.amdhsa_user_sgpr_dispatch_id 0
		.amdhsa_user_sgpr_private_segment_size 0
		.amdhsa_wavefront_size32 1
		.amdhsa_uses_dynamic_stack 0
		.amdhsa_enable_private_segment 0
		.amdhsa_system_sgpr_workgroup_id_x 1
		.amdhsa_system_sgpr_workgroup_id_y 0
		.amdhsa_system_sgpr_workgroup_id_z 0
		.amdhsa_system_sgpr_workgroup_info 0
		.amdhsa_system_vgpr_workitem_id 1
		.amdhsa_next_free_vgpr 75
		.amdhsa_next_free_sgpr 24
		.amdhsa_reserve_vcc 1
		.amdhsa_float_round_mode_32 0
		.amdhsa_float_round_mode_16_64 0
		.amdhsa_float_denorm_mode_32 3
		.amdhsa_float_denorm_mode_16_64 3
		.amdhsa_dx10_clamp 1
		.amdhsa_ieee_mode 1
		.amdhsa_fp16_overflow 0
		.amdhsa_workgroup_processor_mode 1
		.amdhsa_memory_ordered 1
		.amdhsa_forward_progress 0
		.amdhsa_shared_vgpr_count 0
		.amdhsa_exception_fp_ieee_invalid_op 0
		.amdhsa_exception_fp_denorm_src 0
		.amdhsa_exception_fp_ieee_div_zero 0
		.amdhsa_exception_fp_ieee_overflow 0
		.amdhsa_exception_fp_ieee_underflow 0
		.amdhsa_exception_fp_ieee_inexact 0
		.amdhsa_exception_int_div_zero 0
	.end_amdhsa_kernel
	.section	.text._Z16wvSplitK_hf_sml_I6__halfLi64ELi3ELi16ELi8ELi2ELi3EEviiiiiiPKT_S3_S3_PS1_ii,"axG",@progbits,_Z16wvSplitK_hf_sml_I6__halfLi64ELi3ELi16ELi8ELi2ELi3EEviiiiiiPKT_S3_S3_PS1_ii,comdat
.Lfunc_end89:
	.size	_Z16wvSplitK_hf_sml_I6__halfLi64ELi3ELi16ELi8ELi2ELi3EEviiiiiiPKT_S3_S3_PS1_ii, .Lfunc_end89-_Z16wvSplitK_hf_sml_I6__halfLi64ELi3ELi16ELi8ELi2ELi3EEviiiiiiPKT_S3_S3_PS1_ii
                                        ; -- End function
	.section	.AMDGPU.csdata,"",@progbits
; Kernel info:
; codeLenInByte = 4592
; NumSgprs: 26
; NumVgprs: 75
; ScratchSize: 0
; MemoryBound: 0
; FloatMode: 240
; IeeeMode: 1
; LDSByteSize: 65536 bytes/workgroup (compile time only)
; SGPRBlocks: 3
; VGPRBlocks: 9
; NumSGPRsForWavesPerEU: 26
; NumVGPRsForWavesPerEU: 75
; Occupancy: 16
; WaveLimiterHint : 0
; COMPUTE_PGM_RSRC2:SCRATCH_EN: 0
; COMPUTE_PGM_RSRC2:USER_SGPR: 15
; COMPUTE_PGM_RSRC2:TRAP_HANDLER: 0
; COMPUTE_PGM_RSRC2:TGID_X_EN: 1
; COMPUTE_PGM_RSRC2:TGID_Y_EN: 0
; COMPUTE_PGM_RSRC2:TGID_Z_EN: 0
; COMPUTE_PGM_RSRC2:TIDIG_COMP_CNT: 1
	.section	.text._Z12wvSplitK_hf_I6__halfLi64ELi3ELi16ELi8ELi2ELi3EEviiiiiiPKT_S3_S3_PS1_ii,"axG",@progbits,_Z12wvSplitK_hf_I6__halfLi64ELi3ELi16ELi8ELi2ELi3EEviiiiiiPKT_S3_S3_PS1_ii,comdat
	.protected	_Z12wvSplitK_hf_I6__halfLi64ELi3ELi16ELi8ELi2ELi3EEviiiiiiPKT_S3_S3_PS1_ii ; -- Begin function _Z12wvSplitK_hf_I6__halfLi64ELi3ELi16ELi8ELi2ELi3EEviiiiiiPKT_S3_S3_PS1_ii
	.globl	_Z12wvSplitK_hf_I6__halfLi64ELi3ELi16ELi8ELi2ELi3EEviiiiiiPKT_S3_S3_PS1_ii
	.p2align	8
	.type	_Z12wvSplitK_hf_I6__halfLi64ELi3ELi16ELi8ELi2ELi3EEviiiiiiPKT_S3_S3_PS1_ii,@function
_Z12wvSplitK_hf_I6__halfLi64ELi3ELi16ELi8ELi2ELi3EEviiiiiiPKT_S3_S3_PS1_ii: ; @_Z12wvSplitK_hf_I6__halfLi64ELi3ELi16ELi8ELi2ELi3EEviiiiiiPKT_S3_S3_PS1_ii
; %bb.0:
	s_clause 0x1
	s_load_b64 s[18:19], s[0:1], 0x38
	s_load_b128 s[4:7], s[0:1], 0x0
	v_bfe_u32 v1, v0, 10, 10
	s_mov_b32 s8, 1
	s_delay_alu instid0(SALU_CYCLE_1) | instskip(SKIP_1) | instid1(SALU_CYCLE_1)
	s_mov_b32 s9, s8
	s_mov_b32 s10, s8
	v_mov_b32_e32 v50, s10
	v_dual_mov_b32 v48, s8 :: v_dual_mov_b32 v49, s9
	s_waitcnt lgkmcnt(0)
	v_mad_u64_u32 v[2:3], null, s15, s18, v[1:2]
	s_clause 0x1
	s_load_b64 s[12:13], s[0:1], 0x20
	s_load_b64 s[14:15], s[0:1], 0x10
	s_delay_alu instid0(VALU_DEP_1) | instskip(NEXT) | instid1(VALU_DEP_1)
	v_lshl_add_u32 v51, v2, 1, v2
	v_add_nc_u32_e32 v2, 3, v51
	v_cmp_gt_u32_e32 vcc_lo, s7, v51
	s_delay_alu instid0(VALU_DEP_2) | instskip(NEXT) | instid1(VALU_DEP_1)
	v_cmp_le_u32_e64 s2, s7, v2
	s_and_b32 s2, vcc_lo, s2
	s_delay_alu instid0(SALU_CYCLE_1)
	s_and_saveexec_b32 s11, s2
	s_cbranch_execz .LBB90_6
; %bb.1:
	v_dual_mov_b32 v50, s10 :: v_dual_mov_b32 v49, s9
	v_mov_b32_e32 v48, s8
	s_add_i32 s16, s7, -3
	s_mov_b32 s17, exec_lo
	v_cmpx_ne_u32_e64 s16, v51
	s_cbranch_execz .LBB90_5
; %bb.2:
	v_subrev_nc_u32_e32 v2, s16, v51
	s_mov_b32 s20, 0
	s_mov_b64 s[2:3], 0
	s_mov_b32 s9, s8
	s_mov_b32 s10, s8
	v_cmp_lt_u32_e32 vcc_lo, 1, v2
	v_cndmask_b32_e32 v2, 1, v2, vcc_lo
.LBB90_3:                               ; =>This Inner Loop Header: Depth=1
	s_cmp_lg_u32 s2, 2
	s_cselect_b32 s10, s10, 0
	s_cmp_lg_u32 s2, 1
	s_cselect_b32 s9, s9, 0
	;; [unrolled: 2-line block ×3, first 2 shown]
	s_add_u32 s2, s2, 1
	v_dual_mov_b32 v50, s10 :: v_dual_mov_b32 v49, s9
	v_cmp_eq_u32_e32 vcc_lo, s2, v2
	v_mov_b32_e32 v48, s8
	s_addc_u32 s3, s3, 0
	s_or_b32 s20, vcc_lo, s20
	s_delay_alu instid0(SALU_CYCLE_1)
	s_and_not1_b32 exec_lo, exec_lo, s20
	s_cbranch_execnz .LBB90_3
; %bb.4:
	s_or_b32 exec_lo, exec_lo, s20
	v_mov_b32_e32 v51, s16
.LBB90_5:
	s_or_b32 exec_lo, exec_lo, s17
.LBB90_6:
	s_delay_alu instid0(SALU_CYCLE_1)
	s_or_b32 exec_lo, exec_lo, s11
	s_load_b64 s[8:9], s[0:1], 0x28
	v_and_b32_e32 v0, 0x3ff, v0
	s_mul_i32 s2, s6, 3
	s_mov_b32 s10, exec_lo
	s_min_u32 s3, s2, 0x8000
	s_delay_alu instid0(VALU_DEP_1) | instskip(NEXT) | instid1(VALU_DEP_1)
	v_lshlrev_b32_e32 v66, 3, v0
	v_lshl_add_u32 v4, v1, 9, v66
	s_delay_alu instid0(VALU_DEP_1)
	v_cmpx_gt_u32_e64 s3, v4
	s_cbranch_execz .LBB90_9
; %bb.7:
	v_lshlrev_b32_e32 v5, 10, v1
	v_lshlrev_b32_e32 v6, 4, v0
	s_mov_b32 s11, 0
	s_delay_alu instid0(VALU_DEP_1) | instskip(NEXT) | instid1(VALU_DEP_1)
	v_add_co_u32 v2, s2, v5, v6
	v_add_co_ci_u32_e64 v3, null, 0, 0, s2
	v_add_nc_u32_e32 v5, v5, v6
	s_waitcnt lgkmcnt(0)
	s_delay_alu instid0(VALU_DEP_3) | instskip(NEXT) | instid1(VALU_DEP_3)
	v_add_co_u32 v2, vcc_lo, s12, v2
	v_add_co_ci_u32_e32 v3, vcc_lo, s13, v3, vcc_lo
	.p2align	6
.LBB90_8:                               ; =>This Inner Loop Header: Depth=1
	global_load_b128 v[6:9], v[2:3], off
	v_add_nc_u32_e32 v4, 0x2000, v4
	v_add_co_u32 v2, vcc_lo, 0x4000, v2
	v_add_co_ci_u32_e32 v3, vcc_lo, 0, v3, vcc_lo
	s_delay_alu instid0(VALU_DEP_3) | instskip(NEXT) | instid1(VALU_DEP_1)
	v_cmp_le_u32_e64 s2, s3, v4
	s_or_b32 s11, s2, s11
	s_waitcnt vmcnt(0)
	ds_store_b128 v5, v[6:9]
	v_add_nc_u32_e32 v5, 0x4000, v5
	s_and_not1_b32 exec_lo, exec_lo, s11
	s_cbranch_execnz .LBB90_8
.LBB90_9:
	s_or_b32 exec_lo, exec_lo, s10
	v_cmp_gt_u32_e32 vcc_lo, s18, v1
	v_cmp_gt_u32_e64 s2, s7, v51
	s_waitcnt lgkmcnt(0)
	s_barrier
	buffer_gl0_inv
	s_and_b32 s2, vcc_lo, s2
	s_delay_alu instid0(SALU_CYCLE_1)
	s_and_saveexec_b32 s3, s2
	s_cbranch_execz .LBB90_70
; %bb.10:
	s_cmp_lg_u32 s4, 0
	v_cvt_f32_u32_e32 v2, s14
	s_cselect_b32 s20, -1, 0
	s_add_i32 s21, s4, -8
	s_add_i32 s22, s7, -1
	s_cmp_lg_u64 s[8:9], 0
	v_rcp_iflag_f32_e32 v2, v2
	s_cselect_b32 s23, -1, 0
	s_abs_i32 s2, s15
	s_clause 0x1
	s_load_b64 s[10:11], s[0:1], 0x18
	s_load_b64 s[16:17], s[0:1], 0x30
	v_cvt_f32_u32_e32 v1, s2
	s_sub_i32 s1, 0, s2
	s_mul_i32 s25, s18, s19
	s_add_i32 s24, s7, -3
	s_sub_i32 s3, 0, s14
	v_rcp_iflag_f32_e32 v1, v1
	s_sub_i32 s18, 1, s2
	v_lshlrev_b32_e32 v67, 4, v0
	v_mbcnt_lo_u32_b32 v71, -1, 0
	s_mov_b32 s15, 0
	s_mul_i32 s25, s25, 3
	s_waitcnt_depctr 0xfff
	v_dual_mul_f32 v1, 0x4f7ffffe, v1 :: v_dual_add_nc_u32 v68, s6, v66
	s_delay_alu instid0(VALU_DEP_1) | instskip(NEXT) | instid1(VALU_DEP_1)
	v_cvt_u32_f32_e32 v1, v1
	v_readfirstlane_b32 s0, v1
	v_mul_f32_e32 v1, 0x4f7ffffe, v2
	s_delay_alu instid0(VALU_DEP_2) | instskip(NEXT) | instid1(VALU_DEP_1)
	s_mul_i32 s1, s1, s0
	v_cvt_u32_f32_e32 v1, v1
	s_mul_hi_u32 s1, s0, s1
	s_delay_alu instid0(SALU_CYCLE_1) | instskip(SKIP_1) | instid1(VALU_DEP_1)
	s_add_i32 s1, s0, s1
	s_cmp_lt_u32 s2, 2
	v_mul_lo_u32 v2, s3, v1
	s_cselect_b32 s18, s18, 1
	v_cmp_eq_u32_e64 s0, 63, v0
	s_sub_i32 s19, s18, s2
	s_cmp_ge_u32 s18, s2
	s_cselect_b32 s27, s19, s18
	s_lshr_b32 s1, s1, 31
	s_delay_alu instid0(VALU_DEP_2) | instskip(SKIP_3) | instid1(SALU_CYCLE_1)
	v_mul_hi_u32 v0, v1, v2
	s_mul_i32 s1, s1, s2
	s_mul_i32 s27, s27, s14
	s_sub_i32 s1, 2, s1
	s_sub_i32 s3, s1, s2
	s_cmp_ge_u32 s1, s2
	s_cselect_b32 s1, s3, s1
	s_delay_alu instid0(VALU_DEP_1) | instskip(SKIP_4) | instid1(SALU_CYCLE_1)
	v_add_nc_u32_e32 v69, v1, v0
	s_sub_i32 s3, s1, s2
	s_cmp_ge_u32 s1, s2
	s_cselect_b32 s28, s3, s1
	s_lshl_b32 s26, s6, 1
	v_dual_mov_b32 v53, 0 :: v_dual_add_nc_u32 v70, s26, v66
	s_mul_i32 s28, s28, s14
	s_lshl_b32 s6, s6, 2
	s_branch .LBB90_13
.LBB90_11:                              ;   in Loop: Header=BB90_13 Depth=1
	s_or_b32 exec_lo, exec_lo, s30
	v_mov_b32_e32 v51, s24
.LBB90_12:                              ;   in Loop: Header=BB90_13 Depth=1
	s_or_b32 exec_lo, exec_lo, s29
	s_delay_alu instid0(VALU_DEP_1) | instskip(SKIP_1) | instid1(SALU_CYCLE_1)
	v_cmp_le_u32_e32 vcc_lo, s7, v51
	s_or_b32 s15, vcc_lo, s15
	s_and_not1_b32 exec_lo, exec_lo, s15
	s_cbranch_execz .LBB90_70
.LBB90_13:                              ; =>This Loop Header: Depth=1
                                        ;     Child Loop BB90_18 Depth 2
                                        ;     Child Loop BB90_60 Depth 2
	s_delay_alu instid0(VALU_DEP_1)
	v_dual_mov_b32 v80, v53 :: v_dual_add_nc_u32 v55, 1, v51
	v_dual_mov_b32 v79, v53 :: v_dual_add_nc_u32 v54, 2, v51
	v_mov_b32_e32 v78, v53
	v_mov_b32_e32 v77, v53
	;; [unrolled: 1-line block ×7, first 2 shown]
	s_and_not1_b32 vcc_lo, exec_lo, s20
	s_cbranch_vccnz .LBB90_44
; %bb.14:                               ;   in Loop: Header=BB90_13 Depth=1
	v_min_u32_e32 v0, s22, v51
	s_waitcnt lgkmcnt(0)
	v_min_u32_e32 v1, s22, v55
	v_min_u32_e32 v2, s22, v54
	v_dual_mov_b32 v3, v53 :: v_dual_mov_b32 v74, 0
	v_mul_lo_u32 v52, v0, s5
	s_delay_alu instid0(VALU_DEP_4) | instskip(NEXT) | instid1(VALU_DEP_4)
	v_mul_lo_u32 v0, v1, s5
	v_mul_lo_u32 v2, v2, s5
	v_dual_mov_b32 v1, v53 :: v_dual_mov_b32 v72, 0
	v_dual_mov_b32 v81, v67 :: v_dual_mov_b32 v76, 0
	;; [unrolled: 1-line block ×3, first 2 shown]
	v_lshlrev_b64 v[56:57], 1, v[52:53]
	s_delay_alu instid0(VALU_DEP_4)
	v_lshlrev_b64 v[58:59], 1, v[0:1]
	v_lshlrev_b64 v[60:61], 1, v[2:3]
	v_dual_mov_b32 v75, 0 :: v_dual_mov_b32 v80, 0
	v_mov_b32_e32 v77, 0
	v_mov_b32_e32 v79, 0
	s_mov_b32 s1, 0
	s_branch .LBB90_18
.LBB90_15:                              ;   in Loop: Header=BB90_18 Depth=2
	s_or_b32 exec_lo, exec_lo, s18
.LBB90_16:                              ;   in Loop: Header=BB90_18 Depth=2
	s_delay_alu instid0(SALU_CYCLE_1)
	s_or_b32 exec_lo, exec_lo, s3
.LBB90_17:                              ;   in Loop: Header=BB90_18 Depth=2
	s_delay_alu instid0(SALU_CYCLE_1)
	s_or_b32 exec_lo, exec_lo, s2
	s_waitcnt vmcnt(0) lgkmcnt(0)
	;;#ASMSTART
	v_dot2_f32_f16 v80, v32, v20, v80
	;;#ASMEND
	;;#ASMSTART
	v_dot2_f32_f16 v79, v32, v16, v79
	;;#ASMEND
	;; [unrolled: 3-line block ×27, first 2 shown]
	v_add_nc_u32_e32 v81, 0x800, v81
	;;#ASMSTART
	v_dot2_f32_f16 v80, v35, v23, v80
	;;#ASMEND
	;;#ASMSTART
	v_dot2_f32_f16 v79, v35, v19, v79
	;;#ASMEND
	;; [unrolled: 3-line block ×9, first 2 shown]
	s_addk_i32 s1, 0x400
	;;#ASMSTART
	v_dot2_f32_f16 v80, v44, v8, v80
	;;#ASMEND
	;;#ASMSTART
	v_dot2_f32_f16 v79, v44, v4, v79
	;;#ASMEND
	;; [unrolled: 3-line block ×18, first 2 shown]
	s_cmp_ge_u32 s1, s4
	;;#ASMSTART
	v_dot2_f32_f16 v80, v46, v10, v80
	;;#ASMEND
	;;#ASMSTART
	v_dot2_f32_f16 v79, v46, v6, v79
	;;#ASMEND
	;; [unrolled: 3-line block ×18, first 2 shown]
	s_cbranch_scc1 .LBB90_44
.LBB90_18:                              ;   Parent Loop BB90_13 Depth=1
                                        ; =>  This Inner Loop Header: Depth=2
	v_dual_mov_b32 v38, 0 :: v_dual_add_nc_u32 v63, s1, v66
	v_dual_mov_b32 v37, 0 :: v_dual_mov_b32 v36, 0
	v_dual_mov_b32 v43, 0 :: v_dual_mov_b32 v42, 0
	s_delay_alu instid0(VALU_DEP_3) | instskip(SKIP_2) | instid1(VALU_DEP_3)
	v_min_u32_e32 v52, s21, v63
	v_dual_mov_b32 v39, 0 :: v_dual_add_nc_u32 v62, 0x200, v63
	v_dual_mov_b32 v41, 0 :: v_dual_mov_b32 v40, 0
	v_lshlrev_b64 v[0:1], 1, v[52:53]
	s_delay_alu instid0(VALU_DEP_3) | instskip(SKIP_3) | instid1(VALU_DEP_4)
	v_min_u32_e32 v52, s21, v62
	v_dual_mov_b32 v31, 0 :: v_dual_mov_b32 v30, 0
	v_dual_mov_b32 v29, 0 :: v_dual_mov_b32 v28, 0
	s_waitcnt lgkmcnt(0)
	v_add_co_u32 v6, vcc_lo, s10, v0
	v_add_co_ci_u32_e32 v7, vcc_lo, s11, v1, vcc_lo
	v_lshlrev_b64 v[0:1], 1, v[52:53]
	s_delay_alu instid0(VALU_DEP_3) | instskip(NEXT) | instid1(VALU_DEP_3)
	v_add_co_u32 v2, vcc_lo, v6, v56
	v_add_co_ci_u32_e32 v3, vcc_lo, v7, v57, vcc_lo
	v_add_co_u32 v4, vcc_lo, v6, v58
	v_add_co_ci_u32_e32 v5, vcc_lo, v7, v59, vcc_lo
	;; [unrolled: 2-line block ×4, first 2 shown]
	s_delay_alu instid0(VALU_DEP_4) | instskip(NEXT) | instid1(VALU_DEP_4)
	v_add_co_u32 v6, vcc_lo, v8, v56
	v_add_co_ci_u32_e32 v7, vcc_lo, v9, v57, vcc_lo
	s_waitcnt vmcnt(6)
	v_add_co_u32 v24, vcc_lo, v8, v58
	v_add_co_ci_u32_e32 v25, vcc_lo, v9, v59, vcc_lo
	v_add_co_u32 v26, vcc_lo, v8, v60
	v_add_co_ci_u32_e32 v27, vcc_lo, v9, v61, vcc_lo
	s_clause 0x5
	global_load_b128 v[20:23], v[2:3], off slc dlc
	global_load_b128 v[16:19], v[4:5], off slc dlc
	;; [unrolled: 1-line block ×6, first 2 shown]
	v_cmp_gt_u32_e32 vcc_lo, s4, v63
	v_dual_mov_b32 v27, 0 :: v_dual_mov_b32 v26, 0
	v_dual_mov_b32 v25, 0 :: v_dual_mov_b32 v24, 0
	v_dual_mov_b32 v47, 0 :: v_dual_mov_b32 v46, 0
	v_dual_mov_b32 v45, 0 :: v_dual_mov_b32 v44, 0
	v_dual_mov_b32 v35, 0 :: v_dual_mov_b32 v34, 0
	v_dual_mov_b32 v33, 0 :: v_dual_mov_b32 v32, 0
	s_and_saveexec_b32 s2, vcc_lo
	s_cbranch_execz .LBB90_17
; %bb.19:                               ;   in Loop: Header=BB90_18 Depth=2
	s_mov_b32 s3, exec_lo
                                        ; implicit-def: $vgpr35
	v_cmpx_lt_u32_e32 0x7fff, v63
	s_xor_b32 s3, exec_lo, s3
	s_cbranch_execz .LBB90_21
; %bb.20:                               ;   in Loop: Header=BB90_18 Depth=2
	v_mov_b32_e32 v64, v53
	s_delay_alu instid0(VALU_DEP_1) | instskip(NEXT) | instid1(VALU_DEP_1)
	v_lshlrev_b64 v[24:25], 1, v[63:64]
	v_add_co_u32 v24, vcc_lo, s12, v24
	s_delay_alu instid0(VALU_DEP_2)
	v_add_co_ci_u32_e32 v25, vcc_lo, s13, v25, vcc_lo
	global_load_b128 v[32:35], v[24:25], off
.LBB90_21:                              ;   in Loop: Header=BB90_18 Depth=2
	s_and_not1_saveexec_b32 s3, s3
	s_cbranch_execz .LBB90_23
; %bb.22:                               ;   in Loop: Header=BB90_18 Depth=2
	s_waitcnt vmcnt(0)
	ds_load_b128 v[32:35], v81
.LBB90_23:                              ;   in Loop: Header=BB90_18 Depth=2
	s_or_b32 exec_lo, exec_lo, s3
	v_add_nc_u32_e32 v52, s1, v68
	s_mov_b32 s3, exec_lo
                                        ; implicit-def: $vgpr31
	s_delay_alu instid0(VALU_DEP_1)
	v_cmpx_lt_u32_e32 0x7fff, v52
	s_xor_b32 s3, exec_lo, s3
	s_cbranch_execz .LBB90_25
; %bb.24:                               ;   in Loop: Header=BB90_18 Depth=2
	v_lshlrev_b64 v[24:25], 1, v[52:53]
	s_delay_alu instid0(VALU_DEP_1) | instskip(NEXT) | instid1(VALU_DEP_2)
	v_add_co_u32 v24, vcc_lo, s12, v24
	v_add_co_ci_u32_e32 v25, vcc_lo, s13, v25, vcc_lo
	global_load_b128 v[28:31], v[24:25], off
.LBB90_25:                              ;   in Loop: Header=BB90_18 Depth=2
	s_and_not1_saveexec_b32 s3, s3
	s_cbranch_execz .LBB90_27
; %bb.26:                               ;   in Loop: Header=BB90_18 Depth=2
	v_add_nc_u32_e32 v24, s26, v81
	s_waitcnt vmcnt(0)
	ds_load_b128 v[28:31], v24
.LBB90_27:                              ;   in Loop: Header=BB90_18 Depth=2
	s_or_b32 exec_lo, exec_lo, s3
	v_add_nc_u32_e32 v64, s1, v70
	s_mov_b32 s3, exec_lo
                                        ; implicit-def: $vgpr27
	s_delay_alu instid0(VALU_DEP_1)
	v_cmpx_lt_u32_e32 0x7fff, v64
	s_xor_b32 s3, exec_lo, s3
	s_cbranch_execz .LBB90_29
; %bb.28:                               ;   in Loop: Header=BB90_18 Depth=2
	v_mov_b32_e32 v65, v53
	s_delay_alu instid0(VALU_DEP_1) | instskip(NEXT) | instid1(VALU_DEP_1)
	v_lshlrev_b64 v[24:25], 1, v[64:65]
	v_add_co_u32 v24, vcc_lo, s12, v24
	s_delay_alu instid0(VALU_DEP_2)
	v_add_co_ci_u32_e32 v25, vcc_lo, s13, v25, vcc_lo
	global_load_b128 v[24:27], v[24:25], off
.LBB90_29:                              ;   in Loop: Header=BB90_18 Depth=2
	s_and_not1_saveexec_b32 s3, s3
	s_cbranch_execz .LBB90_31
; %bb.30:                               ;   in Loop: Header=BB90_18 Depth=2
	s_waitcnt vmcnt(0)
	v_add_nc_u32_e32 v26, s6, v81
	ds_load_2addr_b32 v[24:25], v26 offset1:1
	ds_load_2addr_b32 v[26:27], v26 offset0:2 offset1:3
.LBB90_31:                              ;   in Loop: Header=BB90_18 Depth=2
	s_or_b32 exec_lo, exec_lo, s3
	v_dual_mov_b32 v39, 0 :: v_dual_mov_b32 v38, 0
	v_dual_mov_b32 v37, 0 :: v_dual_mov_b32 v36, 0
	;; [unrolled: 1-line block ×6, first 2 shown]
	s_mov_b32 s3, exec_lo
	v_cmpx_gt_u32_e64 s4, v62
	s_cbranch_execz .LBB90_16
; %bb.32:                               ;   in Loop: Header=BB90_18 Depth=2
	s_mov_b32 s18, exec_lo
                                        ; implicit-def: $vgpr47
	v_cmpx_lt_u32_e32 0x7fff, v62
	s_xor_b32 s18, exec_lo, s18
	s_cbranch_execz .LBB90_34
; %bb.33:                               ;   in Loop: Header=BB90_18 Depth=2
	v_mov_b32_e32 v63, v53
	s_delay_alu instid0(VALU_DEP_1) | instskip(NEXT) | instid1(VALU_DEP_1)
	v_lshlrev_b64 v[36:37], 1, v[62:63]
	v_add_co_u32 v36, vcc_lo, s12, v36
	s_delay_alu instid0(VALU_DEP_2)
	v_add_co_ci_u32_e32 v37, vcc_lo, s13, v37, vcc_lo
	global_load_b128 v[44:47], v[36:37], off
.LBB90_34:                              ;   in Loop: Header=BB90_18 Depth=2
	s_and_not1_saveexec_b32 s18, s18
	s_cbranch_execz .LBB90_36
; %bb.35:                               ;   in Loop: Header=BB90_18 Depth=2
	s_waitcnt vmcnt(0)
	ds_load_b128 v[44:47], v81 offset:1024
.LBB90_36:                              ;   in Loop: Header=BB90_18 Depth=2
	s_or_b32 exec_lo, exec_lo, s18
	v_add_nc_u32_e32 v52, 0x200, v52
	s_mov_b32 s18, exec_lo
                                        ; implicit-def: $vgpr43
	s_delay_alu instid0(VALU_DEP_1)
	v_cmpx_lt_u32_e32 0x7fff, v52
	s_xor_b32 s18, exec_lo, s18
	s_cbranch_execz .LBB90_38
; %bb.37:                               ;   in Loop: Header=BB90_18 Depth=2
	v_lshlrev_b64 v[36:37], 1, v[52:53]
	s_delay_alu instid0(VALU_DEP_1) | instskip(NEXT) | instid1(VALU_DEP_2)
	v_add_co_u32 v36, vcc_lo, s12, v36
	v_add_co_ci_u32_e32 v37, vcc_lo, s13, v37, vcc_lo
	global_load_b128 v[40:43], v[36:37], off
.LBB90_38:                              ;   in Loop: Header=BB90_18 Depth=2
	s_and_not1_saveexec_b32 s18, s18
	s_cbranch_execz .LBB90_40
; %bb.39:                               ;   in Loop: Header=BB90_18 Depth=2
	v_add_nc_u32_e32 v36, s26, v81
	s_waitcnt vmcnt(0)
	ds_load_b128 v[40:43], v36 offset:1024
.LBB90_40:                              ;   in Loop: Header=BB90_18 Depth=2
	s_or_b32 exec_lo, exec_lo, s18
	v_add_nc_u32_e32 v52, 0x200, v64
	s_mov_b32 s18, exec_lo
                                        ; implicit-def: $vgpr39
	s_delay_alu instid0(VALU_DEP_1)
	v_cmpx_lt_u32_e32 0x7fff, v52
	s_xor_b32 s18, exec_lo, s18
	s_cbranch_execz .LBB90_42
; %bb.41:                               ;   in Loop: Header=BB90_18 Depth=2
	v_lshlrev_b64 v[36:37], 1, v[52:53]
	s_delay_alu instid0(VALU_DEP_1) | instskip(NEXT) | instid1(VALU_DEP_2)
	v_add_co_u32 v36, vcc_lo, s12, v36
	v_add_co_ci_u32_e32 v37, vcc_lo, s13, v37, vcc_lo
	global_load_b128 v[36:39], v[36:37], off
.LBB90_42:                              ;   in Loop: Header=BB90_18 Depth=2
	s_and_not1_saveexec_b32 s18, s18
	s_cbranch_execz .LBB90_15
; %bb.43:                               ;   in Loop: Header=BB90_18 Depth=2
	s_waitcnt vmcnt(0)
	v_add_nc_u32_e32 v36, s6, v81
	s_delay_alu instid0(VALU_DEP_1)
	v_add_nc_u32_e32 v37, 0x400, v36
	v_add_nc_u32_e32 v38, 0x408, v36
	ds_load_2addr_b32 v[36:37], v37 offset1:1
	ds_load_2addr_b32 v[38:39], v38 offset1:1
	s_branch .LBB90_15
.LBB90_44:                              ;   in Loop: Header=BB90_13 Depth=1
	v_cvt_i32_f32_e32 v0, v80
	s_waitcnt lgkmcnt(0)
	v_cvt_i32_f32_e32 v1, v79
	v_cvt_i32_f32_e32 v2, v78
	;; [unrolled: 1-line block ×3, first 2 shown]
	v_xor_b32_e32 v8, 16, v71
	v_cvt_f32_i32_dpp v0, v0 row_shr:8 row_mask:0xf bank_mask:0xf bound_ctrl:1
	v_cvt_f32_i32_dpp v1, v1 row_shr:8 row_mask:0xf bank_mask:0xf bound_ctrl:1
	;; [unrolled: 1-line block ×4, first 2 shown]
	v_cmp_gt_i32_e32 vcc_lo, 32, v8
	s_delay_alu instid0(VALU_DEP_4) | instskip(NEXT) | instid1(VALU_DEP_3)
	v_dual_add_f32 v0, v80, v0 :: v_dual_add_f32 v1, v79, v1
	v_dual_add_f32 v2, v78, v2 :: v_dual_add_f32 v3, v77, v3
	v_cvt_i32_f32_e32 v13, v72
	s_delay_alu instid0(VALU_DEP_3) | instskip(NEXT) | instid1(VALU_DEP_4)
	v_cvt_i32_f32_e32 v4, v0
	v_cvt_i32_f32_e32 v5, v1
	s_delay_alu instid0(VALU_DEP_4)
	v_cvt_i32_f32_e32 v6, v2
	v_cvt_i32_f32_e32 v7, v3
	;; [unrolled: 1-line block ×3, first 2 shown]
	v_cvt_f32_i32_dpp v4, v4 row_shr:4 row_mask:0xf bank_mask:0xf bound_ctrl:1
	v_cvt_f32_i32_dpp v5, v5 row_shr:4 row_mask:0xf bank_mask:0xf bound_ctrl:1
	;; [unrolled: 1-line block ×4, first 2 shown]
	s_delay_alu instid0(VALU_DEP_3) | instskip(NEXT) | instid1(VALU_DEP_2)
	v_dual_add_f32 v0, v0, v4 :: v_dual_add_f32 v1, v1, v5
	v_dual_add_f32 v2, v2, v6 :: v_dual_add_f32 v3, v3, v7
	v_cvt_i32_f32_e32 v5, v76
	s_delay_alu instid0(VALU_DEP_3) | instskip(NEXT) | instid1(VALU_DEP_4)
	v_cvt_i32_f32_e32 v4, v0
	v_cvt_i32_f32_e32 v6, v1
	s_delay_alu instid0(VALU_DEP_4) | instskip(SKIP_1) | instid1(VALU_DEP_4)
	v_cvt_i32_f32_e32 v7, v2
	v_cvt_i32_f32_e32 v9, v3
	v_cvt_f32_i32_dpp v4, v4 row_shr:2 row_mask:0xf bank_mask:0xf bound_ctrl:1
	s_delay_alu instid0(VALU_DEP_4) | instskip(NEXT) | instid1(VALU_DEP_4)
	v_cvt_f32_i32_dpp v6, v6 row_shr:2 row_mask:0xf bank_mask:0xf bound_ctrl:1
	v_cvt_f32_i32_dpp v7, v7 row_shr:2 row_mask:0xf bank_mask:0xf bound_ctrl:1
	s_delay_alu instid0(VALU_DEP_4) | instskip(NEXT) | instid1(VALU_DEP_3)
	v_cvt_f32_i32_dpp v9, v9 row_shr:2 row_mask:0xf bank_mask:0xf bound_ctrl:1
	v_dual_add_f32 v0, v0, v4 :: v_dual_add_f32 v1, v1, v6
	s_delay_alu instid0(VALU_DEP_2) | instskip(SKIP_1) | instid1(VALU_DEP_3)
	v_dual_add_f32 v2, v2, v7 :: v_dual_add_f32 v3, v3, v9
	v_cvt_i32_f32_e32 v6, v73
	v_cvt_i32_f32_e32 v4, v0
	s_delay_alu instid0(VALU_DEP_4) | instskip(NEXT) | instid1(VALU_DEP_4)
	v_cvt_i32_f32_e32 v7, v1
	v_cvt_i32_f32_e32 v9, v2
	;; [unrolled: 1-line block ×3, first 2 shown]
	s_delay_alu instid0(VALU_DEP_4) | instskip(NEXT) | instid1(VALU_DEP_4)
	v_cvt_f32_i32_dpp v4, v4 row_shr:1 row_mask:0xf bank_mask:0xf bound_ctrl:1
	v_cvt_f32_i32_dpp v7, v7 row_shr:1 row_mask:0xf bank_mask:0xf bound_ctrl:1
	s_delay_alu instid0(VALU_DEP_4) | instskip(NEXT) | instid1(VALU_DEP_4)
	v_cvt_f32_i32_dpp v9, v9 row_shr:1 row_mask:0xf bank_mask:0xf bound_ctrl:1
	v_cvt_f32_i32_dpp v11, v11 row_shr:1 row_mask:0xf bank_mask:0xf bound_ctrl:1
	s_delay_alu instid0(VALU_DEP_3)
	v_add_f32_e32 v12, v1, v7
	v_cvt_f32_i32_dpp v1, v5 row_shr:8 row_mask:0xf bank_mask:0xf bound_ctrl:1
	v_cndmask_b32_e32 v8, v71, v8, vcc_lo
	v_cvt_f32_i32_dpp v5, v6 row_shr:8 row_mask:0xf bank_mask:0xf bound_ctrl:1
	v_add_f32_e32 v16, v0, v4
	v_cvt_i32_f32_e32 v0, v74
	v_add_f32_e32 v1, v76, v1
	s_delay_alu instid0(VALU_DEP_4) | instskip(SKIP_1) | instid1(VALU_DEP_3)
	v_dual_add_f32 v5, v73, v5 :: v_dual_add_f32 v4, v3, v11
	v_cvt_f32_i32_dpp v3, v13 row_shr:8 row_mask:0xf bank_mask:0xf bound_ctrl:1
	v_cvt_i32_f32_e32 v6, v1
	s_waitcnt vmcnt(0)
	v_lshlrev_b32_e32 v18, 2, v8
	v_cvt_i32_f32_e32 v13, v5
	v_cvt_f32_i32_dpp v0, v0 row_shr:8 row_mask:0xf bank_mask:0xf bound_ctrl:1
	v_add_f32_e32 v3, v72, v3
	v_cvt_f32_i32_dpp v6, v6 row_shr:4 row_mask:0xf bank_mask:0xf bound_ctrl:1
	v_add_f32_e32 v8, v2, v9
	v_cvt_f32_i32_dpp v13, v13 row_shr:4 row_mask:0xf bank_mask:0xf bound_ctrl:1
	v_cvt_f32_i32_dpp v2, v10 row_shr:8 row_mask:0xf bank_mask:0xf bound_ctrl:1
	v_cvt_i32_f32_e32 v10, v3
	v_add_f32_e32 v1, v1, v6
	ds_bpermute_b32 v17, v18, v16
	v_add_f32_e32 v5, v5, v13
	ds_bpermute_b32 v11, v18, v8
	v_cvt_f32_i32_dpp v10, v10 row_shr:4 row_mask:0xf bank_mask:0xf bound_ctrl:1
	v_cvt_i32_f32_e32 v6, v1
	ds_bpermute_b32 v7, v18, v4
	v_cvt_i32_f32_e32 v13, v5
	v_add_f32_e32 v3, v3, v10
	v_cvt_f32_i32_dpp v6, v6 row_shr:2 row_mask:0xf bank_mask:0xf bound_ctrl:1
	v_add_f32_e32 v0, v74, v0
	s_delay_alu instid0(VALU_DEP_4)
	v_cvt_f32_i32_dpp v13, v13 row_shr:2 row_mask:0xf bank_mask:0xf bound_ctrl:1
	ds_bpermute_b32 v15, v18, v12
	v_cvt_i32_f32_e32 v10, v3
	v_add_f32_e32 v1, v1, v6
	v_cvt_i32_f32_e32 v14, v0
	v_add_f32_e32 v6, v5, v13
	s_delay_alu instid0(VALU_DEP_4) | instskip(NEXT) | instid1(VALU_DEP_4)
	v_cvt_f32_i32_dpp v10, v10 row_shr:2 row_mask:0xf bank_mask:0xf bound_ctrl:1
	v_cvt_i32_f32_e32 v5, v1
	s_delay_alu instid0(VALU_DEP_4) | instskip(NEXT) | instid1(VALU_DEP_4)
	v_cvt_f32_i32_dpp v14, v14 row_shr:4 row_mask:0xf bank_mask:0xf bound_ctrl:1
	v_cvt_i32_f32_e32 v13, v6
	s_delay_alu instid0(VALU_DEP_4) | instskip(NEXT) | instid1(VALU_DEP_4)
	v_add_f32_e32 v3, v3, v10
	v_cvt_f32_i32_dpp v5, v5 row_shr:1 row_mask:0xf bank_mask:0xf bound_ctrl:1
	v_add_f32_e32 v2, v75, v2
	s_delay_alu instid0(VALU_DEP_4) | instskip(NEXT) | instid1(VALU_DEP_4)
	v_cvt_f32_i32_dpp v19, v13 row_shr:1 row_mask:0xf bank_mask:0xf bound_ctrl:1
	v_cvt_i32_f32_e32 v10, v3
	s_delay_alu instid0(VALU_DEP_4) | instskip(NEXT) | instid1(VALU_DEP_4)
	v_add_f32_e32 v13, v1, v5
	v_cvt_i32_f32_e32 v9, v2
	s_delay_alu instid0(VALU_DEP_3) | instskip(NEXT) | instid1(VALU_DEP_2)
	v_cvt_f32_i32_dpp v10, v10 row_shr:1 row_mask:0xf bank_mask:0xf bound_ctrl:1
	v_cvt_f32_i32_dpp v9, v9 row_shr:4 row_mask:0xf bank_mask:0xf bound_ctrl:1
	s_delay_alu instid0(VALU_DEP_1) | instskip(NEXT) | instid1(VALU_DEP_1)
	v_dual_add_f32 v5, v3, v10 :: v_dual_add_f32 v2, v2, v9
	v_cvt_i32_f32_e32 v9, v2
	s_delay_alu instid0(VALU_DEP_1) | instskip(NEXT) | instid1(VALU_DEP_1)
	v_cvt_f32_i32_dpp v9, v9 row_shr:2 row_mask:0xf bank_mask:0xf bound_ctrl:1
	v_add_f32_e32 v2, v2, v9
	s_delay_alu instid0(VALU_DEP_1) | instskip(NEXT) | instid1(VALU_DEP_1)
	v_cvt_i32_f32_e32 v9, v2
	v_cvt_f32_i32_dpp v9, v9 row_shr:1 row_mask:0xf bank_mask:0xf bound_ctrl:1
	s_delay_alu instid0(VALU_DEP_1) | instskip(NEXT) | instid1(VALU_DEP_1)
	v_dual_add_f32 v0, v0, v14 :: v_dual_add_f32 v9, v2, v9
	v_cvt_i32_f32_e32 v14, v0
	v_add_f32_e32 v2, v6, v19
	ds_bpermute_b32 v6, v18, v5
	ds_bpermute_b32 v10, v18, v9
	v_cvt_f32_i32_dpp v14, v14 row_shr:2 row_mask:0xf bank_mask:0xf bound_ctrl:1
	ds_bpermute_b32 v3, v18, v2
	v_add_f32_e32 v0, v0, v14
	s_delay_alu instid0(VALU_DEP_1) | instskip(NEXT) | instid1(VALU_DEP_1)
	v_cvt_i32_f32_e32 v14, v0
	v_cvt_f32_i32_dpp v14, v14 row_shr:1 row_mask:0xf bank_mask:0xf bound_ctrl:1
	s_delay_alu instid0(VALU_DEP_1)
	v_add_f32_e32 v0, v0, v14
	ds_bpermute_b32 v14, v18, v13
	ds_bpermute_b32 v1, v18, v0
	s_and_saveexec_b32 s18, s0
	s_cbranch_execz .LBB90_57
; %bb.45:                               ;   in Loop: Header=BB90_13 Depth=1
	v_dual_mov_b32 v26, 0 :: v_dual_mov_b32 v25, 0
	v_dual_mov_b32 v24, 0 :: v_dual_mov_b32 v23, 0
	v_dual_mov_b32 v22, 0 :: v_dual_mov_b32 v21, 0
	v_dual_mov_b32 v20, 0 :: v_dual_mov_b32 v19, 0
	v_mov_b32_e32 v18, 0
	s_and_not1_b32 vcc_lo, exec_lo, s23
	s_cbranch_vccnz .LBB90_47
; %bb.46:                               ;   in Loop: Header=BB90_13 Depth=1
	v_mul_hi_u32 v18, v51, v69
	v_mul_hi_u32 v19, v55, v69
	;; [unrolled: 1-line block ×3, first 2 shown]
	v_mov_b32_e32 v33, v53
	s_delay_alu instid0(VALU_DEP_4) | instskip(NEXT) | instid1(VALU_DEP_4)
	v_mul_lo_u32 v18, v18, s14
	v_mul_lo_u32 v19, v19, s14
	s_delay_alu instid0(VALU_DEP_4) | instskip(NEXT) | instid1(VALU_DEP_3)
	v_mul_lo_u32 v20, v20, s14
	v_sub_nc_u32_e32 v18, v51, v18
	s_delay_alu instid0(VALU_DEP_3) | instskip(NEXT) | instid1(VALU_DEP_3)
	v_sub_nc_u32_e32 v21, v55, v19
	v_sub_nc_u32_e32 v20, v54, v20
	s_delay_alu instid0(VALU_DEP_3)
	v_subrev_nc_u32_e32 v22, s14, v18
	v_cmp_le_u32_e32 vcc_lo, s14, v18
	v_mov_b32_e32 v19, v53
	v_subrev_nc_u32_e32 v23, s14, v21
	v_subrev_nc_u32_e32 v24, s14, v20
	v_cndmask_b32_e32 v18, v18, v22, vcc_lo
	v_cmp_le_u32_e32 vcc_lo, s14, v21
	s_delay_alu instid0(VALU_DEP_4) | instskip(SKIP_2) | instid1(VALU_DEP_3)
	v_cndmask_b32_e32 v22, v21, v23, vcc_lo
	v_cmp_le_u32_e32 vcc_lo, s14, v20
	v_mov_b32_e32 v21, v53
	v_subrev_nc_u32_e32 v25, s14, v22
	v_cndmask_b32_e32 v20, v20, v24, vcc_lo
	v_subrev_nc_u32_e32 v24, s14, v18
	v_cmp_le_u32_e32 vcc_lo, s14, v18
	v_mov_b32_e32 v23, v53
	s_delay_alu instid0(VALU_DEP_4) | instskip(NEXT) | instid1(VALU_DEP_4)
	v_subrev_nc_u32_e32 v26, s14, v20
	v_cndmask_b32_e32 v52, v18, v24, vcc_lo
	v_cmp_le_u32_e32 vcc_lo, s14, v22
	v_dual_cndmask_b32 v18, v22, v25 :: v_dual_mov_b32 v25, v53
	v_cmp_le_u32_e32 vcc_lo, s14, v20
	s_delay_alu instid0(VALU_DEP_4) | instskip(NEXT) | instid1(VALU_DEP_3)
	v_add_nc_u32_e32 v22, s27, v52
	v_lshlrev_b64 v[28:29], 1, v[18:19]
	v_add_nc_u32_e32 v24, s27, v18
	v_cndmask_b32_e32 v20, v20, v26, vcc_lo
	v_lshlrev_b64 v[26:27], 1, v[52:53]
	v_add_nc_u32_e32 v52, s28, v52
	s_delay_alu instid0(VALU_DEP_3) | instskip(SKIP_1) | instid1(VALU_DEP_4)
	v_lshlrev_b64 v[30:31], 1, v[20:21]
	v_lshlrev_b64 v[21:22], 1, v[22:23]
	v_add_co_u32 v26, vcc_lo, s8, v26
	v_add_co_ci_u32_e32 v27, vcc_lo, s9, v27, vcc_lo
	v_add_co_u32 v28, vcc_lo, s8, v28
	v_add_co_ci_u32_e32 v29, vcc_lo, s9, v29, vcc_lo
	v_add_co_u32 v30, vcc_lo, s8, v30
	v_lshlrev_b64 v[23:24], 1, v[24:25]
	v_add_nc_u32_e32 v32, s27, v20
	v_add_co_ci_u32_e32 v31, vcc_lo, s9, v31, vcc_lo
	v_add_co_u32 v21, vcc_lo, s8, v21
	v_add_co_ci_u32_e32 v22, vcc_lo, s9, v22, vcc_lo
	s_delay_alu instid0(VALU_DEP_4)
	v_lshlrev_b64 v[32:33], 1, v[32:33]
	v_add_co_u32 v34, vcc_lo, s8, v23
	v_add_co_ci_u32_e32 v35, vcc_lo, s9, v24, vcc_lo
	v_lshlrev_b64 v[23:24], 1, v[52:53]
	v_add_nc_u32_e32 v52, s28, v18
	v_add_co_u32 v18, vcc_lo, s8, v32
	v_add_co_ci_u32_e32 v19, vcc_lo, s9, v33, vcc_lo
	s_delay_alu instid0(VALU_DEP_3) | instskip(SKIP_3) | instid1(VALU_DEP_3)
	v_lshlrev_b64 v[32:33], 1, v[52:53]
	v_add_nc_u32_e32 v52, s28, v20
	v_add_co_u32 v36, vcc_lo, s8, v23
	v_add_co_ci_u32_e32 v37, vcc_lo, s9, v24, vcc_lo
	v_lshlrev_b64 v[23:24], 1, v[52:53]
	v_add_co_u32 v32, vcc_lo, s8, v32
	v_add_co_ci_u32_e32 v33, vcc_lo, s9, v33, vcc_lo
	s_delay_alu instid0(VALU_DEP_3) | instskip(NEXT) | instid1(VALU_DEP_4)
	v_add_co_u32 v38, vcc_lo, s8, v23
	v_add_co_ci_u32_e32 v39, vcc_lo, s9, v24, vcc_lo
	s_clause 0x8
	global_load_u16 v26, v[26:27], off
	global_load_u16 v25, v[28:29], off
	;; [unrolled: 1-line block ×9, first 2 shown]
.LBB90_47:                              ;   in Loop: Header=BB90_13 Depth=1
	v_cmp_ne_u32_e32 vcc_lo, 0, v48
	s_and_saveexec_b32 s2, vcc_lo
	s_cbranch_execnz .LBB90_62
; %bb.48:                               ;   in Loop: Header=BB90_13 Depth=1
	s_or_b32 exec_lo, exec_lo, s2
	v_cmp_ne_u32_e64 s1, 0, v49
	s_delay_alu instid0(VALU_DEP_1)
	s_and_saveexec_b32 s3, s1
	s_cbranch_execnz .LBB90_63
.LBB90_49:                              ;   in Loop: Header=BB90_13 Depth=1
	s_or_b32 exec_lo, exec_lo, s3
	v_cmp_ne_u32_e64 s2, 0, v50
	s_delay_alu instid0(VALU_DEP_1)
	s_and_saveexec_b32 s19, s2
	s_cbranch_execnz .LBB90_64
.LBB90_50:                              ;   in Loop: Header=BB90_13 Depth=1
	s_or_b32 exec_lo, exec_lo, s19
	v_add_nc_u32_e32 v52, s7, v51
	s_and_saveexec_b32 s19, vcc_lo
	s_cbranch_execnz .LBB90_65
.LBB90_51:                              ;   in Loop: Header=BB90_13 Depth=1
	s_or_b32 exec_lo, exec_lo, s19
	s_and_saveexec_b32 s19, s1
	s_cbranch_execnz .LBB90_66
.LBB90_52:                              ;   in Loop: Header=BB90_13 Depth=1
	s_or_b32 exec_lo, exec_lo, s19
	s_and_saveexec_b32 s19, s2
	s_cbranch_execnz .LBB90_67
.LBB90_53:                              ;   in Loop: Header=BB90_13 Depth=1
	s_or_b32 exec_lo, exec_lo, s19
	v_add_nc_u32_e32 v52, s7, v52
	s_and_saveexec_b32 s3, vcc_lo
	s_cbranch_execnz .LBB90_68
.LBB90_54:                              ;   in Loop: Header=BB90_13 Depth=1
	s_or_b32 exec_lo, exec_lo, s3
	s_and_saveexec_b32 s3, s1
	s_cbranch_execnz .LBB90_69
.LBB90_55:                              ;   in Loop: Header=BB90_13 Depth=1
	s_or_b32 exec_lo, exec_lo, s3
	s_delay_alu instid0(SALU_CYCLE_1)
	s_and_b32 exec_lo, exec_lo, s2
	s_cbranch_execz .LBB90_57
.LBB90_56:                              ;   in Loop: Header=BB90_13 Depth=1
	s_waitcnt lgkmcnt(0)
	v_add_f32_e32 v0, v0, v1
	s_waitcnt vmcnt(0)
	v_cvt_f32_f16_e32 v1, v18
	v_add_nc_u32_e32 v52, 2, v52
	s_delay_alu instid0(VALU_DEP_2) | instskip(NEXT) | instid1(VALU_DEP_2)
	v_add_f32_e32 v2, v0, v1
	v_lshlrev_b64 v[0:1], 1, v[52:53]
	s_delay_alu instid0(VALU_DEP_2) | instskip(NEXT) | instid1(VALU_DEP_2)
	v_cvt_f16_f32_e32 v2, v2
	v_add_co_u32 v0, vcc_lo, s16, v0
	s_delay_alu instid0(VALU_DEP_3)
	v_add_co_ci_u32_e32 v1, vcc_lo, s17, v1, vcc_lo
	global_store_b16 v[0:1], v2, off
.LBB90_57:                              ;   in Loop: Header=BB90_13 Depth=1
	s_or_b32 exec_lo, exec_lo, s18
	v_add_nc_u32_e32 v51, s25, v51
	s_delay_alu instid0(VALU_DEP_1) | instskip(SKIP_1) | instid1(VALU_DEP_2)
	v_add_nc_u32_e32 v0, 3, v51
	v_cmp_gt_u32_e32 vcc_lo, s7, v51
	v_cmp_le_u32_e64 s1, s7, v0
	s_delay_alu instid0(VALU_DEP_1) | instskip(NEXT) | instid1(SALU_CYCLE_1)
	s_and_b32 s1, vcc_lo, s1
	s_and_saveexec_b32 s29, s1
	s_cbranch_execz .LBB90_12
; %bb.58:                               ;   in Loop: Header=BB90_13 Depth=1
	s_mov_b32 s30, exec_lo
	v_cmpx_ne_u32_e64 s24, v51
	s_cbranch_execz .LBB90_11
; %bb.59:                               ;   in Loop: Header=BB90_13 Depth=1
	v_subrev_nc_u32_e32 v0, s24, v51
	s_mov_b32 s31, 0
	s_mov_b64 s[18:19], 0
	s_delay_alu instid0(VALU_DEP_1)
	v_cmp_lt_u32_e32 vcc_lo, 1, v0
	v_cndmask_b32_e32 v0, 1, v0, vcc_lo
	.p2align	6
.LBB90_60:                              ;   Parent Loop BB90_13 Depth=1
                                        ; =>  This Inner Loop Header: Depth=2
	s_cmp_lg_u32 s18, 2
	s_cselect_b32 vcc_lo, -1, 0
	s_cmp_lg_u32 s18, 1
	v_cndmask_b32_e32 v50, 0, v50, vcc_lo
	s_cselect_b32 s1, -1, 0
	s_cmp_lg_u32 s18, 0
	v_cndmask_b32_e64 v49, 0, v49, s1
	s_cselect_b32 s2, -1, 0
	s_add_u32 s18, s18, 1
	v_cndmask_b32_e64 v48, 0, v48, s2
	v_cmp_eq_u32_e64 s3, s18, v0
	s_addc_u32 s19, s19, 0
	s_delay_alu instid0(VALU_DEP_1) | instskip(NEXT) | instid1(SALU_CYCLE_1)
	s_or_b32 s31, s3, s31
	s_and_not1_b32 exec_lo, exec_lo, s31
	s_cbranch_execnz .LBB90_60
; %bb.61:                               ;   in Loop: Header=BB90_13 Depth=1
	s_or_b32 exec_lo, exec_lo, s31
	s_branch .LBB90_11
.LBB90_62:                              ;   in Loop: Header=BB90_13 Depth=1
	s_waitcnt lgkmcnt(0)
	v_add_f32_e32 v16, v16, v17
	s_waitcnt vmcnt(8)
	v_cvt_f32_f16_e32 v17, v26
	v_mov_b32_e32 v52, v53
	s_delay_alu instid0(VALU_DEP_2) | instskip(NEXT) | instid1(VALU_DEP_2)
	v_add_f32_e32 v26, v16, v17
	v_lshlrev_b64 v[16:17], 1, v[51:52]
	s_delay_alu instid0(VALU_DEP_2) | instskip(NEXT) | instid1(VALU_DEP_2)
	v_cvt_f16_f32_e32 v26, v26
	v_add_co_u32 v16, s1, s16, v16
	s_delay_alu instid0(VALU_DEP_1) | instskip(SKIP_3) | instid1(VALU_DEP_1)
	v_add_co_ci_u32_e64 v17, s1, s17, v17, s1
	global_store_b16 v[16:17], v26, off
	s_or_b32 exec_lo, exec_lo, s2
	v_cmp_ne_u32_e64 s1, 0, v49
	s_and_saveexec_b32 s3, s1
	s_cbranch_execz .LBB90_49
.LBB90_63:                              ;   in Loop: Header=BB90_13 Depth=1
	s_waitcnt lgkmcnt(0)
	v_add_f32_e32 v12, v12, v15
	s_waitcnt vmcnt(7)
	v_cvt_f32_f16_e32 v15, v25
	v_mov_b32_e32 v56, v53
	s_delay_alu instid0(VALU_DEP_2) | instskip(NEXT) | instid1(VALU_DEP_2)
	v_add_f32_e32 v12, v12, v15
	v_lshlrev_b64 v[15:16], 1, v[55:56]
	s_delay_alu instid0(VALU_DEP_2) | instskip(NEXT) | instid1(VALU_DEP_2)
	v_cvt_f16_f32_e32 v12, v12
	v_add_co_u32 v15, s2, s16, v15
	s_delay_alu instid0(VALU_DEP_1) | instskip(SKIP_3) | instid1(VALU_DEP_1)
	v_add_co_ci_u32_e64 v16, s2, s17, v16, s2
	global_store_b16 v[15:16], v12, off
	s_or_b32 exec_lo, exec_lo, s3
	v_cmp_ne_u32_e64 s2, 0, v50
	s_and_saveexec_b32 s19, s2
	s_cbranch_execz .LBB90_50
.LBB90_64:                              ;   in Loop: Header=BB90_13 Depth=1
	s_waitcnt lgkmcnt(0)
	v_dual_add_f32 v8, v8, v11 :: v_dual_mov_b32 v55, v53
	s_waitcnt vmcnt(6)
	v_cvt_f32_f16_e32 v11, v24
	s_delay_alu instid0(VALU_DEP_1) | instskip(NEXT) | instid1(VALU_DEP_3)
	v_add_f32_e32 v8, v8, v11
	v_lshlrev_b64 v[11:12], 1, v[54:55]
	s_delay_alu instid0(VALU_DEP_2) | instskip(NEXT) | instid1(VALU_DEP_2)
	v_cvt_f16_f32_e32 v8, v8
	v_add_co_u32 v11, s3, s16, v11
	s_delay_alu instid0(VALU_DEP_1)
	v_add_co_ci_u32_e64 v12, s3, s17, v12, s3
	global_store_b16 v[11:12], v8, off
	s_or_b32 exec_lo, exec_lo, s19
	v_add_nc_u32_e32 v52, s7, v51
	s_and_saveexec_b32 s19, vcc_lo
	s_cbranch_execz .LBB90_51
.LBB90_65:                              ;   in Loop: Header=BB90_13 Depth=1
	s_waitcnt lgkmcnt(0)
	v_add_f32_e32 v4, v4, v7
	s_waitcnt vmcnt(5)
	v_cvt_f32_f16_e32 v7, v23
	s_delay_alu instid0(VALU_DEP_1) | instskip(SKIP_1) | instid1(VALU_DEP_2)
	v_add_f32_e32 v4, v4, v7
	v_lshlrev_b64 v[7:8], 1, v[52:53]
	v_cvt_f16_f32_e32 v4, v4
	s_delay_alu instid0(VALU_DEP_2) | instskip(NEXT) | instid1(VALU_DEP_1)
	v_add_co_u32 v7, s3, s16, v7
	v_add_co_ci_u32_e64 v8, s3, s17, v8, s3
	global_store_b16 v[7:8], v4, off
	s_or_b32 exec_lo, exec_lo, s19
	s_and_saveexec_b32 s19, s1
	s_cbranch_execz .LBB90_52
.LBB90_66:                              ;   in Loop: Header=BB90_13 Depth=1
	s_waitcnt lgkmcnt(0)
	v_dual_add_f32 v4, v13, v14 :: v_dual_add_nc_u32 v7, 1, v52
	v_mov_b32_e32 v8, v53
	s_waitcnt vmcnt(4)
	v_cvt_f32_f16_e32 v11, v22
	s_delay_alu instid0(VALU_DEP_2) | instskip(NEXT) | instid1(VALU_DEP_2)
	v_lshlrev_b64 v[7:8], 1, v[7:8]
	v_add_f32_e32 v4, v4, v11
	s_delay_alu instid0(VALU_DEP_1) | instskip(NEXT) | instid1(VALU_DEP_3)
	v_cvt_f16_f32_e32 v4, v4
	v_add_co_u32 v7, s3, s16, v7
	s_delay_alu instid0(VALU_DEP_1)
	v_add_co_ci_u32_e64 v8, s3, s17, v8, s3
	global_store_b16 v[7:8], v4, off
	s_or_b32 exec_lo, exec_lo, s19
	s_and_saveexec_b32 s19, s2
	s_cbranch_execz .LBB90_53
.LBB90_67:                              ;   in Loop: Header=BB90_13 Depth=1
	s_waitcnt lgkmcnt(0)
	v_dual_add_f32 v4, v9, v10 :: v_dual_add_nc_u32 v7, 2, v52
	v_mov_b32_e32 v8, v53
	s_waitcnt vmcnt(3)
	v_cvt_f32_f16_e32 v9, v21
	s_delay_alu instid0(VALU_DEP_2) | instskip(NEXT) | instid1(VALU_DEP_2)
	v_lshlrev_b64 v[7:8], 1, v[7:8]
	v_add_f32_e32 v4, v4, v9
	s_delay_alu instid0(VALU_DEP_1) | instskip(NEXT) | instid1(VALU_DEP_3)
	v_cvt_f16_f32_e32 v4, v4
	v_add_co_u32 v7, s3, s16, v7
	s_delay_alu instid0(VALU_DEP_1)
	v_add_co_ci_u32_e64 v8, s3, s17, v8, s3
	global_store_b16 v[7:8], v4, off
	s_or_b32 exec_lo, exec_lo, s19
	v_add_nc_u32_e32 v52, s7, v52
	s_and_saveexec_b32 s3, vcc_lo
	s_cbranch_execz .LBB90_54
.LBB90_68:                              ;   in Loop: Header=BB90_13 Depth=1
	s_waitcnt lgkmcnt(0)
	v_add_f32_e32 v4, v5, v6
	s_waitcnt vmcnt(2)
	v_cvt_f32_f16_e32 v5, v20
	s_delay_alu instid0(VALU_DEP_1) | instskip(SKIP_1) | instid1(VALU_DEP_2)
	v_add_f32_e32 v6, v4, v5
	v_lshlrev_b64 v[4:5], 1, v[52:53]
	v_cvt_f16_f32_e32 v6, v6
	s_delay_alu instid0(VALU_DEP_2) | instskip(NEXT) | instid1(VALU_DEP_3)
	v_add_co_u32 v4, vcc_lo, s16, v4
	v_add_co_ci_u32_e32 v5, vcc_lo, s17, v5, vcc_lo
	global_store_b16 v[4:5], v6, off
	s_or_b32 exec_lo, exec_lo, s3
	s_and_saveexec_b32 s3, s1
	s_cbranch_execz .LBB90_55
.LBB90_69:                              ;   in Loop: Header=BB90_13 Depth=1
	s_waitcnt lgkmcnt(0)
	v_dual_add_f32 v4, v2, v3 :: v_dual_mov_b32 v3, v53
	v_add_nc_u32_e32 v2, 1, v52
	s_waitcnt vmcnt(1)
	v_cvt_f32_f16_e32 v5, v19
	s_delay_alu instid0(VALU_DEP_2) | instskip(NEXT) | instid1(VALU_DEP_2)
	v_lshlrev_b64 v[2:3], 1, v[2:3]
	v_add_f32_e32 v4, v4, v5
	s_delay_alu instid0(VALU_DEP_1) | instskip(NEXT) | instid1(VALU_DEP_3)
	v_cvt_f16_f32_e32 v4, v4
	v_add_co_u32 v2, vcc_lo, s16, v2
	s_delay_alu instid0(VALU_DEP_4) | instskip(SKIP_2) | instid1(SALU_CYCLE_1)
	v_add_co_ci_u32_e32 v3, vcc_lo, s17, v3, vcc_lo
	global_store_b16 v[2:3], v4, off
	s_or_b32 exec_lo, exec_lo, s3
	s_and_b32 exec_lo, exec_lo, s2
	s_cbranch_execnz .LBB90_56
	s_branch .LBB90_57
.LBB90_70:
	s_nop 0
	s_sendmsg sendmsg(MSG_DEALLOC_VGPRS)
	s_endpgm
	.section	.rodata,"a",@progbits
	.p2align	6, 0x0
	.amdhsa_kernel _Z12wvSplitK_hf_I6__halfLi64ELi3ELi16ELi8ELi2ELi3EEviiiiiiPKT_S3_S3_PS1_ii
		.amdhsa_group_segment_fixed_size 65536
		.amdhsa_private_segment_fixed_size 0
		.amdhsa_kernarg_size 64
		.amdhsa_user_sgpr_count 15
		.amdhsa_user_sgpr_dispatch_ptr 0
		.amdhsa_user_sgpr_queue_ptr 0
		.amdhsa_user_sgpr_kernarg_segment_ptr 1
		.amdhsa_user_sgpr_dispatch_id 0
		.amdhsa_user_sgpr_private_segment_size 0
		.amdhsa_wavefront_size32 1
		.amdhsa_uses_dynamic_stack 0
		.amdhsa_enable_private_segment 0
		.amdhsa_system_sgpr_workgroup_id_x 1
		.amdhsa_system_sgpr_workgroup_id_y 0
		.amdhsa_system_sgpr_workgroup_id_z 0
		.amdhsa_system_sgpr_workgroup_info 0
		.amdhsa_system_vgpr_workitem_id 1
		.amdhsa_next_free_vgpr 82
		.amdhsa_next_free_sgpr 32
		.amdhsa_reserve_vcc 1
		.amdhsa_float_round_mode_32 0
		.amdhsa_float_round_mode_16_64 0
		.amdhsa_float_denorm_mode_32 3
		.amdhsa_float_denorm_mode_16_64 3
		.amdhsa_dx10_clamp 1
		.amdhsa_ieee_mode 1
		.amdhsa_fp16_overflow 0
		.amdhsa_workgroup_processor_mode 1
		.amdhsa_memory_ordered 1
		.amdhsa_forward_progress 0
		.amdhsa_shared_vgpr_count 0
		.amdhsa_exception_fp_ieee_invalid_op 0
		.amdhsa_exception_fp_denorm_src 0
		.amdhsa_exception_fp_ieee_div_zero 0
		.amdhsa_exception_fp_ieee_overflow 0
		.amdhsa_exception_fp_ieee_underflow 0
		.amdhsa_exception_fp_ieee_inexact 0
		.amdhsa_exception_int_div_zero 0
	.end_amdhsa_kernel
	.section	.text._Z12wvSplitK_hf_I6__halfLi64ELi3ELi16ELi8ELi2ELi3EEviiiiiiPKT_S3_S3_PS1_ii,"axG",@progbits,_Z12wvSplitK_hf_I6__halfLi64ELi3ELi16ELi8ELi2ELi3EEviiiiiiPKT_S3_S3_PS1_ii,comdat
.Lfunc_end90:
	.size	_Z12wvSplitK_hf_I6__halfLi64ELi3ELi16ELi8ELi2ELi3EEviiiiiiPKT_S3_S3_PS1_ii, .Lfunc_end90-_Z12wvSplitK_hf_I6__halfLi64ELi3ELi16ELi8ELi2ELi3EEviiiiiiPKT_S3_S3_PS1_ii
                                        ; -- End function
	.section	.AMDGPU.csdata,"",@progbits
; Kernel info:
; codeLenInByte = 5848
; NumSgprs: 34
; NumVgprs: 82
; ScratchSize: 0
; MemoryBound: 0
; FloatMode: 240
; IeeeMode: 1
; LDSByteSize: 65536 bytes/workgroup (compile time only)
; SGPRBlocks: 4
; VGPRBlocks: 10
; NumSGPRsForWavesPerEU: 34
; NumVGPRsForWavesPerEU: 82
; Occupancy: 16
; WaveLimiterHint : 0
; COMPUTE_PGM_RSRC2:SCRATCH_EN: 0
; COMPUTE_PGM_RSRC2:USER_SGPR: 15
; COMPUTE_PGM_RSRC2:TRAP_HANDLER: 0
; COMPUTE_PGM_RSRC2:TGID_X_EN: 1
; COMPUTE_PGM_RSRC2:TGID_Y_EN: 0
; COMPUTE_PGM_RSRC2:TGID_Z_EN: 0
; COMPUTE_PGM_RSRC2:TIDIG_COMP_CNT: 1
	.section	.text._Z16wvSplitK_hf_big_I6__halfLi64ELi3ELi16ELi8ELi2ELi3EEviiiiiiPKT_S3_S3_PS1_ii,"axG",@progbits,_Z16wvSplitK_hf_big_I6__halfLi64ELi3ELi16ELi8ELi2ELi3EEviiiiiiPKT_S3_S3_PS1_ii,comdat
	.protected	_Z16wvSplitK_hf_big_I6__halfLi64ELi3ELi16ELi8ELi2ELi3EEviiiiiiPKT_S3_S3_PS1_ii ; -- Begin function _Z16wvSplitK_hf_big_I6__halfLi64ELi3ELi16ELi8ELi2ELi3EEviiiiiiPKT_S3_S3_PS1_ii
	.globl	_Z16wvSplitK_hf_big_I6__halfLi64ELi3ELi16ELi8ELi2ELi3EEviiiiiiPKT_S3_S3_PS1_ii
	.p2align	8
	.type	_Z16wvSplitK_hf_big_I6__halfLi64ELi3ELi16ELi8ELi2ELi3EEviiiiiiPKT_S3_S3_PS1_ii,@function
_Z16wvSplitK_hf_big_I6__halfLi64ELi3ELi16ELi8ELi2ELi3EEviiiiiiPKT_S3_S3_PS1_ii: ; @_Z16wvSplitK_hf_big_I6__halfLi64ELi3ELi16ELi8ELi2ELi3EEviiiiiiPKT_S3_S3_PS1_ii
; %bb.0:
	s_load_b64 s[20:21], s[0:1], 0x38
	v_bfe_u32 v1, v0, 10, 10
	s_mov_b32 s2, exec_lo
	s_waitcnt lgkmcnt(0)
	s_delay_alu instid0(VALU_DEP_1)
	v_cmpx_gt_u32_e64 s20, v1
	s_cbranch_execz .LBB91_58
; %bb.1:
	s_load_b128 s[16:19], s[0:1], 0x0
	v_mad_u64_u32 v[2:3], null, s15, s20, v[1:2]
	s_mov_b32 s4, 1
	s_delay_alu instid0(SALU_CYCLE_1) | instskip(SKIP_1) | instid1(SALU_CYCLE_1)
	s_mov_b32 s5, s4
	s_mov_b32 s6, s4
	v_mov_b32_e32 v50, s6
	s_delay_alu instid0(VALU_DEP_2) | instskip(SKIP_1) | instid1(VALU_DEP_2)
	v_lshl_add_u32 v51, v2, 1, v2
	v_dual_mov_b32 v48, s4 :: v_dual_mov_b32 v49, s5
	v_add_nc_u32_e32 v2, 3, v51
	s_waitcnt lgkmcnt(0)
	v_cmp_gt_u32_e32 vcc_lo, s19, v51
	s_delay_alu instid0(VALU_DEP_2) | instskip(NEXT) | instid1(VALU_DEP_1)
	v_cmp_le_u32_e64 s2, s19, v2
	s_and_b32 s2, vcc_lo, s2
	s_delay_alu instid0(SALU_CYCLE_1)
	s_and_saveexec_b32 s7, s2
	s_cbranch_execz .LBB91_7
; %bb.2:
	v_dual_mov_b32 v50, s6 :: v_dual_mov_b32 v49, s5
	v_mov_b32_e32 v48, s4
	s_add_i32 s8, s19, -3
	s_mov_b32 s9, exec_lo
	v_cmpx_ne_u32_e64 s8, v51
	s_cbranch_execz .LBB91_6
; %bb.3:
	v_subrev_nc_u32_e32 v2, s8, v51
	s_mov_b32 s10, 0
	s_mov_b64 s[2:3], 0
	s_mov_b32 s5, s4
	s_mov_b32 s6, s4
	v_cmp_lt_u32_e32 vcc_lo, 1, v2
	v_cndmask_b32_e32 v2, 1, v2, vcc_lo
.LBB91_4:                               ; =>This Inner Loop Header: Depth=1
	s_cmp_lg_u32 s2, 2
	s_cselect_b32 s6, s6, 0
	s_cmp_lg_u32 s2, 1
	s_cselect_b32 s5, s5, 0
	s_cmp_lg_u32 s2, 0
	s_cselect_b32 s4, s4, 0
	s_add_u32 s2, s2, 1
	v_dual_mov_b32 v50, s6 :: v_dual_mov_b32 v49, s5
	v_cmp_eq_u32_e32 vcc_lo, s2, v2
	v_mov_b32_e32 v48, s4
	s_addc_u32 s3, s3, 0
	s_or_b32 s10, vcc_lo, s10
	s_delay_alu instid0(SALU_CYCLE_1)
	s_and_not1_b32 exec_lo, exec_lo, s10
	s_cbranch_execnz .LBB91_4
; %bb.5:
	s_or_b32 exec_lo, exec_lo, s10
	v_mov_b32_e32 v51, s8
.LBB91_6:
	s_or_b32 exec_lo, exec_lo, s9
.LBB91_7:
	s_delay_alu instid0(SALU_CYCLE_1)
	s_or_b32 exec_lo, exec_lo, s7
	s_mul_i32 s2, s20, 3
	s_abs_i32 s6, s19
	s_abs_i32 s3, s2
	s_mov_b32 s23, 0
	v_cvt_f32_u32_e32 v2, s3
	s_sub_i32 s5, 0, s3
	s_delay_alu instid0(VALU_DEP_1) | instskip(SKIP_2) | instid1(VALU_DEP_1)
	v_rcp_iflag_f32_e32 v2, v2
	s_waitcnt_depctr 0xfff
	v_mul_f32_e32 v2, 0x4f7ffffe, v2
	v_cvt_u32_f32_e32 v2, v2
	s_delay_alu instid0(VALU_DEP_1) | instskip(NEXT) | instid1(VALU_DEP_1)
	v_readfirstlane_b32 s4, v2
	s_mul_i32 s5, s5, s4
	s_delay_alu instid0(SALU_CYCLE_1) | instskip(NEXT) | instid1(SALU_CYCLE_1)
	s_mul_hi_u32 s5, s4, s5
	s_add_i32 s4, s4, s5
	s_ashr_i32 s5, s19, 31
	s_mul_hi_u32 s4, s6, s4
	s_delay_alu instid0(SALU_CYCLE_1) | instskip(NEXT) | instid1(SALU_CYCLE_1)
	s_mul_i32 s4, s4, s3
	s_sub_i32 s4, s6, s4
	s_delay_alu instid0(SALU_CYCLE_1) | instskip(SKIP_2) | instid1(SALU_CYCLE_1)
	s_sub_i32 s6, s4, s3
	s_cmp_ge_u32 s4, s3
	s_cselect_b32 s4, s6, s4
	s_sub_i32 s6, s4, s3
	s_cmp_ge_u32 s4, s3
	s_cselect_b32 s3, s6, s4
	s_add_i32 s4, s2, s19
	s_xor_b32 s3, s3, s5
	s_delay_alu instid0(SALU_CYCLE_1) | instskip(NEXT) | instid1(SALU_CYCLE_1)
	s_sub_i32 s3, s3, s5
	s_sub_i32 s4, s4, s3
	s_cmp_eq_u32 s3, 0
	s_cselect_b32 s22, s19, s4
	s_delay_alu instid0(SALU_CYCLE_1)
	v_cmp_gt_u32_e32 vcc_lo, s22, v51
	s_and_b32 exec_lo, exec_lo, vcc_lo
	s_cbranch_execz .LBB91_58
; %bb.8:
	s_load_b256 s[4:11], s[0:1], 0x10
	s_min_u32 s24, s18, 0x2800
	s_cmp_lg_u32 s16, 0
	v_dual_mov_b32 v53, 0 :: v_dual_and_b32 v0, 0x3ff, v0
	s_cselect_b32 s25, -1, 0
	s_cmp_lg_u32 s18, 0
	s_load_b64 s[12:13], s[0:1], 0x30
	s_cselect_b32 s26, -1, 0
	s_lshl_b32 s27, s20, 9
	s_add_i32 s28, s16, -8
	s_add_i32 s29, s19, -1
	v_cmp_eq_u32_e64 s0, 63, v0
	v_mbcnt_lo_u32_b32 v60, -1, 0
	v_lshlrev_b32_e32 v61, 3, v0
	v_lshlrev_b32_e32 v0, 4, v0
	s_delay_alu instid0(VALU_DEP_2)
	v_lshl_add_u32 v62, v1, 9, v61
	s_waitcnt lgkmcnt(0)
	s_cmp_lg_u64 s[10:11], 0
	v_cvt_f32_u32_e32 v3, s4
	s_cselect_b32 s30, -1, 0
	s_abs_i32 s3, s5
	s_mul_i32 s5, s2, s21
	v_cvt_f32_u32_e32 v2, s3
	v_rcp_iflag_f32_e32 v3, v3
	s_sub_i32 s2, 0, s3
	s_add_i32 s21, s19, -3
	s_sub_i32 s14, 0, s4
	v_rcp_iflag_f32_e32 v2, v2
	s_sub_i32 s15, 1, s3
	v_lshl_add_u32 v63, v1, 10, v0
	v_add_nc_u32_e32 v65, s18, v62
	v_lshl_add_u32 v64, s18, 1, v62
	s_waitcnt_depctr 0xfff
	v_mul_f32_e32 v2, 0x4f7ffffe, v2
	s_delay_alu instid0(VALU_DEP_1) | instskip(NEXT) | instid1(VALU_DEP_1)
	v_cvt_u32_f32_e32 v2, v2
	v_readfirstlane_b32 s1, v2
	v_mul_f32_e32 v2, 0x4f7ffffe, v3
	s_delay_alu instid0(VALU_DEP_2) | instskip(NEXT) | instid1(VALU_DEP_1)
	s_mul_i32 s2, s2, s1
	v_cvt_u32_f32_e32 v2, v2
	s_mul_hi_u32 s2, s1, s2
	s_delay_alu instid0(SALU_CYCLE_1) | instskip(SKIP_1) | instid1(VALU_DEP_1)
	s_add_i32 s1, s1, s2
	s_cmp_lt_u32 s3, 2
	v_mul_lo_u32 v3, s14, v2
	s_cselect_b32 s2, s15, 1
	s_delay_alu instid0(SALU_CYCLE_1) | instskip(SKIP_3) | instid1(VALU_DEP_1)
	s_sub_i32 s14, s2, s3
	s_cmp_ge_u32 s2, s3
	s_cselect_b32 s31, s14, s2
	s_lshr_b32 s1, s1, 31
	v_mul_hi_u32 v3, v2, v3
	s_mul_i32 s1, s1, s3
	s_mul_i32 s31, s31, s4
	s_sub_i32 s1, 2, s1
	s_delay_alu instid0(SALU_CYCLE_1) | instskip(SKIP_2) | instid1(VALU_DEP_1)
	s_sub_i32 s2, s1, s3
	s_cmp_ge_u32 s1, s3
	s_cselect_b32 s1, s2, s1
	v_add_nc_u32_e32 v66, v2, v3
	s_sub_i32 s2, s1, s3
	s_cmp_ge_u32 s1, s3
	s_cselect_b32 s36, s2, s1
	s_add_u32 s33, s12, 2
	s_addc_u32 s34, s13, 0
	s_lshl_b32 s35, s24, 2
	s_lshl_b32 s20, s20, 10
	s_mul_i32 s36, s36, s4
	s_lshl_b32 s37, s24, 1
	s_branch .LBB91_12
.LBB91_9:                               ;   in Loop: Header=BB91_12 Depth=1
	s_or_b32 exec_lo, exec_lo, s40
	v_mov_b32_e32 v51, s21
.LBB91_10:                              ;   in Loop: Header=BB91_12 Depth=1
	s_or_b32 exec_lo, exec_lo, s39
.LBB91_11:                              ;   in Loop: Header=BB91_12 Depth=1
	s_delay_alu instid0(SALU_CYCLE_1) | instskip(NEXT) | instid1(VALU_DEP_1)
	s_or_b32 exec_lo, exec_lo, s38
	v_cmp_le_u32_e32 vcc_lo, s22, v51
	s_or_b32 s23, vcc_lo, s23
	s_delay_alu instid0(SALU_CYCLE_1)
	s_and_not1_b32 exec_lo, exec_lo, s23
	s_cbranch_execz .LBB91_58
.LBB91_12:                              ; =>This Loop Header: Depth=1
                                        ;     Child Loop BB91_17 Depth 2
                                        ;       Child Loop BB91_22 Depth 3
                                        ;     Child Loop BB91_48 Depth 2
	v_mov_b32_e32 v75, v53
	v_mov_b32_e32 v74, v53
	;; [unrolled: 1-line block ×9, first 2 shown]
	s_and_not1_b32 vcc_lo, exec_lo, s25
	s_mov_b32 s3, 0
	s_cbranch_vccnz .LBB91_29
; %bb.13:                               ;   in Loop: Header=BB91_12 Depth=1
	v_add_nc_u32_e32 v0, 1, v51
	v_dual_mov_b32 v68, 0 :: v_dual_add_nc_u32 v1, 2, v51
	v_min_u32_e32 v2, s29, v51
	s_waitcnt lgkmcnt(1)
	v_dual_mov_b32 v3, v53 :: v_dual_mov_b32 v70, 0
	s_delay_alu instid0(VALU_DEP_3)
	v_min_u32_e32 v4, s29, v1
	v_mov_b32_e32 v1, v53
	v_min_u32_e32 v0, s29, v0
	v_mul_lo_u32 v52, v2, s17
	v_cmp_gt_u32_e64 s1, s19, v51
	v_mul_lo_u32 v2, v4, s17
	v_dual_mov_b32 v67, 0 :: v_dual_mov_b32 v72, 0
	v_mul_lo_u32 v0, v0, s17
	v_dual_mov_b32 v69, 0 :: v_dual_mov_b32 v74, 0
	v_lshlrev_b64 v[54:55], 1, v[52:53]
	v_mov_b32_e32 v71, 0
	v_lshlrev_b64 v[58:59], 1, v[2:3]
	v_mov_b32_e32 v73, 0
	v_mov_b32_e32 v75, 0
	v_lshlrev_b64 v[56:57], 1, v[0:1]
	s_mov_b32 s14, 0
	s_branch .LBB91_17
.LBB91_14:                              ;   in Loop: Header=BB91_17 Depth=2
	s_or_b32 exec_lo, exec_lo, s38
.LBB91_15:                              ;   in Loop: Header=BB91_17 Depth=2
	s_delay_alu instid0(SALU_CYCLE_1)
	s_or_b32 exec_lo, exec_lo, s15
	s_waitcnt vmcnt(5) lgkmcnt(2)
	;;#ASMSTART
	v_dot2_f32_f16 v75, v44, v32, v75
	;;#ASMEND
	s_waitcnt vmcnt(4)
	;;#ASMSTART
	v_dot2_f32_f16 v74, v44, v28, v74
	;;#ASMEND
	s_waitcnt vmcnt(3)
	;;#ASMSTART
	v_dot2_f32_f16 v73, v44, v24, v73
	;;#ASMEND
	s_waitcnt lgkmcnt(1)
	;;#ASMSTART
	v_dot2_f32_f16 v72, v40, v32, v72
	;;#ASMEND
	;;#ASMSTART
	v_dot2_f32_f16 v71, v40, v28, v71
	;;#ASMEND
	;; [unrolled: 3-line block ×3, first 2 shown]
	s_waitcnt lgkmcnt(0)
	;;#ASMSTART
	v_dot2_f32_f16 v67, v36, v32, v67
	;;#ASMEND
	;;#ASMSTART
	v_dot2_f32_f16 v69, v36, v28, v69
	;;#ASMEND
	;; [unrolled: 3-line block ×30, first 2 shown]
	s_waitcnt vmcnt(2)
	;;#ASMSTART
	v_dot2_f32_f16 v75, v20, v8, v75
	;;#ASMEND
	s_waitcnt vmcnt(1)
	;;#ASMSTART
	v_dot2_f32_f16 v74, v20, v4, v74
	;;#ASMEND
	s_waitcnt vmcnt(0)
	;;#ASMSTART
	v_dot2_f32_f16 v73, v20, v0, v73
	;;#ASMEND
	;;#ASMSTART
	v_dot2_f32_f16 v72, v16, v8, v72
	;;#ASMEND
	;;#ASMSTART
	v_dot2_f32_f16 v71, v16, v4, v71
	;;#ASMEND
	;; [unrolled: 3-line block ×33, first 2 shown]
.LBB91_16:                              ;   in Loop: Header=BB91_17 Depth=2
	s_or_b32 exec_lo, exec_lo, s2
	s_addk_i32 s14, 0x400
	s_delay_alu instid0(SALU_CYCLE_1)
	s_cmp_ge_u32 s14, s16
	s_cbranch_scc1 .LBB91_29
.LBB91_17:                              ;   Parent Loop BB91_12 Depth=1
                                        ; =>  This Loop Header: Depth=2
                                        ;       Child Loop BB91_22 Depth 3
	s_cmp_eq_u32 s14, 0
	s_cselect_b32 s15, -1, 0
	s_add_i32 s2, s3, s24
	s_delay_alu instid0(SALU_CYCLE_1) | instskip(SKIP_1) | instid1(SALU_CYCLE_1)
	s_cmp_eq_u32 s14, s2
	s_cselect_b32 s38, -1, 0
	s_or_b32 s38, s15, s38
	s_delay_alu instid0(SALU_CYCLE_1)
	s_and_not1_b32 vcc_lo, exec_lo, s38
	s_cbranch_vccz .LBB91_19
; %bb.18:                               ;   in Loop: Header=BB91_17 Depth=2
	s_and_saveexec_b32 s2, s1
	s_cbranch_execz .LBB91_16
	s_branch .LBB91_26
.LBB91_19:                              ;   in Loop: Header=BB91_17 Depth=2
	s_and_b32 s15, s15, exec_lo
	s_cselect_b32 s3, s3, s2
	s_and_not1_b32 vcc_lo, exec_lo, s26
	s_waitcnt vmcnt(0) lgkmcnt(0)
	s_waitcnt_vscnt null, 0x0
	s_barrier
	buffer_gl0_inv
	s_cbranch_vccnz .LBB91_25
; %bb.20:                               ;   in Loop: Header=BB91_17 Depth=2
	v_dual_mov_b32 v3, v63 :: v_dual_add_nc_u32 v0, s3, v64
	v_add_nc_u32_e32 v1, s3, v65
	v_add_nc_u32_e32 v2, s3, v62
	s_mov_b32 s15, 0
	s_mov_b32 s38, 0
                                        ; implicit-def: $sgpr39
	s_branch .LBB91_22
.LBB91_21:                              ;   in Loop: Header=BB91_22 Depth=3
	s_or_b32 exec_lo, exec_lo, s2
	s_delay_alu instid0(SALU_CYCLE_1) | instskip(NEXT) | instid1(SALU_CYCLE_1)
	s_and_b32 s2, exec_lo, s39
	s_or_b32 s15, s2, s15
	s_delay_alu instid0(SALU_CYCLE_1)
	s_and_not1_b32 exec_lo, exec_lo, s15
	s_cbranch_execz .LBB91_24
.LBB91_22:                              ;   Parent Loop BB91_12 Depth=1
                                        ;     Parent Loop BB91_17 Depth=2
                                        ; =>    This Inner Loop Header: Depth=3
	s_delay_alu instid0(VALU_DEP_1) | instskip(SKIP_2) | instid1(VALU_DEP_2)
	v_add_nc_u32_e32 v52, s38, v2
	v_add_nc_u32_e32 v4, s38, v62
	s_or_b32 s39, s39, exec_lo
	v_cmp_gt_u32_e32 vcc_lo, s18, v52
	s_delay_alu instid0(VALU_DEP_2) | instskip(NEXT) | instid1(VALU_DEP_1)
	v_cmp_gt_u32_e64 s2, s24, v4
	s_and_b32 s40, s2, vcc_lo
	s_delay_alu instid0(SALU_CYCLE_1)
	s_and_saveexec_b32 s2, s40
	s_cbranch_execz .LBB91_21
; %bb.23:                               ;   in Loop: Header=BB91_22 Depth=3
	v_lshlrev_b64 v[4:5], 1, v[52:53]
	v_add_nc_u32_e32 v52, s38, v1
	v_add_nc_u32_e32 v16, s37, v3
	;; [unrolled: 1-line block ×3, first 2 shown]
	s_delay_alu instid0(VALU_DEP_3) | instskip(SKIP_3) | instid1(VALU_DEP_3)
	v_lshlrev_b64 v[6:7], 1, v[52:53]
	v_add_nc_u32_e32 v52, s38, v0
	v_add_co_u32 v4, vcc_lo, s8, v4
	v_add_co_ci_u32_e32 v5, vcc_lo, s9, v5, vcc_lo
	v_lshlrev_b64 v[8:9], 1, v[52:53]
	v_add_co_u32 v10, vcc_lo, s8, v6
	v_add_co_ci_u32_e32 v11, vcc_lo, s9, v7, vcc_lo
	s_add_i32 s38, s38, s27
	s_delay_alu instid0(VALU_DEP_3) | instskip(NEXT) | instid1(VALU_DEP_4)
	v_add_co_u32 v12, vcc_lo, s8, v8
	v_add_co_ci_u32_e32 v13, vcc_lo, s9, v9, vcc_lo
	s_clause 0x2
	global_load_b128 v[4:7], v[4:5], off
	global_load_b128 v[8:11], v[10:11], off
	;; [unrolled: 1-line block ×3, first 2 shown]
	s_cmp_ge_u32 s38, s24
	s_cselect_b32 s40, -1, 0
	s_and_not1_b32 s39, s39, exec_lo
	s_and_b32 s40, s40, exec_lo
	s_delay_alu instid0(SALU_CYCLE_1)
	s_or_b32 s39, s39, s40
	s_waitcnt vmcnt(2)
	ds_store_b128 v3, v[4:7]
	v_add_nc_u32_e32 v3, s20, v3
	s_waitcnt vmcnt(1)
	ds_store_2addr_b64 v16, v[8:9], v[10:11] offset1:1
	s_waitcnt vmcnt(0)
	ds_store_2addr_b32 v17, v12, v13 offset1:1
	ds_store_2addr_b32 v17, v14, v15 offset0:2 offset1:3
	s_branch .LBB91_21
.LBB91_24:                              ;   in Loop: Header=BB91_17 Depth=2
	s_or_b32 exec_lo, exec_lo, s15
.LBB91_25:                              ;   in Loop: Header=BB91_17 Depth=2
	s_waitcnt lgkmcnt(0)
	s_barrier
	buffer_gl0_inv
	s_and_saveexec_b32 s2, s1
	s_cbranch_execz .LBB91_16
.LBB91_26:                              ;   in Loop: Header=BB91_17 Depth=2
	v_dual_mov_b32 v45, 0 :: v_dual_add_nc_u32 v76, s14, v61
	v_dual_mov_b32 v46, 0 :: v_dual_mov_b32 v47, 0
	s_waitcnt vmcnt(1)
	v_dual_mov_b32 v20, 0 :: v_dual_mov_b32 v21, 0
	s_delay_alu instid0(VALU_DEP_3) | instskip(SKIP_2) | instid1(VALU_DEP_3)
	v_min_u32_e32 v52, s28, v76
	v_dual_mov_b32 v44, 0 :: v_dual_add_nc_u32 v77, 0x200, v76
	v_dual_mov_b32 v22, 0 :: v_dual_mov_b32 v23, 0
	v_lshlrev_b64 v[0:1], 1, v[52:53]
	s_delay_alu instid0(VALU_DEP_3) | instskip(SKIP_2) | instid1(VALU_DEP_4)
	v_min_u32_e32 v52, s28, v77
	v_dual_mov_b32 v40, 0 :: v_dual_mov_b32 v41, 0
	v_dual_mov_b32 v42, 0 :: v_dual_mov_b32 v43, 0
	v_add_co_u32 v6, vcc_lo, s6, v0
	v_add_co_ci_u32_e32 v7, vcc_lo, s7, v1, vcc_lo
	v_lshlrev_b64 v[0:1], 1, v[52:53]
	s_delay_alu instid0(VALU_DEP_3) | instskip(NEXT) | instid1(VALU_DEP_3)
	v_add_co_u32 v2, vcc_lo, v6, v54
	v_add_co_ci_u32_e32 v3, vcc_lo, v7, v55, vcc_lo
	v_add_co_u32 v4, vcc_lo, v6, v56
	s_waitcnt lgkmcnt(0)
	v_add_co_ci_u32_e32 v5, vcc_lo, v7, v57, vcc_lo
	v_add_co_u32 v8, vcc_lo, s6, v0
	v_add_co_ci_u32_e32 v9, vcc_lo, s7, v1, vcc_lo
	v_add_co_u32 v0, vcc_lo, v6, v58
	v_add_co_ci_u32_e32 v1, vcc_lo, v7, v59, vcc_lo
	s_delay_alu instid0(VALU_DEP_4) | instskip(NEXT) | instid1(VALU_DEP_4)
	v_add_co_u32 v6, vcc_lo, v8, v54
	v_add_co_ci_u32_e32 v7, vcc_lo, v9, v55, vcc_lo
	v_add_co_u32 v12, vcc_lo, v8, v56
	v_add_co_ci_u32_e32 v13, vcc_lo, v9, v57, vcc_lo
	;; [unrolled: 2-line block ×3, first 2 shown]
	s_clause 0x5
	global_load_b128 v[32:35], v[2:3], off slc dlc
	global_load_b128 v[28:31], v[4:5], off slc dlc
	;; [unrolled: 1-line block ×6, first 2 shown]
	v_cmp_gt_u32_e32 vcc_lo, s16, v76
	v_dual_mov_b32 v16, 0 :: v_dual_mov_b32 v17, 0
	s_waitcnt vmcnt(6)
	v_dual_mov_b32 v18, 0 :: v_dual_mov_b32 v19, 0
	v_dual_mov_b32 v36, 0 :: v_dual_mov_b32 v37, 0
	v_dual_mov_b32 v38, 0 :: v_dual_mov_b32 v39, 0
	v_dual_mov_b32 v12, 0 :: v_dual_mov_b32 v13, 0
	v_dual_mov_b32 v14, 0 :: v_dual_mov_b32 v15, 0
	s_and_saveexec_b32 s15, vcc_lo
	s_cbranch_execz .LBB91_15
; %bb.27:                               ;   in Loop: Header=BB91_17 Depth=2
	v_subrev_nc_u32_e32 v12, s3, v76
	v_dual_mov_b32 v14, 0 :: v_dual_mov_b32 v17, 0
	v_dual_mov_b32 v18, 0 :: v_dual_mov_b32 v21, 0
	s_delay_alu instid0(VALU_DEP_3) | instskip(SKIP_2) | instid1(VALU_DEP_3)
	v_dual_mov_b32 v15, 0 :: v_dual_lshlrev_b32 v78, 1, v12
	v_dual_mov_b32 v12, 0 :: v_dual_mov_b32 v23, 0
	v_mov_b32_e32 v16, 0
	v_dual_mov_b32 v13, 0 :: v_dual_add_nc_u32 v76, s37, v78
	v_mov_b32_e32 v22, 0
	v_mov_b32_e32 v20, 0
	s_mov_b32 s38, exec_lo
	s_delay_alu instid0(VALU_DEP_3)
	v_dual_mov_b32 v19, 0 :: v_dual_add_nc_u32 v52, s37, v76
	ds_load_b128 v[44:47], v78
	ds_load_b128 v[40:43], v76
	;; [unrolled: 1-line block ×3, first 2 shown]
	v_cmpx_gt_u32_e64 s16, v77
	s_cbranch_execz .LBB91_14
; %bb.28:                               ;   in Loop: Header=BB91_17 Depth=2
	ds_load_b128 v[20:23], v78 offset:1024
	ds_load_b128 v[16:19], v76 offset:1024
	;; [unrolled: 1-line block ×3, first 2 shown]
	s_branch .LBB91_14
.LBB91_29:                              ;   in Loop: Header=BB91_12 Depth=1
	s_mov_b32 s1, exec_lo
	v_cmpx_le_u32_e64 s19, v51
	s_xor_b32 s1, exec_lo, s1
; %bb.30:                               ;   in Loop: Header=BB91_12 Depth=1
	v_add_nc_u32_e32 v51, s5, v51
                                        ; implicit-def: $vgpr75
                                        ; implicit-def: $vgpr74
                                        ; implicit-def: $vgpr73
                                        ; implicit-def: $vgpr72
                                        ; implicit-def: $vgpr71
                                        ; implicit-def: $vgpr70
                                        ; implicit-def: $vgpr68
                                        ; implicit-def: $vgpr69
                                        ; implicit-def: $vgpr67
; %bb.31:                               ;   in Loop: Header=BB91_12 Depth=1
	s_and_not1_saveexec_b32 s38, s1
	s_cbranch_execz .LBB91_11
; %bb.32:                               ;   in Loop: Header=BB91_12 Depth=1
	v_cvt_i32_f32_e32 v0, v75
	v_cvt_i32_f32_e32 v1, v74
	;; [unrolled: 1-line block ×3, first 2 shown]
	s_waitcnt lgkmcnt(1)
	v_cvt_i32_f32_e32 v3, v72
	v_xor_b32_e32 v8, 16, v60
	v_cvt_f32_i32_dpp v0, v0 row_shr:8 row_mask:0xf bank_mask:0xf bound_ctrl:1
	v_cvt_f32_i32_dpp v1, v1 row_shr:8 row_mask:0xf bank_mask:0xf bound_ctrl:1
	;; [unrolled: 1-line block ×4, first 2 shown]
	v_cmp_gt_i32_e32 vcc_lo, 32, v8
	s_delay_alu instid0(VALU_DEP_4) | instskip(NEXT) | instid1(VALU_DEP_3)
	v_dual_add_f32 v0, v75, v0 :: v_dual_add_f32 v1, v74, v1
	v_dual_add_f32 v2, v73, v2 :: v_dual_add_f32 v3, v72, v3
	v_cvt_i32_f32_e32 v10, v70
	s_delay_alu instid0(VALU_DEP_3)
	v_cvt_i32_f32_e32 v4, v0
	s_waitcnt lgkmcnt(0)
	v_cvt_i32_f32_e32 v5, v1
	v_cvt_i32_f32_e32 v6, v2
	;; [unrolled: 1-line block ×4, first 2 shown]
	v_cvt_f32_i32_dpp v4, v4 row_shr:4 row_mask:0xf bank_mask:0xf bound_ctrl:1
	v_cvt_f32_i32_dpp v5, v5 row_shr:4 row_mask:0xf bank_mask:0xf bound_ctrl:1
	v_cvt_f32_i32_dpp v6, v6 row_shr:4 row_mask:0xf bank_mask:0xf bound_ctrl:1
	v_cvt_f32_i32_dpp v7, v7 row_shr:4 row_mask:0xf bank_mask:0xf bound_ctrl:1
	s_delay_alu instid0(VALU_DEP_3) | instskip(NEXT) | instid1(VALU_DEP_2)
	v_dual_add_f32 v0, v0, v4 :: v_dual_add_f32 v1, v1, v5
	v_dual_add_f32 v2, v2, v6 :: v_dual_add_f32 v3, v3, v7
	v_cvt_i32_f32_e32 v4, v71
	s_delay_alu instid0(VALU_DEP_3) | instskip(NEXT) | instid1(VALU_DEP_4)
	v_cvt_i32_f32_e32 v5, v0
	v_cvt_i32_f32_e32 v6, v1
	s_delay_alu instid0(VALU_DEP_4) | instskip(SKIP_1) | instid1(VALU_DEP_4)
	v_cvt_i32_f32_e32 v7, v2
	v_cvt_i32_f32_e32 v9, v3
	v_cvt_f32_i32_dpp v5, v5 row_shr:2 row_mask:0xf bank_mask:0xf bound_ctrl:1
	s_delay_alu instid0(VALU_DEP_4) | instskip(NEXT) | instid1(VALU_DEP_4)
	v_cvt_f32_i32_dpp v6, v6 row_shr:2 row_mask:0xf bank_mask:0xf bound_ctrl:1
	v_cvt_f32_i32_dpp v7, v7 row_shr:2 row_mask:0xf bank_mask:0xf bound_ctrl:1
	s_delay_alu instid0(VALU_DEP_4) | instskip(NEXT) | instid1(VALU_DEP_3)
	v_cvt_f32_i32_dpp v9, v9 row_shr:2 row_mask:0xf bank_mask:0xf bound_ctrl:1
	v_dual_add_f32 v0, v0, v5 :: v_dual_add_f32 v1, v1, v6
	s_delay_alu instid0(VALU_DEP_2) | instskip(SKIP_1) | instid1(VALU_DEP_3)
	v_dual_add_f32 v2, v2, v7 :: v_dual_add_f32 v3, v3, v9
	v_cvt_i32_f32_e32 v5, v69
	v_cvt_i32_f32_e32 v6, v0
	s_delay_alu instid0(VALU_DEP_4) | instskip(NEXT) | instid1(VALU_DEP_4)
	v_cvt_i32_f32_e32 v7, v1
	v_cvt_i32_f32_e32 v9, v2
	;; [unrolled: 1-line block ×3, first 2 shown]
	v_cvt_f32_i32_dpp v5, v5 row_shr:8 row_mask:0xf bank_mask:0xf bound_ctrl:1
	v_cvt_f32_i32_dpp v6, v6 row_shr:1 row_mask:0xf bank_mask:0xf bound_ctrl:1
	;; [unrolled: 1-line block ×4, first 2 shown]
	v_cndmask_b32_e32 v8, v60, v8, vcc_lo
	v_cvt_f32_i32_dpp v12, v12 row_shr:1 row_mask:0xf bank_mask:0xf bound_ctrl:1
	v_add_f32_e32 v17, v0, v6
	v_add_f32_e32 v13, v1, v7
	v_add_f32_e32 v1, v2, v9
	v_cvt_f32_i32_dpp v2, v4 row_shr:8 row_mask:0xf bank_mask:0xf bound_ctrl:1
	s_waitcnt vmcnt(0)
	v_lshlrev_b32_e32 v19, 2, v8
	v_cvt_i32_f32_e32 v0, v68
	v_add_f32_e32 v6, v3, v12
	v_cvt_f32_i32_dpp v3, v10 row_shr:8 row_mask:0xf bank_mask:0xf bound_ctrl:1
	v_add_f32_e32 v2, v71, v2
	v_cvt_f32_i32_dpp v4, v11 row_shr:8 row_mask:0xf bank_mask:0xf bound_ctrl:1
	v_cvt_f32_i32_dpp v0, v0 row_shr:8 row_mask:0xf bank_mask:0xf bound_ctrl:1
	ds_bpermute_b32 v18, v19, v17
	v_add_f32_e32 v3, v70, v3
	v_cvt_i32_f32_e32 v7, v2
	v_add_f32_e32 v4, v67, v4
	v_add_f32_e32 v0, v68, v0
	ds_bpermute_b32 v16, v19, v13
	v_cvt_i32_f32_e32 v8, v3
	v_cvt_f32_i32_dpp v7, v7 row_shr:4 row_mask:0xf bank_mask:0xf bound_ctrl:1
	v_add_f32_e32 v5, v69, v5
	v_cvt_i32_f32_e32 v10, v4
	v_cvt_i32_f32_e32 v14, v0
	v_cvt_f32_i32_dpp v8, v8 row_shr:4 row_mask:0xf bank_mask:0xf bound_ctrl:1
	v_add_f32_e32 v2, v2, v7
	v_cvt_i32_f32_e32 v11, v5
	v_cvt_f32_i32_dpp v10, v10 row_shr:4 row_mask:0xf bank_mask:0xf bound_ctrl:1
	v_cvt_f32_i32_dpp v14, v14 row_shr:4 row_mask:0xf bank_mask:0xf bound_ctrl:1
	v_add_f32_e32 v3, v3, v8
	v_cvt_i32_f32_e32 v7, v2
	v_cvt_f32_i32_dpp v11, v11 row_shr:4 row_mask:0xf bank_mask:0xf bound_ctrl:1
	v_add_f32_e32 v4, v4, v10
	v_add_f32_e32 v0, v0, v14
	v_cvt_i32_f32_e32 v8, v3
	v_cvt_f32_i32_dpp v7, v7 row_shr:2 row_mask:0xf bank_mask:0xf bound_ctrl:1
	v_add_f32_e32 v5, v5, v11
	v_cvt_i32_f32_e32 v10, v4
	v_cvt_i32_f32_e32 v14, v0
	v_cvt_f32_i32_dpp v8, v8 row_shr:2 row_mask:0xf bank_mask:0xf bound_ctrl:1
	v_add_f32_e32 v2, v2, v7
	v_cvt_i32_f32_e32 v11, v5
	v_cvt_f32_i32_dpp v10, v10 row_shr:2 row_mask:0xf bank_mask:0xf bound_ctrl:1
	v_cvt_f32_i32_dpp v14, v14 row_shr:2 row_mask:0xf bank_mask:0xf bound_ctrl:1
	v_add_f32_e32 v3, v3, v8
	v_cvt_i32_f32_e32 v7, v2
	v_cvt_f32_i32_dpp v11, v11 row_shr:2 row_mask:0xf bank_mask:0xf bound_ctrl:1
	v_add_f32_e32 v4, v4, v10
	v_add_f32_e32 v0, v0, v14
	v_cvt_i32_f32_e32 v8, v3
	v_cvt_f32_i32_dpp v7, v7 row_shr:1 row_mask:0xf bank_mask:0xf bound_ctrl:1
	v_add_f32_e32 v5, v5, v11
	v_cvt_i32_f32_e32 v10, v4
	v_cvt_i32_f32_e32 v14, v0
	v_cvt_f32_i32_dpp v8, v8 row_shr:1 row_mask:0xf bank_mask:0xf bound_ctrl:1
	ds_bpermute_b32 v12, v19, v1
	v_cvt_i32_f32_e32 v11, v5
	v_cvt_f32_i32_dpp v15, v10 row_shr:1 row_mask:0xf bank_mask:0xf bound_ctrl:1
	v_cvt_f32_i32_dpp v20, v14 row_shr:1 row_mask:0xf bank_mask:0xf bound_ctrl:1
	v_add_f32_e32 v14, v2, v7
	v_add_f32_e32 v10, v3, v8
	v_cvt_f32_i32_dpp v11, v11 row_shr:1 row_mask:0xf bank_mask:0xf bound_ctrl:1
	v_add_f32_e32 v7, v4, v15
	v_add_f32_e32 v2, v0, v20
	ds_bpermute_b32 v9, v19, v6
	ds_bpermute_b32 v15, v19, v14
	v_add_f32_e32 v4, v5, v11
	ds_bpermute_b32 v11, v19, v10
	ds_bpermute_b32 v8, v19, v7
	;; [unrolled: 1-line block ×4, first 2 shown]
	s_and_saveexec_b32 s14, s0
	s_cbranch_execz .LBB91_45
; %bb.33:                               ;   in Loop: Header=BB91_12 Depth=1
	v_dual_mov_b32 v27, 0 :: v_dual_add_nc_u32 v0, 2, v51
	v_dual_mov_b32 v26, 0 :: v_dual_mov_b32 v25, 0
	v_dual_mov_b32 v24, 0 :: v_dual_mov_b32 v23, 0
	;; [unrolled: 1-line block ×4, first 2 shown]
	s_and_not1_b32 vcc_lo, exec_lo, s30
	s_cbranch_vccnz .LBB91_35
; %bb.34:                               ;   in Loop: Header=BB91_12 Depth=1
	v_mul_hi_u32 v20, v51, v66
	v_add_nc_u32_e32 v19, 1, v51
	v_mul_hi_u32 v21, v0, v66
	s_delay_alu instid0(VALU_DEP_3) | instskip(NEXT) | instid1(VALU_DEP_2)
	v_mul_lo_u32 v20, v20, s4
	v_mul_lo_u32 v21, v21, s4
	s_delay_alu instid0(VALU_DEP_2) | instskip(SKIP_2) | instid1(VALU_DEP_4)
	v_sub_nc_u32_e32 v23, v51, v20
	v_mov_b32_e32 v20, v53
	v_mul_hi_u32 v22, v19, v66
	v_sub_nc_u32_e32 v21, v0, v21
	s_delay_alu instid0(VALU_DEP_4) | instskip(SKIP_1) | instid1(VALU_DEP_3)
	v_subrev_nc_u32_e32 v25, s4, v23
	v_cmp_le_u32_e32 vcc_lo, s4, v23
	v_subrev_nc_u32_e32 v26, s4, v21
	v_mul_lo_u32 v22, v22, s4
	s_delay_alu instid0(VALU_DEP_4) | instskip(SKIP_1) | instid1(VALU_DEP_4)
	v_cndmask_b32_e32 v23, v23, v25, vcc_lo
	v_cmp_le_u32_e32 vcc_lo, s4, v21
	v_cndmask_b32_e32 v21, v21, v26, vcc_lo
	s_delay_alu instid0(VALU_DEP_4) | instskip(SKIP_2) | instid1(VALU_DEP_4)
	v_sub_nc_u32_e32 v19, v19, v22
	v_mov_b32_e32 v22, v53
	v_subrev_nc_u32_e32 v26, s4, v23
	v_subrev_nc_u32_e32 v28, s4, v21
	s_delay_alu instid0(VALU_DEP_4) | instskip(SKIP_1) | instid1(VALU_DEP_2)
	v_subrev_nc_u32_e32 v27, s4, v19
	v_cmp_le_u32_e32 vcc_lo, s4, v19
	v_dual_mov_b32 v24, v53 :: v_dual_cndmask_b32 v19, v19, v27
	v_cmp_le_u32_e32 vcc_lo, s4, v23
	v_mov_b32_e32 v25, v53
	s_delay_alu instid0(VALU_DEP_3) | instskip(SKIP_2) | instid1(VALU_DEP_2)
	v_subrev_nc_u32_e32 v29, s4, v19
	v_cndmask_b32_e32 v52, v23, v26, vcc_lo
	v_cmp_le_u32_e32 vcc_lo, s4, v21
	v_add_nc_u32_e32 v23, s31, v52
	v_cndmask_b32_e32 v21, v21, v28, vcc_lo
	v_cmp_le_u32_e32 vcc_lo, s4, v19
	s_delay_alu instid0(VALU_DEP_2) | instskip(SKIP_4) | instid1(VALU_DEP_4)
	v_lshlrev_b64 v[30:31], 1, v[21:22]
	v_cndmask_b32_e32 v19, v19, v29, vcc_lo
	v_lshlrev_b64 v[28:29], 1, v[52:53]
	v_add_nc_u32_e32 v52, s36, v52
	v_lshlrev_b64 v[22:23], 1, v[23:24]
	v_lshlrev_b64 v[32:33], 1, v[19:20]
	v_add_nc_u32_e32 v24, s31, v19
	v_add_co_u32 v28, vcc_lo, s10, v28
	v_add_co_ci_u32_e32 v29, vcc_lo, s11, v29, vcc_lo
	v_add_co_u32 v30, vcc_lo, s10, v30
	v_add_co_ci_u32_e32 v31, vcc_lo, s11, v31, vcc_lo
	v_lshlrev_b64 v[24:25], 1, v[24:25]
	v_add_co_u32 v32, vcc_lo, s10, v32
	v_add_co_ci_u32_e32 v33, vcc_lo, s11, v33, vcc_lo
	v_add_co_u32 v22, vcc_lo, s10, v22
	v_add_co_ci_u32_e32 v23, vcc_lo, s11, v23, vcc_lo
	;; [unrolled: 2-line block ×3, first 2 shown]
	v_lshlrev_b64 v[24:25], 1, v[52:53]
	v_dual_mov_b32 v27, v53 :: v_dual_add_nc_u32 v52, s36, v19
	v_add_nc_u32_e32 v26, s31, v21
	s_delay_alu instid0(VALU_DEP_1) | instskip(NEXT) | instid1(VALU_DEP_1)
	v_lshlrev_b64 v[26:27], 1, v[26:27]
	v_add_co_u32 v19, vcc_lo, s10, v26
	s_delay_alu instid0(VALU_DEP_2) | instskip(SKIP_4) | instid1(VALU_DEP_3)
	v_add_co_ci_u32_e32 v20, vcc_lo, s11, v27, vcc_lo
	v_lshlrev_b64 v[26:27], 1, v[52:53]
	v_add_nc_u32_e32 v52, s36, v21
	v_add_co_u32 v36, vcc_lo, s10, v24
	v_add_co_ci_u32_e32 v37, vcc_lo, s11, v25, vcc_lo
	v_lshlrev_b64 v[24:25], 1, v[52:53]
	v_add_co_u32 v38, vcc_lo, s10, v26
	v_add_co_ci_u32_e32 v39, vcc_lo, s11, v27, vcc_lo
	s_delay_alu instid0(VALU_DEP_3) | instskip(NEXT) | instid1(VALU_DEP_4)
	v_add_co_u32 v40, vcc_lo, s10, v24
	v_add_co_ci_u32_e32 v41, vcc_lo, s11, v25, vcc_lo
	s_clause 0x8
	global_load_u16 v27, v[28:29], off
	global_load_u16 v26, v[32:33], off
	;; [unrolled: 1-line block ×9, first 2 shown]
.LBB91_35:                              ;   in Loop: Header=BB91_12 Depth=1
	v_cmp_ne_u32_e32 vcc_lo, 0, v48
	s_and_saveexec_b32 s2, vcc_lo
	s_cbranch_execnz .LBB91_50
; %bb.36:                               ;   in Loop: Header=BB91_12 Depth=1
	s_or_b32 exec_lo, exec_lo, s2
	v_cmp_ne_u32_e64 s1, 0, v49
	s_delay_alu instid0(VALU_DEP_1)
	s_and_saveexec_b32 s3, s1
	s_cbranch_execnz .LBB91_51
.LBB91_37:                              ;   in Loop: Header=BB91_12 Depth=1
	s_or_b32 exec_lo, exec_lo, s3
	v_cmp_ne_u32_e64 s2, 0, v50
	s_delay_alu instid0(VALU_DEP_1)
	s_and_saveexec_b32 s15, s2
	s_cbranch_execnz .LBB91_52
.LBB91_38:                              ;   in Loop: Header=BB91_12 Depth=1
	s_or_b32 exec_lo, exec_lo, s15
	v_add_nc_u32_e32 v52, s19, v51
	s_and_saveexec_b32 s15, vcc_lo
	s_cbranch_execnz .LBB91_53
.LBB91_39:                              ;   in Loop: Header=BB91_12 Depth=1
	s_or_b32 exec_lo, exec_lo, s15
	s_and_saveexec_b32 s15, s1
	s_cbranch_execnz .LBB91_54
.LBB91_40:                              ;   in Loop: Header=BB91_12 Depth=1
	s_or_b32 exec_lo, exec_lo, s15
	s_and_saveexec_b32 s15, s2
	s_cbranch_execnz .LBB91_55
.LBB91_41:                              ;   in Loop: Header=BB91_12 Depth=1
	s_or_b32 exec_lo, exec_lo, s15
	v_add_nc_u32_e32 v52, s19, v52
	s_and_saveexec_b32 s3, vcc_lo
	s_cbranch_execnz .LBB91_56
.LBB91_42:                              ;   in Loop: Header=BB91_12 Depth=1
	s_or_b32 exec_lo, exec_lo, s3
	s_and_saveexec_b32 s3, s1
	s_cbranch_execnz .LBB91_57
.LBB91_43:                              ;   in Loop: Header=BB91_12 Depth=1
	s_or_b32 exec_lo, exec_lo, s3
	s_delay_alu instid0(SALU_CYCLE_1)
	s_and_b32 exec_lo, exec_lo, s2
	s_cbranch_execz .LBB91_45
.LBB91_44:                              ;   in Loop: Header=BB91_12 Depth=1
	s_waitcnt lgkmcnt(1)
	v_add_f32_e32 v0, v2, v3
	s_waitcnt vmcnt(0)
	v_cvt_f32_f16_e32 v1, v19
	v_add_nc_u32_e32 v52, 2, v52
	s_delay_alu instid0(VALU_DEP_2) | instskip(NEXT) | instid1(VALU_DEP_2)
	v_add_f32_e32 v2, v0, v1
	v_lshlrev_b64 v[0:1], 1, v[52:53]
	s_delay_alu instid0(VALU_DEP_2) | instskip(NEXT) | instid1(VALU_DEP_2)
	v_cvt_f16_f32_e32 v2, v2
	v_add_co_u32 v0, vcc_lo, s12, v0
	s_delay_alu instid0(VALU_DEP_3)
	v_add_co_ci_u32_e32 v1, vcc_lo, s13, v1, vcc_lo
	global_store_b16 v[0:1], v2, off
.LBB91_45:                              ;   in Loop: Header=BB91_12 Depth=1
	s_or_b32 exec_lo, exec_lo, s14
	v_add_nc_u32_e32 v51, s5, v51
	s_delay_alu instid0(VALU_DEP_1) | instskip(SKIP_1) | instid1(VALU_DEP_2)
	v_add_nc_u32_e32 v0, 3, v51
	v_cmp_gt_u32_e32 vcc_lo, s19, v51
	v_cmp_le_u32_e64 s1, s19, v0
	s_delay_alu instid0(VALU_DEP_1) | instskip(NEXT) | instid1(SALU_CYCLE_1)
	s_and_b32 s1, vcc_lo, s1
	s_and_saveexec_b32 s39, s1
	s_cbranch_execz .LBB91_10
; %bb.46:                               ;   in Loop: Header=BB91_12 Depth=1
	s_mov_b32 s40, exec_lo
	v_cmpx_ne_u32_e64 s21, v51
	s_cbranch_execz .LBB91_9
; %bb.47:                               ;   in Loop: Header=BB91_12 Depth=1
	v_subrev_nc_u32_e32 v0, s21, v51
	s_mov_b32 s41, 0
	s_mov_b64 s[14:15], 0
	s_delay_alu instid0(VALU_DEP_1)
	v_cmp_lt_u32_e32 vcc_lo, 1, v0
	v_cndmask_b32_e32 v0, 1, v0, vcc_lo
	.p2align	6
.LBB91_48:                              ;   Parent Loop BB91_12 Depth=1
                                        ; =>  This Inner Loop Header: Depth=2
	s_cmp_lg_u32 s14, 2
	s_cselect_b32 vcc_lo, -1, 0
	s_cmp_lg_u32 s14, 1
	v_cndmask_b32_e32 v50, 0, v50, vcc_lo
	s_cselect_b32 s1, -1, 0
	s_cmp_lg_u32 s14, 0
	v_cndmask_b32_e64 v49, 0, v49, s1
	s_cselect_b32 s2, -1, 0
	s_add_u32 s14, s14, 1
	v_cndmask_b32_e64 v48, 0, v48, s2
	v_cmp_eq_u32_e64 s3, s14, v0
	s_addc_u32 s15, s15, 0
	s_delay_alu instid0(VALU_DEP_1) | instskip(NEXT) | instid1(SALU_CYCLE_1)
	s_or_b32 s41, s3, s41
	s_and_not1_b32 exec_lo, exec_lo, s41
	s_cbranch_execnz .LBB91_48
; %bb.49:                               ;   in Loop: Header=BB91_12 Depth=1
	s_or_b32 exec_lo, exec_lo, s41
	s_branch .LBB91_9
.LBB91_50:                              ;   in Loop: Header=BB91_12 Depth=1
	s_waitcnt lgkmcnt(8)
	v_add_f32_e32 v17, v17, v18
	s_waitcnt vmcnt(8)
	v_cvt_f32_f16_e32 v18, v27
	v_mov_b32_e32 v52, v53
	s_delay_alu instid0(VALU_DEP_2) | instskip(NEXT) | instid1(VALU_DEP_2)
	v_add_f32_e32 v27, v17, v18
	v_lshlrev_b64 v[17:18], 1, v[51:52]
	s_delay_alu instid0(VALU_DEP_2) | instskip(NEXT) | instid1(VALU_DEP_2)
	v_cvt_f16_f32_e32 v27, v27
	v_add_co_u32 v17, s1, s12, v17
	s_delay_alu instid0(VALU_DEP_1) | instskip(SKIP_3) | instid1(VALU_DEP_1)
	v_add_co_ci_u32_e64 v18, s1, s13, v18, s1
	global_store_b16 v[17:18], v27, off
	s_or_b32 exec_lo, exec_lo, s2
	v_cmp_ne_u32_e64 s1, 0, v49
	s_and_saveexec_b32 s3, s1
	s_cbranch_execz .LBB91_37
.LBB91_51:                              ;   in Loop: Header=BB91_12 Depth=1
	s_waitcnt lgkmcnt(7)
	v_add_f32_e32 v13, v13, v16
	s_waitcnt vmcnt(7)
	v_cvt_f32_f16_e32 v16, v26
	v_mov_b32_e32 v52, v53
	s_delay_alu instid0(VALU_DEP_2) | instskip(NEXT) | instid1(VALU_DEP_2)
	v_add_f32_e32 v13, v13, v16
	v_lshlrev_b64 v[16:17], 1, v[51:52]
	s_delay_alu instid0(VALU_DEP_2) | instskip(NEXT) | instid1(VALU_DEP_2)
	v_cvt_f16_f32_e32 v13, v13
	v_add_co_u32 v16, s2, s33, v16
	s_delay_alu instid0(VALU_DEP_1) | instskip(SKIP_3) | instid1(VALU_DEP_1)
	v_add_co_ci_u32_e64 v17, s2, s34, v17, s2
	global_store_b16 v[16:17], v13, off
	s_or_b32 exec_lo, exec_lo, s3
	v_cmp_ne_u32_e64 s2, 0, v50
	s_and_saveexec_b32 s15, s2
	s_cbranch_execz .LBB91_38
.LBB91_52:                              ;   in Loop: Header=BB91_12 Depth=1
	s_waitcnt lgkmcnt(6)
	v_add_f32_e32 v12, v1, v12
	s_waitcnt vmcnt(6)
	v_cvt_f32_f16_e32 v13, v25
	s_delay_alu instid0(VALU_DEP_1) | instskip(NEXT) | instid1(VALU_DEP_1)
	v_dual_mov_b32 v1, v53 :: v_dual_add_f32 v12, v12, v13
	v_lshlrev_b64 v[0:1], 1, v[0:1]
	s_delay_alu instid0(VALU_DEP_2) | instskip(NEXT) | instid1(VALU_DEP_2)
	v_cvt_f16_f32_e32 v12, v12
	v_add_co_u32 v0, s3, s12, v0
	s_delay_alu instid0(VALU_DEP_1)
	v_add_co_ci_u32_e64 v1, s3, s13, v1, s3
	global_store_b16 v[0:1], v12, off
	s_or_b32 exec_lo, exec_lo, s15
	v_add_nc_u32_e32 v52, s19, v51
	s_and_saveexec_b32 s15, vcc_lo
	s_cbranch_execz .LBB91_39
.LBB91_53:                              ;   in Loop: Header=BB91_12 Depth=1
	s_waitcnt lgkmcnt(5)
	v_add_f32_e32 v0, v6, v9
	s_waitcnt vmcnt(5)
	v_cvt_f32_f16_e32 v1, v24
	s_delay_alu instid0(VALU_DEP_1) | instskip(SKIP_1) | instid1(VALU_DEP_2)
	v_add_f32_e32 v6, v0, v1
	v_lshlrev_b64 v[0:1], 1, v[52:53]
	v_cvt_f16_f32_e32 v6, v6
	s_delay_alu instid0(VALU_DEP_2) | instskip(NEXT) | instid1(VALU_DEP_1)
	v_add_co_u32 v0, s3, s12, v0
	v_add_co_ci_u32_e64 v1, s3, s13, v1, s3
	global_store_b16 v[0:1], v6, off
	s_or_b32 exec_lo, exec_lo, s15
	s_and_saveexec_b32 s15, s1
	s_cbranch_execz .LBB91_40
.LBB91_54:                              ;   in Loop: Header=BB91_12 Depth=1
	s_waitcnt lgkmcnt(4)
	v_dual_add_f32 v6, v14, v15 :: v_dual_mov_b32 v1, v53
	v_add_nc_u32_e32 v0, 1, v52
	s_waitcnt vmcnt(4)
	v_cvt_f32_f16_e32 v9, v23
	s_delay_alu instid0(VALU_DEP_2) | instskip(NEXT) | instid1(VALU_DEP_2)
	v_lshlrev_b64 v[0:1], 1, v[0:1]
	v_add_f32_e32 v6, v6, v9
	s_delay_alu instid0(VALU_DEP_1) | instskip(NEXT) | instid1(VALU_DEP_3)
	v_cvt_f16_f32_e32 v6, v6
	v_add_co_u32 v0, s3, s12, v0
	s_delay_alu instid0(VALU_DEP_1)
	v_add_co_ci_u32_e64 v1, s3, s13, v1, s3
	global_store_b16 v[0:1], v6, off
	s_or_b32 exec_lo, exec_lo, s15
	s_and_saveexec_b32 s15, s2
	s_cbranch_execz .LBB91_41
.LBB91_55:                              ;   in Loop: Header=BB91_12 Depth=1
	s_waitcnt lgkmcnt(3)
	v_dual_add_f32 v6, v10, v11 :: v_dual_mov_b32 v1, v53
	v_add_nc_u32_e32 v0, 2, v52
	s_waitcnt vmcnt(3)
	v_cvt_f32_f16_e32 v9, v22
	s_delay_alu instid0(VALU_DEP_2) | instskip(NEXT) | instid1(VALU_DEP_2)
	v_lshlrev_b64 v[0:1], 1, v[0:1]
	v_add_f32_e32 v6, v6, v9
	s_delay_alu instid0(VALU_DEP_1) | instskip(NEXT) | instid1(VALU_DEP_3)
	v_cvt_f16_f32_e32 v6, v6
	v_add_co_u32 v0, s3, s12, v0
	s_delay_alu instid0(VALU_DEP_1)
	v_add_co_ci_u32_e64 v1, s3, s13, v1, s3
	global_store_b16 v[0:1], v6, off
	s_or_b32 exec_lo, exec_lo, s15
	v_add_nc_u32_e32 v52, s19, v52
	s_and_saveexec_b32 s3, vcc_lo
	s_cbranch_execz .LBB91_42
.LBB91_56:                              ;   in Loop: Header=BB91_12 Depth=1
	s_waitcnt lgkmcnt(2)
	v_add_f32_e32 v0, v7, v8
	s_waitcnt vmcnt(2)
	v_cvt_f32_f16_e32 v1, v21
	s_delay_alu instid0(VALU_DEP_1) | instskip(SKIP_1) | instid1(VALU_DEP_2)
	v_add_f32_e32 v6, v0, v1
	v_lshlrev_b64 v[0:1], 1, v[52:53]
	v_cvt_f16_f32_e32 v6, v6
	s_delay_alu instid0(VALU_DEP_2) | instskip(NEXT) | instid1(VALU_DEP_3)
	v_add_co_u32 v0, vcc_lo, s12, v0
	v_add_co_ci_u32_e32 v1, vcc_lo, s13, v1, vcc_lo
	global_store_b16 v[0:1], v6, off
	s_or_b32 exec_lo, exec_lo, s3
	s_and_saveexec_b32 s3, s1
	s_cbranch_execz .LBB91_43
.LBB91_57:                              ;   in Loop: Header=BB91_12 Depth=1
	s_waitcnt lgkmcnt(0)
	v_dual_add_f32 v4, v4, v5 :: v_dual_mov_b32 v1, v53
	v_add_nc_u32_e32 v0, 1, v52
	s_waitcnt vmcnt(1)
	v_cvt_f32_f16_e32 v5, v20
	s_delay_alu instid0(VALU_DEP_2) | instskip(NEXT) | instid1(VALU_DEP_2)
	v_lshlrev_b64 v[0:1], 1, v[0:1]
	v_add_f32_e32 v4, v4, v5
	s_delay_alu instid0(VALU_DEP_1) | instskip(NEXT) | instid1(VALU_DEP_3)
	v_cvt_f16_f32_e32 v4, v4
	v_add_co_u32 v0, vcc_lo, s12, v0
	s_delay_alu instid0(VALU_DEP_4) | instskip(SKIP_2) | instid1(SALU_CYCLE_1)
	v_add_co_ci_u32_e32 v1, vcc_lo, s13, v1, vcc_lo
	global_store_b16 v[0:1], v4, off
	s_or_b32 exec_lo, exec_lo, s3
	s_and_b32 exec_lo, exec_lo, s2
	s_cbranch_execnz .LBB91_44
	s_branch .LBB91_45
.LBB91_58:
	s_nop 0
	s_sendmsg sendmsg(MSG_DEALLOC_VGPRS)
	s_endpgm
	.section	.rodata,"a",@progbits
	.p2align	6, 0x0
	.amdhsa_kernel _Z16wvSplitK_hf_big_I6__halfLi64ELi3ELi16ELi8ELi2ELi3EEviiiiiiPKT_S3_S3_PS1_ii
		.amdhsa_group_segment_fixed_size 65536
		.amdhsa_private_segment_fixed_size 0
		.amdhsa_kernarg_size 64
		.amdhsa_user_sgpr_count 15
		.amdhsa_user_sgpr_dispatch_ptr 0
		.amdhsa_user_sgpr_queue_ptr 0
		.amdhsa_user_sgpr_kernarg_segment_ptr 1
		.amdhsa_user_sgpr_dispatch_id 0
		.amdhsa_user_sgpr_private_segment_size 0
		.amdhsa_wavefront_size32 1
		.amdhsa_uses_dynamic_stack 0
		.amdhsa_enable_private_segment 0
		.amdhsa_system_sgpr_workgroup_id_x 1
		.amdhsa_system_sgpr_workgroup_id_y 0
		.amdhsa_system_sgpr_workgroup_id_z 0
		.amdhsa_system_sgpr_workgroup_info 0
		.amdhsa_system_vgpr_workitem_id 1
		.amdhsa_next_free_vgpr 79
		.amdhsa_next_free_sgpr 42
		.amdhsa_reserve_vcc 1
		.amdhsa_float_round_mode_32 0
		.amdhsa_float_round_mode_16_64 0
		.amdhsa_float_denorm_mode_32 3
		.amdhsa_float_denorm_mode_16_64 3
		.amdhsa_dx10_clamp 1
		.amdhsa_ieee_mode 1
		.amdhsa_fp16_overflow 0
		.amdhsa_workgroup_processor_mode 1
		.amdhsa_memory_ordered 1
		.amdhsa_forward_progress 0
		.amdhsa_shared_vgpr_count 0
		.amdhsa_exception_fp_ieee_invalid_op 0
		.amdhsa_exception_fp_denorm_src 0
		.amdhsa_exception_fp_ieee_div_zero 0
		.amdhsa_exception_fp_ieee_overflow 0
		.amdhsa_exception_fp_ieee_underflow 0
		.amdhsa_exception_fp_ieee_inexact 0
		.amdhsa_exception_int_div_zero 0
	.end_amdhsa_kernel
	.section	.text._Z16wvSplitK_hf_big_I6__halfLi64ELi3ELi16ELi8ELi2ELi3EEviiiiiiPKT_S3_S3_PS1_ii,"axG",@progbits,_Z16wvSplitK_hf_big_I6__halfLi64ELi3ELi16ELi8ELi2ELi3EEviiiiiiPKT_S3_S3_PS1_ii,comdat
.Lfunc_end91:
	.size	_Z16wvSplitK_hf_big_I6__halfLi64ELi3ELi16ELi8ELi2ELi3EEviiiiiiPKT_S3_S3_PS1_ii, .Lfunc_end91-_Z16wvSplitK_hf_big_I6__halfLi64ELi3ELi16ELi8ELi2ELi3EEviiiiiiPKT_S3_S3_PS1_ii
                                        ; -- End function
	.section	.AMDGPU.csdata,"",@progbits
; Kernel info:
; codeLenInByte = 5744
; NumSgprs: 44
; NumVgprs: 79
; ScratchSize: 0
; MemoryBound: 0
; FloatMode: 240
; IeeeMode: 1
; LDSByteSize: 65536 bytes/workgroup (compile time only)
; SGPRBlocks: 5
; VGPRBlocks: 9
; NumSGPRsForWavesPerEU: 44
; NumVGPRsForWavesPerEU: 79
; Occupancy: 16
; WaveLimiterHint : 0
; COMPUTE_PGM_RSRC2:SCRATCH_EN: 0
; COMPUTE_PGM_RSRC2:USER_SGPR: 15
; COMPUTE_PGM_RSRC2:TRAP_HANDLER: 0
; COMPUTE_PGM_RSRC2:TGID_X_EN: 1
; COMPUTE_PGM_RSRC2:TGID_Y_EN: 0
; COMPUTE_PGM_RSRC2:TGID_Z_EN: 0
; COMPUTE_PGM_RSRC2:TIDIG_COMP_CNT: 1
	.section	.text._Z16wvSplitK_hf_sml_I6__halfLi64ELi4ELi16ELi8ELi1ELi3EEviiiiiiPKT_S3_S3_PS1_ii,"axG",@progbits,_Z16wvSplitK_hf_sml_I6__halfLi64ELi4ELi16ELi8ELi1ELi3EEviiiiiiPKT_S3_S3_PS1_ii,comdat
	.protected	_Z16wvSplitK_hf_sml_I6__halfLi64ELi4ELi16ELi8ELi1ELi3EEviiiiiiPKT_S3_S3_PS1_ii ; -- Begin function _Z16wvSplitK_hf_sml_I6__halfLi64ELi4ELi16ELi8ELi1ELi3EEviiiiiiPKT_S3_S3_PS1_ii
	.globl	_Z16wvSplitK_hf_sml_I6__halfLi64ELi4ELi16ELi8ELi1ELi3EEviiiiiiPKT_S3_S3_PS1_ii
	.p2align	8
	.type	_Z16wvSplitK_hf_sml_I6__halfLi64ELi4ELi16ELi8ELi1ELi3EEviiiiiiPKT_S3_S3_PS1_ii,@function
_Z16wvSplitK_hf_sml_I6__halfLi64ELi4ELi16ELi8ELi1ELi3EEviiiiiiPKT_S3_S3_PS1_ii: ; @_Z16wvSplitK_hf_sml_I6__halfLi64ELi4ELi16ELi8ELi1ELi3EEviiiiiiPKT_S3_S3_PS1_ii
; %bb.0:
	s_clause 0x2
	s_load_b128 s[4:7], s[0:1], 0x0
	s_load_b64 s[8:9], s[0:1], 0x10
	s_load_b64 s[10:11], s[0:1], 0x28
	v_and_b32_e32 v2, 0x3ff, v0
	v_bfe_u32 v3, v0, 10, 10
	s_mov_b32 s12, exec_lo
	s_delay_alu instid0(VALU_DEP_2) | instskip(NEXT) | instid1(VALU_DEP_1)
	v_lshlrev_b32_e32 v39, 3, v2
	v_lshl_add_u32 v4, v3, 9, v39
	s_waitcnt lgkmcnt(0)
	s_mul_i32 s2, s6, 3
	s_delay_alu instid0(SALU_CYCLE_1)
	s_min_u32 s3, s2, 0x8000
	s_delay_alu instid0(VALU_DEP_1) | instid1(SALU_CYCLE_1)
	v_cmpx_gt_u32_e64 s3, v4
	s_cbranch_execz .LBB92_3
; %bb.1:
	s_load_b64 s[16:17], s[0:1], 0x20
	v_lshlrev_b32_e32 v5, 10, v3
	v_lshlrev_b32_e32 v6, 4, v2
	s_mov_b32 s13, 0
	s_delay_alu instid0(VALU_DEP_1) | instskip(NEXT) | instid1(VALU_DEP_1)
	v_add_co_u32 v0, s2, v5, v6
	v_add_co_ci_u32_e64 v1, null, 0, 0, s2
	v_add_nc_u32_e32 v5, v5, v6
	s_waitcnt lgkmcnt(0)
	s_delay_alu instid0(VALU_DEP_3) | instskip(NEXT) | instid1(VALU_DEP_3)
	v_add_co_u32 v0, vcc_lo, s16, v0
	v_add_co_ci_u32_e32 v1, vcc_lo, s17, v1, vcc_lo
	.p2align	6
.LBB92_2:                               ; =>This Inner Loop Header: Depth=1
	global_load_b128 v[6:9], v[0:1], off
	v_add_nc_u32_e32 v4, 0x2000, v4
	v_add_co_u32 v0, vcc_lo, 0x4000, v0
	v_add_co_ci_u32_e32 v1, vcc_lo, 0, v1, vcc_lo
	s_delay_alu instid0(VALU_DEP_3) | instskip(NEXT) | instid1(VALU_DEP_1)
	v_cmp_le_u32_e64 s2, s3, v4
	s_or_b32 s13, s2, s13
	s_waitcnt vmcnt(0)
	ds_store_b128 v5, v[6:9]
	v_add_nc_u32_e32 v5, 0x4000, v5
	s_and_not1_b32 exec_lo, exec_lo, s13
	s_cbranch_execnz .LBB92_2
.LBB92_3:
	s_or_b32 exec_lo, exec_lo, s12
	s_load_b64 s[16:17], s[0:1], 0x38
	s_waitcnt lgkmcnt(0)
	s_barrier
	buffer_gl0_inv
	s_mov_b32 s2, exec_lo
	v_cmpx_gt_u32_e64 s16, v3
	s_cbranch_execz .LBB92_18
; %bb.4:
	s_mul_i32 s15, s15, s16
	s_delay_alu instid0(SALU_CYCLE_1) | instskip(NEXT) | instid1(VALU_DEP_1)
	v_add_lshl_u32 v24, s15, v3, 2
	v_cmp_gt_u32_e32 vcc_lo, s7, v24
	s_and_b32 exec_lo, exec_lo, vcc_lo
	s_cbranch_execz .LBB92_18
; %bb.5:
	s_cmp_lg_u32 s4, 0
	v_cvt_f32_u32_e32 v1, s8
	s_cselect_b32 s14, -1, 0
	s_add_i32 s15, s4, -8
	s_add_i32 s18, s7, -1
	s_cmp_lg_u64 s[10:11], 0
	v_rcp_iflag_f32_e32 v1, v1
	s_cselect_b32 s19, -1, 0
	s_abs_i32 s20, s9
	s_clause 0x1
	s_load_b64 s[2:3], s[0:1], 0x18
	s_load_b64 s[12:13], s[0:1], 0x30
	v_cvt_f32_u32_e32 v0, s20
	s_mul_i32 s0, s16, s17
	s_sub_i32 s17, 0, s8
	s_lshl_b32 s9, s0, 2
	s_sub_i32 s0, 0, s20
	v_rcp_iflag_f32_e32 v0, v0
	s_sub_i32 s21, 1, s20
	v_mov_b32_e32 v26, 0
	v_lshlrev_b32_e32 v40, 4, v2
	v_mbcnt_lo_u32_b32 v41, -1, 0
	s_mov_b32 s1, 0
	s_waitcnt_depctr 0xfff
	v_mul_f32_e32 v0, 0x4f7ffffe, v0
	s_delay_alu instid0(VALU_DEP_1) | instskip(NEXT) | instid1(VALU_DEP_1)
	v_cvt_u32_f32_e32 v0, v0
	v_readfirstlane_b32 s16, v0
	v_mul_f32_e32 v0, 0x4f7ffffe, v1
	s_delay_alu instid0(VALU_DEP_2) | instskip(NEXT) | instid1(VALU_DEP_1)
	s_mul_i32 s0, s0, s16
	v_cvt_u32_f32_e32 v0, v0
	s_mul_hi_u32 s0, s16, s0
	s_delay_alu instid0(SALU_CYCLE_1) | instskip(SKIP_1) | instid1(VALU_DEP_1)
	s_add_i32 s16, s16, s0
	s_cmp_lt_u32 s20, 2
	v_mul_lo_u32 v1, s17, v0
	s_cselect_b32 s17, s21, 1
	v_cmp_eq_u32_e64 s0, 63, v2
	s_sub_i32 s21, s17, s20
	s_cmp_ge_u32 s17, s20
	s_cselect_b32 s17, s21, s17
	s_lshr_b32 s16, s16, 31
	s_delay_alu instid0(VALU_DEP_2) | instskip(SKIP_1) | instid1(SALU_CYCLE_1)
	v_mul_hi_u32 v1, v0, v1
	s_mul_i32 s16, s16, s20
	s_sub_i32 s16, 2, s16
	s_delay_alu instid0(SALU_CYCLE_1) | instskip(SKIP_2) | instid1(VALU_DEP_1)
	s_sub_i32 s21, s16, s20
	s_cmp_ge_u32 s16, s20
	s_cselect_b32 s21, s21, s16
	v_add_nc_u32_e32 v42, v0, v1
	s_sub_i32 s22, s21, s20
	s_cmp_ge_u32 s21, s20
	s_mul_i32 s16, s17, s8
	s_cselect_b32 s20, s22, s21
	s_lshl_b32 s17, s6, 2
	s_mul_i32 s20, s20, s8
	s_lshl_b32 s6, s6, 1
	s_branch .LBB92_8
.LBB92_6:                               ;   in Loop: Header=BB92_8 Depth=1
	s_waitcnt lgkmcnt(0)
	v_dual_add_f32 v0, v0, v2 :: v_dual_add_f32 v1, v1, v3
	v_dual_add_f32 v2, v4, v9 :: v_dual_add_f32 v3, v5, v10
	;; [unrolled: 1-line block ×4, first 2 shown]
	s_waitcnt vmcnt(11)
	v_cvt_f32_f16_e32 v9, v38
	s_waitcnt vmcnt(10)
	v_cvt_f32_f16_e32 v11, v37
	;; [unrolled: 2-line block ×4, first 2 shown]
	v_add_f32_e32 v8, v20, v23
	v_add_f32_e32 v10, v18, v21
	v_dual_add_f32 v0, v0, v9 :: v_dual_add_f32 v9, v1, v11
	s_delay_alu instid0(VALU_DEP_4) | instskip(SKIP_2) | instid1(VALU_DEP_3)
	v_dual_add_f32 v2, v2, v12 :: v_dual_add_f32 v3, v3, v13
	s_waitcnt vmcnt(7)
	v_cvt_f32_f16_e32 v12, v34
	v_cvt_f16_f32_e32 v11, v0
	v_cvt_f16_f32_e32 v9, v9
	;; [unrolled: 1-line block ×4, first 2 shown]
	v_lshlrev_b64 v[0:1], 1, v[24:25]
	v_add_f32_e32 v4, v4, v12
	v_dual_add_f32 v12, v14, v15 :: v_dual_add_nc_u32 v25, s7, v24
	s_delay_alu instid0(VALU_DEP_4)
	v_pack_b32_f16 v3, v2, v3
	v_pack_b32_f16 v2, v11, v9
	s_waitcnt vmcnt(6)
	v_cvt_f32_f16_e32 v9, v33
	v_add_co_u32 v0, vcc_lo, s12, v0
	v_add_co_ci_u32_e32 v1, vcc_lo, s13, v1, vcc_lo
	v_cvt_f16_f32_e32 v14, v4
	s_delay_alu instid0(VALU_DEP_4)
	v_add_f32_e32 v4, v5, v9
	s_waitcnt vmcnt(5)
	v_cvt_f32_f16_e32 v5, v32
	s_waitcnt vmcnt(4)
	v_cvt_f32_f16_e32 v9, v31
	;; [unrolled: 2-line block ×3, first 2 shown]
	v_add_f32_e32 v16, v16, v17
	global_store_b64 v[0:1], v[2:3], off
	v_dual_mov_b32 v3, v26 :: v_dual_add_nc_u32 v2, 1, v25
	v_dual_add_f32 v11, v8, v11 :: v_dual_add_f32 v6, v6, v5
	v_lshlrev_b64 v[0:1], 1, v[25:26]
	v_mov_b32_e32 v5, v26
	v_add_f32_e32 v9, v7, v9
	v_mov_b32_e32 v7, v26
	v_cvt_f16_f32_e32 v15, v4
	v_add_nc_u32_e32 v4, 2, v25
	v_lshlrev_b64 v[2:3], 1, v[2:3]
	s_waitcnt vmcnt(2)
	v_cvt_f32_f16_e32 v13, v29
	v_cvt_f16_f32_e32 v17, v6
	v_add_nc_u32_e32 v6, 3, v25
	v_add_nc_u32_e32 v25, s7, v25
	v_add_co_u32 v0, vcc_lo, s12, v0
	v_cvt_f16_f32_e32 v19, v11
	v_mov_b32_e32 v11, v26
	v_lshlrev_b64 v[4:5], 1, v[4:5]
	v_add_co_ci_u32_e32 v1, vcc_lo, s13, v1, vcc_lo
	s_waitcnt vmcnt(1)
	v_cvt_f32_f16_e32 v20, v28
	v_add_f32_e32 v13, v10, v13
	v_add_co_u32 v2, vcc_lo, s12, v2
	v_lshlrev_b64 v[6:7], 1, v[6:7]
	s_delay_alu instid0(VALU_DEP_4)
	v_add_f32_e32 v16, v16, v20
	v_add_nc_u32_e32 v10, 2, v25
	v_add_co_ci_u32_e32 v3, vcc_lo, s13, v3, vcc_lo
	v_add_co_u32 v4, vcc_lo, s12, v4
	v_cvt_f16_f32_e32 v18, v9
	v_lshlrev_b64 v[8:9], 1, v[25:26]
	v_cvt_f16_f32_e32 v13, v13
	s_waitcnt vmcnt(0)
	v_cvt_f32_f16_e32 v20, v27
	v_add_nc_u32_e32 v25, 3, v25
	v_add_co_ci_u32_e32 v5, vcc_lo, s13, v5, vcc_lo
	v_add_co_u32 v6, vcc_lo, s12, v6
	s_delay_alu instid0(VALU_DEP_4)
	v_add_f32_e32 v20, v12, v20
	v_lshlrev_b64 v[10:11], 1, v[10:11]
	v_add_co_ci_u32_e32 v7, vcc_lo, s13, v7, vcc_lo
	v_add_co_u32 v8, vcc_lo, s12, v8
	v_pack_b32_f16 v19, v19, v13
	v_lshlrev_b64 v[12:13], 1, v[25:26]
	v_add_co_ci_u32_e32 v9, vcc_lo, s13, v9, vcc_lo
	v_add_co_u32 v10, vcc_lo, s12, v10
	v_add_co_ci_u32_e32 v11, vcc_lo, s13, v11, vcc_lo
	s_delay_alu instid0(VALU_DEP_4)
	v_add_co_u32 v12, vcc_lo, s12, v12
	v_cvt_f16_f32_e32 v16, v16
	v_cvt_f16_f32_e32 v20, v20
	v_add_co_ci_u32_e32 v13, vcc_lo, s13, v13, vcc_lo
	s_clause 0x6
	global_store_b16 v[0:1], v14, off
	global_store_b16 v[2:3], v15, off
	;; [unrolled: 1-line block ×4, first 2 shown]
	global_store_b32 v[8:9], v19, off
	global_store_b16 v[10:11], v16, off
	global_store_b16 v[12:13], v20, off
.LBB92_7:                               ;   in Loop: Header=BB92_8 Depth=1
	s_or_b32 exec_lo, exec_lo, s21
	v_add_nc_u32_e32 v24, s9, v24
	s_delay_alu instid0(VALU_DEP_1) | instskip(SKIP_1) | instid1(SALU_CYCLE_1)
	v_cmp_le_u32_e32 vcc_lo, s7, v24
	s_or_b32 s1, vcc_lo, s1
	s_and_not1_b32 exec_lo, exec_lo, s1
	s_cbranch_execz .LBB92_18
.LBB92_8:                               ; =>This Loop Header: Depth=1
                                        ;     Child Loop BB92_11 Depth 2
	v_mov_b32_e32 v54, v26
	v_mov_b32_e32 v53, v26
	;; [unrolled: 1-line block ×12, first 2 shown]
	s_and_not1_b32 vcc_lo, exec_lo, s14
	s_cbranch_vccnz .LBB92_13
; %bb.9:                                ;   in Loop: Header=BB92_8 Depth=1
	v_or_b32_e32 v0, 1, v24
	v_or_b32_e32 v1, 2, v24
	s_waitcnt lgkmcnt(0)
	v_or_b32_e32 v2, 3, v24
	v_min_u32_e32 v3, s18, v24
	v_dual_mov_b32 v5, v26 :: v_dual_mov_b32 v46, 0
	v_min_u32_e32 v0, s18, v0
	v_min_u32_e32 v1, s18, v1
	;; [unrolled: 1-line block ×3, first 2 shown]
	v_mul_lo_u32 v25, v3, s5
	v_dual_mov_b32 v3, v26 :: v_dual_mov_b32 v50, 0
	v_mul_lo_u32 v0, v0, s5
	v_mul_lo_u32 v2, v1, s5
	;; [unrolled: 1-line block ×3, first 2 shown]
	v_dual_mov_b32 v1, v26 :: v_dual_mov_b32 v48, 0
	v_lshlrev_b64 v[27:28], 1, v[25:26]
	v_dual_mov_b32 v55, v40 :: v_dual_mov_b32 v44, 0
	s_delay_alu instid0(VALU_DEP_3)
	v_lshlrev_b64 v[29:30], 1, v[0:1]
	v_lshlrev_b64 v[31:32], 1, v[2:3]
	;; [unrolled: 1-line block ×3, first 2 shown]
	v_dual_mov_b32 v49, 0 :: v_dual_mov_b32 v52, 0
	v_dual_mov_b32 v47, 0 :: v_dual_mov_b32 v54, 0
	v_mov_b32_e32 v45, 0
	v_mov_b32_e32 v43, 0
	;; [unrolled: 1-line block ×4, first 2 shown]
	s_mov_b32 s21, 0
	s_branch .LBB92_11
.LBB92_10:                              ;   in Loop: Header=BB92_11 Depth=2
	s_or_b32 exec_lo, exec_lo, s22
	v_add_nc_u32_e32 v55, 0x400, v55
	s_addk_i32 s21, 0x200
	s_waitcnt vmcnt(3) lgkmcnt(1)
	;;#ASMSTART
	v_dot2_f32_f16 v54, v20, v12, v54
	;;#ASMEND
	s_waitcnt vmcnt(2)
	;;#ASMSTART
	v_dot2_f32_f16 v53, v20, v8, v53
	;;#ASMEND
	s_waitcnt vmcnt(1)
	;; [unrolled: 4-line block ×3, first 2 shown]
	;;#ASMSTART
	v_dot2_f32_f16 v51, v20, v0, v51
	;;#ASMEND
	;;#ASMSTART
	v_dot2_f32_f16 v48, v16, v12, v48
	;;#ASMEND
	;; [unrolled: 3-line block ×21, first 2 shown]
	s_cmp_ge_u32 s21, s4
	;;#ASMSTART
	v_dot2_f32_f16 v54, v22, v14, v54
	;;#ASMEND
	;;#ASMSTART
	v_dot2_f32_f16 v53, v22, v10, v53
	;;#ASMEND
	;; [unrolled: 3-line block ×8, first 2 shown]
	s_waitcnt lgkmcnt(0)
	;;#ASMSTART
	v_dot2_f32_f16 v46, v37, v14, v46
	;;#ASMEND
	;;#ASMSTART
	v_dot2_f32_f16 v45, v37, v10, v45
	;;#ASMEND
	;; [unrolled: 3-line block ×16, first 2 shown]
	s_cbranch_scc1 .LBB92_13
.LBB92_11:                              ;   Parent Loop BB92_8 Depth=1
                                        ; =>  This Inner Loop Header: Depth=2
	v_dual_mov_b32 v21, 0 :: v_dual_add_nc_u32 v18, s21, v39
	v_dual_mov_b32 v20, 0 :: v_dual_mov_b32 v23, 0
	v_mov_b32_e32 v22, 0
	s_delay_alu instid0(VALU_DEP_3) | instskip(SKIP_2) | instid1(VALU_DEP_3)
	v_min_u32_e32 v25, s15, v18
	v_dual_mov_b32 v36, 0 :: v_dual_mov_b32 v37, 0
	v_dual_mov_b32 v38, 0 :: v_dual_mov_b32 v35, 0
	v_lshlrev_b64 v[0:1], 1, v[25:26]
	v_mov_b32_e32 v19, 0
	s_waitcnt lgkmcnt(0)
	s_delay_alu instid0(VALU_DEP_2) | instskip(NEXT) | instid1(VALU_DEP_3)
	v_add_co_u32 v6, vcc_lo, s2, v0
	v_add_co_ci_u32_e32 v7, vcc_lo, s3, v1, vcc_lo
	s_delay_alu instid0(VALU_DEP_2) | instskip(NEXT) | instid1(VALU_DEP_2)
	v_add_co_u32 v0, vcc_lo, v6, v27
	v_add_co_ci_u32_e32 v1, vcc_lo, v7, v28, vcc_lo
	v_add_co_u32 v2, vcc_lo, v6, v29
	v_add_co_ci_u32_e32 v3, vcc_lo, v7, v30, vcc_lo
	;; [unrolled: 2-line block ×4, first 2 shown]
	s_clause 0x3
	global_load_b128 v[12:15], v[0:1], off slc dlc
	global_load_b128 v[8:11], v[2:3], off slc dlc
	;; [unrolled: 1-line block ×4, first 2 shown]
	v_cmp_gt_u32_e32 vcc_lo, s4, v18
	v_dual_mov_b32 v16, 0 :: v_dual_mov_b32 v17, 0
	v_mov_b32_e32 v18, 0
	s_and_saveexec_b32 s22, vcc_lo
	s_cbranch_execz .LBB92_10
; %bb.12:                               ;   in Loop: Header=BB92_11 Depth=2
	v_add_nc_u32_e32 v16, s6, v55
	v_add_nc_u32_e32 v25, s17, v55
	ds_load_b128 v[16:19], v16
	ds_load_2addr_b32 v[35:36], v25 offset1:1
	ds_load_b128 v[20:23], v55
	ds_load_2addr_b32 v[37:38], v25 offset0:2 offset1:3
	s_branch .LBB92_10
.LBB92_13:                              ;   in Loop: Header=BB92_8 Depth=1
	; sched_barrier mask(0x00000000)
	v_cvt_i32_f32_e32 v0, v54
	v_cvt_i32_f32_e32 v1, v53
	s_waitcnt lgkmcnt(0)
	v_xor_b32_e32 v2, 16, v41
	v_cvt_i32_f32_e32 v4, v51
	v_cvt_i32_f32_e32 v3, v52
	v_cvt_f32_i32_dpp v0, v0 row_shr:8 row_mask:0xf bank_mask:0xf bound_ctrl:1
	v_cvt_f32_i32_dpp v1, v1 row_shr:8 row_mask:0xf bank_mask:0xf bound_ctrl:1
	v_cmp_gt_i32_e32 vcc_lo, 32, v2
	v_cvt_i32_f32_e32 v5, v48
	v_cvt_f32_i32_dpp v4, v4 row_shr:8 row_mask:0xf bank_mask:0xf bound_ctrl:1
	s_delay_alu instid0(VALU_DEP_4) | instskip(SKIP_3) | instid1(VALU_DEP_4)
	v_dual_add_f32 v0, v54, v0 :: v_dual_add_f32 v1, v53, v1
	v_cndmask_b32_e32 v2, v41, v2, vcc_lo
	v_cvt_i32_f32_e32 v7, v49
	v_cvt_f32_i32_dpp v3, v3 row_shr:8 row_mask:0xf bank_mask:0xf bound_ctrl:1
	v_cvt_i32_f32_e32 v8, v0
	v_cvt_i32_f32_e32 v9, v1
	v_cvt_f32_i32_dpp v5, v5 row_shr:8 row_mask:0xf bank_mask:0xf bound_ctrl:1
	v_cvt_f32_i32_dpp v7, v7 row_shr:8 row_mask:0xf bank_mask:0xf bound_ctrl:1
	v_cvt_i32_f32_e32 v6, v50
	v_cvt_f32_i32_dpp v8, v8 row_shr:4 row_mask:0xf bank_mask:0xf bound_ctrl:1
	v_cvt_f32_i32_dpp v9, v9 row_shr:4 row_mask:0xf bank_mask:0xf bound_ctrl:1
	v_lshlrev_b32_e32 v15, 2, v2
	v_cvt_i32_f32_e32 v14, v47
	v_cvt_f32_i32_dpp v6, v6 row_shr:8 row_mask:0xf bank_mask:0xf bound_ctrl:1
	s_delay_alu instid0(VALU_DEP_4) | instskip(SKIP_2) | instid1(VALU_DEP_3)
	v_dual_add_f32 v0, v0, v8 :: v_dual_add_f32 v1, v1, v9
	v_dual_add_f32 v2, v52, v3 :: v_dual_add_f32 v3, v51, v4
	;; [unrolled: 1-line block ×3, first 2 shown]
	v_cvt_i32_f32_e32 v5, v0
	s_delay_alu instid0(VALU_DEP_4) | instskip(NEXT) | instid1(VALU_DEP_4)
	v_cvt_i32_f32_e32 v8, v1
	v_cvt_i32_f32_e32 v9, v2
	;; [unrolled: 1-line block ×4, first 2 shown]
	v_cvt_f32_i32_dpp v5, v5 row_shr:2 row_mask:0xf bank_mask:0xf bound_ctrl:1
	v_cvt_f32_i32_dpp v8, v8 row_shr:2 row_mask:0xf bank_mask:0xf bound_ctrl:1
	v_add_f32_e32 v6, v50, v6
	v_cvt_i32_f32_e32 v17, v45
	v_cvt_f32_i32_dpp v11, v11 row_shr:4 row_mask:0xf bank_mask:0xf bound_ctrl:1
	s_delay_alu instid0(VALU_DEP_4) | instskip(SKIP_3) | instid1(VALU_DEP_4)
	v_dual_add_f32 v0, v0, v5 :: v_dual_add_f32 v1, v1, v8
	v_cvt_i32_f32_e32 v5, v7
	v_cvt_f32_i32_dpp v8, v9 row_shr:4 row_mask:0xf bank_mask:0xf bound_ctrl:1
	v_cvt_f32_i32_dpp v9, v10 row_shr:4 row_mask:0xf bank_mask:0xf bound_ctrl:1
	v_cvt_i32_f32_e32 v10, v0
	v_cvt_i32_f32_e32 v12, v6
	;; [unrolled: 1-line block ×3, first 2 shown]
	v_cvt_f32_i32_dpp v5, v5 row_shr:4 row_mask:0xf bank_mask:0xf bound_ctrl:1
	v_dual_add_f32 v8, v2, v8 :: v_dual_add_f32 v9, v3, v9
	v_cvt_f32_i32_dpp v10, v10 row_shr:1 row_mask:0xf bank_mask:0xf bound_ctrl:1
	v_cvt_f32_i32_dpp v12, v12 row_shr:4 row_mask:0xf bank_mask:0xf bound_ctrl:1
	;; [unrolled: 1-line block ×3, first 2 shown]
	v_dual_add_f32 v4, v4, v11 :: v_dual_add_f32 v5, v7, v5
	s_delay_alu instid0(VALU_DEP_4) | instskip(SKIP_1) | instid1(VALU_DEP_4)
	v_add_f32_e32 v0, v0, v10
	v_cvt_i32_f32_e32 v7, v8
	v_add_f32_e32 v1, v1, v13
	v_cvt_i32_f32_e32 v10, v9
	v_cvt_i32_f32_e32 v11, v4
	;; [unrolled: 1-line block ×3, first 2 shown]
	v_cvt_f32_i32_dpp v7, v7 row_shr:2 row_mask:0xf bank_mask:0xf bound_ctrl:1
	v_add_f32_e32 v6, v6, v12
	v_cvt_f32_i32_dpp v10, v10 row_shr:2 row_mask:0xf bank_mask:0xf bound_ctrl:1
	v_cvt_f32_i32_dpp v11, v11 row_shr:2 row_mask:0xf bank_mask:0xf bound_ctrl:1
	;; [unrolled: 1-line block ×3, first 2 shown]
	v_add_f32_e32 v7, v8, v7
	v_cvt_i32_f32_e32 v12, v6
	s_delay_alu instid0(VALU_DEP_4) | instskip(SKIP_2) | instid1(VALU_DEP_4)
	v_dual_add_f32 v8, v9, v10 :: v_dual_add_f32 v9, v4, v11
	v_cvt_i32_f32_e32 v18, v44
	v_cvt_i32_f32_e32 v19, v43
	v_cvt_f32_i32_dpp v12, v12 row_shr:2 row_mask:0xf bank_mask:0xf bound_ctrl:1
	v_cvt_f32_i32_dpp v14, v14 row_shr:8 row_mask:0xf bank_mask:0xf bound_ctrl:1
	;; [unrolled: 1-line block ×5, first 2 shown]
	v_dual_add_f32 v10, v6, v12 :: v_dual_add_f32 v11, v5, v13
	v_cvt_i32_f32_e32 v6, v9
	v_cvt_i32_f32_e32 v16, v46
	v_dual_add_f32 v14, v47, v14 :: v_dual_add_f32 v17, v45, v17
	v_add_f32_e32 v18, v44, v18
	s_delay_alu instid0(VALU_DEP_4)
	v_cvt_f32_i32_dpp v6, v6 row_shr:1 row_mask:0xf bank_mask:0xf bound_ctrl:1
	v_add_f32_e32 v19, v43, v19
	v_cvt_i32_f32_e32 v4, v7
	v_cvt_i32_f32_e32 v5, v8
	;; [unrolled: 1-line block ×3, first 2 shown]
	v_add_f32_e32 v6, v9, v6
	v_cvt_f32_i32_dpp v16, v16 row_shr:8 row_mask:0xf bank_mask:0xf bound_ctrl:1
	v_cvt_i32_f32_e32 v22, v17
	v_cvt_i32_f32_e32 v23, v18
	;; [unrolled: 1-line block ×3, first 2 shown]
	v_cvt_f32_i32_dpp v4, v4 row_shr:1 row_mask:0xf bank_mask:0xf bound_ctrl:1
	v_cvt_f32_i32_dpp v5, v5 row_shr:1 row_mask:0xf bank_mask:0xf bound_ctrl:1
	;; [unrolled: 1-line block ×6, first 2 shown]
	v_add_f32_e32 v16, v46, v16
	v_dual_add_f32 v4, v7, v4 :: v_dual_add_f32 v5, v8, v5
	v_dual_add_f32 v8, v11, v13 :: v_dual_add_f32 v17, v17, v22
	v_cvt_i32_f32_e32 v20, v14
	v_dual_add_f32 v18, v18, v23 :: v_dual_add_f32 v19, v19, v25
	v_cvt_i32_f32_e32 v21, v16
	s_delay_alu instid0(VALU_DEP_4) | instskip(NEXT) | instid1(VALU_DEP_4)
	v_cvt_i32_f32_e32 v22, v17
	v_cvt_f32_i32_dpp v20, v20 row_shr:4 row_mask:0xf bank_mask:0xf bound_ctrl:1
	s_delay_alu instid0(VALU_DEP_4)
	v_cvt_i32_f32_e32 v23, v18
	v_cvt_i32_f32_e32 v25, v19
	v_cvt_f32_i32_dpp v21, v21 row_shr:4 row_mask:0xf bank_mask:0xf bound_ctrl:1
	v_cvt_f32_i32_dpp v22, v22 row_shr:2 row_mask:0xf bank_mask:0xf bound_ctrl:1
	v_add_f32_e32 v14, v14, v20
	v_cvt_f32_i32_dpp v23, v23 row_shr:2 row_mask:0xf bank_mask:0xf bound_ctrl:1
	v_cvt_f32_i32_dpp v25, v25 row_shr:2 row_mask:0xf bank_mask:0xf bound_ctrl:1
	s_delay_alu instid0(VALU_DEP_4) | instskip(NEXT) | instid1(VALU_DEP_4)
	v_dual_add_f32 v16, v16, v21 :: v_dual_add_f32 v17, v17, v22
	v_cvt_i32_f32_e32 v20, v14
	v_cvt_i32_f32_e32 v12, v10
	s_delay_alu instid0(VALU_DEP_4) | instskip(NEXT) | instid1(VALU_DEP_4)
	v_add_f32_e32 v22, v19, v25
	v_cvt_i32_f32_e32 v21, v16
	ds_bpermute_b32 v2, v15, v0
	v_cvt_f32_i32_dpp v20, v20 row_shr:2 row_mask:0xf bank_mask:0xf bound_ctrl:1
	v_cvt_f32_i32_dpp v12, v12 row_shr:1 row_mask:0xf bank_mask:0xf bound_ctrl:1
	v_cvt_i32_f32_e32 v25, v22
	v_cvt_f32_i32_dpp v21, v21 row_shr:2 row_mask:0xf bank_mask:0xf bound_ctrl:1
	ds_bpermute_b32 v3, v15, v1
	v_add_f32_e32 v14, v14, v20
	v_cvt_i32_f32_e32 v20, v17
	v_cvt_f32_i32_dpp v25, v25 row_shr:1 row_mask:0xf bank_mask:0xf bound_ctrl:1
	v_dual_add_f32 v16, v16, v21 :: v_dual_add_f32 v21, v18, v23
	s_delay_alu instid0(VALU_DEP_4) | instskip(NEXT) | instid1(VALU_DEP_4)
	v_cvt_i32_f32_e32 v18, v14
	v_cvt_f32_i32_dpp v28, v20 row_shr:1 row_mask:0xf bank_mask:0xf bound_ctrl:1
	v_add_f32_e32 v7, v10, v12
	s_delay_alu instid0(VALU_DEP_4)
	v_cvt_i32_f32_e32 v19, v16
	v_cvt_i32_f32_e32 v23, v21
	v_cvt_f32_i32_dpp v18, v18 row_shr:1 row_mask:0xf bank_mask:0xf bound_ctrl:1
	ds_bpermute_b32 v9, v15, v4
	ds_bpermute_b32 v10, v15, v5
	v_cvt_f32_i32_dpp v27, v19 row_shr:1 row_mask:0xf bank_mask:0xf bound_ctrl:1
	v_cvt_f32_i32_dpp v23, v23 row_shr:1 row_mask:0xf bank_mask:0xf bound_ctrl:1
	v_dual_add_f32 v19, v14, v18 :: v_dual_add_f32 v18, v17, v28
	v_add_f32_e32 v14, v22, v25
	s_delay_alu instid0(VALU_DEP_4) | instskip(NEXT) | instid1(VALU_DEP_4)
	v_add_f32_e32 v20, v16, v27
	v_add_f32_e32 v16, v21, v23
	ds_bpermute_b32 v11, v15, v6
	ds_bpermute_b32 v12, v15, v7
	ds_bpermute_b32 v13, v15, v8
	ds_bpermute_b32 v22, v15, v19
	ds_bpermute_b32 v23, v15, v20
	ds_bpermute_b32 v21, v15, v18
	ds_bpermute_b32 v17, v15, v16
	ds_bpermute_b32 v15, v15, v14
	s_and_saveexec_b32 s21, s0
	s_cbranch_execz .LBB92_7
; %bb.14:                               ;   in Loop: Header=BB92_8 Depth=1
	s_and_b32 vcc_lo, exec_lo, s19
	s_cbranch_vccz .LBB92_16
; %bb.15:                               ;   in Loop: Header=BB92_8 Depth=1
	v_mul_hi_u32 v25, v24, v42
	v_or_b32_e32 v27, 1, v24
	v_or_b32_e32 v29, 2, v24
	;; [unrolled: 1-line block ×3, first 2 shown]
	v_mov_b32_e32 v46, v26
	s_delay_alu instid0(VALU_DEP_4) | instskip(NEXT) | instid1(VALU_DEP_4)
	v_mul_hi_u32 v28, v27, v42
	v_mul_hi_u32 v30, v29, v42
	v_mul_lo_u32 v25, v25, s8
	v_mul_hi_u32 v32, v31, v42
	v_mov_b32_e32 v50, v26
	v_mul_lo_u32 v33, v28, s8
	v_mul_lo_u32 v34, v30, s8
	v_sub_nc_u32_e32 v25, v24, v25
	v_mul_lo_u32 v32, v32, s8
	s_delay_alu instid0(VALU_DEP_2)
	v_subrev_nc_u32_e32 v35, s8, v25
	v_sub_nc_u32_e32 v27, v27, v33
	v_cmp_le_u32_e32 vcc_lo, s8, v25
	v_mov_b32_e32 v28, v26
	v_sub_nc_u32_e32 v29, v29, v34
	v_sub_nc_u32_e32 v31, v31, v32
	v_subrev_nc_u32_e32 v33, s8, v27
	v_cndmask_b32_e32 v25, v25, v35, vcc_lo
	v_cmp_le_u32_e32 vcc_lo, s8, v27
	v_mov_b32_e32 v30, v26
	v_subrev_nc_u32_e32 v34, s8, v29
	v_subrev_nc_u32_e32 v35, s8, v31
	;; [unrolled: 1-line block ×3, first 2 shown]
	v_cndmask_b32_e32 v27, v27, v33, vcc_lo
	v_cmp_le_u32_e32 vcc_lo, s8, v29
	v_mov_b32_e32 v32, v26
	s_delay_alu instid0(VALU_DEP_3) | instskip(SKIP_2) | instid1(VALU_DEP_2)
	v_subrev_nc_u32_e32 v33, s8, v27
	v_cndmask_b32_e32 v29, v29, v34, vcc_lo
	v_cmp_le_u32_e32 vcc_lo, s8, v31
	v_subrev_nc_u32_e32 v34, s8, v29
	v_cndmask_b32_e32 v31, v31, v35, vcc_lo
	v_cmp_le_u32_e32 vcc_lo, s8, v25
	s_delay_alu instid0(VALU_DEP_2) | instskip(SKIP_2) | instid1(VALU_DEP_2)
	v_subrev_nc_u32_e32 v35, s8, v31
	v_cndmask_b32_e32 v25, v25, v36, vcc_lo
	v_cmp_le_u32_e32 vcc_lo, s8, v27
	v_add_nc_u32_e32 v45, s16, v25
	v_cndmask_b32_e32 v27, v27, v33, vcc_lo
	v_cmp_le_u32_e32 vcc_lo, s8, v29
	v_cndmask_b32_e32 v29, v29, v34, vcc_lo
	v_cmp_le_u32_e32 vcc_lo, s8, v31
	v_lshlrev_b64 v[33:34], 1, v[25:26]
	v_add_nc_u32_e32 v25, s20, v25
	s_delay_alu instid0(VALU_DEP_4) | instskip(SKIP_4) | instid1(VALU_DEP_4)
	v_lshlrev_b64 v[37:38], 1, v[29:30]
	v_cndmask_b32_e32 v31, v31, v35, vcc_lo
	v_lshlrev_b64 v[35:36], 1, v[27:28]
	v_add_co_u32 v33, vcc_lo, s10, v33
	v_add_co_ci_u32_e32 v34, vcc_lo, s11, v34, vcc_lo
	v_lshlrev_b64 v[43:44], 1, v[31:32]
	s_delay_alu instid0(VALU_DEP_4)
	v_add_co_u32 v35, vcc_lo, s10, v35
	v_add_co_ci_u32_e32 v36, vcc_lo, s11, v36, vcc_lo
	v_add_co_u32 v47, vcc_lo, s10, v37
	v_add_co_ci_u32_e32 v48, vcc_lo, s11, v38, vcc_lo
	v_lshlrev_b64 v[37:38], 1, v[45:46]
	v_add_nc_u32_e32 v45, s16, v27
	v_add_co_u32 v43, vcc_lo, s10, v43
	v_add_nc_u32_e32 v49, s16, v29
	v_add_co_ci_u32_e32 v44, vcc_lo, s11, v44, vcc_lo
	s_delay_alu instid0(VALU_DEP_4)
	v_lshlrev_b64 v[45:46], 1, v[45:46]
	v_add_co_u32 v51, vcc_lo, s10, v37
	v_add_co_ci_u32_e32 v52, vcc_lo, s11, v38, vcc_lo
	v_lshlrev_b64 v[37:38], 1, v[49:50]
	v_add_nc_u32_e32 v49, s16, v31
	v_add_co_u32 v45, vcc_lo, s10, v45
	v_add_co_ci_u32_e32 v46, vcc_lo, s11, v46, vcc_lo
	s_delay_alu instid0(VALU_DEP_3)
	v_lshlrev_b64 v[49:50], 1, v[49:50]
	v_add_co_u32 v53, vcc_lo, s10, v37
	v_add_co_ci_u32_e32 v54, vcc_lo, s11, v38, vcc_lo
	v_lshlrev_b64 v[37:38], 1, v[25:26]
	v_add_nc_u32_e32 v25, s20, v27
	v_add_co_u32 v27, vcc_lo, s10, v49
	v_add_co_ci_u32_e32 v28, vcc_lo, s11, v50, vcc_lo
	s_delay_alu instid0(VALU_DEP_3) | instskip(SKIP_3) | instid1(VALU_DEP_3)
	v_lshlrev_b64 v[49:50], 1, v[25:26]
	v_add_nc_u32_e32 v25, s20, v29
	v_add_co_u32 v29, vcc_lo, s10, v37
	v_add_co_ci_u32_e32 v30, vcc_lo, s11, v38, vcc_lo
	v_lshlrev_b64 v[37:38], 1, v[25:26]
	v_add_nc_u32_e32 v25, s20, v31
	v_add_co_u32 v49, vcc_lo, s10, v49
	v_add_co_ci_u32_e32 v50, vcc_lo, s11, v50, vcc_lo
	s_delay_alu instid0(VALU_DEP_3) | instskip(SKIP_3) | instid1(VALU_DEP_4)
	v_lshlrev_b64 v[31:32], 1, v[25:26]
	v_add_co_u32 v55, vcc_lo, s10, v37
	v_add_co_ci_u32_e32 v56, vcc_lo, s11, v38, vcc_lo
	v_mov_b32_e32 v25, v26
	v_add_co_u32 v57, vcc_lo, s10, v31
	v_add_co_ci_u32_e32 v58, vcc_lo, s11, v32, vcc_lo
	s_clause 0xb
	global_load_u16 v38, v[33:34], off
	global_load_u16 v37, v[35:36], off
	;; [unrolled: 1-line block ×12, first 2 shown]
	s_cbranch_execnz .LBB92_6
	s_branch .LBB92_17
.LBB92_16:                              ;   in Loop: Header=BB92_8 Depth=1
                                        ; implicit-def: $vgpr27
                                        ; implicit-def: $vgpr28
                                        ; implicit-def: $vgpr29
                                        ; implicit-def: $vgpr30
                                        ; implicit-def: $vgpr31
                                        ; implicit-def: $vgpr32
                                        ; implicit-def: $vgpr33
                                        ; implicit-def: $vgpr34
                                        ; implicit-def: $vgpr35
                                        ; implicit-def: $vgpr36
                                        ; implicit-def: $vgpr37
                                        ; implicit-def: $vgpr38
.LBB92_17:                              ;   in Loop: Header=BB92_8 Depth=1
	s_waitcnt vmcnt(11)
	v_dual_mov_b32 v25, v26 :: v_dual_mov_b32 v38, 0
	s_waitcnt vmcnt(9)
	v_dual_mov_b32 v37, 0 :: v_dual_mov_b32 v36, 0
	;; [unrolled: 2-line block ×6, first 2 shown]
	s_waitcnt vmcnt(0)
	v_mov_b32_e32 v27, 0
	s_branch .LBB92_6
.LBB92_18:
	s_nop 0
	s_sendmsg sendmsg(MSG_DEALLOC_VGPRS)
	s_endpgm
	.section	.rodata,"a",@progbits
	.p2align	6, 0x0
	.amdhsa_kernel _Z16wvSplitK_hf_sml_I6__halfLi64ELi4ELi16ELi8ELi1ELi3EEviiiiiiPKT_S3_S3_PS1_ii
		.amdhsa_group_segment_fixed_size 65536
		.amdhsa_private_segment_fixed_size 0
		.amdhsa_kernarg_size 64
		.amdhsa_user_sgpr_count 15
		.amdhsa_user_sgpr_dispatch_ptr 0
		.amdhsa_user_sgpr_queue_ptr 0
		.amdhsa_user_sgpr_kernarg_segment_ptr 1
		.amdhsa_user_sgpr_dispatch_id 0
		.amdhsa_user_sgpr_private_segment_size 0
		.amdhsa_wavefront_size32 1
		.amdhsa_uses_dynamic_stack 0
		.amdhsa_enable_private_segment 0
		.amdhsa_system_sgpr_workgroup_id_x 1
		.amdhsa_system_sgpr_workgroup_id_y 0
		.amdhsa_system_sgpr_workgroup_id_z 0
		.amdhsa_system_sgpr_workgroup_info 0
		.amdhsa_system_vgpr_workitem_id 1
		.amdhsa_next_free_vgpr 59
		.amdhsa_next_free_sgpr 23
		.amdhsa_reserve_vcc 1
		.amdhsa_float_round_mode_32 0
		.amdhsa_float_round_mode_16_64 0
		.amdhsa_float_denorm_mode_32 3
		.amdhsa_float_denorm_mode_16_64 3
		.amdhsa_dx10_clamp 1
		.amdhsa_ieee_mode 1
		.amdhsa_fp16_overflow 0
		.amdhsa_workgroup_processor_mode 1
		.amdhsa_memory_ordered 1
		.amdhsa_forward_progress 0
		.amdhsa_shared_vgpr_count 0
		.amdhsa_exception_fp_ieee_invalid_op 0
		.amdhsa_exception_fp_denorm_src 0
		.amdhsa_exception_fp_ieee_div_zero 0
		.amdhsa_exception_fp_ieee_overflow 0
		.amdhsa_exception_fp_ieee_underflow 0
		.amdhsa_exception_fp_ieee_inexact 0
		.amdhsa_exception_int_div_zero 0
	.end_amdhsa_kernel
	.section	.text._Z16wvSplitK_hf_sml_I6__halfLi64ELi4ELi16ELi8ELi1ELi3EEviiiiiiPKT_S3_S3_PS1_ii,"axG",@progbits,_Z16wvSplitK_hf_sml_I6__halfLi64ELi4ELi16ELi8ELi1ELi3EEviiiiiiPKT_S3_S3_PS1_ii,comdat
.Lfunc_end92:
	.size	_Z16wvSplitK_hf_sml_I6__halfLi64ELi4ELi16ELi8ELi1ELi3EEviiiiiiPKT_S3_S3_PS1_ii, .Lfunc_end92-_Z16wvSplitK_hf_sml_I6__halfLi64ELi4ELi16ELi8ELi1ELi3EEviiiiiiPKT_S3_S3_PS1_ii
                                        ; -- End function
	.section	.AMDGPU.csdata,"",@progbits
; Kernel info:
; codeLenInByte = 4324
; NumSgprs: 25
; NumVgprs: 59
; ScratchSize: 0
; MemoryBound: 0
; FloatMode: 240
; IeeeMode: 1
; LDSByteSize: 65536 bytes/workgroup (compile time only)
; SGPRBlocks: 3
; VGPRBlocks: 7
; NumSGPRsForWavesPerEU: 25
; NumVGPRsForWavesPerEU: 59
; Occupancy: 16
; WaveLimiterHint : 0
; COMPUTE_PGM_RSRC2:SCRATCH_EN: 0
; COMPUTE_PGM_RSRC2:USER_SGPR: 15
; COMPUTE_PGM_RSRC2:TRAP_HANDLER: 0
; COMPUTE_PGM_RSRC2:TGID_X_EN: 1
; COMPUTE_PGM_RSRC2:TGID_Y_EN: 0
; COMPUTE_PGM_RSRC2:TGID_Z_EN: 0
; COMPUTE_PGM_RSRC2:TIDIG_COMP_CNT: 1
	.section	.text._Z12wvSplitK_hf_I6__halfLi64ELi4ELi16ELi8ELi1ELi3EEviiiiiiPKT_S3_S3_PS1_ii,"axG",@progbits,_Z12wvSplitK_hf_I6__halfLi64ELi4ELi16ELi8ELi1ELi3EEviiiiiiPKT_S3_S3_PS1_ii,comdat
	.protected	_Z12wvSplitK_hf_I6__halfLi64ELi4ELi16ELi8ELi1ELi3EEviiiiiiPKT_S3_S3_PS1_ii ; -- Begin function _Z12wvSplitK_hf_I6__halfLi64ELi4ELi16ELi8ELi1ELi3EEviiiiiiPKT_S3_S3_PS1_ii
	.globl	_Z12wvSplitK_hf_I6__halfLi64ELi4ELi16ELi8ELi1ELi3EEviiiiiiPKT_S3_S3_PS1_ii
	.p2align	8
	.type	_Z12wvSplitK_hf_I6__halfLi64ELi4ELi16ELi8ELi1ELi3EEviiiiiiPKT_S3_S3_PS1_ii,@function
_Z12wvSplitK_hf_I6__halfLi64ELi4ELi16ELi8ELi1ELi3EEviiiiiiPKT_S3_S3_PS1_ii: ; @_Z12wvSplitK_hf_I6__halfLi64ELi4ELi16ELi8ELi1ELi3EEviiiiiiPKT_S3_S3_PS1_ii
; %bb.0:
	s_clause 0x1
	s_load_b64 s[20:21], s[0:1], 0x38
	s_load_b128 s[8:11], s[0:1], 0x0
	v_bfe_u32 v7, v0, 10, 10
	s_clause 0x1
	s_load_b64 s[12:13], s[0:1], 0x20
	s_load_b64 s[16:17], s[0:1], 0x10
	s_mov_b32 s4, 1
	s_delay_alu instid0(SALU_CYCLE_1) | instskip(SKIP_4) | instid1(SALU_CYCLE_1)
	s_mov_b32 s5, s4
	s_mov_b32 s6, s4
	;; [unrolled: 1-line block ×3, first 2 shown]
	s_waitcnt lgkmcnt(0)
	s_mul_i32 s15, s15, s20
	v_add_lshl_u32 v33, s15, v7, 2
	s_delay_alu instid0(VALU_DEP_1) | instskip(SKIP_1) | instid1(VALU_DEP_2)
	v_add_nc_u32_e32 v1, 4, v33
	v_cmp_gt_u32_e32 vcc_lo, s11, v33
	v_cmp_le_u32_e64 s2, s11, v1
	v_dual_mov_b32 v1, s4 :: v_dual_mov_b32 v4, s7
	v_dual_mov_b32 v2, s5 :: v_dual_mov_b32 v3, s6
	s_delay_alu instid0(VALU_DEP_3) | instskip(NEXT) | instid1(SALU_CYCLE_1)
	s_and_b32 s2, vcc_lo, s2
	s_and_saveexec_b32 s14, s2
	s_cbranch_execz .LBB93_6
; %bb.1:
	v_dual_mov_b32 v1, s4 :: v_dual_mov_b32 v2, s5
	v_dual_mov_b32 v3, s6 :: v_dual_mov_b32 v4, s7
	s_add_i32 s15, s11, -4
	s_mov_b32 s18, exec_lo
	v_cmpx_ne_u32_e64 s15, v33
	s_cbranch_execz .LBB93_5
; %bb.2:
	v_subrev_nc_u32_e32 v1, s15, v33
	s_mov_b32 s19, 0
	s_mov_b64 s[2:3], 0
	s_mov_b32 s5, s4
	s_mov_b32 s6, s4
	v_cmp_lt_u32_e32 vcc_lo, 1, v1
	s_mov_b32 s7, s4
	v_cndmask_b32_e32 v5, 1, v1, vcc_lo
	.p2align	6
.LBB93_3:                               ; =>This Inner Loop Header: Depth=1
	s_cmp_lg_u32 s2, 3
	s_cselect_b32 s7, s7, 0
	s_cmp_lg_u32 s2, 2
	s_cselect_b32 s6, s6, 0
	;; [unrolled: 2-line block ×4, first 2 shown]
	s_add_u32 s2, s2, 1
	v_dual_mov_b32 v1, s4 :: v_dual_mov_b32 v2, s5
	v_cmp_eq_u32_e32 vcc_lo, s2, v5
	v_dual_mov_b32 v3, s6 :: v_dual_mov_b32 v4, s7
	s_addc_u32 s3, s3, 0
	s_or_b32 s19, vcc_lo, s19
	s_delay_alu instid0(SALU_CYCLE_1)
	s_and_not1_b32 exec_lo, exec_lo, s19
	s_cbranch_execnz .LBB93_3
; %bb.4:
	s_or_b32 exec_lo, exec_lo, s19
	v_mov_b32_e32 v33, s15
.LBB93_5:
	s_or_b32 exec_lo, exec_lo, s18
.LBB93_6:
	s_delay_alu instid0(SALU_CYCLE_1)
	s_or_b32 exec_lo, exec_lo, s14
	s_load_b64 s[6:7], s[0:1], 0x28
	v_and_b32_e32 v8, 0x3ff, v0
	s_mul_i32 s2, s10, 3
	s_mov_b32 s4, exec_lo
	s_min_u32 s3, s2, 0x8000
	s_delay_alu instid0(VALU_DEP_1) | instskip(NEXT) | instid1(VALU_DEP_1)
	v_lshlrev_b32_e32 v0, 3, v8
	v_lshl_add_u32 v9, v7, 9, v0
	s_delay_alu instid0(VALU_DEP_1)
	v_cmpx_gt_u32_e64 s3, v9
	s_cbranch_execz .LBB93_9
; %bb.7:
	v_lshlrev_b32_e32 v10, 10, v7
	v_lshlrev_b32_e32 v11, 4, v8
	s_mov_b32 s5, 0
	s_delay_alu instid0(VALU_DEP_1) | instskip(NEXT) | instid1(VALU_DEP_1)
	v_add_co_u32 v5, s2, v10, v11
	v_add_co_ci_u32_e64 v6, null, 0, 0, s2
	v_add_nc_u32_e32 v10, v10, v11
	s_delay_alu instid0(VALU_DEP_3) | instskip(NEXT) | instid1(VALU_DEP_3)
	v_add_co_u32 v5, vcc_lo, s12, v5
	v_add_co_ci_u32_e32 v6, vcc_lo, s13, v6, vcc_lo
	.p2align	6
.LBB93_8:                               ; =>This Inner Loop Header: Depth=1
	global_load_b128 v[11:14], v[5:6], off
	v_add_nc_u32_e32 v9, 0x2000, v9
	v_add_co_u32 v5, vcc_lo, 0x4000, v5
	v_add_co_ci_u32_e32 v6, vcc_lo, 0, v6, vcc_lo
	s_delay_alu instid0(VALU_DEP_3) | instskip(NEXT) | instid1(VALU_DEP_1)
	v_cmp_le_u32_e64 s2, s3, v9
	s_or_b32 s5, s2, s5
	s_waitcnt vmcnt(0)
	ds_store_b128 v10, v[11:14]
	v_add_nc_u32_e32 v10, 0x4000, v10
	s_and_not1_b32 exec_lo, exec_lo, s5
	s_cbranch_execnz .LBB93_8
.LBB93_9:
	s_or_b32 exec_lo, exec_lo, s4
	v_cmp_gt_u32_e32 vcc_lo, s20, v7
	v_cmp_gt_u32_e64 s2, s11, v33
	s_waitcnt lgkmcnt(0)
	s_barrier
	buffer_gl0_inv
	s_and_b32 s2, vcc_lo, s2
	s_delay_alu instid0(SALU_CYCLE_1)
	s_and_saveexec_b32 s3, s2
	s_cbranch_execz .LBB93_62
; %bb.10:
	s_cmp_lg_u32 s8, 0
	v_cvt_f32_u32_e32 v6, s16
	s_cselect_b32 s22, -1, 0
	s_add_i32 s23, s8, -8
	s_add_i32 s24, s11, -1
	s_cmp_lg_u64 s[6:7], 0
	v_rcp_iflag_f32_e32 v6, v6
	s_cselect_b32 s25, -1, 0
	s_abs_i32 s2, s17
	s_clause 0x1
	s_load_b64 s[14:15], s[0:1], 0x18
	s_load_b64 s[18:19], s[0:1], 0x30
	v_cvt_f32_u32_e32 v5, s2
	s_mul_i32 s0, s20, s21
	s_add_i32 s20, s11, -4
	s_lshl_b32 s17, s0, 2
	s_sub_i32 s0, 0, s2
	v_rcp_iflag_f32_e32 v5, v5
	s_sub_i32 s3, 0, s16
	s_sub_i32 s4, 1, s2
	v_mov_b32_e32 v35, 0
	v_lshlrev_b32_e32 v49, 4, v8
	v_mbcnt_lo_u32_b32 v53, -1, 0
	s_mov_b32 s21, 0
	s_waitcnt_depctr 0xfff
	v_dual_mul_f32 v5, 0x4f7ffffe, v5 :: v_dual_add_nc_u32 v50, s10, v0
	s_delay_alu instid0(VALU_DEP_1) | instskip(NEXT) | instid1(VALU_DEP_1)
	v_cvt_u32_f32_e32 v5, v5
	v_readfirstlane_b32 s1, v5
	v_mul_f32_e32 v5, 0x4f7ffffe, v6
	s_delay_alu instid0(VALU_DEP_2) | instskip(NEXT) | instid1(VALU_DEP_1)
	s_mul_i32 s0, s0, s1
	v_cvt_u32_f32_e32 v5, v5
	s_mul_hi_u32 s0, s1, s0
	s_delay_alu instid0(SALU_CYCLE_1) | instskip(SKIP_1) | instid1(VALU_DEP_1)
	s_add_i32 s1, s1, s0
	s_cmp_lt_u32 s2, 2
	v_mul_lo_u32 v6, s3, v5
	s_cselect_b32 s0, s4, 1
	s_delay_alu instid0(SALU_CYCLE_1) | instskip(SKIP_3) | instid1(VALU_DEP_1)
	s_sub_i32 s4, s0, s2
	s_cmp_ge_u32 s0, s2
	s_cselect_b32 s27, s4, s0
	s_lshr_b32 s1, s1, 31
	v_mul_hi_u32 v6, v5, v6
	s_mul_i32 s1, s1, s2
	v_cmp_eq_u32_e64 s0, 63, v8
	s_sub_i32 s1, 2, s1
	s_mul_i32 s27, s27, s16
	s_sub_i32 s3, s1, s2
	s_cmp_ge_u32 s1, s2
	s_cselect_b32 s1, s3, s1
	v_add_nc_u32_e32 v51, v5, v6
	s_sub_i32 s3, s1, s2
	s_cmp_ge_u32 s1, s2
	s_cselect_b32 s28, s3, s1
	s_lshl_b32 s26, s10, 1
	s_mul_i32 s28, s28, s16
	v_add_nc_u32_e32 v52, s26, v0
	s_lshl_b32 s10, s10, 2
	s_branch .LBB93_13
.LBB93_11:                              ;   in Loop: Header=BB93_13 Depth=1
	s_or_b32 exec_lo, exec_lo, s30
	v_mov_b32_e32 v33, s20
.LBB93_12:                              ;   in Loop: Header=BB93_13 Depth=1
	s_or_b32 exec_lo, exec_lo, s29
	s_delay_alu instid0(VALU_DEP_1) | instskip(SKIP_1) | instid1(SALU_CYCLE_1)
	v_cmp_le_u32_e32 vcc_lo, s11, v33
	s_or_b32 s21, vcc_lo, s21
	s_and_not1_b32 exec_lo, exec_lo, s21
	s_cbranch_execz .LBB93_62
.LBB93_13:                              ; =>This Loop Header: Depth=1
                                        ;     Child Loop BB93_17 Depth 2
                                        ;     Child Loop BB93_49 Depth 2
	v_dual_mov_b32 v65, v35 :: v_dual_add_nc_u32 v38, 1, v33
	v_dual_mov_b32 v64, v35 :: v_dual_add_nc_u32 v37, 2, v33
	;; [unrolled: 1-line block ×3, first 2 shown]
	v_mov_b32_e32 v62, v35
	v_mov_b32_e32 v54, v35
	;; [unrolled: 1-line block ×9, first 2 shown]
	s_and_not1_b32 vcc_lo, exec_lo, s22
	s_cbranch_vccnz .LBB93_30
; %bb.14:                               ;   in Loop: Header=BB93_13 Depth=1
	v_min_u32_e32 v5, s24, v33
	v_min_u32_e32 v6, s24, v38
	s_waitcnt lgkmcnt(0)
	v_min_u32_e32 v7, s24, v37
	v_min_u32_e32 v8, s24, v36
	v_dual_mov_b32 v10, v35 :: v_dual_mov_b32 v57, 0
	v_mul_lo_u32 v34, v5, s9
	v_mul_lo_u32 v5, v6, s9
	;; [unrolled: 1-line block ×4, first 2 shown]
	v_dual_mov_b32 v6, v35 :: v_dual_mov_b32 v59, 0
	v_dual_mov_b32 v8, v35 :: v_dual_mov_b32 v61, 0
	s_waitcnt vmcnt(4)
	v_lshlrev_b64 v[39:40], 1, v[34:35]
	s_delay_alu instid0(VALU_DEP_3)
	v_lshlrev_b64 v[41:42], 1, v[5:6]
	v_dual_mov_b32 v66, v49 :: v_dual_mov_b32 v55, 0
	v_lshlrev_b64 v[43:44], 1, v[7:8]
	v_lshlrev_b64 v[45:46], 1, v[9:10]
	v_dual_mov_b32 v60, 0 :: v_dual_mov_b32 v63, 0
	v_dual_mov_b32 v58, 0 :: v_dual_mov_b32 v65, 0
	v_mov_b32_e32 v56, 0
	v_mov_b32_e32 v54, 0
	;; [unrolled: 1-line block ×4, first 2 shown]
	s_mov_b32 s1, 0
	s_branch .LBB93_17
.LBB93_15:                              ;   in Loop: Header=BB93_17 Depth=2
	s_or_b32 exec_lo, exec_lo, s3
.LBB93_16:                              ;   in Loop: Header=BB93_17 Depth=2
	s_delay_alu instid0(SALU_CYCLE_1)
	s_or_b32 exec_lo, exec_lo, s2
	v_add_nc_u32_e32 v66, 0x400, v66
	s_addk_i32 s1, 0x200
	s_waitcnt vmcnt(0) lgkmcnt(0)
	;;#ASMSTART
	v_dot2_f32_f16 v65, v21, v17, v65
	;;#ASMEND
	;;#ASMSTART
	v_dot2_f32_f16 v64, v21, v13, v64
	;;#ASMEND
	;; [unrolled: 3-line block ×24, first 2 shown]
	s_cmp_ge_u32 s1, s8
	;;#ASMSTART
	v_dot2_f32_f16 v65, v23, v19, v65
	;;#ASMEND
	;;#ASMSTART
	v_dot2_f32_f16 v64, v23, v15, v64
	;;#ASMEND
	;; [unrolled: 3-line block ×24, first 2 shown]
	s_cbranch_scc1 .LBB93_30
.LBB93_17:                              ;   Parent Loop BB93_13 Depth=1
                                        ; =>  This Inner Loop Header: Depth=2
	s_waitcnt vmcnt(3)
	v_dual_mov_b32 v32, 0 :: v_dual_add_nc_u32 v47, s1, v0
	s_waitcnt vmcnt(1)
	v_dual_mov_b32 v31, 0 :: v_dual_mov_b32 v30, 0
	s_waitcnt vmcnt(0)
	v_dual_mov_b32 v29, 0 :: v_dual_mov_b32 v28, 0
	v_min_u32_e32 v34, s23, v47
	v_dual_mov_b32 v27, 0 :: v_dual_mov_b32 v26, 0
	v_dual_mov_b32 v25, 0 :: v_dual_mov_b32 v24, 0
	s_delay_alu instid0(VALU_DEP_3) | instskip(SKIP_3) | instid1(VALU_DEP_2)
	v_lshlrev_b64 v[5:6], 1, v[34:35]
	v_mov_b32_e32 v23, 0
	s_mov_b32 s2, exec_lo
	s_waitcnt lgkmcnt(0)
	v_add_co_u32 v11, vcc_lo, s14, v5
	s_delay_alu instid0(VALU_DEP_3) | instskip(NEXT) | instid1(VALU_DEP_2)
	v_add_co_ci_u32_e32 v12, vcc_lo, s15, v6, vcc_lo
	v_add_co_u32 v5, vcc_lo, v11, v39
	s_delay_alu instid0(VALU_DEP_2)
	v_add_co_ci_u32_e32 v6, vcc_lo, v12, v40, vcc_lo
	v_add_co_u32 v7, vcc_lo, v11, v41
	v_add_co_ci_u32_e32 v8, vcc_lo, v12, v42, vcc_lo
	v_add_co_u32 v9, vcc_lo, v11, v43
	;; [unrolled: 2-line block ×3, first 2 shown]
	v_add_co_ci_u32_e32 v22, vcc_lo, v12, v46, vcc_lo
	s_clause 0x3
	global_load_b128 v[17:20], v[5:6], off slc dlc
	global_load_b128 v[13:16], v[7:8], off slc dlc
	;; [unrolled: 1-line block ×4, first 2 shown]
	v_dual_mov_b32 v22, 0 :: v_dual_mov_b32 v21, 0
	v_cmpx_gt_u32_e64 s8, v47
	s_cbranch_execz .LBB93_16
; %bb.18:                               ;   in Loop: Header=BB93_17 Depth=2
	s_mov_b32 s3, exec_lo
                                        ; implicit-def: $vgpr24
	v_cmpx_lt_u32_e32 0x7fff, v47
	s_xor_b32 s3, exec_lo, s3
	s_cbranch_execz .LBB93_20
; %bb.19:                               ;   in Loop: Header=BB93_17 Depth=2
	v_mov_b32_e32 v48, v35
	s_delay_alu instid0(VALU_DEP_1) | instskip(NEXT) | instid1(VALU_DEP_1)
	v_lshlrev_b64 v[21:22], 1, v[47:48]
	v_add_co_u32 v21, vcc_lo, s12, v21
	s_delay_alu instid0(VALU_DEP_2)
	v_add_co_ci_u32_e32 v22, vcc_lo, s13, v22, vcc_lo
	global_load_b128 v[21:24], v[21:22], off
.LBB93_20:                              ;   in Loop: Header=BB93_17 Depth=2
	s_and_not1_saveexec_b32 s3, s3
	s_cbranch_execz .LBB93_22
; %bb.21:                               ;   in Loop: Header=BB93_17 Depth=2
	s_waitcnt vmcnt(0)
	ds_load_b128 v[21:24], v66
.LBB93_22:                              ;   in Loop: Header=BB93_17 Depth=2
	s_or_b32 exec_lo, exec_lo, s3
	v_add_nc_u32_e32 v34, s1, v50
	s_mov_b32 s3, exec_lo
                                        ; implicit-def: $vgpr28
	s_delay_alu instid0(VALU_DEP_1)
	v_cmpx_lt_u32_e32 0x7fff, v34
	s_xor_b32 s3, exec_lo, s3
	s_cbranch_execz .LBB93_24
; %bb.23:                               ;   in Loop: Header=BB93_17 Depth=2
	v_lshlrev_b64 v[25:26], 1, v[34:35]
	s_delay_alu instid0(VALU_DEP_1) | instskip(NEXT) | instid1(VALU_DEP_2)
	v_add_co_u32 v25, vcc_lo, s12, v25
	v_add_co_ci_u32_e32 v26, vcc_lo, s13, v26, vcc_lo
	global_load_b128 v[25:28], v[25:26], off
.LBB93_24:                              ;   in Loop: Header=BB93_17 Depth=2
	s_and_not1_saveexec_b32 s3, s3
	s_cbranch_execz .LBB93_26
; %bb.25:                               ;   in Loop: Header=BB93_17 Depth=2
	s_waitcnt vmcnt(0)
	v_add_nc_u32_e32 v25, s26, v66
	ds_load_b128 v[25:28], v25
.LBB93_26:                              ;   in Loop: Header=BB93_17 Depth=2
	s_or_b32 exec_lo, exec_lo, s3
	v_add_nc_u32_e32 v34, s1, v52
	s_mov_b32 s3, exec_lo
                                        ; implicit-def: $vgpr32
	s_delay_alu instid0(VALU_DEP_1)
	v_cmpx_lt_u32_e32 0x7fff, v34
	s_xor_b32 s3, exec_lo, s3
	s_cbranch_execz .LBB93_28
; %bb.27:                               ;   in Loop: Header=BB93_17 Depth=2
	v_lshlrev_b64 v[29:30], 1, v[34:35]
	s_delay_alu instid0(VALU_DEP_1) | instskip(NEXT) | instid1(VALU_DEP_2)
	v_add_co_u32 v29, vcc_lo, s12, v29
	v_add_co_ci_u32_e32 v30, vcc_lo, s13, v30, vcc_lo
	global_load_b128 v[29:32], v[29:30], off
.LBB93_28:                              ;   in Loop: Header=BB93_17 Depth=2
	s_and_not1_saveexec_b32 s3, s3
	s_cbranch_execz .LBB93_15
; %bb.29:                               ;   in Loop: Header=BB93_17 Depth=2
	s_waitcnt vmcnt(0)
	v_add_nc_u32_e32 v31, s10, v66
	ds_load_2addr_b32 v[29:30], v31 offset1:1
	ds_load_2addr_b32 v[31:32], v31 offset0:2 offset1:3
	s_branch .LBB93_15
.LBB93_30:                              ;   in Loop: Header=BB93_13 Depth=1
	v_cvt_i32_f32_e32 v5, v65
	v_cvt_i32_f32_e32 v6, v64
	s_waitcnt lgkmcnt(0)
	v_xor_b32_e32 v7, 16, v53
	v_cvt_i32_f32_e32 v8, v63
	v_cvt_i32_f32_e32 v10, v59
	v_cvt_f32_i32_dpp v5, v5 row_shr:8 row_mask:0xf bank_mask:0xf bound_ctrl:1
	v_cvt_f32_i32_dpp v6, v6 row_shr:8 row_mask:0xf bank_mask:0xf bound_ctrl:1
	v_cmp_gt_i32_e32 vcc_lo, 32, v7
	v_cvt_i32_f32_e32 v9, v62
	v_cvt_f32_i32_dpp v8, v8 row_shr:8 row_mask:0xf bank_mask:0xf bound_ctrl:1
	s_delay_alu instid0(VALU_DEP_4) | instskip(SKIP_3) | instid1(VALU_DEP_4)
	v_dual_add_f32 v5, v65, v5 :: v_dual_add_f32 v6, v64, v6
	v_cvt_f32_i32_dpp v10, v10 row_shr:8 row_mask:0xf bank_mask:0xf bound_ctrl:1
	v_cvt_i32_f32_e32 v11, v61
	v_cvt_i32_f32_e32 v12, v60
	;; [unrolled: 1-line block ×4, first 2 shown]
	v_cvt_f32_i32_dpp v9, v9 row_shr:8 row_mask:0xf bank_mask:0xf bound_ctrl:1
	v_cvt_f32_i32_dpp v11, v11 row_shr:8 row_mask:0xf bank_mask:0xf bound_ctrl:1
	;; [unrolled: 1-line block ×5, first 2 shown]
	v_cndmask_b32_e32 v7, v53, v7, vcc_lo
	s_delay_alu instid0(VALU_DEP_4) | instskip(NEXT) | instid1(VALU_DEP_4)
	v_dual_add_f32 v9, v62, v9 :: v_dual_add_f32 v12, v60, v12
	v_dual_add_f32 v5, v5, v13 :: v_dual_add_f32 v10, v59, v10
	s_delay_alu instid0(VALU_DEP_3) | instskip(SKIP_1) | instid1(VALU_DEP_3)
	v_dual_add_f32 v6, v6, v14 :: v_dual_lshlrev_b32 v7, 2, v7
	v_add_f32_e32 v8, v63, v8
	v_cvt_i32_f32_e32 v13, v5
	v_cvt_i32_f32_e32 v16, v9
	s_delay_alu instid0(VALU_DEP_4) | instskip(SKIP_3) | instid1(VALU_DEP_4)
	v_cvt_i32_f32_e32 v14, v6
	v_cvt_i32_f32_e32 v17, v10
	;; [unrolled: 1-line block ×3, first 2 shown]
	v_cvt_f32_i32_dpp v13, v13 row_shr:2 row_mask:0xf bank_mask:0xf bound_ctrl:1
	v_cvt_f32_i32_dpp v14, v14 row_shr:2 row_mask:0xf bank_mask:0xf bound_ctrl:1
	v_add_f32_e32 v11, v61, v11
	v_cvt_f32_i32_dpp v17, v17 row_shr:4 row_mask:0xf bank_mask:0xf bound_ctrl:1
	s_delay_alu instid0(VALU_DEP_3)
	v_add_f32_e32 v6, v6, v14
	v_cvt_f32_i32_dpp v14, v15 row_shr:4 row_mask:0xf bank_mask:0xf bound_ctrl:1
	v_add_f32_e32 v5, v5, v13
	v_cvt_i32_f32_e32 v18, v11
	v_cvt_f32_i32_dpp v15, v16 row_shr:4 row_mask:0xf bank_mask:0xf bound_ctrl:1
	v_cvt_i32_f32_e32 v13, v12
	v_add_f32_e32 v8, v8, v14
	v_cvt_i32_f32_e32 v16, v5
	v_cvt_i32_f32_e32 v19, v6
	v_cvt_f32_i32_dpp v18, v18 row_shr:4 row_mask:0xf bank_mask:0xf bound_ctrl:1
	v_cvt_f32_i32_dpp v13, v13 row_shr:4 row_mask:0xf bank_mask:0xf bound_ctrl:1
	v_dual_add_f32 v9, v9, v15 :: v_dual_add_f32 v10, v10, v17
	v_cvt_f32_i32_dpp v16, v16 row_shr:1 row_mask:0xf bank_mask:0xf bound_ctrl:1
	v_cvt_f32_i32_dpp v19, v19 row_shr:1 row_mask:0xf bank_mask:0xf bound_ctrl:1
	s_delay_alu instid0(VALU_DEP_2) | instskip(SKIP_2) | instid1(VALU_DEP_4)
	v_add_f32_e32 v27, v5, v16
	v_add_f32_e32 v5, v11, v18
	v_cvt_i32_f32_e32 v11, v8
	v_dual_add_f32 v21, v6, v19 :: v_dual_add_f32 v6, v12, v13
	v_cvt_i32_f32_e32 v12, v9
	v_cvt_i32_f32_e32 v13, v10
	s_delay_alu instid0(VALU_DEP_4)
	v_cvt_f32_i32_dpp v11, v11 row_shr:2 row_mask:0xf bank_mask:0xf bound_ctrl:1
	v_cvt_i32_f32_e32 v16, v54
	v_cvt_i32_f32_e32 v15, v6
	v_cvt_f32_i32_dpp v12, v12 row_shr:2 row_mask:0xf bank_mask:0xf bound_ctrl:1
	v_cvt_f32_i32_dpp v13, v13 row_shr:2 row_mask:0xf bank_mask:0xf bound_ctrl:1
	v_add_f32_e32 v8, v8, v11
	v_cvt_i32_f32_e32 v14, v5
	v_cvt_f32_i32_dpp v15, v15 row_shr:2 row_mask:0xf bank_mask:0xf bound_ctrl:1
	s_delay_alu instid0(VALU_DEP_4) | instskip(NEXT) | instid1(VALU_DEP_4)
	v_dual_add_f32 v9, v9, v12 :: v_dual_add_f32 v10, v10, v13
	v_cvt_i32_f32_e32 v11, v8
	s_delay_alu instid0(VALU_DEP_4) | instskip(NEXT) | instid1(VALU_DEP_4)
	v_cvt_f32_i32_dpp v14, v14 row_shr:2 row_mask:0xf bank_mask:0xf bound_ctrl:1
	v_add_f32_e32 v6, v6, v15
	s_delay_alu instid0(VALU_DEP_4)
	v_cvt_i32_f32_e32 v12, v9
	v_cvt_f32_i32_dpp v16, v16 row_shr:8 row_mask:0xf bank_mask:0xf bound_ctrl:1
	v_cvt_f32_i32_dpp v11, v11 row_shr:1 row_mask:0xf bank_mask:0xf bound_ctrl:1
	v_add_f32_e32 v5, v5, v14
	v_cvt_i32_f32_e32 v15, v6
	v_cvt_f32_i32_dpp v12, v12 row_shr:1 row_mask:0xf bank_mask:0xf bound_ctrl:1
	v_cvt_i32_f32_e32 v13, v10
	ds_bpermute_b32 v28, v7, v27
	v_cvt_i32_f32_e32 v14, v5
	v_cvt_f32_i32_dpp v15, v15 row_shr:1 row_mask:0xf bank_mask:0xf bound_ctrl:1
	v_add_f32_e32 v18, v9, v12
	v_cvt_i32_f32_e32 v9, v57
	v_cvt_f32_i32_dpp v13, v13 row_shr:1 row_mask:0xf bank_mask:0xf bound_ctrl:1
	v_cvt_f32_i32_dpp v14, v14 row_shr:1 row_mask:0xf bank_mask:0xf bound_ctrl:1
	v_add_f32_e32 v23, v8, v11
	v_cvt_i32_f32_e32 v11, v56
	v_cvt_f32_i32_dpp v9, v9 row_shr:8 row_mask:0xf bank_mask:0xf bound_ctrl:1
	v_add_f32_e32 v6, v6, v15
	v_add_f32_e32 v16, v54, v16
	;; [unrolled: 1-line block ×3, first 2 shown]
	v_cvt_f32_i32_dpp v11, v11 row_shr:8 row_mask:0xf bank_mask:0xf bound_ctrl:1
	v_add_f32_e32 v9, v57, v9
	v_add_f32_e32 v10, v5, v14
	s_waitcnt vmcnt(0)
	v_cvt_i32_f32_e32 v29, v16
	v_cvt_i32_f32_e32 v5, v58
	v_add_f32_e32 v11, v56, v11
	v_cvt_i32_f32_e32 v19, v9
	v_cvt_i32_f32_e32 v14, v55
	v_cvt_f32_i32_dpp v29, v29 row_shr:4 row_mask:0xf bank_mask:0xf bound_ctrl:1
	v_cvt_f32_i32_dpp v5, v5 row_shr:8 row_mask:0xf bank_mask:0xf bound_ctrl:1
	v_cvt_i32_f32_e32 v24, v11
	v_cvt_f32_i32_dpp v19, v19 row_shr:4 row_mask:0xf bank_mask:0xf bound_ctrl:1
	v_cvt_f32_i32_dpp v14, v14 row_shr:8 row_mask:0xf bank_mask:0xf bound_ctrl:1
	v_add_f32_e32 v16, v16, v29
	ds_bpermute_b32 v22, v7, v21
	v_cvt_f32_i32_dpp v24, v24 row_shr:4 row_mask:0xf bank_mask:0xf bound_ctrl:1
	v_dual_add_f32 v9, v9, v19 :: v_dual_add_f32 v14, v55, v14
	v_cvt_i32_f32_e32 v29, v16
	ds_bpermute_b32 v25, v7, v23
	ds_bpermute_b32 v20, v7, v18
	v_cvt_i32_f32_e32 v19, v9
	v_cvt_i32_f32_e32 v26, v14
	v_cvt_f32_i32_dpp v29, v29 row_shr:2 row_mask:0xf bank_mask:0xf bound_ctrl:1
	v_add_f32_e32 v11, v11, v24
	ds_bpermute_b32 v15, v7, v13
	v_cvt_f32_i32_dpp v19, v19 row_shr:2 row_mask:0xf bank_mask:0xf bound_ctrl:1
	v_cvt_f32_i32_dpp v26, v26 row_shr:4 row_mask:0xf bank_mask:0xf bound_ctrl:1
	v_add_f32_e32 v16, v16, v29
	v_cvt_i32_f32_e32 v24, v11
	ds_bpermute_b32 v12, v7, v10
	v_add_f32_e32 v9, v9, v19
	ds_bpermute_b32 v8, v7, v6
	v_cvt_i32_f32_e32 v29, v16
	v_cvt_f32_i32_dpp v24, v24 row_shr:2 row_mask:0xf bank_mask:0xf bound_ctrl:1
	v_add_f32_e32 v14, v14, v26
	s_delay_alu instid0(VALU_DEP_3) | instskip(NEXT) | instid1(VALU_DEP_3)
	v_cvt_f32_i32_dpp v29, v29 row_shr:1 row_mask:0xf bank_mask:0xf bound_ctrl:1
	v_add_f32_e32 v11, v11, v24
	s_delay_alu instid0(VALU_DEP_3) | instskip(NEXT) | instid1(VALU_DEP_2)
	v_cvt_i32_f32_e32 v26, v14
	v_cvt_i32_f32_e32 v24, v11
	s_delay_alu instid0(VALU_DEP_2) | instskip(NEXT) | instid1(VALU_DEP_2)
	v_cvt_f32_i32_dpp v26, v26 row_shr:2 row_mask:0xf bank_mask:0xf bound_ctrl:1
	v_cvt_f32_i32_dpp v30, v24 row_shr:1 row_mask:0xf bank_mask:0xf bound_ctrl:1
	v_add_f32_e32 v5, v58, v5
	s_delay_alu instid0(VALU_DEP_3) | instskip(NEXT) | instid1(VALU_DEP_2)
	v_add_f32_e32 v19, v14, v26
	v_cvt_i32_f32_e32 v17, v5
	s_delay_alu instid0(VALU_DEP_2) | instskip(NEXT) | instid1(VALU_DEP_2)
	v_cvt_i32_f32_e32 v26, v19
	v_cvt_f32_i32_dpp v17, v17 row_shr:4 row_mask:0xf bank_mask:0xf bound_ctrl:1
	s_delay_alu instid0(VALU_DEP_2) | instskip(NEXT) | instid1(VALU_DEP_2)
	v_cvt_f32_i32_dpp v26, v26 row_shr:1 row_mask:0xf bank_mask:0xf bound_ctrl:1
	v_add_f32_e32 v5, v5, v17
	s_delay_alu instid0(VALU_DEP_1) | instskip(NEXT) | instid1(VALU_DEP_1)
	v_cvt_i32_f32_e32 v17, v5
	v_cvt_f32_i32_dpp v17, v17 row_shr:2 row_mask:0xf bank_mask:0xf bound_ctrl:1
	s_delay_alu instid0(VALU_DEP_1) | instskip(SKIP_1) | instid1(VALU_DEP_2)
	v_add_f32_e32 v5, v5, v17
	v_cvt_i32_f32_e32 v17, v9
	v_cvt_i32_f32_e32 v14, v5
	s_delay_alu instid0(VALU_DEP_2) | instskip(NEXT) | instid1(VALU_DEP_2)
	v_cvt_f32_i32_dpp v17, v17 row_shr:1 row_mask:0xf bank_mask:0xf bound_ctrl:1
	v_cvt_f32_i32_dpp v14, v14 row_shr:1 row_mask:0xf bank_mask:0xf bound_ctrl:1
	s_delay_alu instid0(VALU_DEP_2) | instskip(SKIP_1) | instid1(VALU_DEP_3)
	v_add_f32_e32 v17, v9, v17
	v_add_f32_e32 v9, v19, v26
	;; [unrolled: 1-line block ×3, first 2 shown]
	v_dual_add_f32 v14, v11, v30 :: v_dual_add_f32 v5, v16, v29
	ds_bpermute_b32 v19, v7, v17
	ds_bpermute_b32 v11, v7, v9
	;; [unrolled: 1-line block ×5, first 2 shown]
	s_and_saveexec_b32 s5, s0
	s_cbranch_execz .LBB93_46
; %bb.31:                               ;   in Loop: Header=BB93_13 Depth=1
	v_dual_mov_b32 v34, 0 :: v_dual_mov_b32 v39, 0
	v_dual_mov_b32 v45, 0 :: v_dual_mov_b32 v44, 0
	;; [unrolled: 1-line block ×6, first 2 shown]
	s_and_not1_b32 vcc_lo, exec_lo, s25
	s_cbranch_vccnz .LBB93_33
; %bb.32:                               ;   in Loop: Header=BB93_13 Depth=1
	v_mul_hi_u32 v29, v33, v51
	v_mul_hi_u32 v30, v38, v51
	;; [unrolled: 1-line block ×4, first 2 shown]
	s_delay_alu instid0(VALU_DEP_4) | instskip(NEXT) | instid1(VALU_DEP_4)
	v_mul_lo_u32 v29, v29, s16
	v_mul_lo_u32 v34, v30, s16
	s_delay_alu instid0(VALU_DEP_4) | instskip(NEXT) | instid1(VALU_DEP_4)
	v_mul_lo_u32 v31, v31, s16
	v_mul_lo_u32 v32, v32, s16
	s_delay_alu instid0(VALU_DEP_4) | instskip(NEXT) | instid1(VALU_DEP_4)
	v_sub_nc_u32_e32 v29, v33, v29
	v_sub_nc_u32_e32 v34, v38, v34
	s_delay_alu instid0(VALU_DEP_4) | instskip(NEXT) | instid1(VALU_DEP_4)
	v_sub_nc_u32_e32 v31, v37, v31
	v_sub_nc_u32_e32 v39, v36, v32
	s_delay_alu instid0(VALU_DEP_4)
	v_subrev_nc_u32_e32 v40, s16, v29
	v_cmp_le_u32_e32 vcc_lo, s16, v29
	v_mov_b32_e32 v30, v35
	v_subrev_nc_u32_e32 v41, s16, v34
	v_subrev_nc_u32_e32 v42, s16, v31
	;; [unrolled: 1-line block ×3, first 2 shown]
	v_cndmask_b32_e32 v29, v29, v40, vcc_lo
	v_cmp_le_u32_e32 vcc_lo, s16, v34
	v_dual_mov_b32 v32, v35 :: v_dual_cndmask_b32 v41, v34, v41
	v_cmp_le_u32_e32 vcc_lo, s16, v31
	s_delay_alu instid0(VALU_DEP_4)
	v_subrev_nc_u32_e32 v34, s16, v29
	v_cndmask_b32_e32 v31, v31, v42, vcc_lo
	v_cmp_le_u32_e32 vcc_lo, s16, v39
	v_subrev_nc_u32_e32 v42, s16, v41
	v_cndmask_b32_e32 v39, v39, v43, vcc_lo
	v_cmp_le_u32_e32 vcc_lo, s16, v29
	v_cndmask_b32_e32 v34, v29, v34, vcc_lo
	v_cmp_le_u32_e32 vcc_lo, s16, v41
	v_mov_b32_e32 v40, v35
	v_subrev_nc_u32_e32 v44, s16, v39
	s_delay_alu instid0(VALU_DEP_4) | instskip(SKIP_3) | instid1(VALU_DEP_3)
	v_dual_mov_b32 v57, v35 :: v_dual_add_nc_u32 v54, s27, v34
	v_cndmask_b32_e32 v29, v41, v42, vcc_lo
	v_lshlrev_b64 v[41:42], 1, v[34:35]
	v_dual_mov_b32 v59, v35 :: v_dual_add_nc_u32 v34, s28, v34
	v_add_nc_u32_e32 v56, s27, v29
	v_subrev_nc_u32_e32 v43, s16, v31
	v_cmp_le_u32_e32 vcc_lo, s16, v31
	s_delay_alu instid0(VALU_DEP_4)
	v_lshlrev_b64 v[62:63], 1, v[34:35]
	v_add_nc_u32_e32 v34, s28, v29
	v_lshlrev_b64 v[56:57], 1, v[56:57]
	v_cndmask_b32_e32 v31, v31, v43, vcc_lo
	v_cmp_le_u32_e32 vcc_lo, s16, v39
	v_mov_b32_e32 v61, v35
	s_delay_alu instid0(VALU_DEP_3) | instskip(SKIP_3) | instid1(VALU_DEP_3)
	v_lshlrev_b64 v[45:46], 1, v[31:32]
	v_dual_cndmask_b32 v39, v39, v44 :: v_dual_add_nc_u32 v58, s27, v31
	v_lshlrev_b64 v[43:44], 1, v[29:30]
	v_add_co_u32 v41, vcc_lo, s6, v41
	v_dual_mov_b32 v55, v35 :: v_dual_add_nc_u32 v60, s27, v39
	v_add_co_ci_u32_e32 v42, vcc_lo, s7, v42, vcc_lo
	s_delay_alu instid0(VALU_DEP_4)
	v_add_co_u32 v43, vcc_lo, s6, v43
	v_lshlrev_b64 v[47:48], 1, v[39:40]
	v_add_co_ci_u32_e32 v44, vcc_lo, s7, v44, vcc_lo
	v_add_co_u32 v45, vcc_lo, s6, v45
	v_lshlrev_b64 v[54:55], 1, v[54:55]
	v_add_co_ci_u32_e32 v46, vcc_lo, s7, v46, vcc_lo
	v_add_co_u32 v47, vcc_lo, s6, v47
	v_add_co_ci_u32_e32 v48, vcc_lo, s7, v48, vcc_lo
	s_delay_alu instid0(VALU_DEP_4)
	v_add_co_u32 v54, vcc_lo, s6, v54
	v_lshlrev_b64 v[58:59], 1, v[58:59]
	v_add_co_ci_u32_e32 v55, vcc_lo, s7, v55, vcc_lo
	v_add_co_u32 v56, vcc_lo, s6, v56
	v_lshlrev_b64 v[60:61], 1, v[60:61]
	v_add_co_ci_u32_e32 v57, vcc_lo, s7, v57, vcc_lo
	v_add_co_u32 v58, vcc_lo, s6, v58
	v_add_co_ci_u32_e32 v59, vcc_lo, s7, v59, vcc_lo
	s_delay_alu instid0(VALU_DEP_4)
	v_add_co_u32 v29, vcc_lo, s6, v60
	v_add_co_ci_u32_e32 v30, vcc_lo, s7, v61, vcc_lo
	v_lshlrev_b64 v[60:61], 1, v[34:35]
	v_add_nc_u32_e32 v34, s28, v31
	v_add_co_u32 v31, vcc_lo, s6, v62
	v_add_co_ci_u32_e32 v32, vcc_lo, s7, v63, vcc_lo
	s_delay_alu instid0(VALU_DEP_3) | instskip(SKIP_3) | instid1(VALU_DEP_3)
	v_lshlrev_b64 v[62:63], 1, v[34:35]
	v_add_nc_u32_e32 v34, s28, v39
	v_add_co_u32 v60, vcc_lo, s6, v60
	v_add_co_ci_u32_e32 v61, vcc_lo, s7, v61, vcc_lo
	v_lshlrev_b64 v[39:40], 1, v[34:35]
	v_add_co_u32 v62, vcc_lo, s6, v62
	v_add_co_ci_u32_e32 v63, vcc_lo, s7, v63, vcc_lo
	s_delay_alu instid0(VALU_DEP_3) | instskip(NEXT) | instid1(VALU_DEP_4)
	v_add_co_u32 v64, vcc_lo, s6, v39
	v_add_co_ci_u32_e32 v65, vcc_lo, s7, v40, vcc_lo
	s_clause 0xb
	global_load_u16 v34, v[41:42], off
	global_load_u16 v39, v[43:44], off
	;; [unrolled: 1-line block ×12, first 2 shown]
.LBB93_33:                              ;   in Loop: Header=BB93_13 Depth=1
	v_cmp_ne_u32_e32 vcc_lo, 0, v1
	s_and_saveexec_b32 s2, vcc_lo
	s_cbranch_execnz .LBB93_51
; %bb.34:                               ;   in Loop: Header=BB93_13 Depth=1
	s_or_b32 exec_lo, exec_lo, s2
	v_cmp_ne_u32_e64 s1, 0, v2
	s_delay_alu instid0(VALU_DEP_1)
	s_and_saveexec_b32 s3, s1
	s_cbranch_execnz .LBB93_52
.LBB93_35:                              ;   in Loop: Header=BB93_13 Depth=1
	s_or_b32 exec_lo, exec_lo, s3
	v_cmp_ne_u32_e64 s2, 0, v3
	s_delay_alu instid0(VALU_DEP_1)
	s_and_saveexec_b32 s4, s2
	s_cbranch_execnz .LBB93_53
.LBB93_36:                              ;   in Loop: Header=BB93_13 Depth=1
	s_or_b32 exec_lo, exec_lo, s4
	v_cmp_ne_u32_e64 s3, 0, v4
	s_delay_alu instid0(VALU_DEP_1)
	s_and_saveexec_b32 s29, s3
	s_cbranch_execnz .LBB93_54
.LBB93_37:                              ;   in Loop: Header=BB93_13 Depth=1
	s_or_b32 exec_lo, exec_lo, s29
	s_waitcnt vmcnt(11)
	v_add_nc_u32_e32 v34, s11, v33
	s_and_saveexec_b32 s29, vcc_lo
	s_cbranch_execnz .LBB93_55
.LBB93_38:                              ;   in Loop: Header=BB93_13 Depth=1
	s_or_b32 exec_lo, exec_lo, s29
	s_and_saveexec_b32 s29, s1
	s_cbranch_execnz .LBB93_56
.LBB93_39:                              ;   in Loop: Header=BB93_13 Depth=1
	s_or_b32 exec_lo, exec_lo, s29
	s_and_saveexec_b32 s29, s2
	s_cbranch_execnz .LBB93_57
.LBB93_40:                              ;   in Loop: Header=BB93_13 Depth=1
	s_or_b32 exec_lo, exec_lo, s29
	s_and_saveexec_b32 s29, s3
	s_cbranch_execnz .LBB93_58
.LBB93_41:                              ;   in Loop: Header=BB93_13 Depth=1
	s_or_b32 exec_lo, exec_lo, s29
	v_add_nc_u32_e32 v34, s11, v34
	s_and_saveexec_b32 s4, vcc_lo
	s_cbranch_execnz .LBB93_59
.LBB93_42:                              ;   in Loop: Header=BB93_13 Depth=1
	s_or_b32 exec_lo, exec_lo, s4
	s_and_saveexec_b32 s4, s1
	s_cbranch_execnz .LBB93_60
.LBB93_43:                              ;   in Loop: Header=BB93_13 Depth=1
	s_or_b32 exec_lo, exec_lo, s4
	s_and_saveexec_b32 s1, s2
	s_cbranch_execnz .LBB93_61
.LBB93_44:                              ;   in Loop: Header=BB93_13 Depth=1
	s_or_b32 exec_lo, exec_lo, s1
	s_delay_alu instid0(SALU_CYCLE_1)
	s_and_b32 exec_lo, exec_lo, s3
	s_cbranch_execz .LBB93_46
.LBB93_45:                              ;   in Loop: Header=BB93_13 Depth=1
	s_waitcnt lgkmcnt(0)
	v_dual_add_f32 v5, v5, v7 :: v_dual_add_nc_u32 v34, 3, v34
	s_waitcnt vmcnt(0)
	v_cvt_f32_f16_e32 v6, v29
	s_delay_alu instid0(VALU_DEP_1) | instskip(NEXT) | instid1(VALU_DEP_3)
	v_add_f32_e32 v7, v5, v6
	v_lshlrev_b64 v[5:6], 1, v[34:35]
	s_delay_alu instid0(VALU_DEP_2) | instskip(NEXT) | instid1(VALU_DEP_2)
	v_cvt_f16_f32_e32 v7, v7
	v_add_co_u32 v5, vcc_lo, s18, v5
	s_delay_alu instid0(VALU_DEP_3)
	v_add_co_ci_u32_e32 v6, vcc_lo, s19, v6, vcc_lo
	global_store_b16 v[5:6], v7, off
.LBB93_46:                              ;   in Loop: Header=BB93_13 Depth=1
	s_or_b32 exec_lo, exec_lo, s5
	v_add_nc_u32_e32 v33, s17, v33
	s_delay_alu instid0(VALU_DEP_1) | instskip(SKIP_1) | instid1(VALU_DEP_2)
	v_add_nc_u32_e32 v5, 4, v33
	v_cmp_gt_u32_e32 vcc_lo, s11, v33
	v_cmp_le_u32_e64 s1, s11, v5
	s_delay_alu instid0(VALU_DEP_1) | instskip(NEXT) | instid1(SALU_CYCLE_1)
	s_and_b32 s1, vcc_lo, s1
	s_and_saveexec_b32 s29, s1
	s_cbranch_execz .LBB93_12
; %bb.47:                               ;   in Loop: Header=BB93_13 Depth=1
	s_mov_b32 s30, exec_lo
	v_cmpx_ne_u32_e64 s20, v33
	s_cbranch_execz .LBB93_11
; %bb.48:                               ;   in Loop: Header=BB93_13 Depth=1
	v_subrev_nc_u32_e32 v5, s20, v33
	s_mov_b32 s31, 0
	s_mov_b64 s[4:5], 0
	s_delay_alu instid0(VALU_DEP_1)
	v_cmp_lt_u32_e32 vcc_lo, 1, v5
	v_cndmask_b32_e32 v5, 1, v5, vcc_lo
	.p2align	6
.LBB93_49:                              ;   Parent Loop BB93_13 Depth=1
                                        ; =>  This Inner Loop Header: Depth=2
	s_cmp_lg_u32 s4, 3
	s_cselect_b32 vcc_lo, -1, 0
	s_cmp_lg_u32 s4, 2
	v_cndmask_b32_e32 v4, 0, v4, vcc_lo
	s_cselect_b32 s1, -1, 0
	s_cmp_lg_u32 s4, 1
	v_cndmask_b32_e64 v3, 0, v3, s1
	s_cselect_b32 s2, -1, 0
	s_cmp_lg_u32 s4, 0
	v_cndmask_b32_e64 v2, 0, v2, s2
	s_cselect_b32 s3, -1, 0
	s_add_u32 s4, s4, 1
	v_cndmask_b32_e64 v1, 0, v1, s3
	v_cmp_eq_u32_e32 vcc_lo, s4, v5
	s_addc_u32 s5, s5, 0
	s_or_b32 s31, vcc_lo, s31
	s_delay_alu instid0(SALU_CYCLE_1)
	s_and_not1_b32 exec_lo, exec_lo, s31
	s_cbranch_execnz .LBB93_49
; %bb.50:                               ;   in Loop: Header=BB93_13 Depth=1
	s_or_b32 exec_lo, exec_lo, s31
	s_branch .LBB93_11
.LBB93_51:                              ;   in Loop: Header=BB93_13 Depth=1
	s_waitcnt lgkmcnt(0)
	v_add_f32_e32 v27, v27, v28
	s_waitcnt vmcnt(11)
	v_cvt_f32_f16_e32 v28, v34
	v_mov_b32_e32 v34, v35
	s_delay_alu instid0(VALU_DEP_2) | instskip(NEXT) | instid1(VALU_DEP_2)
	v_add_f32_e32 v46, v27, v28
	v_lshlrev_b64 v[27:28], 1, v[33:34]
	s_delay_alu instid0(VALU_DEP_2) | instskip(NEXT) | instid1(VALU_DEP_2)
	v_cvt_f16_f32_e32 v34, v46
	v_add_co_u32 v27, s1, s18, v27
	s_delay_alu instid0(VALU_DEP_1) | instskip(SKIP_3) | instid1(VALU_DEP_1)
	v_add_co_ci_u32_e64 v28, s1, s19, v28, s1
	global_store_b16 v[27:28], v34, off
	s_or_b32 exec_lo, exec_lo, s2
	v_cmp_ne_u32_e64 s1, 0, v2
	s_and_saveexec_b32 s3, s1
	s_cbranch_execz .LBB93_35
.LBB93_52:                              ;   in Loop: Header=BB93_13 Depth=1
	s_waitcnt lgkmcnt(0)
	v_add_f32_e32 v21, v21, v22
	s_waitcnt vmcnt(10)
	v_cvt_f32_f16_e32 v22, v39
	v_mov_b32_e32 v39, v35
	s_delay_alu instid0(VALU_DEP_2) | instskip(NEXT) | instid1(VALU_DEP_2)
	v_add_f32_e32 v27, v21, v22
	v_lshlrev_b64 v[21:22], 1, v[38:39]
	s_delay_alu instid0(VALU_DEP_2) | instskip(NEXT) | instid1(VALU_DEP_2)
	v_cvt_f16_f32_e32 v27, v27
	v_add_co_u32 v21, s2, s18, v21
	s_delay_alu instid0(VALU_DEP_1) | instskip(SKIP_3) | instid1(VALU_DEP_1)
	v_add_co_ci_u32_e64 v22, s2, s19, v22, s2
	global_store_b16 v[21:22], v27, off
	s_or_b32 exec_lo, exec_lo, s3
	v_cmp_ne_u32_e64 s2, 0, v3
	s_and_saveexec_b32 s4, s2
	s_cbranch_execz .LBB93_36
.LBB93_53:                              ;   in Loop: Header=BB93_13 Depth=1
	s_waitcnt lgkmcnt(0)
	v_add_f32_e32 v21, v23, v25
	s_waitcnt vmcnt(9)
	v_cvt_f32_f16_e32 v22, v45
	s_delay_alu instid0(VALU_DEP_1) | instskip(NEXT) | instid1(VALU_DEP_1)
	v_dual_mov_b32 v38, v35 :: v_dual_add_f32 v23, v21, v22
	v_lshlrev_b64 v[21:22], 1, v[37:38]
	s_delay_alu instid0(VALU_DEP_2) | instskip(NEXT) | instid1(VALU_DEP_2)
	v_cvt_f16_f32_e32 v23, v23
	v_add_co_u32 v21, s3, s18, v21
	s_delay_alu instid0(VALU_DEP_1) | instskip(SKIP_3) | instid1(VALU_DEP_1)
	v_add_co_ci_u32_e64 v22, s3, s19, v22, s3
	global_store_b16 v[21:22], v23, off
	s_or_b32 exec_lo, exec_lo, s4
	v_cmp_ne_u32_e64 s3, 0, v4
	s_and_saveexec_b32 s29, s3
	s_cbranch_execz .LBB93_37
.LBB93_54:                              ;   in Loop: Header=BB93_13 Depth=1
	s_waitcnt lgkmcnt(0)
	v_dual_add_f32 v18, v18, v20 :: v_dual_mov_b32 v37, v35
	s_waitcnt vmcnt(8)
	v_cvt_f32_f16_e32 v20, v44
	s_delay_alu instid0(VALU_DEP_1) | instskip(NEXT) | instid1(VALU_DEP_3)
	v_add_f32_e32 v18, v18, v20
	v_lshlrev_b64 v[20:21], 1, v[36:37]
	s_delay_alu instid0(VALU_DEP_2) | instskip(NEXT) | instid1(VALU_DEP_2)
	v_cvt_f16_f32_e32 v18, v18
	v_add_co_u32 v20, s4, s18, v20
	s_delay_alu instid0(VALU_DEP_1)
	v_add_co_ci_u32_e64 v21, s4, s19, v21, s4
	global_store_b16 v[20:21], v18, off
	s_or_b32 exec_lo, exec_lo, s29
	v_add_nc_u32_e32 v34, s11, v33
	s_and_saveexec_b32 s29, vcc_lo
	s_cbranch_execz .LBB93_38
.LBB93_55:                              ;   in Loop: Header=BB93_13 Depth=1
	s_waitcnt lgkmcnt(0)
	v_add_f32_e32 v13, v13, v15
	s_waitcnt vmcnt(7)
	v_cvt_f32_f16_e32 v15, v43
	v_lshlrev_b64 v[20:21], 1, v[34:35]
	s_delay_alu instid0(VALU_DEP_2) | instskip(NEXT) | instid1(VALU_DEP_2)
	v_add_f32_e32 v13, v13, v15
	v_add_co_u32 v20, s4, s18, v20
	s_delay_alu instid0(VALU_DEP_1) | instskip(NEXT) | instid1(VALU_DEP_3)
	v_add_co_ci_u32_e64 v21, s4, s19, v21, s4
	v_cvt_f16_f32_e32 v13, v13
	global_store_b16 v[20:21], v13, off
	s_or_b32 exec_lo, exec_lo, s29
	s_and_saveexec_b32 s29, s1
	s_cbranch_execz .LBB93_39
.LBB93_56:                              ;   in Loop: Header=BB93_13 Depth=1
	s_waitcnt lgkmcnt(0)
	v_dual_add_f32 v10, v10, v12 :: v_dual_mov_b32 v13, v35
	v_add_nc_u32_e32 v12, 1, v34
	s_waitcnt vmcnt(6)
	v_cvt_f32_f16_e32 v15, v42
	s_delay_alu instid0(VALU_DEP_2) | instskip(NEXT) | instid1(VALU_DEP_2)
	v_lshlrev_b64 v[12:13], 1, v[12:13]
	v_add_f32_e32 v10, v10, v15
	s_delay_alu instid0(VALU_DEP_1) | instskip(NEXT) | instid1(VALU_DEP_3)
	v_cvt_f16_f32_e32 v10, v10
	v_add_co_u32 v12, s4, s18, v12
	s_delay_alu instid0(VALU_DEP_1)
	v_add_co_ci_u32_e64 v13, s4, s19, v13, s4
	global_store_b16 v[12:13], v10, off
	s_or_b32 exec_lo, exec_lo, s29
	s_and_saveexec_b32 s29, s2
	s_cbranch_execz .LBB93_40
.LBB93_57:                              ;   in Loop: Header=BB93_13 Depth=1
	s_waitcnt lgkmcnt(0)
	v_dual_add_f32 v6, v6, v8 :: v_dual_mov_b32 v13, v35
	v_add_nc_u32_e32 v12, 2, v34
	s_waitcnt vmcnt(5)
	v_cvt_f32_f16_e32 v8, v41
	s_delay_alu instid0(VALU_DEP_2) | instskip(NEXT) | instid1(VALU_DEP_2)
	v_lshlrev_b64 v[12:13], 1, v[12:13]
	v_add_f32_e32 v6, v6, v8
	s_delay_alu instid0(VALU_DEP_1) | instskip(NEXT) | instid1(VALU_DEP_3)
	v_cvt_f16_f32_e32 v6, v6
	v_add_co_u32 v12, s4, s18, v12
	s_delay_alu instid0(VALU_DEP_1)
	v_add_co_ci_u32_e64 v13, s4, s19, v13, s4
	global_store_b16 v[12:13], v6, off
	s_or_b32 exec_lo, exec_lo, s29
	s_and_saveexec_b32 s29, s3
	s_cbranch_execz .LBB93_41
.LBB93_58:                              ;   in Loop: Header=BB93_13 Depth=1
	s_waitcnt lgkmcnt(0)
	v_dual_add_f32 v6, v24, v26 :: v_dual_mov_b32 v13, v35
	v_add_nc_u32_e32 v12, 3, v34
	s_waitcnt vmcnt(4)
	v_cvt_f32_f16_e32 v8, v40
	s_delay_alu instid0(VALU_DEP_2) | instskip(NEXT) | instid1(VALU_DEP_2)
	v_lshlrev_b64 v[12:13], 1, v[12:13]
	v_add_f32_e32 v6, v6, v8
	s_delay_alu instid0(VALU_DEP_1) | instskip(NEXT) | instid1(VALU_DEP_3)
	v_cvt_f16_f32_e32 v6, v6
	v_add_co_u32 v12, s4, s18, v12
	s_delay_alu instid0(VALU_DEP_1)
	v_add_co_ci_u32_e64 v13, s4, s19, v13, s4
	global_store_b16 v[12:13], v6, off
	s_or_b32 exec_lo, exec_lo, s29
	v_add_nc_u32_e32 v34, s11, v34
	s_and_saveexec_b32 s4, vcc_lo
	s_cbranch_execz .LBB93_42
.LBB93_59:                              ;   in Loop: Header=BB93_13 Depth=1
	s_waitcnt lgkmcnt(0)
	v_add_f32_e32 v6, v17, v19
	s_waitcnt vmcnt(3)
	v_cvt_f32_f16_e32 v8, v32
	v_lshlrev_b64 v[12:13], 1, v[34:35]
	s_delay_alu instid0(VALU_DEP_2) | instskip(NEXT) | instid1(VALU_DEP_2)
	v_add_f32_e32 v6, v6, v8
	v_add_co_u32 v12, vcc_lo, s18, v12
	s_delay_alu instid0(VALU_DEP_3) | instskip(NEXT) | instid1(VALU_DEP_3)
	v_add_co_ci_u32_e32 v13, vcc_lo, s19, v13, vcc_lo
	v_cvt_f16_f32_e32 v6, v6
	global_store_b16 v[12:13], v6, off
	s_or_b32 exec_lo, exec_lo, s4
	s_and_saveexec_b32 s4, s1
	s_cbranch_execz .LBB93_43
.LBB93_60:                              ;   in Loop: Header=BB93_13 Depth=1
	s_waitcnt lgkmcnt(0)
	v_dual_add_f32 v6, v14, v16 :: v_dual_mov_b32 v13, v35
	v_add_nc_u32_e32 v12, 1, v34
	s_waitcnt vmcnt(2)
	v_cvt_f32_f16_e32 v8, v31
	s_delay_alu instid0(VALU_DEP_2) | instskip(NEXT) | instid1(VALU_DEP_2)
	v_lshlrev_b64 v[12:13], 1, v[12:13]
	v_add_f32_e32 v6, v6, v8
	s_delay_alu instid0(VALU_DEP_1) | instskip(NEXT) | instid1(VALU_DEP_3)
	v_cvt_f16_f32_e32 v6, v6
	v_add_co_u32 v12, vcc_lo, s18, v12
	s_delay_alu instid0(VALU_DEP_4)
	v_add_co_ci_u32_e32 v13, vcc_lo, s19, v13, vcc_lo
	global_store_b16 v[12:13], v6, off
	s_or_b32 exec_lo, exec_lo, s4
	s_and_saveexec_b32 s1, s2
	s_cbranch_execz .LBB93_44
.LBB93_61:                              ;   in Loop: Header=BB93_13 Depth=1
	s_waitcnt lgkmcnt(0)
	v_dual_add_f32 v6, v9, v11 :: v_dual_mov_b32 v9, v35
	v_add_nc_u32_e32 v8, 2, v34
	s_waitcnt vmcnt(1)
	v_cvt_f32_f16_e32 v10, v30
	s_delay_alu instid0(VALU_DEP_2) | instskip(NEXT) | instid1(VALU_DEP_2)
	v_lshlrev_b64 v[8:9], 1, v[8:9]
	v_add_f32_e32 v6, v6, v10
	s_delay_alu instid0(VALU_DEP_1) | instskip(NEXT) | instid1(VALU_DEP_3)
	v_cvt_f16_f32_e32 v6, v6
	v_add_co_u32 v8, vcc_lo, s18, v8
	s_delay_alu instid0(VALU_DEP_4) | instskip(SKIP_2) | instid1(SALU_CYCLE_1)
	v_add_co_ci_u32_e32 v9, vcc_lo, s19, v9, vcc_lo
	global_store_b16 v[8:9], v6, off
	s_or_b32 exec_lo, exec_lo, s1
	s_and_b32 exec_lo, exec_lo, s3
	s_cbranch_execnz .LBB93_45
	s_branch .LBB93_46
.LBB93_62:
	s_nop 0
	s_sendmsg sendmsg(MSG_DEALLOC_VGPRS)
	s_endpgm
	.section	.rodata,"a",@progbits
	.p2align	6, 0x0
	.amdhsa_kernel _Z12wvSplitK_hf_I6__halfLi64ELi4ELi16ELi8ELi1ELi3EEviiiiiiPKT_S3_S3_PS1_ii
		.amdhsa_group_segment_fixed_size 65536
		.amdhsa_private_segment_fixed_size 0
		.amdhsa_kernarg_size 64
		.amdhsa_user_sgpr_count 15
		.amdhsa_user_sgpr_dispatch_ptr 0
		.amdhsa_user_sgpr_queue_ptr 0
		.amdhsa_user_sgpr_kernarg_segment_ptr 1
		.amdhsa_user_sgpr_dispatch_id 0
		.amdhsa_user_sgpr_private_segment_size 0
		.amdhsa_wavefront_size32 1
		.amdhsa_uses_dynamic_stack 0
		.amdhsa_enable_private_segment 0
		.amdhsa_system_sgpr_workgroup_id_x 1
		.amdhsa_system_sgpr_workgroup_id_y 0
		.amdhsa_system_sgpr_workgroup_id_z 0
		.amdhsa_system_sgpr_workgroup_info 0
		.amdhsa_system_vgpr_workitem_id 1
		.amdhsa_next_free_vgpr 67
		.amdhsa_next_free_sgpr 32
		.amdhsa_reserve_vcc 1
		.amdhsa_float_round_mode_32 0
		.amdhsa_float_round_mode_16_64 0
		.amdhsa_float_denorm_mode_32 3
		.amdhsa_float_denorm_mode_16_64 3
		.amdhsa_dx10_clamp 1
		.amdhsa_ieee_mode 1
		.amdhsa_fp16_overflow 0
		.amdhsa_workgroup_processor_mode 1
		.amdhsa_memory_ordered 1
		.amdhsa_forward_progress 0
		.amdhsa_shared_vgpr_count 0
		.amdhsa_exception_fp_ieee_invalid_op 0
		.amdhsa_exception_fp_denorm_src 0
		.amdhsa_exception_fp_ieee_div_zero 0
		.amdhsa_exception_fp_ieee_overflow 0
		.amdhsa_exception_fp_ieee_underflow 0
		.amdhsa_exception_fp_ieee_inexact 0
		.amdhsa_exception_int_div_zero 0
	.end_amdhsa_kernel
	.section	.text._Z12wvSplitK_hf_I6__halfLi64ELi4ELi16ELi8ELi1ELi3EEviiiiiiPKT_S3_S3_PS1_ii,"axG",@progbits,_Z12wvSplitK_hf_I6__halfLi64ELi4ELi16ELi8ELi1ELi3EEviiiiiiPKT_S3_S3_PS1_ii,comdat
.Lfunc_end93:
	.size	_Z12wvSplitK_hf_I6__halfLi64ELi4ELi16ELi8ELi1ELi3EEviiiiiiPKT_S3_S3_PS1_ii, .Lfunc_end93-_Z12wvSplitK_hf_I6__halfLi64ELi4ELi16ELi8ELi1ELi3EEviiiiiiPKT_S3_S3_PS1_ii
                                        ; -- End function
	.section	.AMDGPU.csdata,"",@progbits
; Kernel info:
; codeLenInByte = 5624
; NumSgprs: 34
; NumVgprs: 67
; ScratchSize: 0
; MemoryBound: 0
; FloatMode: 240
; IeeeMode: 1
; LDSByteSize: 65536 bytes/workgroup (compile time only)
; SGPRBlocks: 4
; VGPRBlocks: 8
; NumSGPRsForWavesPerEU: 34
; NumVGPRsForWavesPerEU: 67
; Occupancy: 16
; WaveLimiterHint : 0
; COMPUTE_PGM_RSRC2:SCRATCH_EN: 0
; COMPUTE_PGM_RSRC2:USER_SGPR: 15
; COMPUTE_PGM_RSRC2:TRAP_HANDLER: 0
; COMPUTE_PGM_RSRC2:TGID_X_EN: 1
; COMPUTE_PGM_RSRC2:TGID_Y_EN: 0
; COMPUTE_PGM_RSRC2:TGID_Z_EN: 0
; COMPUTE_PGM_RSRC2:TIDIG_COMP_CNT: 1
	.section	.text._Z16wvSplitK_hf_big_I6__halfLi64ELi4ELi16ELi8ELi1ELi3EEviiiiiiPKT_S3_S3_PS1_ii,"axG",@progbits,_Z16wvSplitK_hf_big_I6__halfLi64ELi4ELi16ELi8ELi1ELi3EEviiiiiiPKT_S3_S3_PS1_ii,comdat
	.protected	_Z16wvSplitK_hf_big_I6__halfLi64ELi4ELi16ELi8ELi1ELi3EEviiiiiiPKT_S3_S3_PS1_ii ; -- Begin function _Z16wvSplitK_hf_big_I6__halfLi64ELi4ELi16ELi8ELi1ELi3EEviiiiiiPKT_S3_S3_PS1_ii
	.globl	_Z16wvSplitK_hf_big_I6__halfLi64ELi4ELi16ELi8ELi1ELi3EEviiiiiiPKT_S3_S3_PS1_ii
	.p2align	8
	.type	_Z16wvSplitK_hf_big_I6__halfLi64ELi4ELi16ELi8ELi1ELi3EEviiiiiiPKT_S3_S3_PS1_ii,@function
_Z16wvSplitK_hf_big_I6__halfLi64ELi4ELi16ELi8ELi1ELi3EEviiiiiiPKT_S3_S3_PS1_ii: ; @_Z16wvSplitK_hf_big_I6__halfLi64ELi4ELi16ELi8ELi1ELi3EEviiiiiiPKT_S3_S3_PS1_ii
; %bb.0:
	s_load_b64 s[20:21], s[0:1], 0x38
	v_bfe_u32 v5, v0, 10, 10
	s_mov_b32 s2, exec_lo
	s_waitcnt lgkmcnt(0)
	s_delay_alu instid0(VALU_DEP_1)
	v_cmpx_gt_u32_e64 s20, v5
	s_cbranch_execz .LBB94_62
; %bb.1:
	s_load_b128 s[16:19], s[0:1], 0x0
	s_mul_i32 s15, s15, s20
	s_mov_b32 s4, 1
	v_add_lshl_u32 v33, s15, v5, 2
	s_mov_b32 s5, s4
	s_mov_b32 s6, s4
	;; [unrolled: 1-line block ×3, first 2 shown]
	s_delay_alu instid0(VALU_DEP_1) | instskip(SKIP_2) | instid1(VALU_DEP_2)
	v_add_nc_u32_e32 v1, 4, v33
	s_waitcnt lgkmcnt(0)
	v_cmp_gt_u32_e32 vcc_lo, s19, v33
	v_cmp_le_u32_e64 s2, s19, v1
	v_dual_mov_b32 v1, s4 :: v_dual_mov_b32 v4, s7
	v_dual_mov_b32 v2, s5 :: v_dual_mov_b32 v3, s6
	s_delay_alu instid0(VALU_DEP_3) | instskip(NEXT) | instid1(SALU_CYCLE_1)
	s_and_b32 s2, vcc_lo, s2
	s_and_saveexec_b32 s8, s2
	s_cbranch_execz .LBB94_7
; %bb.2:
	v_dual_mov_b32 v1, s4 :: v_dual_mov_b32 v2, s5
	v_dual_mov_b32 v3, s6 :: v_dual_mov_b32 v4, s7
	s_add_i32 s9, s19, -4
	s_mov_b32 s10, exec_lo
	v_cmpx_ne_u32_e64 s9, v33
	s_cbranch_execz .LBB94_6
; %bb.3:
	v_subrev_nc_u32_e32 v1, s9, v33
	s_mov_b32 s11, 0
	s_mov_b64 s[2:3], 0
	s_mov_b32 s5, s4
	s_mov_b32 s6, s4
	v_cmp_lt_u32_e32 vcc_lo, 1, v1
	s_mov_b32 s7, s4
	v_cndmask_b32_e32 v6, 1, v1, vcc_lo
	.p2align	6
.LBB94_4:                               ; =>This Inner Loop Header: Depth=1
	s_cmp_lg_u32 s2, 3
	s_cselect_b32 s7, s7, 0
	s_cmp_lg_u32 s2, 2
	s_cselect_b32 s6, s6, 0
	;; [unrolled: 2-line block ×4, first 2 shown]
	s_add_u32 s2, s2, 1
	v_dual_mov_b32 v1, s4 :: v_dual_mov_b32 v2, s5
	v_cmp_eq_u32_e32 vcc_lo, s2, v6
	v_dual_mov_b32 v3, s6 :: v_dual_mov_b32 v4, s7
	s_addc_u32 s3, s3, 0
	s_or_b32 s11, vcc_lo, s11
	s_delay_alu instid0(SALU_CYCLE_1)
	s_and_not1_b32 exec_lo, exec_lo, s11
	s_cbranch_execnz .LBB94_4
; %bb.5:
	s_or_b32 exec_lo, exec_lo, s11
	v_mov_b32_e32 v33, s9
.LBB94_6:
	s_or_b32 exec_lo, exec_lo, s10
.LBB94_7:
	s_delay_alu instid0(SALU_CYCLE_1)
	s_or_b32 exec_lo, exec_lo, s8
	s_lshl_b32 s2, s20, 2
	s_abs_i32 s6, s19
	s_abs_i32 s3, s2
	s_mov_b32 s23, 0
	v_cvt_f32_u32_e32 v6, s3
	s_sub_i32 s5, 0, s3
	s_delay_alu instid0(VALU_DEP_1) | instskip(SKIP_2) | instid1(VALU_DEP_1)
	v_rcp_iflag_f32_e32 v6, v6
	s_waitcnt_depctr 0xfff
	v_mul_f32_e32 v6, 0x4f7ffffe, v6
	v_cvt_u32_f32_e32 v6, v6
	s_delay_alu instid0(VALU_DEP_1) | instskip(NEXT) | instid1(VALU_DEP_1)
	v_readfirstlane_b32 s4, v6
	s_mul_i32 s5, s5, s4
	s_delay_alu instid0(SALU_CYCLE_1) | instskip(NEXT) | instid1(SALU_CYCLE_1)
	s_mul_hi_u32 s5, s4, s5
	s_add_i32 s4, s4, s5
	s_ashr_i32 s5, s19, 31
	s_mul_hi_u32 s4, s6, s4
	s_delay_alu instid0(SALU_CYCLE_1) | instskip(NEXT) | instid1(SALU_CYCLE_1)
	s_mul_i32 s4, s4, s3
	s_sub_i32 s4, s6, s4
	s_delay_alu instid0(SALU_CYCLE_1) | instskip(SKIP_2) | instid1(SALU_CYCLE_1)
	s_sub_i32 s6, s4, s3
	s_cmp_ge_u32 s4, s3
	s_cselect_b32 s4, s6, s4
	s_sub_i32 s6, s4, s3
	s_cmp_ge_u32 s4, s3
	s_cselect_b32 s3, s6, s4
	s_add_i32 s2, s2, s19
	s_xor_b32 s3, s3, s5
	s_delay_alu instid0(SALU_CYCLE_1) | instskip(NEXT) | instid1(SALU_CYCLE_1)
	s_sub_i32 s3, s3, s5
	s_sub_i32 s2, s2, s3
	s_cmp_eq_u32 s3, 0
	s_cselect_b32 s22, s19, s2
	s_delay_alu instid0(SALU_CYCLE_1)
	v_cmp_gt_u32_e32 vcc_lo, s22, v33
	s_and_b32 exec_lo, exec_lo, vcc_lo
	s_cbranch_execz .LBB94_62
; %bb.8:
	s_load_b256 s[8:15], s[0:1], 0x10
	s_min_u32 s24, s18, 0x2a00
	s_cmp_lg_u32 s16, 0
	s_mul_i32 s2, s21, s20
	s_cselect_b32 s25, -1, 0
	s_cmp_lg_u32 s18, 0
	s_load_b64 s[6:7], s[0:1], 0x30
	s_cselect_b32 s21, -1, 0
	s_lshl_b32 s26, s20, 9
	s_add_i32 s27, s16, -8
	s_add_i32 s28, s19, -1
	s_lshl_b32 s29, s2, 2
	v_and_b32_e32 v8, 0x3ff, v0
	v_mbcnt_lo_u32_b32 v0, -1, 0
	s_delay_alu instid0(VALU_DEP_2)
	v_dual_mov_b32 v35, 0 :: v_dual_lshlrev_b32 v44, 3, v8
	v_cmp_eq_u32_e64 s0, 63, v8
	v_lshlrev_b32_e32 v8, 4, v8
	s_waitcnt lgkmcnt(0)
	s_cmp_lg_u64 s[14:15], 0
	v_cvt_f32_u32_e32 v7, s8
	s_cselect_b32 s30, -1, 0
	s_abs_i32 s2, s9
	s_add_i32 s9, s19, -4
	v_cvt_f32_u32_e32 v6, s2
	v_rcp_iflag_f32_e32 v7, v7
	s_sub_i32 s3, 0, s2
	s_sub_i32 s4, 0, s8
	s_sub_i32 s5, 1, s2
	v_rcp_iflag_f32_e32 v6, v6
	v_lshl_add_u32 v45, v5, 9, v44
	v_lshl_add_u32 v46, v5, 10, v8
	s_delay_alu instid0(VALU_DEP_2) | instskip(SKIP_3) | instid1(VALU_DEP_1)
	v_lshl_add_u32 v47, s18, 1, v45
	v_add_nc_u32_e32 v48, s18, v45
	s_waitcnt_depctr 0xfff
	v_mul_f32_e32 v6, 0x4f7ffffe, v6
	v_cvt_u32_f32_e32 v6, v6
	s_delay_alu instid0(VALU_DEP_1) | instskip(SKIP_1) | instid1(VALU_DEP_2)
	v_readfirstlane_b32 s1, v6
	v_mul_f32_e32 v6, 0x4f7ffffe, v7
	s_mul_i32 s3, s3, s1
	s_delay_alu instid0(VALU_DEP_1) | instskip(SKIP_1) | instid1(SALU_CYCLE_1)
	v_cvt_u32_f32_e32 v6, v6
	s_mul_hi_u32 s3, s1, s3
	s_add_i32 s1, s1, s3
	s_cmp_lt_u32 s2, 2
	s_delay_alu instid0(VALU_DEP_1) | instskip(SKIP_1) | instid1(SALU_CYCLE_1)
	v_mul_lo_u32 v7, s4, v6
	s_cselect_b32 s3, s5, 1
	s_sub_i32 s4, s3, s2
	s_cmp_ge_u32 s3, s2
	s_cselect_b32 s31, s4, s3
	s_lshr_b32 s1, s1, 31
	s_delay_alu instid0(VALU_DEP_1) | instskip(SKIP_3) | instid1(SALU_CYCLE_1)
	v_mul_hi_u32 v7, v6, v7
	s_mul_i32 s1, s1, s2
	s_mul_i32 s31, s31, s8
	s_sub_i32 s1, 2, s1
	s_sub_i32 s3, s1, s2
	s_cmp_ge_u32 s1, s2
	s_cselect_b32 s1, s3, s1
	s_delay_alu instid0(VALU_DEP_1)
	v_add_nc_u32_e32 v49, v6, v7
	s_sub_i32 s3, s1, s2
	s_cmp_ge_u32 s1, s2
	s_cselect_b32 s36, s3, s1
	s_add_u32 s33, s6, 2
	s_addc_u32 s34, s7, 0
	s_lshl_b32 s35, s24, 2
	s_lshl_b32 s20, s20, 10
	s_mul_i32 s36, s36, s8
	s_lshl_b32 s37, s24, 1
	s_branch .LBB94_12
.LBB94_9:                               ;   in Loop: Header=BB94_12 Depth=1
	s_or_b32 exec_lo, exec_lo, s40
	v_mov_b32_e32 v33, s9
.LBB94_10:                              ;   in Loop: Header=BB94_12 Depth=1
	s_or_b32 exec_lo, exec_lo, s39
.LBB94_11:                              ;   in Loop: Header=BB94_12 Depth=1
	s_delay_alu instid0(SALU_CYCLE_1) | instskip(NEXT) | instid1(VALU_DEP_1)
	s_or_b32 exec_lo, exec_lo, s38
	v_cmp_le_u32_e32 vcc_lo, s22, v33
	s_or_b32 s23, vcc_lo, s23
	s_delay_alu instid0(SALU_CYCLE_1)
	s_and_not1_b32 exec_lo, exec_lo, s23
	s_cbranch_execz .LBB94_62
.LBB94_12:                              ; =>This Loop Header: Depth=1
                                        ;     Child Loop BB94_16 Depth 2
                                        ;       Child Loop BB94_21 Depth 3
                                        ;     Child Loop BB94_49 Depth 2
	v_mov_b32_e32 v61, v35
	v_mov_b32_e32 v60, v35
	;; [unrolled: 1-line block ×4, first 2 shown]
	s_waitcnt vmcnt(10)
	v_mov_b32_e32 v50, v35
	v_mov_b32_e32 v51, v35
	;; [unrolled: 1-line block ×8, first 2 shown]
	s_and_not1_b32 vcc_lo, exec_lo, s25
	s_mov_b32 s3, 0
	s_cbranch_vccnz .LBB94_27
; %bb.13:                               ;   in Loop: Header=BB94_12 Depth=1
	v_dual_mov_b32 v59, 0 :: v_dual_add_nc_u32 v6, 2, v33
	v_add_nc_u32_e32 v5, 1, v33
	v_add_nc_u32_e32 v7, 3, v33
	v_min_u32_e32 v8, s28, v33
	s_delay_alu instid0(VALU_DEP_4)
	v_min_u32_e32 v6, s28, v6
	s_waitcnt lgkmcnt(0)
	v_dual_mov_b32 v10, v35 :: v_dual_mov_b32 v57, 0
	v_cmp_gt_u32_e64 s1, s19, v33
	v_mul_lo_u32 v34, v8, s17
	v_mov_b32_e32 v8, v35
	v_min_u32_e32 v9, s28, v7
	v_mul_lo_u32 v7, v6, s17
	v_mov_b32_e32 v6, v35
	v_min_u32_e32 v5, s28, v5
	v_dual_mov_b32 v58, 0 :: v_dual_mov_b32 v53, 0
	v_mul_lo_u32 v9, v9, s17
	s_waitcnt vmcnt(2)
	v_lshlrev_b64 v[36:37], 1, v[34:35]
	v_mul_lo_u32 v5, v5, s17
	v_lshlrev_b64 v[40:41], 1, v[7:8]
	v_dual_mov_b32 v54, 0 :: v_dual_mov_b32 v51, 0
	v_dual_mov_b32 v52, 0 :: v_dual_mov_b32 v55, 0
	v_lshlrev_b64 v[42:43], 1, v[9:10]
	v_dual_mov_b32 v50, 0 :: v_dual_mov_b32 v61, 0
	v_lshlrev_b64 v[38:39], 1, v[5:6]
	v_mov_b32_e32 v56, 0
	v_mov_b32_e32 v60, 0
	s_mov_b32 s4, 0
	s_branch .LBB94_16
.LBB94_14:                              ;   in Loop: Header=BB94_16 Depth=2
	s_or_b32 exec_lo, exec_lo, s5
	s_waitcnt vmcnt(3) lgkmcnt(2)
	;;#ASMSTART
	v_dot2_f32_f16 v61, v29, v21, v61
	;;#ASMEND
	s_waitcnt vmcnt(2)
	;;#ASMSTART
	v_dot2_f32_f16 v60, v29, v13, v60
	;;#ASMEND
	s_waitcnt vmcnt(1)
	;; [unrolled: 4-line block ×3, first 2 shown]
	;;#ASMSTART
	v_dot2_f32_f16 v55, v29, v5, v55
	;;#ASMEND
	s_waitcnt lgkmcnt(1)
	;;#ASMSTART
	v_dot2_f32_f16 v58, v25, v21, v58
	;;#ASMEND
	;;#ASMSTART
	v_dot2_f32_f16 v59, v25, v13, v59
	;;#ASMEND
	;;#ASMSTART
	v_dot2_f32_f16 v57, v25, v9, v57
	;;#ASMEND
	;;#ASMSTART
	v_dot2_f32_f16 v54, v25, v5, v54
	;;#ASMEND
	s_waitcnt lgkmcnt(0)
	;;#ASMSTART
	v_dot2_f32_f16 v53, v17, v21, v53
	;;#ASMEND
	;;#ASMSTART
	v_dot2_f32_f16 v52, v17, v13, v52
	;;#ASMEND
	;; [unrolled: 3-line block ×40, first 2 shown]
.LBB94_15:                              ;   in Loop: Header=BB94_16 Depth=2
	s_or_b32 exec_lo, exec_lo, s2
	s_addk_i32 s4, 0x200
	s_delay_alu instid0(SALU_CYCLE_1)
	s_cmp_ge_u32 s4, s16
	s_cbranch_scc1 .LBB94_27
.LBB94_16:                              ;   Parent Loop BB94_12 Depth=1
                                        ; =>  This Loop Header: Depth=2
                                        ;       Child Loop BB94_21 Depth 3
	s_cmp_eq_u32 s4, 0
	s_cselect_b32 s5, -1, 0
	s_add_i32 s2, s3, s24
	s_delay_alu instid0(SALU_CYCLE_1) | instskip(SKIP_1) | instid1(SALU_CYCLE_1)
	s_cmp_eq_u32 s4, s2
	s_cselect_b32 s38, -1, 0
	s_or_b32 s38, s5, s38
	s_delay_alu instid0(SALU_CYCLE_1)
	s_and_not1_b32 vcc_lo, exec_lo, s38
	s_cbranch_vccz .LBB94_18
; %bb.17:                               ;   in Loop: Header=BB94_16 Depth=2
	s_and_saveexec_b32 s2, s1
	s_cbranch_execz .LBB94_15
	s_branch .LBB94_25
.LBB94_18:                              ;   in Loop: Header=BB94_16 Depth=2
	s_and_b32 s5, s5, exec_lo
	s_cselect_b32 s3, s3, s2
	s_and_not1_b32 vcc_lo, exec_lo, s21
	s_waitcnt vmcnt(0)
	s_waitcnt_vscnt null, 0x0
	s_barrier
	buffer_gl0_inv
	s_cbranch_vccnz .LBB94_24
; %bb.19:                               ;   in Loop: Header=BB94_16 Depth=2
	v_dual_mov_b32 v8, v46 :: v_dual_add_nc_u32 v5, s3, v47
	v_add_nc_u32_e32 v6, s3, v48
	v_add_nc_u32_e32 v7, s3, v45
	s_mov_b32 s5, 0
	s_mov_b32 s38, 0
                                        ; implicit-def: $sgpr39
	s_branch .LBB94_21
.LBB94_20:                              ;   in Loop: Header=BB94_21 Depth=3
	s_or_b32 exec_lo, exec_lo, s2
	s_delay_alu instid0(SALU_CYCLE_1) | instskip(NEXT) | instid1(SALU_CYCLE_1)
	s_and_b32 s2, exec_lo, s39
	s_or_b32 s5, s2, s5
	s_delay_alu instid0(SALU_CYCLE_1)
	s_and_not1_b32 exec_lo, exec_lo, s5
	s_cbranch_execz .LBB94_23
.LBB94_21:                              ;   Parent Loop BB94_12 Depth=1
                                        ;     Parent Loop BB94_16 Depth=2
                                        ; =>    This Inner Loop Header: Depth=3
	s_delay_alu instid0(VALU_DEP_1) | instskip(SKIP_2) | instid1(VALU_DEP_2)
	v_add_nc_u32_e32 v34, s38, v7
	v_add_nc_u32_e32 v9, s38, v45
	s_or_b32 s39, s39, exec_lo
	v_cmp_gt_u32_e32 vcc_lo, s18, v34
	s_delay_alu instid0(VALU_DEP_2) | instskip(NEXT) | instid1(VALU_DEP_1)
	v_cmp_gt_u32_e64 s2, s24, v9
	s_and_b32 s40, s2, vcc_lo
	s_delay_alu instid0(SALU_CYCLE_1)
	s_and_saveexec_b32 s2, s40
	s_cbranch_execz .LBB94_20
; %bb.22:                               ;   in Loop: Header=BB94_21 Depth=3
	v_lshlrev_b64 v[9:10], 1, v[34:35]
	v_add_nc_u32_e32 v34, s38, v6
	v_add_nc_u32_e32 v21, s37, v8
	;; [unrolled: 1-line block ×3, first 2 shown]
	s_delay_alu instid0(VALU_DEP_3) | instskip(SKIP_3) | instid1(VALU_DEP_3)
	v_lshlrev_b64 v[11:12], 1, v[34:35]
	v_add_nc_u32_e32 v34, s38, v5
	v_add_co_u32 v9, vcc_lo, s12, v9
	v_add_co_ci_u32_e32 v10, vcc_lo, s13, v10, vcc_lo
	v_lshlrev_b64 v[13:14], 1, v[34:35]
	v_add_co_u32 v15, vcc_lo, s12, v11
	v_add_co_ci_u32_e32 v16, vcc_lo, s13, v12, vcc_lo
	s_add_i32 s38, s38, s26
	s_delay_alu instid0(VALU_DEP_3) | instskip(NEXT) | instid1(VALU_DEP_4)
	v_add_co_u32 v17, vcc_lo, s12, v13
	v_add_co_ci_u32_e32 v18, vcc_lo, s13, v14, vcc_lo
	s_clause 0x2
	global_load_b128 v[9:12], v[9:10], off
	global_load_b128 v[13:16], v[15:16], off
	;; [unrolled: 1-line block ×3, first 2 shown]
	s_cmp_ge_u32 s38, s24
	s_cselect_b32 s40, -1, 0
	s_and_not1_b32 s39, s39, exec_lo
	s_and_b32 s40, s40, exec_lo
	s_delay_alu instid0(SALU_CYCLE_1)
	s_or_b32 s39, s39, s40
	s_waitcnt vmcnt(2)
	ds_store_b128 v8, v[9:12]
	v_add_nc_u32_e32 v8, s20, v8
	s_waitcnt vmcnt(1)
	ds_store_2addr_b64 v21, v[13:14], v[15:16] offset1:1
	s_waitcnt vmcnt(0)
	ds_store_2addr_b32 v22, v17, v18 offset1:1
	ds_store_2addr_b32 v22, v19, v20 offset0:2 offset1:3
	s_branch .LBB94_20
.LBB94_23:                              ;   in Loop: Header=BB94_16 Depth=2
	s_or_b32 exec_lo, exec_lo, s5
.LBB94_24:                              ;   in Loop: Header=BB94_16 Depth=2
	s_waitcnt lgkmcnt(0)
	s_barrier
	buffer_gl0_inv
	s_and_saveexec_b32 s2, s1
	s_cbranch_execz .LBB94_15
.LBB94_25:                              ;   in Loop: Header=BB94_16 Depth=2
	v_dual_mov_b32 v29, 0 :: v_dual_add_nc_u32 v62, s4, v44
	s_waitcnt vmcnt(0)
	v_dual_mov_b32 v30, 0 :: v_dual_mov_b32 v31, 0
	v_dual_mov_b32 v32, 0 :: v_dual_mov_b32 v25, 0
	s_delay_alu instid0(VALU_DEP_3) | instskip(SKIP_3) | instid1(VALU_DEP_4)
	v_min_u32_e32 v34, s27, v62
	v_dual_mov_b32 v26, 0 :: v_dual_mov_b32 v27, 0
	v_mov_b32_e32 v28, 0
	v_mov_b32_e32 v20, 0
	v_lshlrev_b64 v[5:6], 1, v[34:35]
	s_mov_b32 s5, exec_lo
	v_mov_b32_e32 v19, 0
	s_delay_alu instid0(VALU_DEP_2) | instskip(NEXT) | instid1(VALU_DEP_3)
	v_add_co_u32 v11, vcc_lo, s10, v5
	v_add_co_ci_u32_e32 v12, vcc_lo, s11, v6, vcc_lo
	s_delay_alu instid0(VALU_DEP_2) | instskip(NEXT) | instid1(VALU_DEP_2)
	v_add_co_u32 v5, vcc_lo, v11, v36
	v_add_co_ci_u32_e32 v6, vcc_lo, v12, v37, vcc_lo
	v_add_co_u32 v7, vcc_lo, v11, v38
	v_add_co_ci_u32_e32 v8, vcc_lo, v12, v39, vcc_lo
	;; [unrolled: 2-line block ×4, first 2 shown]
	s_clause 0x3
	global_load_b128 v[21:24], v[5:6], off slc dlc
	global_load_b128 v[13:16], v[7:8], off slc dlc
	;; [unrolled: 1-line block ×4, first 2 shown]
	v_dual_mov_b32 v17, 0 :: v_dual_mov_b32 v18, 0
	v_cmpx_gt_u32_e64 s16, v62
	s_cbranch_execz .LBB94_14
; %bb.26:                               ;   in Loop: Header=BB94_16 Depth=2
	v_subrev_nc_u32_e32 v17, s3, v62
	s_delay_alu instid0(VALU_DEP_1) | instskip(NEXT) | instid1(VALU_DEP_1)
	v_lshlrev_b32_e32 v17, 1, v17
	v_add_nc_u32_e32 v18, s37, v17
	s_delay_alu instid0(VALU_DEP_1)
	v_add_nc_u32_e32 v19, s37, v18
	ds_load_b128 v[29:32], v17
	ds_load_b128 v[25:28], v18
	;; [unrolled: 1-line block ×3, first 2 shown]
	s_branch .LBB94_14
.LBB94_27:                              ;   in Loop: Header=BB94_12 Depth=1
	s_mov_b32 s1, exec_lo
	v_cmpx_le_u32_e64 s19, v33
	s_xor_b32 s1, exec_lo, s1
; %bb.28:                               ;   in Loop: Header=BB94_12 Depth=1
	v_add_nc_u32_e32 v33, s29, v33
                                        ; implicit-def: $vgpr61
                                        ; implicit-def: $vgpr60
                                        ; implicit-def: $vgpr56
                                        ; implicit-def: $vgpr55
                                        ; implicit-def: $vgpr50
                                        ; implicit-def: $vgpr51
                                        ; implicit-def: $vgpr52
                                        ; implicit-def: $vgpr53
                                        ; implicit-def: $vgpr54
                                        ; implicit-def: $vgpr57
                                        ; implicit-def: $vgpr59
                                        ; implicit-def: $vgpr58
; %bb.29:                               ;   in Loop: Header=BB94_12 Depth=1
	s_and_not1_saveexec_b32 s38, s1
	s_cbranch_execz .LBB94_11
; %bb.30:                               ;   in Loop: Header=BB94_12 Depth=1
	v_cvt_i32_f32_e32 v5, v61
	v_cvt_i32_f32_e32 v6, v60
	v_xor_b32_e32 v7, 16, v0
	v_cvt_i32_f32_e32 v8, v56
	v_cvt_i32_f32_e32 v9, v55
	v_cvt_f32_i32_dpp v5, v5 row_shr:8 row_mask:0xf bank_mask:0xf bound_ctrl:1
	v_cvt_f32_i32_dpp v6, v6 row_shr:8 row_mask:0xf bank_mask:0xf bound_ctrl:1
	v_cmp_gt_i32_e32 vcc_lo, 32, v7
	v_cvt_f32_i32_dpp v8, v8 row_shr:8 row_mask:0xf bank_mask:0xf bound_ctrl:1
	v_cvt_f32_i32_dpp v9, v9 row_shr:8 row_mask:0xf bank_mask:0xf bound_ctrl:1
	s_delay_alu instid0(VALU_DEP_4)
	v_dual_add_f32 v5, v61, v5 :: v_dual_add_f32 v6, v60, v6
	s_waitcnt lgkmcnt(0)
	v_cvt_i32_f32_e32 v10, v58
	v_cvt_i32_f32_e32 v12, v57
	;; [unrolled: 1-line block ×5, first 2 shown]
	v_cvt_f32_i32_dpp v10, v10 row_shr:8 row_mask:0xf bank_mask:0xf bound_ctrl:1
	v_cvt_f32_i32_dpp v12, v12 row_shr:8 row_mask:0xf bank_mask:0xf bound_ctrl:1
	;; [unrolled: 1-line block ×5, first 2 shown]
	s_delay_alu instid0(VALU_DEP_4) | instskip(SKIP_1) | instid1(VALU_DEP_1)
	v_dual_cndmask_b32 v7, v0, v7 :: v_dual_add_f32 v12, v57, v12
	s_waitcnt vmcnt(0)
	v_dual_add_f32 v6, v6, v14 :: v_dual_lshlrev_b32 v31, 2, v7
	v_dual_add_f32 v7, v56, v8 :: v_dual_add_f32 v8, v55, v9
	v_add_f32_e32 v5, v5, v13
	s_delay_alu instid0(VALU_DEP_3) | instskip(SKIP_1) | instid1(VALU_DEP_4)
	v_cvt_i32_f32_e32 v13, v6
	v_add_f32_e32 v9, v58, v10
	v_cvt_i32_f32_e32 v15, v8
	s_delay_alu instid0(VALU_DEP_3) | instskip(NEXT) | instid1(VALU_DEP_3)
	v_cvt_f32_i32_dpp v13, v13 row_shr:2 row_mask:0xf bank_mask:0xf bound_ctrl:1
	v_cvt_i32_f32_e32 v16, v9
	s_delay_alu instid0(VALU_DEP_2) | instskip(SKIP_1) | instid1(VALU_DEP_3)
	v_add_f32_e32 v6, v6, v13
	v_cvt_i32_f32_e32 v14, v7
	v_cvt_f32_i32_dpp v16, v16 row_shr:4 row_mask:0xf bank_mask:0xf bound_ctrl:1
	s_delay_alu instid0(VALU_DEP_3) | instskip(NEXT) | instid1(VALU_DEP_3)
	v_cvt_i32_f32_e32 v18, v6
	v_cvt_f32_i32_dpp v13, v14 row_shr:4 row_mask:0xf bank_mask:0xf bound_ctrl:1
	v_cvt_f32_i32_dpp v14, v15 row_shr:4 row_mask:0xf bank_mask:0xf bound_ctrl:1
	s_delay_alu instid0(VALU_DEP_3) | instskip(NEXT) | instid1(VALU_DEP_2)
	v_cvt_f32_i32_dpp v18, v18 row_shr:1 row_mask:0xf bank_mask:0xf bound_ctrl:1
	v_dual_add_f32 v13, v7, v13 :: v_dual_add_f32 v8, v8, v14
	v_cvt_i32_f32_e32 v10, v5
	s_delay_alu instid0(VALU_DEP_3) | instskip(NEXT) | instid1(VALU_DEP_2)
	v_add_f32_e32 v7, v6, v18
	v_cvt_f32_i32_dpp v10, v10 row_shr:2 row_mask:0xf bank_mask:0xf bound_ctrl:1
	s_delay_alu instid0(VALU_DEP_1) | instskip(SKIP_1) | instid1(VALU_DEP_2)
	v_add_f32_e32 v5, v5, v10
	v_cvt_i32_f32_e32 v10, v12
	v_cvt_i32_f32_e32 v15, v5
	s_delay_alu instid0(VALU_DEP_2) | instskip(SKIP_1) | instid1(VALU_DEP_3)
	v_cvt_f32_i32_dpp v10, v10 row_shr:4 row_mask:0xf bank_mask:0xf bound_ctrl:1
	v_add_f32_e32 v11, v59, v11
	v_cvt_f32_i32_dpp v15, v15 row_shr:1 row_mask:0xf bank_mask:0xf bound_ctrl:1
	s_delay_alu instid0(VALU_DEP_3) | instskip(NEXT) | instid1(VALU_DEP_3)
	v_add_f32_e32 v6, v12, v10
	v_cvt_i32_f32_e32 v17, v11
	s_delay_alu instid0(VALU_DEP_3) | instskip(NEXT) | instid1(VALU_DEP_3)
	v_add_f32_e32 v29, v5, v15
	v_cvt_i32_f32_e32 v15, v6
	s_delay_alu instid0(VALU_DEP_3) | instskip(NEXT) | instid1(VALU_DEP_2)
	v_cvt_f32_i32_dpp v17, v17 row_shr:4 row_mask:0xf bank_mask:0xf bound_ctrl:1
	v_cvt_f32_i32_dpp v15, v15 row_shr:2 row_mask:0xf bank_mask:0xf bound_ctrl:1
	s_delay_alu instid0(VALU_DEP_1) | instskip(SKIP_1) | instid1(VALU_DEP_2)
	v_add_f32_e32 v6, v6, v15
	v_cvt_i32_f32_e32 v10, v13
	v_cvt_i32_f32_e32 v15, v6
	s_delay_alu instid0(VALU_DEP_2) | instskip(SKIP_2) | instid1(VALU_DEP_4)
	v_cvt_f32_i32_dpp v10, v10 row_shr:2 row_mask:0xf bank_mask:0xf bound_ctrl:1
	v_add_f32_e32 v5, v11, v17
	v_cvt_i32_f32_e32 v11, v8
	v_cvt_f32_i32_dpp v15, v15 row_shr:1 row_mask:0xf bank_mask:0xf bound_ctrl:1
	s_delay_alu instid0(VALU_DEP_4) | instskip(NEXT) | instid1(VALU_DEP_4)
	v_add_f32_e32 v10, v13, v10
	v_cvt_i32_f32_e32 v14, v5
	s_delay_alu instid0(VALU_DEP_4) | instskip(NEXT) | instid1(VALU_DEP_2)
	v_cvt_f32_i32_dpp v11, v11 row_shr:2 row_mask:0xf bank_mask:0xf bound_ctrl:1
	v_cvt_f32_i32_dpp v14, v14 row_shr:2 row_mask:0xf bank_mask:0xf bound_ctrl:1
	s_delay_alu instid0(VALU_DEP_2) | instskip(SKIP_1) | instid1(VALU_DEP_1)
	v_add_f32_e32 v8, v8, v11
	v_cvt_i32_f32_e32 v11, v10
	v_cvt_f32_i32_dpp v11, v11 row_shr:1 row_mask:0xf bank_mask:0xf bound_ctrl:1
	s_delay_alu instid0(VALU_DEP_1) | instskip(SKIP_1) | instid1(VALU_DEP_1)
	v_add_f32_e32 v25, v10, v11
	v_cvt_i32_f32_e32 v10, v51
	v_cvt_f32_i32_dpp v10, v10 row_shr:8 row_mask:0xf bank_mask:0xf bound_ctrl:1
	s_delay_alu instid0(VALU_DEP_1) | instskip(NEXT) | instid1(VALU_DEP_1)
	v_dual_add_f32 v9, v9, v16 :: v_dual_add_f32 v10, v51, v10
	v_cvt_i32_f32_e32 v12, v9
	s_delay_alu instid0(VALU_DEP_2) | instskip(NEXT) | instid1(VALU_DEP_2)
	v_cvt_i32_f32_e32 v20, v10
	v_cvt_f32_i32_dpp v12, v12 row_shr:2 row_mask:0xf bank_mask:0xf bound_ctrl:1
	s_delay_alu instid0(VALU_DEP_2) | instskip(NEXT) | instid1(VALU_DEP_2)
	v_cvt_f32_i32_dpp v20, v20 row_shr:4 row_mask:0xf bank_mask:0xf bound_ctrl:1
	v_add_f32_e32 v9, v9, v12
	v_cvt_i32_f32_e32 v12, v8
	s_delay_alu instid0(VALU_DEP_3) | instskip(NEXT) | instid1(VALU_DEP_3)
	v_add_f32_e32 v10, v10, v20
	v_cvt_i32_f32_e32 v13, v9
	s_delay_alu instid0(VALU_DEP_3) | instskip(NEXT) | instid1(VALU_DEP_3)
	v_cvt_f32_i32_dpp v12, v12 row_shr:1 row_mask:0xf bank_mask:0xf bound_ctrl:1
	v_cvt_i32_f32_e32 v20, v10
	s_delay_alu instid0(VALU_DEP_3) | instskip(NEXT) | instid1(VALU_DEP_2)
	v_cvt_f32_i32_dpp v13, v13 row_shr:1 row_mask:0xf bank_mask:0xf bound_ctrl:1
	v_cvt_f32_i32_dpp v20, v20 row_shr:2 row_mask:0xf bank_mask:0xf bound_ctrl:1
	s_delay_alu instid0(VALU_DEP_2)
	v_dual_add_f32 v16, v9, v13 :: v_dual_add_f32 v9, v6, v15
	v_cvt_i32_f32_e32 v6, v53
	ds_bpermute_b32 v24, v31, v7
	v_add_f32_e32 v10, v10, v20
	ds_bpermute_b32 v18, v31, v16
	v_cvt_f32_i32_dpp v6, v6 row_shr:8 row_mask:0xf bank_mask:0xf bound_ctrl:1
	v_cvt_i32_f32_e32 v20, v10
	s_delay_alu instid0(VALU_DEP_2) | instskip(SKIP_3) | instid1(VALU_DEP_1)
	v_add_f32_e32 v6, v53, v6
	ds_bpermute_b32 v27, v31, v25
	v_cvt_f32_i32_dpp v28, v20 row_shr:1 row_mask:0xf bank_mask:0xf bound_ctrl:1
	v_cvt_i32_f32_e32 v17, v6
	v_cvt_f32_i32_dpp v17, v17 row_shr:4 row_mask:0xf bank_mask:0xf bound_ctrl:1
	s_delay_alu instid0(VALU_DEP_1) | instskip(NEXT) | instid1(VALU_DEP_1)
	v_add_f32_e32 v6, v6, v17
	v_cvt_i32_f32_e32 v17, v6
	s_delay_alu instid0(VALU_DEP_1) | instskip(SKIP_3) | instid1(VALU_DEP_4)
	v_cvt_f32_i32_dpp v17, v17 row_shr:2 row_mask:0xf bank_mask:0xf bound_ctrl:1
	v_add_f32_e32 v21, v8, v12
	v_cvt_i32_f32_e32 v8, v52
	v_cvt_i32_f32_e32 v12, v50
	v_add_f32_e32 v6, v6, v17
	ds_bpermute_b32 v23, v31, v21
	v_cvt_f32_i32_dpp v8, v8 row_shr:8 row_mask:0xf bank_mask:0xf bound_ctrl:1
	v_cvt_f32_i32_dpp v12, v12 row_shr:8 row_mask:0xf bank_mask:0xf bound_ctrl:1
	v_add_f32_e32 v5, v5, v14
	v_cvt_i32_f32_e32 v17, v6
	s_delay_alu instid0(VALU_DEP_4) | instskip(NEXT) | instid1(VALU_DEP_4)
	v_add_f32_e32 v8, v52, v8
	v_add_f32_e32 v12, v50, v12
	s_delay_alu instid0(VALU_DEP_4) | instskip(NEXT) | instid1(VALU_DEP_4)
	v_cvt_i32_f32_e32 v14, v5
	v_cvt_f32_i32_dpp v17, v17 row_shr:1 row_mask:0xf bank_mask:0xf bound_ctrl:1
	ds_bpermute_b32 v30, v31, v29
	v_cvt_i32_f32_e32 v19, v8
	v_cvt_i32_f32_e32 v22, v12
	v_cvt_f32_i32_dpp v14, v14 row_shr:1 row_mask:0xf bank_mask:0xf bound_ctrl:1
	v_add_f32_e32 v20, v6, v17
	s_delay_alu instid0(VALU_DEP_4) | instskip(NEXT) | instid1(VALU_DEP_4)
	v_cvt_f32_i32_dpp v19, v19 row_shr:4 row_mask:0xf bank_mask:0xf bound_ctrl:1
	v_cvt_f32_i32_dpp v22, v22 row_shr:4 row_mask:0xf bank_mask:0xf bound_ctrl:1
	s_delay_alu instid0(VALU_DEP_4) | instskip(SKIP_1) | instid1(VALU_DEP_4)
	v_add_f32_e32 v13, v5, v14
	v_cvt_i32_f32_e32 v5, v54
	v_add_f32_e32 v8, v8, v19
	s_delay_alu instid0(VALU_DEP_4)
	v_add_f32_e32 v12, v12, v22
	ds_bpermute_b32 v15, v31, v13
	v_cvt_f32_i32_dpp v5, v5 row_shr:8 row_mask:0xf bank_mask:0xf bound_ctrl:1
	ds_bpermute_b32 v11, v31, v9
	v_cvt_i32_f32_e32 v19, v8
	v_cvt_i32_f32_e32 v22, v12
	s_delay_alu instid0(VALU_DEP_2) | instskip(SKIP_1) | instid1(VALU_DEP_3)
	v_cvt_f32_i32_dpp v19, v19 row_shr:2 row_mask:0xf bank_mask:0xf bound_ctrl:1
	v_add_f32_e32 v5, v54, v5
	v_cvt_f32_i32_dpp v22, v22 row_shr:2 row_mask:0xf bank_mask:0xf bound_ctrl:1
	s_delay_alu instid0(VALU_DEP_3) | instskip(NEXT) | instid1(VALU_DEP_3)
	v_add_f32_e32 v8, v8, v19
	v_cvt_i32_f32_e32 v14, v5
	s_delay_alu instid0(VALU_DEP_2) | instskip(NEXT) | instid1(VALU_DEP_2)
	v_cvt_i32_f32_e32 v19, v8
	v_cvt_f32_i32_dpp v14, v14 row_shr:4 row_mask:0xf bank_mask:0xf bound_ctrl:1
	s_delay_alu instid0(VALU_DEP_2) | instskip(NEXT) | instid1(VALU_DEP_2)
	v_cvt_f32_i32_dpp v19, v19 row_shr:1 row_mask:0xf bank_mask:0xf bound_ctrl:1
	v_add_f32_e32 v5, v5, v14
	s_delay_alu instid0(VALU_DEP_2) | instskip(NEXT) | instid1(VALU_DEP_2)
	v_add_f32_e32 v17, v8, v19
	v_cvt_i32_f32_e32 v14, v5
	ds_bpermute_b32 v19, v31, v17
	v_cvt_f32_i32_dpp v14, v14 row_shr:2 row_mask:0xf bank_mask:0xf bound_ctrl:1
	s_delay_alu instid0(VALU_DEP_1) | instskip(SKIP_1) | instid1(VALU_DEP_2)
	v_add_f32_e32 v5, v5, v14
	v_add_f32_e32 v14, v12, v22
	v_cvt_i32_f32_e32 v12, v5
	s_delay_alu instid0(VALU_DEP_2) | instskip(NEXT) | instid1(VALU_DEP_2)
	v_cvt_i32_f32_e32 v22, v14
	v_cvt_f32_i32_dpp v12, v12 row_shr:1 row_mask:0xf bank_mask:0xf bound_ctrl:1
	s_delay_alu instid0(VALU_DEP_2) | instskip(NEXT) | instid1(VALU_DEP_2)
	v_cvt_f32_i32_dpp v22, v22 row_shr:1 row_mask:0xf bank_mask:0xf bound_ctrl:1
	v_add_f32_e32 v26, v5, v12
	v_add_f32_e32 v12, v10, v28
	s_delay_alu instid0(VALU_DEP_3)
	v_add_f32_e32 v8, v14, v22
	ds_bpermute_b32 v22, v31, v20
	ds_bpermute_b32 v28, v31, v26
	;; [unrolled: 1-line block ×4, first 2 shown]
	s_and_saveexec_b32 s5, s0
	s_cbranch_execz .LBB94_46
; %bb.31:                               ;   in Loop: Header=BB94_12 Depth=1
	v_dual_mov_b32 v34, 0 :: v_dual_add_nc_u32 v5, 3, v33
	v_dual_mov_b32 v43, 0 :: v_dual_add_nc_u32 v6, 2, v33
	v_dual_mov_b32 v50, 0 :: v_dual_mov_b32 v41, 0
	v_dual_mov_b32 v42, 0 :: v_dual_mov_b32 v39, 0
	;; [unrolled: 1-line block ×4, first 2 shown]
	v_mov_b32_e32 v36, 0
	v_mov_b32_e32 v32, 0
	s_and_not1_b32 vcc_lo, exec_lo, s30
	s_cbranch_vccnz .LBB94_33
; %bb.32:                               ;   in Loop: Header=BB94_12 Depth=1
	v_mul_hi_u32 v31, v33, v49
	v_add_nc_u32_e32 v34, 1, v33
	v_mul_hi_u32 v32, v6, v49
	v_mul_hi_u32 v36, v5, v49
	v_mov_b32_e32 v57, v35
	v_mov_b32_e32 v61, v35
	v_mul_hi_u32 v37, v34, v49
	v_mul_lo_u32 v31, v31, s8
	v_mul_lo_u32 v38, v32, s8
	;; [unrolled: 1-line block ×3, first 2 shown]
	s_delay_alu instid0(VALU_DEP_4) | instskip(SKIP_4) | instid1(VALU_DEP_3)
	v_mul_lo_u32 v40, v37, s8
	v_mov_b32_e32 v37, v35
	v_sub_nc_u32_e32 v31, v33, v31
	v_sub_nc_u32_e32 v38, v6, v38
	;; [unrolled: 1-line block ×3, first 2 shown]
	v_subrev_nc_u32_e32 v41, s8, v31
	v_cmp_le_u32_e32 vcc_lo, s8, v31
	v_sub_nc_u32_e32 v34, v34, v40
	v_subrev_nc_u32_e32 v40, s8, v38
	v_subrev_nc_u32_e32 v42, s8, v36
	v_cndmask_b32_e32 v31, v31, v41, vcc_lo
	v_cmp_le_u32_e32 vcc_lo, s8, v38
	v_mov_b32_e32 v39, v35
	v_subrev_nc_u32_e32 v41, s8, v34
	v_cndmask_b32_e32 v38, v38, v40, vcc_lo
	v_cmp_le_u32_e32 vcc_lo, s8, v36
	v_cndmask_b32_e32 v40, v36, v42, vcc_lo
	v_cmp_le_u32_e32 vcc_lo, s8, v34
	v_mov_b32_e32 v32, v35
	v_subrev_nc_u32_e32 v36, s8, v31
	v_subrev_nc_u32_e32 v42, s8, v38
	;; [unrolled: 1-line block ×3, first 2 shown]
	v_cndmask_b32_e32 v41, v34, v41, vcc_lo
	v_cmp_le_u32_e32 vcc_lo, s8, v31
	v_cndmask_b32_e32 v34, v31, v36, vcc_lo
	v_cmp_le_u32_e32 vcc_lo, s8, v38
	s_delay_alu instid0(VALU_DEP_4) | instskip(SKIP_4) | instid1(VALU_DEP_4)
	v_subrev_nc_u32_e32 v31, s8, v41
	v_cndmask_b32_e32 v36, v38, v42, vcc_lo
	v_cmp_le_u32_e32 vcc_lo, s8, v40
	v_cndmask_b32_e32 v38, v40, v43, vcc_lo
	v_cmp_le_u32_e32 vcc_lo, s8, v41
	v_lshlrev_b64 v[42:43], 1, v[36:37]
	s_delay_alu instid0(VALU_DEP_3)
	v_lshlrev_b64 v[50:51], 1, v[38:39]
	v_cndmask_b32_e32 v31, v41, v31, vcc_lo
	v_add_nc_u32_e32 v39, s31, v34
	v_lshlrev_b64 v[40:41], 1, v[34:35]
	v_add_nc_u32_e32 v60, s31, v38
	v_add_nc_u32_e32 v34, s36, v34
	v_lshlrev_b64 v[52:53], 1, v[31:32]
	v_add_nc_u32_e32 v56, s31, v31
	v_add_co_u32 v54, vcc_lo, s14, v40
	v_add_co_ci_u32_e32 v55, vcc_lo, s15, v41, vcc_lo
	s_delay_alu instid0(VALU_DEP_4) | instskip(SKIP_4) | instid1(VALU_DEP_4)
	v_add_co_u32 v52, vcc_lo, s14, v52
	v_mov_b32_e32 v40, v35
	v_add_co_ci_u32_e32 v53, vcc_lo, s15, v53, vcc_lo
	v_add_co_u32 v41, vcc_lo, s14, v42
	v_add_co_ci_u32_e32 v42, vcc_lo, s15, v43, vcc_lo
	v_lshlrev_b64 v[39:40], 1, v[39:40]
	v_add_co_u32 v58, vcc_lo, s14, v50
	v_add_co_ci_u32_e32 v59, vcc_lo, s15, v51, vcc_lo
	v_lshlrev_b64 v[50:51], 1, v[56:57]
	v_add_nc_u32_e32 v56, s31, v36
	v_add_co_u32 v39, vcc_lo, s14, v39
	v_add_co_ci_u32_e32 v40, vcc_lo, s15, v40, vcc_lo
	s_delay_alu instid0(VALU_DEP_3) | instskip(SKIP_3) | instid1(VALU_DEP_4)
	v_lshlrev_b64 v[56:57], 1, v[56:57]
	v_add_co_u32 v62, vcc_lo, s14, v50
	v_add_co_ci_u32_e32 v63, vcc_lo, s15, v51, vcc_lo
	v_lshlrev_b64 v[50:51], 1, v[60:61]
	v_add_co_u32 v56, vcc_lo, s14, v56
	v_lshlrev_b64 v[60:61], 1, v[34:35]
	v_add_nc_u32_e32 v34, s36, v31
	v_add_co_ci_u32_e32 v57, vcc_lo, s15, v57, vcc_lo
	v_add_co_u32 v31, vcc_lo, s14, v50
	v_add_co_ci_u32_e32 v32, vcc_lo, s15, v51, vcc_lo
	s_delay_alu instid0(VALU_DEP_4) | instskip(SKIP_3) | instid1(VALU_DEP_3)
	v_lshlrev_b64 v[50:51], 1, v[34:35]
	v_add_nc_u32_e32 v34, s36, v36
	v_add_co_u32 v36, vcc_lo, s14, v60
	v_add_co_ci_u32_e32 v37, vcc_lo, s15, v61, vcc_lo
	v_lshlrev_b64 v[60:61], 1, v[34:35]
	v_add_nc_u32_e32 v34, s36, v38
	v_add_co_u32 v64, vcc_lo, s14, v50
	v_add_co_ci_u32_e32 v65, vcc_lo, s15, v51, vcc_lo
	s_delay_alu instid0(VALU_DEP_3) | instskip(SKIP_2) | instid1(VALU_DEP_3)
	v_lshlrev_b64 v[50:51], 1, v[34:35]
	v_add_co_u32 v60, vcc_lo, s14, v60
	v_add_co_ci_u32_e32 v61, vcc_lo, s15, v61, vcc_lo
	v_add_co_u32 v66, vcc_lo, s14, v50
	s_delay_alu instid0(VALU_DEP_4)
	v_add_co_ci_u32_e32 v67, vcc_lo, s15, v51, vcc_lo
	s_clause 0xb
	global_load_u16 v34, v[54:55], off
	global_load_u16 v50, v[52:53], off
	;; [unrolled: 1-line block ×12, first 2 shown]
.LBB94_33:                              ;   in Loop: Header=BB94_12 Depth=1
	v_cmp_ne_u32_e32 vcc_lo, 0, v1
	s_and_saveexec_b32 s2, vcc_lo
	s_cbranch_execnz .LBB94_51
; %bb.34:                               ;   in Loop: Header=BB94_12 Depth=1
	s_or_b32 exec_lo, exec_lo, s2
	v_cmp_ne_u32_e64 s1, 0, v2
	s_delay_alu instid0(VALU_DEP_1)
	s_and_saveexec_b32 s3, s1
	s_cbranch_execnz .LBB94_52
.LBB94_35:                              ;   in Loop: Header=BB94_12 Depth=1
	s_or_b32 exec_lo, exec_lo, s3
	v_cmp_ne_u32_e64 s2, 0, v3
	s_delay_alu instid0(VALU_DEP_1)
	s_and_saveexec_b32 s4, s2
	s_cbranch_execnz .LBB94_53
.LBB94_36:                              ;   in Loop: Header=BB94_12 Depth=1
	s_or_b32 exec_lo, exec_lo, s4
	v_cmp_ne_u32_e64 s3, 0, v4
	s_delay_alu instid0(VALU_DEP_1)
	s_and_saveexec_b32 s39, s3
	s_cbranch_execnz .LBB94_54
.LBB94_37:                              ;   in Loop: Header=BB94_12 Depth=1
	s_or_b32 exec_lo, exec_lo, s39
	s_waitcnt vmcnt(11)
	v_add_nc_u32_e32 v34, s19, v33
	s_and_saveexec_b32 s39, vcc_lo
	s_cbranch_execnz .LBB94_55
.LBB94_38:                              ;   in Loop: Header=BB94_12 Depth=1
	s_or_b32 exec_lo, exec_lo, s39
	s_and_saveexec_b32 s39, s1
	s_cbranch_execnz .LBB94_56
.LBB94_39:                              ;   in Loop: Header=BB94_12 Depth=1
	s_or_b32 exec_lo, exec_lo, s39
	s_and_saveexec_b32 s39, s2
	s_cbranch_execnz .LBB94_57
.LBB94_40:                              ;   in Loop: Header=BB94_12 Depth=1
	s_or_b32 exec_lo, exec_lo, s39
	s_and_saveexec_b32 s39, s3
	s_cbranch_execnz .LBB94_58
.LBB94_41:                              ;   in Loop: Header=BB94_12 Depth=1
	s_or_b32 exec_lo, exec_lo, s39
	v_add_nc_u32_e32 v34, s19, v34
	s_and_saveexec_b32 s4, vcc_lo
	s_cbranch_execnz .LBB94_59
.LBB94_42:                              ;   in Loop: Header=BB94_12 Depth=1
	s_or_b32 exec_lo, exec_lo, s4
	s_and_saveexec_b32 s4, s1
	s_cbranch_execnz .LBB94_60
.LBB94_43:                              ;   in Loop: Header=BB94_12 Depth=1
	s_or_b32 exec_lo, exec_lo, s4
	s_and_saveexec_b32 s1, s2
	s_cbranch_execnz .LBB94_61
.LBB94_44:                              ;   in Loop: Header=BB94_12 Depth=1
	s_or_b32 exec_lo, exec_lo, s1
	s_delay_alu instid0(SALU_CYCLE_1)
	s_and_b32 exec_lo, exec_lo, s3
	s_cbranch_execz .LBB94_46
.LBB94_45:                              ;   in Loop: Header=BB94_12 Depth=1
	s_waitcnt lgkmcnt(0)
	v_add_f32_e32 v5, v8, v10
	s_waitcnt vmcnt(0)
	v_cvt_f32_f16_e32 v6, v31
	v_add_nc_u32_e32 v34, 3, v34
	s_delay_alu instid0(VALU_DEP_2) | instskip(NEXT) | instid1(VALU_DEP_2)
	v_add_f32_e32 v7, v5, v6
	v_lshlrev_b64 v[5:6], 1, v[34:35]
	s_delay_alu instid0(VALU_DEP_2) | instskip(NEXT) | instid1(VALU_DEP_2)
	v_cvt_f16_f32_e32 v7, v7
	v_add_co_u32 v5, vcc_lo, s6, v5
	s_delay_alu instid0(VALU_DEP_3)
	v_add_co_ci_u32_e32 v6, vcc_lo, s7, v6, vcc_lo
	global_store_b16 v[5:6], v7, off
.LBB94_46:                              ;   in Loop: Header=BB94_12 Depth=1
	s_or_b32 exec_lo, exec_lo, s5
	v_add_nc_u32_e32 v33, s29, v33
	s_delay_alu instid0(VALU_DEP_1) | instskip(SKIP_1) | instid1(VALU_DEP_2)
	v_add_nc_u32_e32 v5, 4, v33
	v_cmp_gt_u32_e32 vcc_lo, s19, v33
	v_cmp_le_u32_e64 s1, s19, v5
	s_delay_alu instid0(VALU_DEP_1) | instskip(NEXT) | instid1(SALU_CYCLE_1)
	s_and_b32 s1, vcc_lo, s1
	s_and_saveexec_b32 s39, s1
	s_cbranch_execz .LBB94_10
; %bb.47:                               ;   in Loop: Header=BB94_12 Depth=1
	s_mov_b32 s40, exec_lo
	v_cmpx_ne_u32_e64 s9, v33
	s_cbranch_execz .LBB94_9
; %bb.48:                               ;   in Loop: Header=BB94_12 Depth=1
	v_subrev_nc_u32_e32 v5, s9, v33
	s_mov_b32 s41, 0
	s_mov_b64 s[4:5], 0
	s_delay_alu instid0(VALU_DEP_1)
	v_cmp_lt_u32_e32 vcc_lo, 1, v5
	v_cndmask_b32_e32 v5, 1, v5, vcc_lo
	.p2align	6
.LBB94_49:                              ;   Parent Loop BB94_12 Depth=1
                                        ; =>  This Inner Loop Header: Depth=2
	s_cmp_lg_u32 s4, 3
	s_cselect_b32 vcc_lo, -1, 0
	s_cmp_lg_u32 s4, 2
	v_cndmask_b32_e32 v4, 0, v4, vcc_lo
	s_cselect_b32 s1, -1, 0
	s_cmp_lg_u32 s4, 1
	v_cndmask_b32_e64 v3, 0, v3, s1
	s_cselect_b32 s2, -1, 0
	s_cmp_lg_u32 s4, 0
	v_cndmask_b32_e64 v2, 0, v2, s2
	s_cselect_b32 s3, -1, 0
	s_add_u32 s4, s4, 1
	v_cndmask_b32_e64 v1, 0, v1, s3
	v_cmp_eq_u32_e32 vcc_lo, s4, v5
	s_addc_u32 s5, s5, 0
	s_or_b32 s41, vcc_lo, s41
	s_delay_alu instid0(SALU_CYCLE_1)
	s_and_not1_b32 exec_lo, exec_lo, s41
	s_cbranch_execnz .LBB94_49
; %bb.50:                               ;   in Loop: Header=BB94_12 Depth=1
	s_or_b32 exec_lo, exec_lo, s41
	s_branch .LBB94_9
.LBB94_51:                              ;   in Loop: Header=BB94_12 Depth=1
	s_waitcnt lgkmcnt(7)
	v_add_f32_e32 v29, v29, v30
	s_waitcnt vmcnt(11)
	v_cvt_f32_f16_e32 v30, v34
	s_delay_alu instid0(VALU_DEP_1) | instskip(NEXT) | instid1(VALU_DEP_1)
	v_dual_mov_b32 v34, v35 :: v_dual_add_f32 v51, v29, v30
	v_lshlrev_b64 v[29:30], 1, v[33:34]
	s_delay_alu instid0(VALU_DEP_2) | instskip(NEXT) | instid1(VALU_DEP_2)
	v_cvt_f16_f32_e32 v34, v51
	v_add_co_u32 v29, s1, s6, v29
	s_delay_alu instid0(VALU_DEP_1) | instskip(SKIP_3) | instid1(VALU_DEP_1)
	v_add_co_ci_u32_e64 v30, s1, s7, v30, s1
	global_store_b16 v[29:30], v34, off
	s_or_b32 exec_lo, exec_lo, s2
	v_cmp_ne_u32_e64 s1, 0, v2
	s_and_saveexec_b32 s3, s1
	s_cbranch_execz .LBB94_35
.LBB94_52:                              ;   in Loop: Header=BB94_12 Depth=1
	s_waitcnt vmcnt(11)
	v_mov_b32_e32 v34, v35
	s_waitcnt lgkmcnt(11)
	v_add_f32_e32 v7, v7, v24
	s_waitcnt vmcnt(10)
	v_cvt_f32_f16_e32 v24, v50
	s_waitcnt lgkmcnt(7)
	v_lshlrev_b64 v[29:30], 1, v[33:34]
	s_delay_alu instid0(VALU_DEP_2) | instskip(NEXT) | instid1(VALU_DEP_2)
	v_add_f32_e32 v7, v7, v24
	v_add_co_u32 v29, s2, s33, v29
	s_delay_alu instid0(VALU_DEP_2) | instskip(NEXT) | instid1(VALU_DEP_4)
	v_cvt_f16_f32_e32 v7, v7
	v_add_co_ci_u32_e64 v30, s2, s34, v30, s2
	global_store_b16 v[29:30], v7, off
	s_or_b32 exec_lo, exec_lo, s3
	v_cmp_ne_u32_e64 s2, 0, v3
	s_delay_alu instid0(VALU_DEP_1)
	s_and_saveexec_b32 s4, s2
	s_cbranch_execz .LBB94_36
.LBB94_53:                              ;   in Loop: Header=BB94_12 Depth=1
	s_waitcnt lgkmcnt(9)
	v_dual_add_f32 v24, v25, v27 :: v_dual_mov_b32 v7, v35
	s_waitcnt vmcnt(9)
	v_cvt_f32_f16_e32 v25, v43
	s_delay_alu instid0(VALU_DEP_2) | instskip(NEXT) | instid1(VALU_DEP_2)
	v_lshlrev_b64 v[6:7], 1, v[6:7]
	v_add_f32_e32 v24, v24, v25
	s_delay_alu instid0(VALU_DEP_1) | instskip(NEXT) | instid1(VALU_DEP_3)
	v_cvt_f16_f32_e32 v24, v24
	v_add_co_u32 v6, s3, s6, v6
	s_delay_alu instid0(VALU_DEP_1) | instskip(SKIP_3) | instid1(VALU_DEP_1)
	v_add_co_ci_u32_e64 v7, s3, s7, v7, s3
	global_store_b16 v[6:7], v24, off
	s_or_b32 exec_lo, exec_lo, s4
	v_cmp_ne_u32_e64 s3, 0, v4
	s_and_saveexec_b32 s39, s3
	s_cbranch_execz .LBB94_37
.LBB94_54:                              ;   in Loop: Header=BB94_12 Depth=1
	s_waitcnt lgkmcnt(8)
	v_dual_add_f32 v7, v21, v23 :: v_dual_mov_b32 v6, v35
	s_waitcnt vmcnt(8)
	v_cvt_f32_f16_e32 v21, v42
	s_delay_alu instid0(VALU_DEP_2) | instskip(NEXT) | instid1(VALU_DEP_2)
	v_lshlrev_b64 v[5:6], 1, v[5:6]
	v_add_f32_e32 v7, v7, v21
	s_delay_alu instid0(VALU_DEP_1) | instskip(NEXT) | instid1(VALU_DEP_3)
	v_cvt_f16_f32_e32 v7, v7
	v_add_co_u32 v5, s4, s6, v5
	s_delay_alu instid0(VALU_DEP_1)
	v_add_co_ci_u32_e64 v6, s4, s7, v6, s4
	global_store_b16 v[5:6], v7, off
	s_or_b32 exec_lo, exec_lo, s39
	v_add_nc_u32_e32 v34, s19, v33
	s_and_saveexec_b32 s39, vcc_lo
	s_cbranch_execz .LBB94_38
.LBB94_55:                              ;   in Loop: Header=BB94_12 Depth=1
	s_waitcnt lgkmcnt(10)
	v_add_f32_e32 v5, v16, v18
	s_waitcnt vmcnt(7)
	v_cvt_f32_f16_e32 v6, v41
	s_delay_alu instid0(VALU_DEP_1) | instskip(SKIP_1) | instid1(VALU_DEP_2)
	v_add_f32_e32 v7, v5, v6
	v_lshlrev_b64 v[5:6], 1, v[34:35]
	v_cvt_f16_f32_e32 v7, v7
	s_delay_alu instid0(VALU_DEP_2) | instskip(NEXT) | instid1(VALU_DEP_1)
	v_add_co_u32 v5, s4, s6, v5
	v_add_co_ci_u32_e64 v6, s4, s7, v6, s4
	global_store_b16 v[5:6], v7, off
	s_or_b32 exec_lo, exec_lo, s39
	s_and_saveexec_b32 s39, s1
	s_cbranch_execz .LBB94_39
.LBB94_56:                              ;   in Loop: Header=BB94_12 Depth=1
	s_waitcnt lgkmcnt(6)
	v_dual_add_f32 v7, v13, v15 :: v_dual_mov_b32 v6, v35
	v_add_nc_u32_e32 v5, 1, v34
	s_waitcnt vmcnt(6)
	v_cvt_f32_f16_e32 v13, v40
	s_delay_alu instid0(VALU_DEP_2) | instskip(NEXT) | instid1(VALU_DEP_2)
	v_lshlrev_b64 v[5:6], 1, v[5:6]
	v_add_f32_e32 v7, v7, v13
	s_delay_alu instid0(VALU_DEP_1) | instskip(NEXT) | instid1(VALU_DEP_3)
	v_cvt_f16_f32_e32 v7, v7
	v_add_co_u32 v5, s4, s6, v5
	s_delay_alu instid0(VALU_DEP_1)
	v_add_co_ci_u32_e64 v6, s4, s7, v6, s4
	global_store_b16 v[5:6], v7, off
	s_or_b32 exec_lo, exec_lo, s39
	s_and_saveexec_b32 s39, s2
	s_cbranch_execz .LBB94_40
.LBB94_57:                              ;   in Loop: Header=BB94_12 Depth=1
	s_waitcnt lgkmcnt(5)
	v_dual_add_f32 v7, v9, v11 :: v_dual_mov_b32 v6, v35
	v_add_nc_u32_e32 v5, 2, v34
	s_waitcnt vmcnt(5)
	v_cvt_f32_f16_e32 v9, v39
	s_delay_alu instid0(VALU_DEP_2) | instskip(NEXT) | instid1(VALU_DEP_2)
	v_lshlrev_b64 v[5:6], 1, v[5:6]
	v_add_f32_e32 v7, v7, v9
	s_delay_alu instid0(VALU_DEP_1) | instskip(NEXT) | instid1(VALU_DEP_3)
	v_cvt_f16_f32_e32 v7, v7
	v_add_co_u32 v5, s4, s6, v5
	s_delay_alu instid0(VALU_DEP_1)
	v_add_co_ci_u32_e64 v6, s4, s7, v6, s4
	global_store_b16 v[5:6], v7, off
	s_or_b32 exec_lo, exec_lo, s39
	s_and_saveexec_b32 s39, s3
	s_cbranch_execz .LBB94_41
.LBB94_58:                              ;   in Loop: Header=BB94_12 Depth=1
	s_waitcnt lgkmcnt(2)
	v_dual_add_f32 v7, v26, v28 :: v_dual_mov_b32 v6, v35
	v_add_nc_u32_e32 v5, 3, v34
	s_waitcnt vmcnt(4)
	v_cvt_f32_f16_e32 v9, v38
	s_delay_alu instid0(VALU_DEP_2) | instskip(NEXT) | instid1(VALU_DEP_2)
	v_lshlrev_b64 v[5:6], 1, v[5:6]
	v_add_f32_e32 v7, v7, v9
	s_delay_alu instid0(VALU_DEP_1) | instskip(NEXT) | instid1(VALU_DEP_3)
	v_cvt_f16_f32_e32 v7, v7
	v_add_co_u32 v5, s4, s6, v5
	s_delay_alu instid0(VALU_DEP_1)
	v_add_co_ci_u32_e64 v6, s4, s7, v6, s4
	global_store_b16 v[5:6], v7, off
	s_or_b32 exec_lo, exec_lo, s39
	v_add_nc_u32_e32 v34, s19, v34
	s_and_saveexec_b32 s4, vcc_lo
	s_cbranch_execz .LBB94_42
.LBB94_59:                              ;   in Loop: Header=BB94_12 Depth=1
	s_waitcnt lgkmcnt(3)
	v_add_f32_e32 v5, v20, v22
	s_waitcnt vmcnt(3)
	v_cvt_f32_f16_e32 v6, v37
	s_delay_alu instid0(VALU_DEP_1) | instskip(SKIP_1) | instid1(VALU_DEP_2)
	v_add_f32_e32 v7, v5, v6
	v_lshlrev_b64 v[5:6], 1, v[34:35]
	v_cvt_f16_f32_e32 v7, v7
	s_delay_alu instid0(VALU_DEP_2) | instskip(NEXT) | instid1(VALU_DEP_3)
	v_add_co_u32 v5, vcc_lo, s6, v5
	v_add_co_ci_u32_e32 v6, vcc_lo, s7, v6, vcc_lo
	global_store_b16 v[5:6], v7, off
	s_or_b32 exec_lo, exec_lo, s4
	s_and_saveexec_b32 s4, s1
	s_cbranch_execz .LBB94_43
.LBB94_60:                              ;   in Loop: Header=BB94_12 Depth=1
	s_waitcnt lgkmcnt(4)
	v_dual_add_f32 v7, v17, v19 :: v_dual_mov_b32 v6, v35
	v_add_nc_u32_e32 v5, 1, v34
	s_waitcnt vmcnt(2)
	v_cvt_f32_f16_e32 v9, v36
	s_delay_alu instid0(VALU_DEP_2) | instskip(NEXT) | instid1(VALU_DEP_2)
	v_lshlrev_b64 v[5:6], 1, v[5:6]
	v_add_f32_e32 v7, v7, v9
	s_delay_alu instid0(VALU_DEP_1) | instskip(NEXT) | instid1(VALU_DEP_3)
	v_cvt_f16_f32_e32 v7, v7
	v_add_co_u32 v5, vcc_lo, s6, v5
	s_delay_alu instid0(VALU_DEP_4)
	v_add_co_ci_u32_e32 v6, vcc_lo, s7, v6, vcc_lo
	global_store_b16 v[5:6], v7, off
	s_or_b32 exec_lo, exec_lo, s4
	s_and_saveexec_b32 s1, s2
	s_cbranch_execz .LBB94_44
.LBB94_61:                              ;   in Loop: Header=BB94_12 Depth=1
	s_waitcnt lgkmcnt(1)
	v_dual_add_f32 v7, v12, v14 :: v_dual_mov_b32 v6, v35
	v_add_nc_u32_e32 v5, 2, v34
	s_waitcnt vmcnt(1)
	v_cvt_f32_f16_e32 v9, v32
	s_delay_alu instid0(VALU_DEP_2) | instskip(NEXT) | instid1(VALU_DEP_2)
	v_lshlrev_b64 v[5:6], 1, v[5:6]
	v_add_f32_e32 v7, v7, v9
	s_delay_alu instid0(VALU_DEP_1) | instskip(NEXT) | instid1(VALU_DEP_3)
	v_cvt_f16_f32_e32 v7, v7
	v_add_co_u32 v5, vcc_lo, s6, v5
	s_delay_alu instid0(VALU_DEP_4) | instskip(SKIP_2) | instid1(SALU_CYCLE_1)
	v_add_co_ci_u32_e32 v6, vcc_lo, s7, v6, vcc_lo
	global_store_b16 v[5:6], v7, off
	s_or_b32 exec_lo, exec_lo, s1
	s_and_b32 exec_lo, exec_lo, s3
	s_cbranch_execnz .LBB94_45
	s_branch .LBB94_46
.LBB94_62:
	s_nop 0
	s_sendmsg sendmsg(MSG_DEALLOC_VGPRS)
	s_endpgm
	.section	.rodata,"a",@progbits
	.p2align	6, 0x0
	.amdhsa_kernel _Z16wvSplitK_hf_big_I6__halfLi64ELi4ELi16ELi8ELi1ELi3EEviiiiiiPKT_S3_S3_PS1_ii
		.amdhsa_group_segment_fixed_size 65536
		.amdhsa_private_segment_fixed_size 0
		.amdhsa_kernarg_size 64
		.amdhsa_user_sgpr_count 15
		.amdhsa_user_sgpr_dispatch_ptr 0
		.amdhsa_user_sgpr_queue_ptr 0
		.amdhsa_user_sgpr_kernarg_segment_ptr 1
		.amdhsa_user_sgpr_dispatch_id 0
		.amdhsa_user_sgpr_private_segment_size 0
		.amdhsa_wavefront_size32 1
		.amdhsa_uses_dynamic_stack 0
		.amdhsa_enable_private_segment 0
		.amdhsa_system_sgpr_workgroup_id_x 1
		.amdhsa_system_sgpr_workgroup_id_y 0
		.amdhsa_system_sgpr_workgroup_id_z 0
		.amdhsa_system_sgpr_workgroup_info 0
		.amdhsa_system_vgpr_workitem_id 1
		.amdhsa_next_free_vgpr 68
		.amdhsa_next_free_sgpr 42
		.amdhsa_reserve_vcc 1
		.amdhsa_float_round_mode_32 0
		.amdhsa_float_round_mode_16_64 0
		.amdhsa_float_denorm_mode_32 3
		.amdhsa_float_denorm_mode_16_64 3
		.amdhsa_dx10_clamp 1
		.amdhsa_ieee_mode 1
		.amdhsa_fp16_overflow 0
		.amdhsa_workgroup_processor_mode 1
		.amdhsa_memory_ordered 1
		.amdhsa_forward_progress 0
		.amdhsa_shared_vgpr_count 0
		.amdhsa_exception_fp_ieee_invalid_op 0
		.amdhsa_exception_fp_denorm_src 0
		.amdhsa_exception_fp_ieee_div_zero 0
		.amdhsa_exception_fp_ieee_overflow 0
		.amdhsa_exception_fp_ieee_underflow 0
		.amdhsa_exception_fp_ieee_inexact 0
		.amdhsa_exception_int_div_zero 0
	.end_amdhsa_kernel
	.section	.text._Z16wvSplitK_hf_big_I6__halfLi64ELi4ELi16ELi8ELi1ELi3EEviiiiiiPKT_S3_S3_PS1_ii,"axG",@progbits,_Z16wvSplitK_hf_big_I6__halfLi64ELi4ELi16ELi8ELi1ELi3EEviiiiiiPKT_S3_S3_PS1_ii,comdat
.Lfunc_end94:
	.size	_Z16wvSplitK_hf_big_I6__halfLi64ELi4ELi16ELi8ELi1ELi3EEviiiiiiPKT_S3_S3_PS1_ii, .Lfunc_end94-_Z16wvSplitK_hf_big_I6__halfLi64ELi4ELi16ELi8ELi1ELi3EEviiiiiiPKT_S3_S3_PS1_ii
                                        ; -- End function
	.section	.AMDGPU.csdata,"",@progbits
; Kernel info:
; codeLenInByte = 5944
; NumSgprs: 44
; NumVgprs: 68
; ScratchSize: 0
; MemoryBound: 0
; FloatMode: 240
; IeeeMode: 1
; LDSByteSize: 65536 bytes/workgroup (compile time only)
; SGPRBlocks: 5
; VGPRBlocks: 8
; NumSGPRsForWavesPerEU: 44
; NumVGPRsForWavesPerEU: 68
; Occupancy: 16
; WaveLimiterHint : 0
; COMPUTE_PGM_RSRC2:SCRATCH_EN: 0
; COMPUTE_PGM_RSRC2:USER_SGPR: 15
; COMPUTE_PGM_RSRC2:TRAP_HANDLER: 0
; COMPUTE_PGM_RSRC2:TGID_X_EN: 1
; COMPUTE_PGM_RSRC2:TGID_Y_EN: 0
; COMPUTE_PGM_RSRC2:TGID_Z_EN: 0
; COMPUTE_PGM_RSRC2:TIDIG_COMP_CNT: 1
	.section	.text._Z16wvSplitK_hf_sml_I6__halfLi64ELi4ELi16ELi8ELi2ELi3EEviiiiiiPKT_S3_S3_PS1_ii,"axG",@progbits,_Z16wvSplitK_hf_sml_I6__halfLi64ELi4ELi16ELi8ELi2ELi3EEviiiiiiPKT_S3_S3_PS1_ii,comdat
	.protected	_Z16wvSplitK_hf_sml_I6__halfLi64ELi4ELi16ELi8ELi2ELi3EEviiiiiiPKT_S3_S3_PS1_ii ; -- Begin function _Z16wvSplitK_hf_sml_I6__halfLi64ELi4ELi16ELi8ELi2ELi3EEviiiiiiPKT_S3_S3_PS1_ii
	.globl	_Z16wvSplitK_hf_sml_I6__halfLi64ELi4ELi16ELi8ELi2ELi3EEviiiiiiPKT_S3_S3_PS1_ii
	.p2align	8
	.type	_Z16wvSplitK_hf_sml_I6__halfLi64ELi4ELi16ELi8ELi2ELi3EEviiiiiiPKT_S3_S3_PS1_ii,@function
_Z16wvSplitK_hf_sml_I6__halfLi64ELi4ELi16ELi8ELi2ELi3EEviiiiiiPKT_S3_S3_PS1_ii: ; @_Z16wvSplitK_hf_sml_I6__halfLi64ELi4ELi16ELi8ELi2ELi3EEviiiiiiPKT_S3_S3_PS1_ii
; %bb.0:
	s_clause 0x2
	s_load_b128 s[4:7], s[0:1], 0x0
	s_load_b64 s[8:9], s[0:1], 0x10
	s_load_b64 s[10:11], s[0:1], 0x28
	v_and_b32_e32 v2, 0x3ff, v0
	v_bfe_u32 v3, v0, 10, 10
	s_mov_b32 s12, exec_lo
	s_delay_alu instid0(VALU_DEP_2) | instskip(NEXT) | instid1(VALU_DEP_1)
	v_lshlrev_b32_e32 v67, 3, v2
	v_lshl_add_u32 v4, v3, 9, v67
	s_waitcnt lgkmcnt(0)
	s_mul_i32 s2, s6, 3
	s_delay_alu instid0(SALU_CYCLE_1)
	s_min_u32 s3, s2, 0x8000
	s_delay_alu instid0(VALU_DEP_1) | instid1(SALU_CYCLE_1)
	v_cmpx_gt_u32_e64 s3, v4
	s_cbranch_execz .LBB95_3
; %bb.1:
	s_load_b64 s[16:17], s[0:1], 0x20
	v_lshlrev_b32_e32 v5, 10, v3
	v_lshlrev_b32_e32 v6, 4, v2
	s_mov_b32 s13, 0
	s_delay_alu instid0(VALU_DEP_1) | instskip(NEXT) | instid1(VALU_DEP_1)
	v_add_co_u32 v0, s2, v5, v6
	v_add_co_ci_u32_e64 v1, null, 0, 0, s2
	v_add_nc_u32_e32 v5, v5, v6
	s_waitcnt lgkmcnt(0)
	s_delay_alu instid0(VALU_DEP_3) | instskip(NEXT) | instid1(VALU_DEP_3)
	v_add_co_u32 v0, vcc_lo, s16, v0
	v_add_co_ci_u32_e32 v1, vcc_lo, s17, v1, vcc_lo
	.p2align	6
.LBB95_2:                               ; =>This Inner Loop Header: Depth=1
	global_load_b128 v[6:9], v[0:1], off
	v_add_nc_u32_e32 v4, 0x2000, v4
	v_add_co_u32 v0, vcc_lo, 0x4000, v0
	v_add_co_ci_u32_e32 v1, vcc_lo, 0, v1, vcc_lo
	s_delay_alu instid0(VALU_DEP_3) | instskip(NEXT) | instid1(VALU_DEP_1)
	v_cmp_le_u32_e64 s2, s3, v4
	s_or_b32 s13, s2, s13
	s_waitcnt vmcnt(0)
	ds_store_b128 v5, v[6:9]
	v_add_nc_u32_e32 v5, 0x4000, v5
	s_and_not1_b32 exec_lo, exec_lo, s13
	s_cbranch_execnz .LBB95_2
.LBB95_3:
	s_or_b32 exec_lo, exec_lo, s12
	s_load_b64 s[16:17], s[0:1], 0x38
	s_waitcnt lgkmcnt(0)
	s_barrier
	buffer_gl0_inv
	s_mov_b32 s2, exec_lo
	v_cmpx_gt_u32_e64 s16, v3
	s_cbranch_execz .LBB95_20
; %bb.4:
	s_mul_i32 s15, s15, s16
	s_delay_alu instid0(SALU_CYCLE_1) | instskip(NEXT) | instid1(VALU_DEP_1)
	v_add_lshl_u32 v48, s15, v3, 2
	v_cmp_gt_u32_e32 vcc_lo, s7, v48
	s_and_b32 exec_lo, exec_lo, vcc_lo
	s_cbranch_execz .LBB95_20
; %bb.5:
	s_cmp_lg_u32 s4, 0
	v_cvt_f32_u32_e32 v1, s8
	s_cselect_b32 s14, -1, 0
	s_add_i32 s15, s4, -8
	s_add_i32 s18, s7, -1
	s_cmp_lg_u64 s[10:11], 0
	v_rcp_iflag_f32_e32 v1, v1
	s_cselect_b32 s19, -1, 0
	s_abs_i32 s20, s9
	s_clause 0x1
	s_load_b64 s[2:3], s[0:1], 0x18
	s_load_b64 s[12:13], s[0:1], 0x30
	v_cvt_f32_u32_e32 v0, s20
	s_mul_i32 s0, s16, s17
	s_sub_i32 s17, 0, s8
	s_lshl_b32 s9, s0, 2
	s_sub_i32 s0, 0, s20
	v_rcp_iflag_f32_e32 v0, v0
	s_sub_i32 s21, 1, s20
	v_mov_b32_e32 v50, 0
	v_lshlrev_b32_e32 v68, 4, v2
	v_mbcnt_lo_u32_b32 v69, -1, 0
	s_mov_b32 s1, 0
	s_waitcnt_depctr 0xfff
	v_mul_f32_e32 v0, 0x4f7ffffe, v0
	s_delay_alu instid0(VALU_DEP_1) | instskip(NEXT) | instid1(VALU_DEP_1)
	v_cvt_u32_f32_e32 v0, v0
	v_readfirstlane_b32 s16, v0
	v_mul_f32_e32 v0, 0x4f7ffffe, v1
	s_delay_alu instid0(VALU_DEP_2) | instskip(NEXT) | instid1(VALU_DEP_1)
	s_mul_i32 s0, s0, s16
	v_cvt_u32_f32_e32 v0, v0
	s_mul_hi_u32 s0, s16, s0
	s_delay_alu instid0(SALU_CYCLE_1) | instskip(SKIP_1) | instid1(VALU_DEP_1)
	s_add_i32 s16, s16, s0
	s_cmp_lt_u32 s20, 2
	v_mul_lo_u32 v1, s17, v0
	s_cselect_b32 s17, s21, 1
	v_cmp_eq_u32_e64 s0, 63, v2
	s_sub_i32 s21, s17, s20
	s_cmp_ge_u32 s17, s20
	s_cselect_b32 s17, s21, s17
	s_lshr_b32 s16, s16, 31
	s_delay_alu instid0(VALU_DEP_2) | instskip(SKIP_1) | instid1(SALU_CYCLE_1)
	v_mul_hi_u32 v1, v0, v1
	s_mul_i32 s16, s16, s20
	s_sub_i32 s16, 2, s16
	s_delay_alu instid0(SALU_CYCLE_1) | instskip(SKIP_2) | instid1(VALU_DEP_1)
	s_sub_i32 s21, s16, s20
	s_cmp_ge_u32 s16, s20
	s_cselect_b32 s21, s21, s16
	v_add_nc_u32_e32 v70, v0, v1
	s_sub_i32 s22, s21, s20
	s_cmp_ge_u32 s21, s20
	s_mul_i32 s16, s17, s8
	s_cselect_b32 s20, s22, s21
	s_lshl_b32 s17, s6, 2
	s_mul_i32 s20, s20, s8
	s_lshl_b32 s6, s6, 1
	s_branch .LBB95_8
.LBB95_6:                               ;   in Loop: Header=BB95_8 Depth=1
	s_waitcnt lgkmcnt(0)
	v_dual_add_f32 v0, v0, v2 :: v_dual_add_f32 v1, v1, v3
	v_dual_add_f32 v2, v4, v9 :: v_dual_add_f32 v3, v5, v10
	;; [unrolled: 1-line block ×4, first 2 shown]
	s_waitcnt vmcnt(11)
	v_cvt_f32_f16_e32 v9, v35
	s_waitcnt vmcnt(10)
	v_cvt_f32_f16_e32 v11, v34
	s_waitcnt vmcnt(9)
	v_cvt_f32_f16_e32 v12, v33
	s_waitcnt vmcnt(8)
	v_cvt_f32_f16_e32 v13, v32
	v_add_f32_e32 v8, v20, v23
	v_add_f32_e32 v10, v18, v21
	v_dual_add_f32 v0, v0, v9 :: v_dual_add_f32 v9, v1, v11
	s_delay_alu instid0(VALU_DEP_4) | instskip(SKIP_2) | instid1(VALU_DEP_3)
	v_dual_add_f32 v2, v2, v12 :: v_dual_add_f32 v3, v3, v13
	s_waitcnt vmcnt(7)
	v_cvt_f32_f16_e32 v12, v31
	v_cvt_f16_f32_e32 v11, v0
	v_cvt_f16_f32_e32 v9, v9
	v_cvt_f16_f32_e32 v2, v2
	v_cvt_f16_f32_e32 v3, v3
	v_lshlrev_b64 v[0:1], 1, v[48:49]
	v_add_f32_e32 v4, v4, v12
	v_dual_add_f32 v12, v14, v15 :: v_dual_add_nc_u32 v49, s7, v48
	s_delay_alu instid0(VALU_DEP_4)
	v_pack_b32_f16 v3, v2, v3
	v_pack_b32_f16 v2, v11, v9
	s_waitcnt vmcnt(6)
	v_cvt_f32_f16_e32 v9, v30
	v_add_co_u32 v0, vcc_lo, s12, v0
	v_add_co_ci_u32_e32 v1, vcc_lo, s13, v1, vcc_lo
	v_cvt_f16_f32_e32 v14, v4
	s_delay_alu instid0(VALU_DEP_4)
	v_add_f32_e32 v4, v5, v9
	s_waitcnt vmcnt(5)
	v_cvt_f32_f16_e32 v5, v29
	s_waitcnt vmcnt(4)
	v_cvt_f32_f16_e32 v9, v28
	;; [unrolled: 2-line block ×3, first 2 shown]
	v_add_f32_e32 v16, v16, v17
	global_store_b64 v[0:1], v[2:3], off
	v_dual_mov_b32 v3, v50 :: v_dual_add_nc_u32 v2, 1, v49
	v_dual_add_f32 v11, v8, v11 :: v_dual_add_f32 v6, v6, v5
	v_lshlrev_b64 v[0:1], 1, v[49:50]
	v_mov_b32_e32 v5, v50
	v_add_f32_e32 v9, v7, v9
	v_mov_b32_e32 v7, v50
	v_cvt_f16_f32_e32 v15, v4
	v_add_nc_u32_e32 v4, 2, v49
	v_lshlrev_b64 v[2:3], 1, v[2:3]
	s_waitcnt vmcnt(2)
	v_cvt_f32_f16_e32 v13, v26
	v_cvt_f16_f32_e32 v17, v6
	v_add_nc_u32_e32 v6, 3, v49
	v_add_nc_u32_e32 v49, s7, v49
	v_add_co_u32 v0, vcc_lo, s12, v0
	v_cvt_f16_f32_e32 v19, v11
	v_mov_b32_e32 v11, v50
	v_lshlrev_b64 v[4:5], 1, v[4:5]
	v_add_co_ci_u32_e32 v1, vcc_lo, s13, v1, vcc_lo
	s_waitcnt vmcnt(1)
	v_cvt_f32_f16_e32 v20, v25
	v_add_f32_e32 v13, v10, v13
	v_add_co_u32 v2, vcc_lo, s12, v2
	v_lshlrev_b64 v[6:7], 1, v[6:7]
	s_delay_alu instid0(VALU_DEP_4)
	v_add_f32_e32 v16, v16, v20
	v_add_nc_u32_e32 v10, 2, v49
	v_add_co_ci_u32_e32 v3, vcc_lo, s13, v3, vcc_lo
	v_add_co_u32 v4, vcc_lo, s12, v4
	v_cvt_f16_f32_e32 v18, v9
	v_lshlrev_b64 v[8:9], 1, v[49:50]
	v_cvt_f16_f32_e32 v13, v13
	s_waitcnt vmcnt(0)
	v_cvt_f32_f16_e32 v20, v24
	v_add_nc_u32_e32 v49, 3, v49
	v_add_co_ci_u32_e32 v5, vcc_lo, s13, v5, vcc_lo
	v_add_co_u32 v6, vcc_lo, s12, v6
	s_delay_alu instid0(VALU_DEP_4)
	v_add_f32_e32 v20, v12, v20
	v_lshlrev_b64 v[10:11], 1, v[10:11]
	v_add_co_ci_u32_e32 v7, vcc_lo, s13, v7, vcc_lo
	v_add_co_u32 v8, vcc_lo, s12, v8
	v_pack_b32_f16 v19, v19, v13
	v_lshlrev_b64 v[12:13], 1, v[49:50]
	v_add_co_ci_u32_e32 v9, vcc_lo, s13, v9, vcc_lo
	v_add_co_u32 v10, vcc_lo, s12, v10
	v_add_co_ci_u32_e32 v11, vcc_lo, s13, v11, vcc_lo
	s_delay_alu instid0(VALU_DEP_4)
	v_add_co_u32 v12, vcc_lo, s12, v12
	v_cvt_f16_f32_e32 v16, v16
	v_cvt_f16_f32_e32 v20, v20
	v_add_co_ci_u32_e32 v13, vcc_lo, s13, v13, vcc_lo
	s_clause 0x6
	global_store_b16 v[0:1], v14, off
	global_store_b16 v[2:3], v15, off
	;; [unrolled: 1-line block ×4, first 2 shown]
	global_store_b32 v[8:9], v19, off
	global_store_b16 v[10:11], v16, off
	global_store_b16 v[12:13], v20, off
.LBB95_7:                               ;   in Loop: Header=BB95_8 Depth=1
	s_or_b32 exec_lo, exec_lo, s21
	v_add_nc_u32_e32 v48, s9, v48
	s_delay_alu instid0(VALU_DEP_1) | instskip(SKIP_1) | instid1(SALU_CYCLE_1)
	v_cmp_le_u32_e32 vcc_lo, s7, v48
	s_or_b32 s1, vcc_lo, s1
	s_and_not1_b32 exec_lo, exec_lo, s1
	s_cbranch_execz .LBB95_20
.LBB95_8:                               ; =>This Loop Header: Depth=1
                                        ;     Child Loop BB95_12 Depth 2
	v_mov_b32_e32 v82, v50
	v_mov_b32_e32 v81, v50
	;; [unrolled: 1-line block ×12, first 2 shown]
	s_and_not1_b32 vcc_lo, exec_lo, s14
	s_cbranch_vccnz .LBB95_15
; %bb.9:                                ;   in Loop: Header=BB95_8 Depth=1
	v_or_b32_e32 v0, 1, v48
	v_or_b32_e32 v1, 2, v48
	s_waitcnt lgkmcnt(0)
	v_or_b32_e32 v2, 3, v48
	v_min_u32_e32 v3, s18, v48
	v_dual_mov_b32 v5, v50 :: v_dual_mov_b32 v76, 0
	v_min_u32_e32 v0, s18, v0
	v_min_u32_e32 v1, s18, v1
	;; [unrolled: 1-line block ×3, first 2 shown]
	v_mul_lo_u32 v49, v3, s5
	v_dual_mov_b32 v3, v50 :: v_dual_mov_b32 v72, 0
	v_mul_lo_u32 v0, v0, s5
	v_mul_lo_u32 v2, v1, s5
	;; [unrolled: 1-line block ×3, first 2 shown]
	v_dual_mov_b32 v1, v50 :: v_dual_mov_b32 v74, 0
	v_lshlrev_b64 v[51:52], 1, v[49:50]
	v_dual_mov_b32 v71, 0 :: v_dual_mov_b32 v78, 0
	s_delay_alu instid0(VALU_DEP_3)
	v_lshlrev_b64 v[53:54], 1, v[0:1]
	v_lshlrev_b64 v[55:56], 1, v[2:3]
	;; [unrolled: 1-line block ×3, first 2 shown]
	v_dual_mov_b32 v83, v68 :: v_dual_mov_b32 v80, 0
	v_dual_mov_b32 v73, 0 :: v_dual_mov_b32 v82, 0
	v_mov_b32_e32 v75, 0
	v_mov_b32_e32 v77, 0
	;; [unrolled: 1-line block ×4, first 2 shown]
	s_mov_b32 s21, 0
	s_branch .LBB95_12
.LBB95_10:                              ;   in Loop: Header=BB95_12 Depth=2
	s_or_b32 exec_lo, exec_lo, s23
.LBB95_11:                              ;   in Loop: Header=BB95_12 Depth=2
	s_delay_alu instid0(SALU_CYCLE_1)
	s_or_b32 exec_lo, exec_lo, s22
	s_waitcnt vmcnt(7) lgkmcnt(1)
	;;#ASMSTART
	v_dot2_f32_f16 v82, v44, v28, v82
	;;#ASMEND
	s_waitcnt vmcnt(6)
	;;#ASMSTART
	v_dot2_f32_f16 v81, v44, v20, v81
	;;#ASMEND
	s_waitcnt vmcnt(5)
	;; [unrolled: 4-line block ×3, first 2 shown]
	;;#ASMSTART
	v_dot2_f32_f16 v79, v44, v32, v79
	;;#ASMEND
	;;#ASMSTART
	v_dot2_f32_f16 v78, v40, v28, v78
	;;#ASMEND
	;; [unrolled: 3-line block ×29, first 2 shown]
	s_waitcnt lgkmcnt(0)
	;;#ASMSTART
	v_dot2_f32_f16 v71, v65, v30, v71
	;;#ASMEND
	;;#ASMSTART
	v_dot2_f32_f16 v74, v65, v22, v74
	;;#ASMEND
	;; [unrolled: 3-line block ×4, first 2 shown]
	v_add_nc_u32_e32 v83, 0x800, v83
	;;#ASMSTART
	v_dot2_f32_f16 v82, v47, v31, v82
	;;#ASMEND
	;;#ASMSTART
	v_dot2_f32_f16 v81, v47, v23, v81
	;;#ASMEND
	;; [unrolled: 3-line block ×12, first 2 shown]
	s_addk_i32 s21, 0x400
	s_waitcnt vmcnt(3)
	;;#ASMSTART
	v_dot2_f32_f16 v82, v24, v12, v82
	;;#ASMEND
	s_waitcnt vmcnt(2)
	;;#ASMSTART
	v_dot2_f32_f16 v81, v24, v8, v81
	;;#ASMEND
	;; [unrolled: 4-line block ×4, first 2 shown]
	;;#ASMSTART
	v_dot2_f32_f16 v78, v16, v12, v78
	;;#ASMEND
	;;#ASMSTART
	v_dot2_f32_f16 v77, v16, v8, v77
	;;#ASMEND
	;; [unrolled: 3-line block ×20, first 2 shown]
	s_cmp_ge_u32 s21, s4
	;;#ASMSTART
	v_dot2_f32_f16 v82, v26, v14, v82
	;;#ASMEND
	;;#ASMSTART
	v_dot2_f32_f16 v81, v26, v10, v81
	;;#ASMEND
	;; [unrolled: 3-line block ×24, first 2 shown]
	s_cbranch_scc1 .LBB95_15
.LBB95_12:                              ;   Parent Loop BB95_8 Depth=1
                                        ; =>  This Inner Loop Header: Depth=2
	v_dual_mov_b32 v45, 0 :: v_dual_add_nc_u32 v24, s21, v67
	v_dual_mov_b32 v44, 0 :: v_dual_mov_b32 v25, 0
	v_dual_mov_b32 v46, 0 :: v_dual_mov_b32 v27, 0
	s_delay_alu instid0(VALU_DEP_3) | instskip(SKIP_2) | instid1(VALU_DEP_3)
	v_min_u32_e32 v49, s15, v24
	v_dual_mov_b32 v47, 0 :: v_dual_add_nc_u32 v84, 0x200, v24
	v_dual_mov_b32 v26, 0 :: v_dual_mov_b32 v43, 0
	v_lshlrev_b64 v[0:1], 1, v[49:50]
	s_delay_alu instid0(VALU_DEP_3)
	v_min_u32_e32 v49, s15, v84
	v_mov_b32_e32 v40, 0
	v_mov_b32_e32 v42, 0
	v_dual_mov_b32 v64, 0 :: v_dual_mov_b32 v61, 0
	s_waitcnt lgkmcnt(0)
	v_add_co_u32 v8, vcc_lo, s2, v0
	v_add_co_ci_u32_e32 v9, vcc_lo, s3, v1, vcc_lo
	v_lshlrev_b64 v[0:1], 1, v[49:50]
	s_delay_alu instid0(VALU_DEP_3) | instskip(NEXT) | instid1(VALU_DEP_3)
	v_add_co_u32 v2, vcc_lo, v8, v51
	v_add_co_ci_u32_e32 v3, vcc_lo, v9, v52, vcc_lo
	v_add_co_u32 v4, vcc_lo, v8, v53
	v_add_co_ci_u32_e32 v5, vcc_lo, v9, v54, vcc_lo
	;; [unrolled: 2-line block ×5, first 2 shown]
	s_clause 0x1
	global_load_b128 v[28:31], v[2:3], off slc dlc
	global_load_b128 v[20:23], v[4:5], off slc dlc
	v_add_co_u32 v2, vcc_lo, v10, v51
	v_add_co_ci_u32_e32 v3, vcc_lo, v11, v52, vcc_lo
	v_add_co_u32 v4, vcc_lo, v10, v53
	v_add_co_ci_u32_e32 v5, vcc_lo, v11, v54, vcc_lo
	;; [unrolled: 2-line block ×4, first 2 shown]
	s_clause 0x5
	global_load_b128 v[36:39], v[6:7], off slc dlc
	global_load_b128 v[32:35], v[0:1], off slc dlc
	;; [unrolled: 1-line block ×6, first 2 shown]
	v_cmp_gt_u32_e32 vcc_lo, s4, v24
	v_dual_mov_b32 v24, 0 :: v_dual_mov_b32 v41, 0
	v_dual_mov_b32 v16, 0 :: v_dual_mov_b32 v63, 0
	;; [unrolled: 1-line block ×3, first 2 shown]
	v_mov_b32_e32 v65, 0
	v_dual_mov_b32 v19, 0 :: v_dual_mov_b32 v66, 0
	v_dual_mov_b32 v59, 0 :: v_dual_mov_b32 v62, 0
	v_mov_b32_e32 v60, 0
	s_and_saveexec_b32 s22, vcc_lo
	s_cbranch_execz .LBB95_11
; %bb.13:                               ;   in Loop: Header=BB95_12 Depth=2
	v_dual_mov_b32 v60, 0 :: v_dual_add_nc_u32 v49, s6, v83
	v_dual_mov_b32 v62, 0 :: v_dual_add_nc_u32 v85, s17, v83
	v_dual_mov_b32 v59, 0 :: v_dual_mov_b32 v18, 0
	ds_load_b128 v[40:43], v49
	ds_load_2addr_b32 v[63:64], v85 offset1:1
	ds_load_b128 v[44:47], v83
	ds_load_2addr_b32 v[65:66], v85 offset0:2 offset1:3
	v_dual_mov_b32 v61, 0 :: v_dual_mov_b32 v16, 0
	v_dual_mov_b32 v19, 0 :: v_dual_mov_b32 v26, 0
	;; [unrolled: 1-line block ×3, first 2 shown]
	v_mov_b32_e32 v27, 0
	v_mov_b32_e32 v25, 0
	s_mov_b32 s23, exec_lo
	v_cmpx_gt_u32_e64 s4, v84
	s_cbranch_execz .LBB95_10
; %bb.14:                               ;   in Loop: Header=BB95_12 Depth=2
	v_add_nc_u32_e32 v24, 0x400, v85
	v_add_nc_u32_e32 v59, 0x408, v85
	ds_load_b128 v[16:19], v49 offset:1024
	ds_load_2addr_b32 v[61:62], v24 offset1:1
	ds_load_b128 v[24:27], v83 offset:1024
	ds_load_2addr_b32 v[59:60], v59 offset1:1
	s_branch .LBB95_10
.LBB95_15:                              ;   in Loop: Header=BB95_8 Depth=1
	; sched_barrier mask(0x00000000)
	v_cvt_i32_f32_e32 v0, v82
	v_cvt_i32_f32_e32 v1, v81
	s_waitcnt lgkmcnt(0)
	v_xor_b32_e32 v2, 16, v69
	v_cvt_i32_f32_e32 v4, v79
	v_cvt_i32_f32_e32 v3, v80
	v_cvt_f32_i32_dpp v0, v0 row_shr:8 row_mask:0xf bank_mask:0xf bound_ctrl:1
	v_cvt_f32_i32_dpp v1, v1 row_shr:8 row_mask:0xf bank_mask:0xf bound_ctrl:1
	v_cmp_gt_i32_e32 vcc_lo, 32, v2
	v_cvt_i32_f32_e32 v5, v78
	v_cvt_f32_i32_dpp v4, v4 row_shr:8 row_mask:0xf bank_mask:0xf bound_ctrl:1
	s_delay_alu instid0(VALU_DEP_4) | instskip(SKIP_3) | instid1(VALU_DEP_4)
	v_dual_add_f32 v0, v82, v0 :: v_dual_add_f32 v1, v81, v1
	v_cndmask_b32_e32 v2, v69, v2, vcc_lo
	v_cvt_i32_f32_e32 v7, v76
	v_cvt_f32_i32_dpp v3, v3 row_shr:8 row_mask:0xf bank_mask:0xf bound_ctrl:1
	v_cvt_i32_f32_e32 v8, v0
	v_cvt_i32_f32_e32 v9, v1
	v_cvt_f32_i32_dpp v5, v5 row_shr:8 row_mask:0xf bank_mask:0xf bound_ctrl:1
	v_cvt_f32_i32_dpp v7, v7 row_shr:8 row_mask:0xf bank_mask:0xf bound_ctrl:1
	v_cvt_i32_f32_e32 v6, v77
	v_cvt_f32_i32_dpp v8, v8 row_shr:4 row_mask:0xf bank_mask:0xf bound_ctrl:1
	v_cvt_f32_i32_dpp v9, v9 row_shr:4 row_mask:0xf bank_mask:0xf bound_ctrl:1
	v_lshlrev_b32_e32 v15, 2, v2
	v_cvt_i32_f32_e32 v17, v74
	v_cvt_f32_i32_dpp v6, v6 row_shr:8 row_mask:0xf bank_mask:0xf bound_ctrl:1
	s_delay_alu instid0(VALU_DEP_4) | instskip(SKIP_2) | instid1(VALU_DEP_3)
	v_dual_add_f32 v0, v0, v8 :: v_dual_add_f32 v1, v1, v9
	v_dual_add_f32 v2, v80, v3 :: v_dual_add_f32 v3, v79, v4
	;; [unrolled: 1-line block ×3, first 2 shown]
	v_cvt_i32_f32_e32 v5, v0
	s_delay_alu instid0(VALU_DEP_4) | instskip(NEXT) | instid1(VALU_DEP_4)
	v_cvt_i32_f32_e32 v8, v1
	v_cvt_i32_f32_e32 v9, v2
	s_delay_alu instid0(VALU_DEP_4)
	v_cvt_i32_f32_e32 v11, v4
	v_cvt_i32_f32_e32 v10, v3
	v_cvt_f32_i32_dpp v5, v5 row_shr:2 row_mask:0xf bank_mask:0xf bound_ctrl:1
	v_cvt_f32_i32_dpp v8, v8 row_shr:2 row_mask:0xf bank_mask:0xf bound_ctrl:1
	v_cvt_i32_f32_e32 v19, v72
	v_cvt_f32_i32_dpp v11, v11 row_shr:4 row_mask:0xf bank_mask:0xf bound_ctrl:1
	v_cvt_f32_i32_dpp v17, v17 row_shr:8 row_mask:0xf bank_mask:0xf bound_ctrl:1
	s_delay_alu instid0(VALU_DEP_4) | instskip(SKIP_3) | instid1(VALU_DEP_4)
	v_dual_add_f32 v0, v0, v5 :: v_dual_add_f32 v1, v1, v8
	v_cvt_i32_f32_e32 v5, v7
	v_cvt_f32_i32_dpp v8, v9 row_shr:4 row_mask:0xf bank_mask:0xf bound_ctrl:1
	v_cvt_f32_i32_dpp v9, v10 row_shr:4 row_mask:0xf bank_mask:0xf bound_ctrl:1
	v_cvt_i32_f32_e32 v10, v0
	v_cvt_i32_f32_e32 v13, v1
	v_cvt_f32_i32_dpp v5, v5 row_shr:4 row_mask:0xf bank_mask:0xf bound_ctrl:1
	v_add_f32_e32 v4, v4, v11
	v_dual_add_f32 v6, v77, v6 :: v_dual_add_f32 v9, v3, v9
	s_delay_alu instid0(VALU_DEP_4) | instskip(NEXT) | instid1(VALU_DEP_4)
	v_cvt_f32_i32_dpp v13, v13 row_shr:1 row_mask:0xf bank_mask:0xf bound_ctrl:1
	v_add_f32_e32 v5, v7, v5
	v_cvt_f32_i32_dpp v10, v10 row_shr:1 row_mask:0xf bank_mask:0xf bound_ctrl:1
	v_add_f32_e32 v8, v2, v8
	v_cvt_i32_f32_e32 v12, v6
	v_add_f32_e32 v1, v1, v13
	v_cvt_i32_f32_e32 v13, v5
	v_cvt_i32_f32_e32 v11, v4
	;; [unrolled: 1-line block ×3, first 2 shown]
	v_cvt_f32_i32_dpp v12, v12 row_shr:4 row_mask:0xf bank_mask:0xf bound_ctrl:1
	v_cvt_f32_i32_dpp v19, v19 row_shr:8 row_mask:0xf bank_mask:0xf bound_ctrl:1
	;; [unrolled: 1-line block ×3, first 2 shown]
	v_add_f32_e32 v0, v0, v10
	v_cvt_i32_f32_e32 v10, v9
	v_cvt_f32_i32_dpp v7, v7 row_shr:2 row_mask:0xf bank_mask:0xf bound_ctrl:1
	v_cvt_f32_i32_dpp v11, v11 row_shr:2 row_mask:0xf bank_mask:0xf bound_ctrl:1
	v_add_f32_e32 v6, v6, v12
	v_cvt_i32_f32_e32 v16, v71
	v_cvt_f32_i32_dpp v10, v10 row_shr:2 row_mask:0xf bank_mask:0xf bound_ctrl:1
	v_add_f32_e32 v7, v8, v7
	v_cvt_i32_f32_e32 v18, v73
	v_cvt_i32_f32_e32 v12, v6
	v_cvt_f32_i32_dpp v16, v16 row_shr:8 row_mask:0xf bank_mask:0xf bound_ctrl:1
	v_dual_add_f32 v8, v9, v10 :: v_dual_add_f32 v9, v4, v11
	v_add_f32_e32 v11, v5, v13
	v_cvt_i32_f32_e32 v4, v7
	v_cvt_f32_i32_dpp v12, v12 row_shr:2 row_mask:0xf bank_mask:0xf bound_ctrl:1
	s_delay_alu instid0(VALU_DEP_4)
	v_cvt_i32_f32_e32 v5, v8
	v_add_f32_e32 v17, v74, v17
	v_cvt_i32_f32_e32 v13, v11
	v_cvt_f32_i32_dpp v4, v4 row_shr:1 row_mask:0xf bank_mask:0xf bound_ctrl:1
	v_cvt_f32_i32_dpp v18, v18 row_shr:8 row_mask:0xf bank_mask:0xf bound_ctrl:1
	;; [unrolled: 1-line block ×3, first 2 shown]
	v_add_f32_e32 v10, v6, v12
	v_cvt_f32_i32_dpp v13, v13 row_shr:1 row_mask:0xf bank_mask:0xf bound_ctrl:1
	v_dual_add_f32 v4, v7, v4 :: v_dual_add_f32 v19, v72, v19
	s_delay_alu instid0(VALU_DEP_4) | instskip(SKIP_1) | instid1(VALU_DEP_4)
	v_add_f32_e32 v5, v8, v5
	v_cvt_i32_f32_e32 v22, v17
	v_add_f32_e32 v8, v11, v13
	v_cvt_i32_f32_e32 v14, v75
	v_cvt_i32_f32_e32 v24, v19
	;; [unrolled: 1-line block ×3, first 2 shown]
	v_cvt_f32_i32_dpp v22, v22 row_shr:4 row_mask:0xf bank_mask:0xf bound_ctrl:1
	v_add_f32_e32 v16, v71, v16
	v_cvt_f32_i32_dpp v14, v14 row_shr:8 row_mask:0xf bank_mask:0xf bound_ctrl:1
	v_cvt_f32_i32_dpp v24, v24 row_shr:4 row_mask:0xf bank_mask:0xf bound_ctrl:1
	v_add_f32_e32 v18, v73, v18
	v_add_f32_e32 v17, v17, v22
	v_cvt_i32_f32_e32 v21, v16
	v_cvt_i32_f32_e32 v12, v10
	v_add_f32_e32 v19, v19, v24
	v_cvt_i32_f32_e32 v23, v18
	v_cvt_i32_f32_e32 v22, v17
	v_cvt_f32_i32_dpp v21, v21 row_shr:4 row_mask:0xf bank_mask:0xf bound_ctrl:1
	v_cvt_f32_i32_dpp v6, v6 row_shr:1 row_mask:0xf bank_mask:0xf bound_ctrl:1
	v_cvt_i32_f32_e32 v24, v19
	v_cvt_f32_i32_dpp v23, v23 row_shr:4 row_mask:0xf bank_mask:0xf bound_ctrl:1
	v_cvt_f32_i32_dpp v22, v22 row_shr:2 row_mask:0xf bank_mask:0xf bound_ctrl:1
	v_add_f32_e32 v16, v16, v21
	v_cvt_f32_i32_dpp v12, v12 row_shr:1 row_mask:0xf bank_mask:0xf bound_ctrl:1
	v_cvt_f32_i32_dpp v24, v24 row_shr:2 row_mask:0xf bank_mask:0xf bound_ctrl:1
	v_add_f32_e32 v18, v18, v23
	v_add_f32_e32 v6, v9, v6
	v_cvt_i32_f32_e32 v21, v16
	v_add_f32_e32 v7, v10, v12
	ds_bpermute_b32 v2, v15, v0
	v_cvt_i32_f32_e32 v23, v18
	ds_bpermute_b32 v3, v15, v1
	v_cvt_f32_i32_dpp v21, v21 row_shr:2 row_mask:0xf bank_mask:0xf bound_ctrl:1
	ds_bpermute_b32 v9, v15, v4
	ds_bpermute_b32 v10, v15, v5
	v_cvt_f32_i32_dpp v23, v23 row_shr:2 row_mask:0xf bank_mask:0xf bound_ctrl:1
	v_add_f32_e32 v14, v75, v14
	v_add_f32_e32 v16, v16, v21
	ds_bpermute_b32 v11, v15, v6
	ds_bpermute_b32 v12, v15, v7
	v_add_f32_e32 v21, v18, v23
	v_cvt_i32_f32_e32 v20, v14
	ds_bpermute_b32 v13, v15, v8
	v_dual_add_f32 v17, v17, v22 :: v_dual_add_f32 v22, v19, v24
	v_cvt_i32_f32_e32 v19, v16
	v_cvt_f32_i32_dpp v20, v20 row_shr:4 row_mask:0xf bank_mask:0xf bound_ctrl:1
	v_cvt_i32_f32_e32 v23, v21
	s_delay_alu instid0(VALU_DEP_4) | instskip(NEXT) | instid1(VALU_DEP_4)
	v_cvt_i32_f32_e32 v24, v22
	v_cvt_f32_i32_dpp v25, v19 row_shr:1 row_mask:0xf bank_mask:0xf bound_ctrl:1
	s_delay_alu instid0(VALU_DEP_4) | instskip(NEXT) | instid1(VALU_DEP_4)
	v_add_f32_e32 v14, v14, v20
	v_cvt_f32_i32_dpp v23, v23 row_shr:1 row_mask:0xf bank_mask:0xf bound_ctrl:1
	s_delay_alu instid0(VALU_DEP_4) | instskip(NEXT) | instid1(VALU_DEP_3)
	v_cvt_f32_i32_dpp v24, v24 row_shr:1 row_mask:0xf bank_mask:0xf bound_ctrl:1
	v_cvt_i32_f32_e32 v20, v14
	s_delay_alu instid0(VALU_DEP_1) | instskip(NEXT) | instid1(VALU_DEP_1)
	v_cvt_f32_i32_dpp v20, v20 row_shr:2 row_mask:0xf bank_mask:0xf bound_ctrl:1
	v_add_f32_e32 v14, v14, v20
	v_cvt_i32_f32_e32 v20, v17
	s_delay_alu instid0(VALU_DEP_2) | instskip(NEXT) | instid1(VALU_DEP_2)
	v_cvt_i32_f32_e32 v18, v14
	v_cvt_f32_i32_dpp v26, v20 row_shr:1 row_mask:0xf bank_mask:0xf bound_ctrl:1
	v_add_f32_e32 v20, v16, v25
	v_add_f32_e32 v16, v21, v23
	s_delay_alu instid0(VALU_DEP_4)
	v_cvt_f32_i32_dpp v18, v18 row_shr:1 row_mask:0xf bank_mask:0xf bound_ctrl:1
	ds_bpermute_b32 v23, v15, v20
	v_add_f32_e32 v19, v14, v18
	v_add_f32_e32 v18, v17, v26
	;; [unrolled: 1-line block ×3, first 2 shown]
	ds_bpermute_b32 v17, v15, v16
	ds_bpermute_b32 v22, v15, v19
	;; [unrolled: 1-line block ×4, first 2 shown]
	s_and_saveexec_b32 s21, s0
	s_cbranch_execz .LBB95_7
; %bb.16:                               ;   in Loop: Header=BB95_8 Depth=1
	s_and_b32 vcc_lo, exec_lo, s19
	s_cbranch_vccz .LBB95_18
; %bb.17:                               ;   in Loop: Header=BB95_8 Depth=1
	v_mul_hi_u32 v24, v48, v70
	v_or_b32_e32 v26, 1, v48
	v_or_b32_e32 v28, 2, v48
	;; [unrolled: 1-line block ×3, first 2 shown]
	v_mov_b32_e32 v43, v50
	s_delay_alu instid0(VALU_DEP_4) | instskip(NEXT) | instid1(VALU_DEP_4)
	v_mul_hi_u32 v25, v26, v70
	v_mul_hi_u32 v27, v28, v70
	v_mul_lo_u32 v24, v24, s8
	v_mul_hi_u32 v30, v29, v70
	v_mov_b32_e32 v39, v50
	v_mul_lo_u32 v31, v25, s8
	v_mul_lo_u32 v32, v27, s8
	v_sub_nc_u32_e32 v24, v48, v24
	v_mul_lo_u32 v30, v30, s8
	s_delay_alu instid0(VALU_DEP_2)
	v_subrev_nc_u32_e32 v33, s8, v24
	v_sub_nc_u32_e32 v26, v26, v31
	v_cmp_le_u32_e32 vcc_lo, s8, v24
	v_mov_b32_e32 v25, v50
	v_sub_nc_u32_e32 v28, v28, v32
	v_sub_nc_u32_e32 v30, v29, v30
	v_subrev_nc_u32_e32 v31, s8, v26
	v_cndmask_b32_e32 v24, v24, v33, vcc_lo
	v_cmp_le_u32_e32 vcc_lo, s8, v26
	v_subrev_nc_u32_e32 v32, s8, v28
	v_subrev_nc_u32_e32 v33, s8, v30
	s_delay_alu instid0(VALU_DEP_4) | instskip(SKIP_4) | instid1(VALU_DEP_2)
	v_subrev_nc_u32_e32 v34, s8, v24
	v_cndmask_b32_e32 v26, v26, v31, vcc_lo
	v_cmp_le_u32_e32 vcc_lo, s8, v28
	v_dual_mov_b32 v27, v50 :: v_dual_cndmask_b32 v28, v28, v32
	v_cmp_le_u32_e32 vcc_lo, s8, v30
	v_subrev_nc_u32_e32 v31, s8, v28
	v_cndmask_b32_e32 v32, v30, v33, vcc_lo
	v_cmp_le_u32_e32 vcc_lo, s8, v24
	s_delay_alu instid0(VALU_DEP_2) | instskip(SKIP_3) | instid1(VALU_DEP_3)
	v_subrev_nc_u32_e32 v33, s8, v32
	v_cndmask_b32_e32 v49, v24, v34, vcc_lo
	v_subrev_nc_u32_e32 v30, s8, v26
	v_cmp_le_u32_e32 vcc_lo, s8, v26
	v_add_nc_u32_e32 v38, s16, v49
	s_delay_alu instid0(VALU_DEP_3)
	v_cndmask_b32_e32 v24, v26, v30, vcc_lo
	v_cmp_le_u32_e32 vcc_lo, s8, v28
	v_dual_mov_b32 v29, v50 :: v_dual_cndmask_b32 v26, v28, v31
	v_cmp_le_u32_e32 vcc_lo, s8, v32
	v_lshlrev_b64 v[30:31], 1, v[49:50]
	v_add_nc_u32_e32 v49, s20, v49
	s_delay_alu instid0(VALU_DEP_4) | instskip(SKIP_4) | instid1(VALU_DEP_4)
	v_lshlrev_b64 v[34:35], 1, v[26:27]
	v_cndmask_b32_e32 v28, v32, v33, vcc_lo
	v_lshlrev_b64 v[32:33], 1, v[24:25]
	v_add_co_u32 v30, vcc_lo, s10, v30
	v_add_co_ci_u32_e32 v31, vcc_lo, s11, v31, vcc_lo
	v_lshlrev_b64 v[36:37], 1, v[28:29]
	s_delay_alu instid0(VALU_DEP_4)
	v_add_co_u32 v32, vcc_lo, s10, v32
	v_add_co_ci_u32_e32 v33, vcc_lo, s11, v33, vcc_lo
	v_add_co_u32 v40, vcc_lo, s10, v34
	v_add_co_ci_u32_e32 v41, vcc_lo, s11, v35, vcc_lo
	v_lshlrev_b64 v[34:35], 1, v[38:39]
	v_add_nc_u32_e32 v38, s16, v24
	v_add_co_u32 v36, vcc_lo, s10, v36
	v_add_nc_u32_e32 v42, s16, v26
	v_add_co_ci_u32_e32 v37, vcc_lo, s11, v37, vcc_lo
	s_delay_alu instid0(VALU_DEP_4)
	v_lshlrev_b64 v[38:39], 1, v[38:39]
	v_add_co_u32 v44, vcc_lo, s10, v34
	v_add_co_ci_u32_e32 v45, vcc_lo, s11, v35, vcc_lo
	v_lshlrev_b64 v[34:35], 1, v[42:43]
	v_add_nc_u32_e32 v42, s16, v28
	v_add_co_u32 v38, vcc_lo, s10, v38
	v_add_co_ci_u32_e32 v39, vcc_lo, s11, v39, vcc_lo
	s_delay_alu instid0(VALU_DEP_3)
	v_lshlrev_b64 v[42:43], 1, v[42:43]
	v_add_co_u32 v46, vcc_lo, s10, v34
	v_add_co_ci_u32_e32 v47, vcc_lo, s11, v35, vcc_lo
	v_lshlrev_b64 v[34:35], 1, v[49:50]
	v_add_nc_u32_e32 v49, s20, v24
	v_add_co_u32 v24, vcc_lo, s10, v42
	v_add_co_ci_u32_e32 v25, vcc_lo, s11, v43, vcc_lo
	s_delay_alu instid0(VALU_DEP_3) | instskip(SKIP_3) | instid1(VALU_DEP_3)
	v_lshlrev_b64 v[42:43], 1, v[49:50]
	v_add_nc_u32_e32 v49, s20, v26
	v_add_co_u32 v26, vcc_lo, s10, v34
	v_add_co_ci_u32_e32 v27, vcc_lo, s11, v35, vcc_lo
	v_lshlrev_b64 v[34:35], 1, v[49:50]
	v_add_nc_u32_e32 v49, s20, v28
	v_add_co_u32 v42, vcc_lo, s10, v42
	v_add_co_ci_u32_e32 v43, vcc_lo, s11, v43, vcc_lo
	s_delay_alu instid0(VALU_DEP_3) | instskip(SKIP_3) | instid1(VALU_DEP_4)
	v_lshlrev_b64 v[28:29], 1, v[49:50]
	v_mov_b32_e32 v49, v50
	v_add_co_u32 v51, vcc_lo, s10, v34
	v_add_co_ci_u32_e32 v52, vcc_lo, s11, v35, vcc_lo
	v_add_co_u32 v53, vcc_lo, s10, v28
	v_add_co_ci_u32_e32 v54, vcc_lo, s11, v29, vcc_lo
	s_clause 0xb
	global_load_u16 v35, v[30:31], off
	global_load_u16 v34, v[32:33], off
	;; [unrolled: 1-line block ×12, first 2 shown]
	s_cbranch_execnz .LBB95_6
	s_branch .LBB95_19
.LBB95_18:                              ;   in Loop: Header=BB95_8 Depth=1
                                        ; implicit-def: $vgpr24
                                        ; implicit-def: $vgpr25
                                        ; implicit-def: $vgpr26
                                        ; implicit-def: $vgpr27
                                        ; implicit-def: $vgpr28
                                        ; implicit-def: $vgpr29
                                        ; implicit-def: $vgpr30
                                        ; implicit-def: $vgpr31
                                        ; implicit-def: $vgpr32
                                        ; implicit-def: $vgpr33
                                        ; implicit-def: $vgpr34
                                        ; implicit-def: $vgpr35
.LBB95_19:                              ;   in Loop: Header=BB95_8 Depth=1
	s_waitcnt vmcnt(10)
	v_dual_mov_b32 v49, v50 :: v_dual_mov_b32 v34, 0
	s_waitcnt vmcnt(8)
	v_dual_mov_b32 v35, 0 :: v_dual_mov_b32 v32, 0
	;; [unrolled: 2-line block ×6, first 2 shown]
	v_mov_b32_e32 v25, 0
	s_branch .LBB95_6
.LBB95_20:
	s_nop 0
	s_sendmsg sendmsg(MSG_DEALLOC_VGPRS)
	s_endpgm
	.section	.rodata,"a",@progbits
	.p2align	6, 0x0
	.amdhsa_kernel _Z16wvSplitK_hf_sml_I6__halfLi64ELi4ELi16ELi8ELi2ELi3EEviiiiiiPKT_S3_S3_PS1_ii
		.amdhsa_group_segment_fixed_size 65536
		.amdhsa_private_segment_fixed_size 0
		.amdhsa_kernarg_size 64
		.amdhsa_user_sgpr_count 15
		.amdhsa_user_sgpr_dispatch_ptr 0
		.amdhsa_user_sgpr_queue_ptr 0
		.amdhsa_user_sgpr_kernarg_segment_ptr 1
		.amdhsa_user_sgpr_dispatch_id 0
		.amdhsa_user_sgpr_private_segment_size 0
		.amdhsa_wavefront_size32 1
		.amdhsa_uses_dynamic_stack 0
		.amdhsa_enable_private_segment 0
		.amdhsa_system_sgpr_workgroup_id_x 1
		.amdhsa_system_sgpr_workgroup_id_y 0
		.amdhsa_system_sgpr_workgroup_id_z 0
		.amdhsa_system_sgpr_workgroup_info 0
		.amdhsa_system_vgpr_workitem_id 1
		.amdhsa_next_free_vgpr 86
		.amdhsa_next_free_sgpr 24
		.amdhsa_reserve_vcc 1
		.amdhsa_float_round_mode_32 0
		.amdhsa_float_round_mode_16_64 0
		.amdhsa_float_denorm_mode_32 3
		.amdhsa_float_denorm_mode_16_64 3
		.amdhsa_dx10_clamp 1
		.amdhsa_ieee_mode 1
		.amdhsa_fp16_overflow 0
		.amdhsa_workgroup_processor_mode 1
		.amdhsa_memory_ordered 1
		.amdhsa_forward_progress 0
		.amdhsa_shared_vgpr_count 0
		.amdhsa_exception_fp_ieee_invalid_op 0
		.amdhsa_exception_fp_denorm_src 0
		.amdhsa_exception_fp_ieee_div_zero 0
		.amdhsa_exception_fp_ieee_overflow 0
		.amdhsa_exception_fp_ieee_underflow 0
		.amdhsa_exception_fp_ieee_inexact 0
		.amdhsa_exception_int_div_zero 0
	.end_amdhsa_kernel
	.section	.text._Z16wvSplitK_hf_sml_I6__halfLi64ELi4ELi16ELi8ELi2ELi3EEviiiiiiPKT_S3_S3_PS1_ii,"axG",@progbits,_Z16wvSplitK_hf_sml_I6__halfLi64ELi4ELi16ELi8ELi2ELi3EEviiiiiiPKT_S3_S3_PS1_ii,comdat
.Lfunc_end95:
	.size	_Z16wvSplitK_hf_sml_I6__halfLi64ELi4ELi16ELi8ELi2ELi3EEviiiiiiPKT_S3_S3_PS1_ii, .Lfunc_end95-_Z16wvSplitK_hf_sml_I6__halfLi64ELi4ELi16ELi8ELi2ELi3EEviiiiiiPKT_S3_S3_PS1_ii
                                        ; -- End function
	.section	.AMDGPU.csdata,"",@progbits
; Kernel info:
; codeLenInByte = 5584
; NumSgprs: 26
; NumVgprs: 86
; ScratchSize: 0
; MemoryBound: 0
; FloatMode: 240
; IeeeMode: 1
; LDSByteSize: 65536 bytes/workgroup (compile time only)
; SGPRBlocks: 3
; VGPRBlocks: 10
; NumSGPRsForWavesPerEU: 26
; NumVGPRsForWavesPerEU: 86
; Occupancy: 16
; WaveLimiterHint : 0
; COMPUTE_PGM_RSRC2:SCRATCH_EN: 0
; COMPUTE_PGM_RSRC2:USER_SGPR: 15
; COMPUTE_PGM_RSRC2:TRAP_HANDLER: 0
; COMPUTE_PGM_RSRC2:TGID_X_EN: 1
; COMPUTE_PGM_RSRC2:TGID_Y_EN: 0
; COMPUTE_PGM_RSRC2:TGID_Z_EN: 0
; COMPUTE_PGM_RSRC2:TIDIG_COMP_CNT: 1
	.section	.text._Z12wvSplitK_hf_I6__halfLi64ELi4ELi16ELi8ELi2ELi3EEviiiiiiPKT_S3_S3_PS1_ii,"axG",@progbits,_Z12wvSplitK_hf_I6__halfLi64ELi4ELi16ELi8ELi2ELi3EEviiiiiiPKT_S3_S3_PS1_ii,comdat
	.protected	_Z12wvSplitK_hf_I6__halfLi64ELi4ELi16ELi8ELi2ELi3EEviiiiiiPKT_S3_S3_PS1_ii ; -- Begin function _Z12wvSplitK_hf_I6__halfLi64ELi4ELi16ELi8ELi2ELi3EEviiiiiiPKT_S3_S3_PS1_ii
	.globl	_Z12wvSplitK_hf_I6__halfLi64ELi4ELi16ELi8ELi2ELi3EEviiiiiiPKT_S3_S3_PS1_ii
	.p2align	8
	.type	_Z12wvSplitK_hf_I6__halfLi64ELi4ELi16ELi8ELi2ELi3EEviiiiiiPKT_S3_S3_PS1_ii,@function
_Z12wvSplitK_hf_I6__halfLi64ELi4ELi16ELi8ELi2ELi3EEviiiiiiPKT_S3_S3_PS1_ii: ; @_Z12wvSplitK_hf_I6__halfLi64ELi4ELi16ELi8ELi2ELi3EEviiiiiiPKT_S3_S3_PS1_ii
; %bb.0:
	s_clause 0x1
	s_load_b64 s[20:21], s[0:1], 0x38
	s_load_b128 s[8:11], s[0:1], 0x0
	v_bfe_u32 v7, v0, 10, 10
	s_clause 0x1
	s_load_b64 s[12:13], s[0:1], 0x20
	s_load_b64 s[16:17], s[0:1], 0x10
	s_mov_b32 s4, 1
	s_delay_alu instid0(SALU_CYCLE_1) | instskip(SKIP_4) | instid1(SALU_CYCLE_1)
	s_mov_b32 s5, s4
	s_mov_b32 s6, s4
	;; [unrolled: 1-line block ×3, first 2 shown]
	s_waitcnt lgkmcnt(0)
	s_mul_i32 s15, s15, s20
	v_add_lshl_u32 v61, s15, v7, 2
	s_delay_alu instid0(VALU_DEP_1) | instskip(SKIP_1) | instid1(VALU_DEP_2)
	v_add_nc_u32_e32 v1, 4, v61
	v_cmp_gt_u32_e32 vcc_lo, s11, v61
	v_cmp_le_u32_e64 s2, s11, v1
	v_dual_mov_b32 v1, s4 :: v_dual_mov_b32 v4, s7
	v_dual_mov_b32 v2, s5 :: v_dual_mov_b32 v3, s6
	s_delay_alu instid0(VALU_DEP_3) | instskip(NEXT) | instid1(SALU_CYCLE_1)
	s_and_b32 s2, vcc_lo, s2
	s_and_saveexec_b32 s14, s2
	s_cbranch_execz .LBB96_6
; %bb.1:
	v_dual_mov_b32 v1, s4 :: v_dual_mov_b32 v2, s5
	v_dual_mov_b32 v3, s6 :: v_dual_mov_b32 v4, s7
	s_add_i32 s15, s11, -4
	s_mov_b32 s18, exec_lo
	v_cmpx_ne_u32_e64 s15, v61
	s_cbranch_execz .LBB96_5
; %bb.2:
	v_subrev_nc_u32_e32 v1, s15, v61
	s_mov_b32 s19, 0
	s_mov_b64 s[2:3], 0
	s_mov_b32 s5, s4
	s_mov_b32 s6, s4
	v_cmp_lt_u32_e32 vcc_lo, 1, v1
	s_mov_b32 s7, s4
	v_cndmask_b32_e32 v5, 1, v1, vcc_lo
	.p2align	6
.LBB96_3:                               ; =>This Inner Loop Header: Depth=1
	s_cmp_lg_u32 s2, 3
	s_cselect_b32 s7, s7, 0
	s_cmp_lg_u32 s2, 2
	s_cselect_b32 s6, s6, 0
	;; [unrolled: 2-line block ×4, first 2 shown]
	s_add_u32 s2, s2, 1
	v_dual_mov_b32 v1, s4 :: v_dual_mov_b32 v2, s5
	v_cmp_eq_u32_e32 vcc_lo, s2, v5
	v_dual_mov_b32 v3, s6 :: v_dual_mov_b32 v4, s7
	s_addc_u32 s3, s3, 0
	s_or_b32 s19, vcc_lo, s19
	s_delay_alu instid0(SALU_CYCLE_1)
	s_and_not1_b32 exec_lo, exec_lo, s19
	s_cbranch_execnz .LBB96_3
; %bb.4:
	s_or_b32 exec_lo, exec_lo, s19
	v_mov_b32_e32 v61, s15
.LBB96_5:
	s_or_b32 exec_lo, exec_lo, s18
.LBB96_6:
	s_delay_alu instid0(SALU_CYCLE_1)
	s_or_b32 exec_lo, exec_lo, s14
	s_load_b64 s[6:7], s[0:1], 0x28
	v_and_b32_e32 v8, 0x3ff, v0
	s_mul_i32 s2, s10, 3
	s_mov_b32 s4, exec_lo
	s_min_u32 s3, s2, 0x8000
	s_delay_alu instid0(VALU_DEP_1) | instskip(NEXT) | instid1(VALU_DEP_1)
	v_lshlrev_b32_e32 v0, 3, v8
	v_lshl_add_u32 v9, v7, 9, v0
	s_delay_alu instid0(VALU_DEP_1)
	v_cmpx_gt_u32_e64 s3, v9
	s_cbranch_execz .LBB96_9
; %bb.7:
	v_lshlrev_b32_e32 v10, 10, v7
	v_lshlrev_b32_e32 v11, 4, v8
	s_mov_b32 s5, 0
	s_delay_alu instid0(VALU_DEP_1) | instskip(NEXT) | instid1(VALU_DEP_1)
	v_add_co_u32 v5, s2, v10, v11
	v_add_co_ci_u32_e64 v6, null, 0, 0, s2
	v_add_nc_u32_e32 v10, v10, v11
	s_delay_alu instid0(VALU_DEP_3) | instskip(NEXT) | instid1(VALU_DEP_3)
	v_add_co_u32 v5, vcc_lo, s12, v5
	v_add_co_ci_u32_e32 v6, vcc_lo, s13, v6, vcc_lo
	.p2align	6
.LBB96_8:                               ; =>This Inner Loop Header: Depth=1
	global_load_b128 v[11:14], v[5:6], off
	v_add_nc_u32_e32 v9, 0x2000, v9
	v_add_co_u32 v5, vcc_lo, 0x4000, v5
	v_add_co_ci_u32_e32 v6, vcc_lo, 0, v6, vcc_lo
	s_delay_alu instid0(VALU_DEP_3) | instskip(NEXT) | instid1(VALU_DEP_1)
	v_cmp_le_u32_e64 s2, s3, v9
	s_or_b32 s5, s2, s5
	s_waitcnt vmcnt(0)
	ds_store_b128 v10, v[11:14]
	v_add_nc_u32_e32 v10, 0x4000, v10
	s_and_not1_b32 exec_lo, exec_lo, s5
	s_cbranch_execnz .LBB96_8
.LBB96_9:
	s_or_b32 exec_lo, exec_lo, s4
	v_cmp_gt_u32_e32 vcc_lo, s20, v7
	v_cmp_gt_u32_e64 s2, s11, v61
	s_waitcnt lgkmcnt(0)
	s_barrier
	buffer_gl0_inv
	s_and_b32 s2, vcc_lo, s2
	s_delay_alu instid0(SALU_CYCLE_1)
	s_and_saveexec_b32 s3, s2
	s_cbranch_execz .LBB96_76
; %bb.10:
	s_cmp_lg_u32 s8, 0
	v_cvt_f32_u32_e32 v6, s16
	s_cselect_b32 s22, -1, 0
	s_add_i32 s23, s8, -8
	s_add_i32 s24, s11, -1
	s_cmp_lg_u64 s[6:7], 0
	v_rcp_iflag_f32_e32 v6, v6
	s_cselect_b32 s25, -1, 0
	s_abs_i32 s2, s17
	s_clause 0x1
	s_load_b64 s[14:15], s[0:1], 0x18
	s_load_b64 s[18:19], s[0:1], 0x30
	v_cvt_f32_u32_e32 v5, s2
	s_mul_i32 s0, s20, s21
	s_add_i32 s20, s11, -4
	s_lshl_b32 s17, s0, 2
	s_sub_i32 s0, 0, s2
	v_rcp_iflag_f32_e32 v5, v5
	s_sub_i32 s3, 0, s16
	s_sub_i32 s4, 1, s2
	v_mov_b32_e32 v63, 0
	v_lshlrev_b32_e32 v79, 4, v8
	v_mbcnt_lo_u32_b32 v83, -1, 0
	s_mov_b32 s21, 0
	s_waitcnt_depctr 0xfff
	v_dual_mul_f32 v5, 0x4f7ffffe, v5 :: v_dual_add_nc_u32 v80, s10, v0
	s_delay_alu instid0(VALU_DEP_1) | instskip(NEXT) | instid1(VALU_DEP_1)
	v_cvt_u32_f32_e32 v5, v5
	v_readfirstlane_b32 s1, v5
	v_mul_f32_e32 v5, 0x4f7ffffe, v6
	s_delay_alu instid0(VALU_DEP_2) | instskip(NEXT) | instid1(VALU_DEP_1)
	s_mul_i32 s0, s0, s1
	v_cvt_u32_f32_e32 v5, v5
	s_mul_hi_u32 s0, s1, s0
	s_delay_alu instid0(SALU_CYCLE_1) | instskip(SKIP_1) | instid1(VALU_DEP_1)
	s_add_i32 s1, s1, s0
	s_cmp_lt_u32 s2, 2
	v_mul_lo_u32 v6, s3, v5
	s_cselect_b32 s0, s4, 1
	s_delay_alu instid0(SALU_CYCLE_1) | instskip(SKIP_3) | instid1(VALU_DEP_1)
	s_sub_i32 s4, s0, s2
	s_cmp_ge_u32 s0, s2
	s_cselect_b32 s27, s4, s0
	s_lshr_b32 s1, s1, 31
	v_mul_hi_u32 v6, v5, v6
	s_mul_i32 s1, s1, s2
	v_cmp_eq_u32_e64 s0, 63, v8
	s_sub_i32 s1, 2, s1
	s_mul_i32 s27, s27, s16
	s_sub_i32 s3, s1, s2
	s_cmp_ge_u32 s1, s2
	s_cselect_b32 s1, s3, s1
	v_add_nc_u32_e32 v81, v5, v6
	s_sub_i32 s3, s1, s2
	s_cmp_ge_u32 s1, s2
	s_cselect_b32 s28, s3, s1
	s_lshl_b32 s26, s10, 1
	s_mul_i32 s28, s28, s16
	v_add_nc_u32_e32 v82, s26, v0
	s_lshl_b32 s10, s10, 2
	s_branch .LBB96_13
.LBB96_11:                              ;   in Loop: Header=BB96_13 Depth=1
	s_or_b32 exec_lo, exec_lo, s30
	v_mov_b32_e32 v61, s20
.LBB96_12:                              ;   in Loop: Header=BB96_13 Depth=1
	s_or_b32 exec_lo, exec_lo, s29
	s_delay_alu instid0(VALU_DEP_1) | instskip(SKIP_1) | instid1(SALU_CYCLE_1)
	v_cmp_le_u32_e32 vcc_lo, s11, v61
	s_or_b32 s21, vcc_lo, s21
	s_and_not1_b32 exec_lo, exec_lo, s21
	s_cbranch_execz .LBB96_76
.LBB96_13:                              ; =>This Loop Header: Depth=1
                                        ;     Child Loop BB96_18 Depth 2
                                        ;     Child Loop BB96_63 Depth 2
	v_dual_mov_b32 v95, v63 :: v_dual_add_nc_u32 v66, 1, v61
	v_dual_mov_b32 v94, v63 :: v_dual_add_nc_u32 v65, 2, v61
	;; [unrolled: 1-line block ×3, first 2 shown]
	v_mov_b32_e32 v92, v63
	v_mov_b32_e32 v91, v63
	v_mov_b32_e32 v90, v63
	v_mov_b32_e32 v89, v63
	v_mov_b32_e32 v88, v63
	v_mov_b32_e32 v85, v63
	v_mov_b32_e32 v86, v63
	v_mov_b32_e32 v87, v63
	v_mov_b32_e32 v84, v63
	s_and_not1_b32 vcc_lo, exec_lo, s22
	s_cbranch_vccnz .LBB96_44
; %bb.14:                               ;   in Loop: Header=BB96_13 Depth=1
	v_min_u32_e32 v5, s24, v61
	v_min_u32_e32 v6, s24, v66
	s_waitcnt lgkmcnt(0)
	v_min_u32_e32 v7, s24, v65
	v_min_u32_e32 v8, s24, v64
	v_dual_mov_b32 v10, v63 :: v_dual_mov_b32 v89, 0
	v_mul_lo_u32 v62, v5, s9
	v_mul_lo_u32 v5, v6, s9
	v_mul_lo_u32 v7, v7, s9
	v_mul_lo_u32 v9, v8, s9
	v_dual_mov_b32 v6, v63 :: v_dual_mov_b32 v87, 0
	v_dual_mov_b32 v8, v63 :: v_dual_mov_b32 v85, 0
	v_lshlrev_b64 v[67:68], 1, v[62:63]
	s_delay_alu instid0(VALU_DEP_3) | instskip(SKIP_1) | instid1(VALU_DEP_4)
	v_lshlrev_b64 v[69:70], 1, v[5:6]
	v_dual_mov_b32 v84, 0 :: v_dual_mov_b32 v91, 0
	v_lshlrev_b64 v[71:72], 1, v[7:8]
	v_lshlrev_b64 v[73:74], 1, v[9:10]
	v_dual_mov_b32 v96, v79 :: v_dual_mov_b32 v93, 0
	v_dual_mov_b32 v86, 0 :: v_dual_mov_b32 v95, 0
	v_mov_b32_e32 v88, 0
	v_mov_b32_e32 v90, 0
	;; [unrolled: 1-line block ×4, first 2 shown]
	s_mov_b32 s1, 0
	s_branch .LBB96_18
.LBB96_15:                              ;   in Loop: Header=BB96_18 Depth=2
	s_or_b32 exec_lo, exec_lo, s4
.LBB96_16:                              ;   in Loop: Header=BB96_18 Depth=2
	s_delay_alu instid0(SALU_CYCLE_1)
	s_or_b32 exec_lo, exec_lo, s3
.LBB96_17:                              ;   in Loop: Header=BB96_18 Depth=2
	s_delay_alu instid0(SALU_CYCLE_1)
	s_or_b32 exec_lo, exec_lo, s2
	s_waitcnt vmcnt(0) lgkmcnt(0)
	;;#ASMSTART
	v_dot2_f32_f16 v95, v45, v25, v95
	;;#ASMEND
	;;#ASMSTART
	v_dot2_f32_f16 v94, v45, v21, v94
	;;#ASMEND
	;; [unrolled: 3-line block ×36, first 2 shown]
	v_add_nc_u32_e32 v96, 0x800, v96
	;;#ASMSTART
	v_dot2_f32_f16 v95, v48, v28, v95
	;;#ASMEND
	;;#ASMSTART
	v_dot2_f32_f16 v94, v48, v24, v94
	;;#ASMEND
	;; [unrolled: 3-line block ×12, first 2 shown]
	s_addk_i32 s1, 0x400
	;;#ASMSTART
	v_dot2_f32_f16 v95, v57, v17, v95
	;;#ASMEND
	;;#ASMSTART
	v_dot2_f32_f16 v94, v57, v13, v94
	;;#ASMEND
	;; [unrolled: 3-line block ×24, first 2 shown]
	s_cmp_ge_u32 s1, s8
	;;#ASMSTART
	v_dot2_f32_f16 v95, v59, v19, v95
	;;#ASMEND
	;;#ASMSTART
	v_dot2_f32_f16 v94, v59, v15, v94
	;;#ASMEND
	;; [unrolled: 3-line block ×24, first 2 shown]
	s_cbranch_scc1 .LBB96_44
.LBB96_18:                              ;   Parent Loop BB96_13 Depth=1
                                        ; =>  This Inner Loop Header: Depth=2
	v_dual_mov_b32 v51, 0 :: v_dual_add_nc_u32 v76, s1, v0
	v_dual_mov_b32 v50, 0 :: v_dual_mov_b32 v49, 0
	v_dual_mov_b32 v56, 0 :: v_dual_mov_b32 v55, 0
	s_delay_alu instid0(VALU_DEP_3) | instskip(SKIP_2) | instid1(VALU_DEP_3)
	v_min_u32_e32 v62, s23, v76
	v_dual_mov_b32 v52, 0 :: v_dual_add_nc_u32 v75, 0x200, v76
	v_dual_mov_b32 v54, 0 :: v_dual_mov_b32 v53, 0
	v_lshlrev_b64 v[5:6], 1, v[62:63]
	s_delay_alu instid0(VALU_DEP_3) | instskip(SKIP_3) | instid1(VALU_DEP_4)
	v_min_u32_e32 v62, s23, v75
	v_dual_mov_b32 v44, 0 :: v_dual_mov_b32 v43, 0
	v_dual_mov_b32 v42, 0 :: v_dual_mov_b32 v41, 0
	s_waitcnt lgkmcnt(0)
	v_add_co_u32 v13, vcc_lo, s14, v5
	v_add_co_ci_u32_e32 v14, vcc_lo, s15, v6, vcc_lo
	v_lshlrev_b64 v[5:6], 1, v[62:63]
	s_delay_alu instid0(VALU_DEP_3) | instskip(NEXT) | instid1(VALU_DEP_3)
	v_add_co_u32 v7, vcc_lo, v13, v67
	v_add_co_ci_u32_e32 v8, vcc_lo, v14, v68, vcc_lo
	v_add_co_u32 v9, vcc_lo, v13, v69
	v_add_co_ci_u32_e32 v10, vcc_lo, v14, v70, vcc_lo
	;; [unrolled: 2-line block ×5, first 2 shown]
	s_clause 0x1
	global_load_b128 v[25:28], v[7:8], off slc dlc
	global_load_b128 v[21:24], v[9:10], off slc dlc
	v_add_co_u32 v7, vcc_lo, v15, v67
	v_add_co_ci_u32_e32 v8, vcc_lo, v16, v68, vcc_lo
	v_add_co_u32 v9, vcc_lo, v15, v69
	v_add_co_ci_u32_e32 v10, vcc_lo, v16, v70, vcc_lo
	s_waitcnt vmcnt(10)
	v_add_co_u32 v37, vcc_lo, v15, v71
	v_add_co_ci_u32_e32 v38, vcc_lo, v16, v72, vcc_lo
	v_add_co_u32 v39, vcc_lo, v15, v73
	v_add_co_ci_u32_e32 v40, vcc_lo, v16, v74, vcc_lo
	s_clause 0x5
	global_load_b128 v[33:36], v[11:12], off slc dlc
	global_load_b128 v[29:32], v[5:6], off slc dlc
	global_load_b128 v[17:20], v[7:8], off slc dlc
	global_load_b128 v[13:16], v[9:10], off slc dlc
	global_load_b128 v[9:12], v[37:38], off slc dlc
	global_load_b128 v[5:8], v[39:40], off slc dlc
	v_cmp_gt_u32_e32 vcc_lo, s8, v76
	v_dual_mov_b32 v40, 0 :: v_dual_mov_b32 v39, 0
	v_dual_mov_b32 v38, 0 :: v_dual_mov_b32 v37, 0
	;; [unrolled: 1-line block ×6, first 2 shown]
	s_and_saveexec_b32 s2, vcc_lo
	s_cbranch_execz .LBB96_17
; %bb.19:                               ;   in Loop: Header=BB96_18 Depth=2
	s_mov_b32 s3, exec_lo
                                        ; implicit-def: $vgpr48
	v_cmpx_lt_u32_e32 0x7fff, v76
	s_xor_b32 s3, exec_lo, s3
	s_cbranch_execz .LBB96_21
; %bb.20:                               ;   in Loop: Header=BB96_18 Depth=2
	v_mov_b32_e32 v77, v63
	s_delay_alu instid0(VALU_DEP_1) | instskip(NEXT) | instid1(VALU_DEP_1)
	v_lshlrev_b64 v[37:38], 1, v[76:77]
	v_add_co_u32 v37, vcc_lo, s12, v37
	s_delay_alu instid0(VALU_DEP_2)
	v_add_co_ci_u32_e32 v38, vcc_lo, s13, v38, vcc_lo
	global_load_b128 v[45:48], v[37:38], off
.LBB96_21:                              ;   in Loop: Header=BB96_18 Depth=2
	s_and_not1_saveexec_b32 s3, s3
	s_cbranch_execz .LBB96_23
; %bb.22:                               ;   in Loop: Header=BB96_18 Depth=2
	s_waitcnt vmcnt(0)
	ds_load_b128 v[45:48], v96
.LBB96_23:                              ;   in Loop: Header=BB96_18 Depth=2
	s_or_b32 exec_lo, exec_lo, s3
	v_add_nc_u32_e32 v62, s1, v80
	s_mov_b32 s3, exec_lo
                                        ; implicit-def: $vgpr44
	s_delay_alu instid0(VALU_DEP_1)
	v_cmpx_lt_u32_e32 0x7fff, v62
	s_xor_b32 s3, exec_lo, s3
	s_cbranch_execz .LBB96_25
; %bb.24:                               ;   in Loop: Header=BB96_18 Depth=2
	v_lshlrev_b64 v[37:38], 1, v[62:63]
	s_delay_alu instid0(VALU_DEP_1) | instskip(NEXT) | instid1(VALU_DEP_2)
	v_add_co_u32 v37, vcc_lo, s12, v37
	v_add_co_ci_u32_e32 v38, vcc_lo, s13, v38, vcc_lo
	global_load_b128 v[41:44], v[37:38], off
.LBB96_25:                              ;   in Loop: Header=BB96_18 Depth=2
	s_and_not1_saveexec_b32 s3, s3
	s_cbranch_execz .LBB96_27
; %bb.26:                               ;   in Loop: Header=BB96_18 Depth=2
	v_add_nc_u32_e32 v37, s26, v96
	s_waitcnt vmcnt(0)
	ds_load_b128 v[41:44], v37
.LBB96_27:                              ;   in Loop: Header=BB96_18 Depth=2
	s_or_b32 exec_lo, exec_lo, s3
	v_add_nc_u32_e32 v77, s1, v82
	s_mov_b32 s3, exec_lo
                                        ; implicit-def: $vgpr40
	s_delay_alu instid0(VALU_DEP_1)
	v_cmpx_lt_u32_e32 0x7fff, v77
	s_xor_b32 s3, exec_lo, s3
	s_cbranch_execz .LBB96_29
; %bb.28:                               ;   in Loop: Header=BB96_18 Depth=2
	v_mov_b32_e32 v78, v63
	s_delay_alu instid0(VALU_DEP_1) | instskip(NEXT) | instid1(VALU_DEP_1)
	v_lshlrev_b64 v[37:38], 1, v[77:78]
	v_add_co_u32 v37, vcc_lo, s12, v37
	s_delay_alu instid0(VALU_DEP_2)
	v_add_co_ci_u32_e32 v38, vcc_lo, s13, v38, vcc_lo
	global_load_b128 v[37:40], v[37:38], off
.LBB96_29:                              ;   in Loop: Header=BB96_18 Depth=2
	s_and_not1_saveexec_b32 s3, s3
	s_cbranch_execz .LBB96_31
; %bb.30:                               ;   in Loop: Header=BB96_18 Depth=2
	s_waitcnt vmcnt(0)
	v_add_nc_u32_e32 v39, s10, v96
	ds_load_2addr_b32 v[37:38], v39 offset1:1
	ds_load_2addr_b32 v[39:40], v39 offset0:2 offset1:3
.LBB96_31:                              ;   in Loop: Header=BB96_18 Depth=2
	s_or_b32 exec_lo, exec_lo, s3
	v_dual_mov_b32 v52, 0 :: v_dual_mov_b32 v51, 0
	v_dual_mov_b32 v50, 0 :: v_dual_mov_b32 v49, 0
	;; [unrolled: 1-line block ×6, first 2 shown]
	s_mov_b32 s3, exec_lo
	v_cmpx_gt_u32_e64 s8, v75
	s_cbranch_execz .LBB96_16
; %bb.32:                               ;   in Loop: Header=BB96_18 Depth=2
	s_mov_b32 s4, exec_lo
                                        ; implicit-def: $vgpr60
	v_cmpx_lt_u32_e32 0x7fff, v75
	s_xor_b32 s4, exec_lo, s4
	s_cbranch_execz .LBB96_34
; %bb.33:                               ;   in Loop: Header=BB96_18 Depth=2
	v_mov_b32_e32 v76, v63
	s_delay_alu instid0(VALU_DEP_1) | instskip(NEXT) | instid1(VALU_DEP_1)
	v_lshlrev_b64 v[49:50], 1, v[75:76]
	v_add_co_u32 v49, vcc_lo, s12, v49
	s_delay_alu instid0(VALU_DEP_2)
	v_add_co_ci_u32_e32 v50, vcc_lo, s13, v50, vcc_lo
	global_load_b128 v[57:60], v[49:50], off
.LBB96_34:                              ;   in Loop: Header=BB96_18 Depth=2
	s_and_not1_saveexec_b32 s4, s4
	s_cbranch_execz .LBB96_36
; %bb.35:                               ;   in Loop: Header=BB96_18 Depth=2
	s_waitcnt vmcnt(0)
	ds_load_b128 v[57:60], v96 offset:1024
.LBB96_36:                              ;   in Loop: Header=BB96_18 Depth=2
	s_or_b32 exec_lo, exec_lo, s4
	v_add_nc_u32_e32 v62, 0x200, v62
	s_mov_b32 s4, exec_lo
                                        ; implicit-def: $vgpr56
	s_delay_alu instid0(VALU_DEP_1)
	v_cmpx_lt_u32_e32 0x7fff, v62
	s_xor_b32 s4, exec_lo, s4
	s_cbranch_execz .LBB96_38
; %bb.37:                               ;   in Loop: Header=BB96_18 Depth=2
	v_lshlrev_b64 v[49:50], 1, v[62:63]
	s_delay_alu instid0(VALU_DEP_1) | instskip(NEXT) | instid1(VALU_DEP_2)
	v_add_co_u32 v49, vcc_lo, s12, v49
	v_add_co_ci_u32_e32 v50, vcc_lo, s13, v50, vcc_lo
	global_load_b128 v[53:56], v[49:50], off
.LBB96_38:                              ;   in Loop: Header=BB96_18 Depth=2
	s_and_not1_saveexec_b32 s4, s4
	s_cbranch_execz .LBB96_40
; %bb.39:                               ;   in Loop: Header=BB96_18 Depth=2
	v_add_nc_u32_e32 v49, s26, v96
	s_waitcnt vmcnt(0)
	ds_load_b128 v[53:56], v49 offset:1024
.LBB96_40:                              ;   in Loop: Header=BB96_18 Depth=2
	s_or_b32 exec_lo, exec_lo, s4
	v_add_nc_u32_e32 v62, 0x200, v77
	s_mov_b32 s4, exec_lo
                                        ; implicit-def: $vgpr52
	s_delay_alu instid0(VALU_DEP_1)
	v_cmpx_lt_u32_e32 0x7fff, v62
	s_xor_b32 s4, exec_lo, s4
	s_cbranch_execz .LBB96_42
; %bb.41:                               ;   in Loop: Header=BB96_18 Depth=2
	v_lshlrev_b64 v[49:50], 1, v[62:63]
	s_delay_alu instid0(VALU_DEP_1) | instskip(NEXT) | instid1(VALU_DEP_2)
	v_add_co_u32 v49, vcc_lo, s12, v49
	v_add_co_ci_u32_e32 v50, vcc_lo, s13, v50, vcc_lo
	global_load_b128 v[49:52], v[49:50], off
.LBB96_42:                              ;   in Loop: Header=BB96_18 Depth=2
	s_and_not1_saveexec_b32 s4, s4
	s_cbranch_execz .LBB96_15
; %bb.43:                               ;   in Loop: Header=BB96_18 Depth=2
	s_waitcnt vmcnt(0)
	v_add_nc_u32_e32 v49, s10, v96
	s_delay_alu instid0(VALU_DEP_1)
	v_add_nc_u32_e32 v50, 0x400, v49
	v_add_nc_u32_e32 v51, 0x408, v49
	ds_load_2addr_b32 v[49:50], v50 offset1:1
	ds_load_2addr_b32 v[51:52], v51 offset1:1
	s_branch .LBB96_15
.LBB96_44:                              ;   in Loop: Header=BB96_13 Depth=1
	v_cvt_i32_f32_e32 v5, v95
	v_cvt_i32_f32_e32 v6, v94
	s_waitcnt lgkmcnt(0)
	v_xor_b32_e32 v7, 16, v83
	v_cvt_i32_f32_e32 v8, v93
	v_cvt_i32_f32_e32 v10, v91
	v_cvt_f32_i32_dpp v5, v5 row_shr:8 row_mask:0xf bank_mask:0xf bound_ctrl:1
	v_cvt_f32_i32_dpp v6, v6 row_shr:8 row_mask:0xf bank_mask:0xf bound_ctrl:1
	v_cmp_gt_i32_e32 vcc_lo, 32, v7
	v_cvt_i32_f32_e32 v9, v92
	v_cvt_f32_i32_dpp v8, v8 row_shr:8 row_mask:0xf bank_mask:0xf bound_ctrl:1
	s_delay_alu instid0(VALU_DEP_4) | instskip(SKIP_3) | instid1(VALU_DEP_4)
	v_dual_add_f32 v5, v95, v5 :: v_dual_add_f32 v6, v94, v6
	v_cvt_f32_i32_dpp v10, v10 row_shr:8 row_mask:0xf bank_mask:0xf bound_ctrl:1
	v_cvt_i32_f32_e32 v11, v90
	v_cvt_i32_f32_e32 v12, v89
	v_cvt_i32_f32_e32 v13, v5
	v_cvt_i32_f32_e32 v14, v6
	v_cvt_f32_i32_dpp v9, v9 row_shr:8 row_mask:0xf bank_mask:0xf bound_ctrl:1
	v_cvt_f32_i32_dpp v11, v11 row_shr:8 row_mask:0xf bank_mask:0xf bound_ctrl:1
	;; [unrolled: 1-line block ×5, first 2 shown]
	v_cndmask_b32_e32 v7, v83, v7, vcc_lo
	s_delay_alu instid0(VALU_DEP_4) | instskip(NEXT) | instid1(VALU_DEP_4)
	v_dual_add_f32 v9, v92, v9 :: v_dual_add_f32 v12, v89, v12
	v_dual_add_f32 v5, v5, v13 :: v_dual_add_f32 v10, v91, v10
	s_delay_alu instid0(VALU_DEP_3) | instskip(SKIP_1) | instid1(VALU_DEP_3)
	v_dual_add_f32 v6, v6, v14 :: v_dual_lshlrev_b32 v7, 2, v7
	v_add_f32_e32 v8, v93, v8
	v_cvt_i32_f32_e32 v13, v5
	v_cvt_i32_f32_e32 v16, v9
	s_delay_alu instid0(VALU_DEP_4) | instskip(SKIP_3) | instid1(VALU_DEP_4)
	v_cvt_i32_f32_e32 v14, v6
	v_cvt_i32_f32_e32 v17, v10
	;; [unrolled: 1-line block ×3, first 2 shown]
	v_cvt_f32_i32_dpp v13, v13 row_shr:2 row_mask:0xf bank_mask:0xf bound_ctrl:1
	v_cvt_f32_i32_dpp v14, v14 row_shr:2 row_mask:0xf bank_mask:0xf bound_ctrl:1
	s_delay_alu instid0(VALU_DEP_4) | instskip(NEXT) | instid1(VALU_DEP_3)
	v_cvt_f32_i32_dpp v17, v17 row_shr:4 row_mask:0xf bank_mask:0xf bound_ctrl:1
	v_add_f32_e32 v5, v5, v13
	v_cvt_i32_f32_e32 v13, v12
	s_delay_alu instid0(VALU_DEP_4)
	v_add_f32_e32 v6, v6, v14
	v_cvt_f32_i32_dpp v14, v15 row_shr:4 row_mask:0xf bank_mask:0xf bound_ctrl:1
	v_add_f32_e32 v11, v90, v11
	v_cvt_f32_i32_dpp v15, v16 row_shr:4 row_mask:0xf bank_mask:0xf bound_ctrl:1
	v_cvt_i32_f32_e32 v16, v5
	v_cvt_i32_f32_e32 v19, v6
	v_add_f32_e32 v8, v8, v14
	v_cvt_i32_f32_e32 v18, v11
	v_cvt_f32_i32_dpp v13, v13 row_shr:4 row_mask:0xf bank_mask:0xf bound_ctrl:1
	v_cvt_f32_i32_dpp v16, v16 row_shr:1 row_mask:0xf bank_mask:0xf bound_ctrl:1
	;; [unrolled: 1-line block ×3, first 2 shown]
	v_dual_add_f32 v9, v9, v15 :: v_dual_add_f32 v10, v10, v17
	v_cvt_f32_i32_dpp v18, v18 row_shr:4 row_mask:0xf bank_mask:0xf bound_ctrl:1
	s_delay_alu instid0(VALU_DEP_4) | instskip(NEXT) | instid1(VALU_DEP_4)
	v_add_f32_e32 v27, v5, v16
	v_dual_add_f32 v21, v6, v19 :: v_dual_add_f32 v6, v12, v13
	s_delay_alu instid0(VALU_DEP_4) | instskip(NEXT) | instid1(VALU_DEP_4)
	v_cvt_i32_f32_e32 v12, v9
	v_add_f32_e32 v5, v11, v18
	v_cvt_i32_f32_e32 v11, v8
	v_cvt_i32_f32_e32 v13, v10
	;; [unrolled: 1-line block ×3, first 2 shown]
	v_cvt_f32_i32_dpp v12, v12 row_shr:2 row_mask:0xf bank_mask:0xf bound_ctrl:1
	v_cvt_i32_f32_e32 v16, v85
	v_cvt_f32_i32_dpp v11, v11 row_shr:2 row_mask:0xf bank_mask:0xf bound_ctrl:1
	v_cvt_f32_i32_dpp v13, v13 row_shr:2 row_mask:0xf bank_mask:0xf bound_ctrl:1
	;; [unrolled: 1-line block ×3, first 2 shown]
	v_add_f32_e32 v9, v9, v12
	v_cvt_f32_i32_dpp v16, v16 row_shr:8 row_mask:0xf bank_mask:0xf bound_ctrl:1
	v_add_f32_e32 v8, v8, v11
	v_add_f32_e32 v10, v10, v13
	v_cvt_i32_f32_e32 v14, v5
	v_cvt_i32_f32_e32 v12, v9
	v_add_f32_e32 v6, v6, v15
	v_cvt_i32_f32_e32 v11, v8
	v_cvt_i32_f32_e32 v13, v10
	v_cvt_f32_i32_dpp v14, v14 row_shr:2 row_mask:0xf bank_mask:0xf bound_ctrl:1
	v_cvt_f32_i32_dpp v12, v12 row_shr:1 row_mask:0xf bank_mask:0xf bound_ctrl:1
	v_add_f32_e32 v16, v85, v16
	v_cvt_f32_i32_dpp v11, v11 row_shr:1 row_mask:0xf bank_mask:0xf bound_ctrl:1
	v_cvt_f32_i32_dpp v13, v13 row_shr:1 row_mask:0xf bank_mask:0xf bound_ctrl:1
	v_add_f32_e32 v5, v5, v14
	v_add_f32_e32 v18, v9, v12
	v_cvt_i32_f32_e32 v9, v84
	s_waitcnt vmcnt(0)
	v_cvt_i32_f32_e32 v29, v16
	v_add_f32_e32 v13, v10, v13
	v_cvt_i32_f32_e32 v14, v5
	v_cvt_i32_f32_e32 v15, v6
	v_cvt_f32_i32_dpp v9, v9 row_shr:8 row_mask:0xf bank_mask:0xf bound_ctrl:1
	v_cvt_f32_i32_dpp v29, v29 row_shr:4 row_mask:0xf bank_mask:0xf bound_ctrl:1
	ds_bpermute_b32 v28, v7, v27
	v_cvt_f32_i32_dpp v14, v14 row_shr:1 row_mask:0xf bank_mask:0xf bound_ctrl:1
	v_add_f32_e32 v23, v8, v11
	v_cvt_i32_f32_e32 v11, v87
	v_cvt_f32_i32_dpp v15, v15 row_shr:1 row_mask:0xf bank_mask:0xf bound_ctrl:1
	ds_bpermute_b32 v22, v7, v21
	v_add_f32_e32 v10, v5, v14
	v_cvt_i32_f32_e32 v14, v86
	v_cvt_f32_i32_dpp v11, v11 row_shr:8 row_mask:0xf bank_mask:0xf bound_ctrl:1
	v_cvt_i32_f32_e32 v5, v88
	ds_bpermute_b32 v25, v7, v23
	ds_bpermute_b32 v20, v7, v18
	v_cvt_f32_i32_dpp v14, v14 row_shr:8 row_mask:0xf bank_mask:0xf bound_ctrl:1
	v_add_f32_e32 v9, v84, v9
	v_cvt_f32_i32_dpp v5, v5 row_shr:8 row_mask:0xf bank_mask:0xf bound_ctrl:1
	v_add_f32_e32 v6, v6, v15
	ds_bpermute_b32 v15, v7, v13
	v_add_f32_e32 v14, v86, v14
	v_cvt_i32_f32_e32 v19, v9
	v_add_f32_e32 v5, v88, v5
	v_add_f32_e32 v16, v16, v29
	ds_bpermute_b32 v12, v7, v10
	v_cvt_i32_f32_e32 v26, v14
	v_cvt_f32_i32_dpp v19, v19 row_shr:4 row_mask:0xf bank_mask:0xf bound_ctrl:1
	v_cvt_i32_f32_e32 v17, v5
	v_cvt_i32_f32_e32 v29, v16
	ds_bpermute_b32 v8, v7, v6
	v_cvt_f32_i32_dpp v26, v26 row_shr:4 row_mask:0xf bank_mask:0xf bound_ctrl:1
	v_add_f32_e32 v11, v87, v11
	v_add_f32_e32 v9, v9, v19
	v_cvt_f32_i32_dpp v29, v29 row_shr:2 row_mask:0xf bank_mask:0xf bound_ctrl:1
	v_cvt_f32_i32_dpp v17, v17 row_shr:4 row_mask:0xf bank_mask:0xf bound_ctrl:1
	v_add_f32_e32 v14, v14, v26
	v_cvt_i32_f32_e32 v24, v11
	v_cvt_i32_f32_e32 v19, v9
	v_add_f32_e32 v16, v16, v29
	s_delay_alu instid0(VALU_DEP_4) | instskip(NEXT) | instid1(VALU_DEP_4)
	v_cvt_i32_f32_e32 v26, v14
	v_cvt_f32_i32_dpp v24, v24 row_shr:4 row_mask:0xf bank_mask:0xf bound_ctrl:1
	s_delay_alu instid0(VALU_DEP_4) | instskip(NEXT) | instid1(VALU_DEP_4)
	v_cvt_f32_i32_dpp v19, v19 row_shr:2 row_mask:0xf bank_mask:0xf bound_ctrl:1
	v_cvt_i32_f32_e32 v29, v16
	s_delay_alu instid0(VALU_DEP_4) | instskip(NEXT) | instid1(VALU_DEP_4)
	v_cvt_f32_i32_dpp v26, v26 row_shr:2 row_mask:0xf bank_mask:0xf bound_ctrl:1
	v_add_f32_e32 v11, v11, v24
	s_delay_alu instid0(VALU_DEP_4) | instskip(NEXT) | instid1(VALU_DEP_4)
	v_add_f32_e32 v9, v9, v19
	v_cvt_f32_i32_dpp v29, v29 row_shr:1 row_mask:0xf bank_mask:0xf bound_ctrl:1
	s_delay_alu instid0(VALU_DEP_4) | instskip(NEXT) | instid1(VALU_DEP_4)
	v_add_f32_e32 v19, v14, v26
	v_cvt_i32_f32_e32 v24, v11
	s_delay_alu instid0(VALU_DEP_2) | instskip(NEXT) | instid1(VALU_DEP_2)
	v_cvt_i32_f32_e32 v26, v19
	v_cvt_f32_i32_dpp v24, v24 row_shr:2 row_mask:0xf bank_mask:0xf bound_ctrl:1
	s_delay_alu instid0(VALU_DEP_2) | instskip(NEXT) | instid1(VALU_DEP_2)
	v_cvt_f32_i32_dpp v26, v26 row_shr:1 row_mask:0xf bank_mask:0xf bound_ctrl:1
	v_add_f32_e32 v11, v11, v24
	s_delay_alu instid0(VALU_DEP_1) | instskip(NEXT) | instid1(VALU_DEP_1)
	v_cvt_i32_f32_e32 v24, v11
	v_cvt_f32_i32_dpp v30, v24 row_shr:1 row_mask:0xf bank_mask:0xf bound_ctrl:1
	v_add_f32_e32 v5, v5, v17
	s_delay_alu instid0(VALU_DEP_1) | instskip(NEXT) | instid1(VALU_DEP_1)
	v_cvt_i32_f32_e32 v17, v5
	v_cvt_f32_i32_dpp v17, v17 row_shr:2 row_mask:0xf bank_mask:0xf bound_ctrl:1
	s_delay_alu instid0(VALU_DEP_1) | instskip(SKIP_1) | instid1(VALU_DEP_2)
	v_add_f32_e32 v5, v5, v17
	v_cvt_i32_f32_e32 v17, v9
	v_cvt_i32_f32_e32 v14, v5
	s_delay_alu instid0(VALU_DEP_2) | instskip(NEXT) | instid1(VALU_DEP_2)
	v_cvt_f32_i32_dpp v17, v17 row_shr:1 row_mask:0xf bank_mask:0xf bound_ctrl:1
	v_cvt_f32_i32_dpp v14, v14 row_shr:1 row_mask:0xf bank_mask:0xf bound_ctrl:1
	s_delay_alu instid0(VALU_DEP_2) | instskip(SKIP_1) | instid1(VALU_DEP_3)
	v_add_f32_e32 v17, v9, v17
	v_add_f32_e32 v9, v19, v26
	;; [unrolled: 1-line block ×3, first 2 shown]
	v_dual_add_f32 v14, v11, v30 :: v_dual_add_f32 v5, v16, v29
	ds_bpermute_b32 v19, v7, v17
	ds_bpermute_b32 v11, v7, v9
	;; [unrolled: 1-line block ×5, first 2 shown]
	s_and_saveexec_b32 s5, s0
	s_cbranch_execz .LBB96_60
; %bb.45:                               ;   in Loop: Header=BB96_13 Depth=1
	v_dual_mov_b32 v40, 0 :: v_dual_mov_b32 v39, 0
	v_dual_mov_b32 v38, 0 :: v_dual_mov_b32 v37, 0
	;; [unrolled: 1-line block ×6, first 2 shown]
	s_and_not1_b32 vcc_lo, exec_lo, s25
	s_cbranch_vccnz .LBB96_47
; %bb.46:                               ;   in Loop: Header=BB96_13 Depth=1
	v_mul_hi_u32 v29, v61, v81
	v_mul_hi_u32 v30, v66, v81
	;; [unrolled: 1-line block ×4, first 2 shown]
	v_mov_b32_e32 v44, v63
	v_mov_b32_e32 v48, v63
	v_mul_lo_u32 v29, v29, s16
	v_mul_lo_u32 v33, v30, s16
	;; [unrolled: 1-line block ×4, first 2 shown]
	s_delay_alu instid0(VALU_DEP_4) | instskip(NEXT) | instid1(VALU_DEP_4)
	v_sub_nc_u32_e32 v29, v61, v29
	v_sub_nc_u32_e32 v33, v66, v33
	s_delay_alu instid0(VALU_DEP_4) | instskip(NEXT) | instid1(VALU_DEP_4)
	v_sub_nc_u32_e32 v31, v65, v31
	v_sub_nc_u32_e32 v34, v64, v32
	s_delay_alu instid0(VALU_DEP_4)
	v_subrev_nc_u32_e32 v35, s16, v29
	v_cmp_le_u32_e32 vcc_lo, s16, v29
	v_mov_b32_e32 v30, v63
	v_subrev_nc_u32_e32 v36, s16, v33
	v_subrev_nc_u32_e32 v37, s16, v31
	v_subrev_nc_u32_e32 v38, s16, v34
	v_cndmask_b32_e32 v29, v29, v35, vcc_lo
	v_cmp_le_u32_e32 vcc_lo, s16, v33
	v_mov_b32_e32 v32, v63
	s_delay_alu instid0(VALU_DEP_3) | instskip(SKIP_2) | instid1(VALU_DEP_2)
	v_subrev_nc_u32_e32 v35, s16, v29
	v_cndmask_b32_e32 v33, v33, v36, vcc_lo
	v_cmp_le_u32_e32 vcc_lo, s16, v31
	v_subrev_nc_u32_e32 v36, s16, v33
	v_cndmask_b32_e32 v31, v31, v37, vcc_lo
	v_cmp_le_u32_e32 vcc_lo, s16, v34
	v_dual_cndmask_b32 v37, v34, v38 :: v_dual_mov_b32 v34, v63
	v_cmp_le_u32_e32 vcc_lo, s16, v29
	s_delay_alu instid0(VALU_DEP_2) | instskip(SKIP_3) | instid1(VALU_DEP_3)
	v_subrev_nc_u32_e32 v39, s16, v37
	v_cndmask_b32_e32 v62, v29, v35, vcc_lo
	v_cmp_le_u32_e32 vcc_lo, s16, v33
	v_subrev_nc_u32_e32 v38, s16, v31
	v_add_nc_u32_e32 v43, s27, v62
	v_cndmask_b32_e32 v29, v33, v36, vcc_lo
	v_cmp_le_u32_e32 vcc_lo, s16, v31
	v_lshlrev_b64 v[35:36], 1, v[62:63]
	v_add_nc_u32_e32 v62, s28, v62
	v_cndmask_b32_e32 v31, v31, v38, vcc_lo
	v_cmp_le_u32_e32 vcc_lo, s16, v37
	s_delay_alu instid0(VALU_DEP_2)
	v_add_nc_u32_e32 v47, s27, v31
	v_cndmask_b32_e32 v33, v37, v39, vcc_lo
	v_lshlrev_b64 v[37:38], 1, v[29:30]
	v_lshlrev_b64 v[39:40], 1, v[31:32]
	v_add_co_u32 v35, vcc_lo, s6, v35
	v_add_co_ci_u32_e32 v36, vcc_lo, s7, v36, vcc_lo
	s_delay_alu instid0(VALU_DEP_4)
	v_add_co_u32 v37, vcc_lo, s6, v37
	v_add_co_ci_u32_e32 v38, vcc_lo, s7, v38, vcc_lo
	v_lshlrev_b64 v[41:42], 1, v[33:34]
	v_add_co_u32 v45, vcc_lo, s6, v39
	v_add_co_ci_u32_e32 v46, vcc_lo, s7, v40, vcc_lo
	v_lshlrev_b64 v[39:40], 1, v[43:44]
	v_add_nc_u32_e32 v43, s27, v29
	v_add_co_u32 v41, vcc_lo, s6, v41
	v_add_co_ci_u32_e32 v42, vcc_lo, s7, v42, vcc_lo
	s_delay_alu instid0(VALU_DEP_3)
	v_lshlrev_b64 v[43:44], 1, v[43:44]
	v_add_co_u32 v49, vcc_lo, s6, v39
	v_add_co_ci_u32_e32 v50, vcc_lo, s7, v40, vcc_lo
	v_lshlrev_b64 v[39:40], 1, v[47:48]
	v_add_nc_u32_e32 v47, s27, v33
	v_add_co_u32 v43, vcc_lo, s6, v43
	v_add_co_ci_u32_e32 v44, vcc_lo, s7, v44, vcc_lo
	s_delay_alu instid0(VALU_DEP_3)
	v_lshlrev_b64 v[47:48], 1, v[47:48]
	v_add_co_u32 v51, vcc_lo, s6, v39
	v_add_co_ci_u32_e32 v52, vcc_lo, s7, v40, vcc_lo
	v_lshlrev_b64 v[39:40], 1, v[62:63]
	v_add_nc_u32_e32 v62, s28, v29
	v_add_co_u32 v29, vcc_lo, s6, v47
	v_add_co_ci_u32_e32 v30, vcc_lo, s7, v48, vcc_lo
	s_delay_alu instid0(VALU_DEP_3) | instskip(SKIP_3) | instid1(VALU_DEP_3)
	v_lshlrev_b64 v[47:48], 1, v[62:63]
	v_add_nc_u32_e32 v62, s28, v31
	v_add_co_u32 v31, vcc_lo, s6, v39
	v_add_co_ci_u32_e32 v32, vcc_lo, s7, v40, vcc_lo
	v_lshlrev_b64 v[39:40], 1, v[62:63]
	v_add_nc_u32_e32 v62, s28, v33
	v_add_co_u32 v47, vcc_lo, s6, v47
	v_add_co_ci_u32_e32 v48, vcc_lo, s7, v48, vcc_lo
	s_delay_alu instid0(VALU_DEP_3) | instskip(SKIP_2) | instid1(VALU_DEP_3)
	v_lshlrev_b64 v[33:34], 1, v[62:63]
	v_add_co_u32 v53, vcc_lo, s6, v39
	v_add_co_ci_u32_e32 v54, vcc_lo, s7, v40, vcc_lo
	v_add_co_u32 v55, vcc_lo, s6, v33
	s_delay_alu instid0(VALU_DEP_4)
	v_add_co_ci_u32_e32 v56, vcc_lo, s7, v34, vcc_lo
	s_clause 0xb
	global_load_u16 v40, v[35:36], off
	global_load_u16 v39, v[37:38], off
	;; [unrolled: 1-line block ×12, first 2 shown]
.LBB96_47:                              ;   in Loop: Header=BB96_13 Depth=1
	v_cmp_ne_u32_e32 vcc_lo, 0, v1
	s_and_saveexec_b32 s2, vcc_lo
	s_cbranch_execnz .LBB96_65
; %bb.48:                               ;   in Loop: Header=BB96_13 Depth=1
	s_or_b32 exec_lo, exec_lo, s2
	v_cmp_ne_u32_e64 s1, 0, v2
	s_delay_alu instid0(VALU_DEP_1)
	s_and_saveexec_b32 s3, s1
	s_cbranch_execnz .LBB96_66
.LBB96_49:                              ;   in Loop: Header=BB96_13 Depth=1
	s_or_b32 exec_lo, exec_lo, s3
	v_cmp_ne_u32_e64 s2, 0, v3
	s_delay_alu instid0(VALU_DEP_1)
	s_and_saveexec_b32 s4, s2
	s_cbranch_execnz .LBB96_67
.LBB96_50:                              ;   in Loop: Header=BB96_13 Depth=1
	s_or_b32 exec_lo, exec_lo, s4
	v_cmp_ne_u32_e64 s3, 0, v4
	s_delay_alu instid0(VALU_DEP_1)
	s_and_saveexec_b32 s29, s3
	s_cbranch_execnz .LBB96_68
.LBB96_51:                              ;   in Loop: Header=BB96_13 Depth=1
	s_or_b32 exec_lo, exec_lo, s29
	v_add_nc_u32_e32 v62, s11, v61
	s_and_saveexec_b32 s29, vcc_lo
	s_cbranch_execnz .LBB96_69
.LBB96_52:                              ;   in Loop: Header=BB96_13 Depth=1
	s_or_b32 exec_lo, exec_lo, s29
	s_and_saveexec_b32 s29, s1
	s_cbranch_execnz .LBB96_70
.LBB96_53:                              ;   in Loop: Header=BB96_13 Depth=1
	s_or_b32 exec_lo, exec_lo, s29
	s_and_saveexec_b32 s29, s2
	s_cbranch_execnz .LBB96_71
.LBB96_54:                              ;   in Loop: Header=BB96_13 Depth=1
	s_or_b32 exec_lo, exec_lo, s29
	s_and_saveexec_b32 s29, s3
	s_cbranch_execnz .LBB96_72
.LBB96_55:                              ;   in Loop: Header=BB96_13 Depth=1
	s_or_b32 exec_lo, exec_lo, s29
	v_add_nc_u32_e32 v62, s11, v62
	s_and_saveexec_b32 s4, vcc_lo
	s_cbranch_execnz .LBB96_73
.LBB96_56:                              ;   in Loop: Header=BB96_13 Depth=1
	s_or_b32 exec_lo, exec_lo, s4
	s_and_saveexec_b32 s4, s1
	s_cbranch_execnz .LBB96_74
.LBB96_57:                              ;   in Loop: Header=BB96_13 Depth=1
	s_or_b32 exec_lo, exec_lo, s4
	s_and_saveexec_b32 s1, s2
	s_cbranch_execnz .LBB96_75
.LBB96_58:                              ;   in Loop: Header=BB96_13 Depth=1
	s_or_b32 exec_lo, exec_lo, s1
	s_delay_alu instid0(SALU_CYCLE_1)
	s_and_b32 exec_lo, exec_lo, s3
	s_cbranch_execz .LBB96_60
.LBB96_59:                              ;   in Loop: Header=BB96_13 Depth=1
	s_waitcnt lgkmcnt(0)
	v_dual_add_f32 v5, v5, v7 :: v_dual_add_nc_u32 v62, 3, v62
	s_waitcnt vmcnt(0)
	v_cvt_f32_f16_e32 v6, v29
	s_delay_alu instid0(VALU_DEP_1) | instskip(NEXT) | instid1(VALU_DEP_3)
	v_add_f32_e32 v7, v5, v6
	v_lshlrev_b64 v[5:6], 1, v[62:63]
	s_delay_alu instid0(VALU_DEP_2) | instskip(NEXT) | instid1(VALU_DEP_2)
	v_cvt_f16_f32_e32 v7, v7
	v_add_co_u32 v5, vcc_lo, s18, v5
	s_delay_alu instid0(VALU_DEP_3)
	v_add_co_ci_u32_e32 v6, vcc_lo, s19, v6, vcc_lo
	global_store_b16 v[5:6], v7, off
.LBB96_60:                              ;   in Loop: Header=BB96_13 Depth=1
	s_or_b32 exec_lo, exec_lo, s5
	v_add_nc_u32_e32 v61, s17, v61
	s_delay_alu instid0(VALU_DEP_1) | instskip(SKIP_1) | instid1(VALU_DEP_2)
	v_add_nc_u32_e32 v5, 4, v61
	v_cmp_gt_u32_e32 vcc_lo, s11, v61
	v_cmp_le_u32_e64 s1, s11, v5
	s_delay_alu instid0(VALU_DEP_1) | instskip(NEXT) | instid1(SALU_CYCLE_1)
	s_and_b32 s1, vcc_lo, s1
	s_and_saveexec_b32 s29, s1
	s_cbranch_execz .LBB96_12
; %bb.61:                               ;   in Loop: Header=BB96_13 Depth=1
	s_mov_b32 s30, exec_lo
	v_cmpx_ne_u32_e64 s20, v61
	s_cbranch_execz .LBB96_11
; %bb.62:                               ;   in Loop: Header=BB96_13 Depth=1
	v_subrev_nc_u32_e32 v5, s20, v61
	s_mov_b32 s31, 0
	s_mov_b64 s[4:5], 0
	s_delay_alu instid0(VALU_DEP_1)
	v_cmp_lt_u32_e32 vcc_lo, 1, v5
	v_cndmask_b32_e32 v5, 1, v5, vcc_lo
	.p2align	6
.LBB96_63:                              ;   Parent Loop BB96_13 Depth=1
                                        ; =>  This Inner Loop Header: Depth=2
	s_cmp_lg_u32 s4, 3
	s_cselect_b32 vcc_lo, -1, 0
	s_cmp_lg_u32 s4, 2
	v_cndmask_b32_e32 v4, 0, v4, vcc_lo
	s_cselect_b32 s1, -1, 0
	s_cmp_lg_u32 s4, 1
	v_cndmask_b32_e64 v3, 0, v3, s1
	s_cselect_b32 s2, -1, 0
	s_cmp_lg_u32 s4, 0
	v_cndmask_b32_e64 v2, 0, v2, s2
	s_cselect_b32 s3, -1, 0
	s_add_u32 s4, s4, 1
	v_cndmask_b32_e64 v1, 0, v1, s3
	v_cmp_eq_u32_e32 vcc_lo, s4, v5
	s_addc_u32 s5, s5, 0
	s_or_b32 s31, vcc_lo, s31
	s_delay_alu instid0(SALU_CYCLE_1)
	s_and_not1_b32 exec_lo, exec_lo, s31
	s_cbranch_execnz .LBB96_63
; %bb.64:                               ;   in Loop: Header=BB96_13 Depth=1
	s_or_b32 exec_lo, exec_lo, s31
	s_branch .LBB96_11
.LBB96_65:                              ;   in Loop: Header=BB96_13 Depth=1
	s_waitcnt lgkmcnt(0)
	v_add_f32_e32 v27, v27, v28
	s_waitcnt vmcnt(11)
	v_cvt_f32_f16_e32 v28, v40
	v_mov_b32_e32 v62, v63
	s_delay_alu instid0(VALU_DEP_2) | instskip(NEXT) | instid1(VALU_DEP_2)
	v_add_f32_e32 v40, v27, v28
	v_lshlrev_b64 v[27:28], 1, v[61:62]
	s_delay_alu instid0(VALU_DEP_2) | instskip(NEXT) | instid1(VALU_DEP_2)
	v_cvt_f16_f32_e32 v40, v40
	v_add_co_u32 v27, s1, s18, v27
	s_delay_alu instid0(VALU_DEP_1) | instskip(SKIP_3) | instid1(VALU_DEP_1)
	v_add_co_ci_u32_e64 v28, s1, s19, v28, s1
	global_store_b16 v[27:28], v40, off
	s_or_b32 exec_lo, exec_lo, s2
	v_cmp_ne_u32_e64 s1, 0, v2
	s_and_saveexec_b32 s3, s1
	s_cbranch_execz .LBB96_49
.LBB96_66:                              ;   in Loop: Header=BB96_13 Depth=1
	s_waitcnt lgkmcnt(0)
	v_add_f32_e32 v21, v21, v22
	s_waitcnt vmcnt(10)
	v_cvt_f32_f16_e32 v22, v39
	v_mov_b32_e32 v67, v63
	s_delay_alu instid0(VALU_DEP_2) | instskip(NEXT) | instid1(VALU_DEP_2)
	v_add_f32_e32 v27, v21, v22
	v_lshlrev_b64 v[21:22], 1, v[66:67]
	s_delay_alu instid0(VALU_DEP_2) | instskip(NEXT) | instid1(VALU_DEP_2)
	v_cvt_f16_f32_e32 v27, v27
	v_add_co_u32 v21, s2, s18, v21
	s_delay_alu instid0(VALU_DEP_1) | instskip(SKIP_3) | instid1(VALU_DEP_1)
	v_add_co_ci_u32_e64 v22, s2, s19, v22, s2
	global_store_b16 v[21:22], v27, off
	s_or_b32 exec_lo, exec_lo, s3
	v_cmp_ne_u32_e64 s2, 0, v3
	s_and_saveexec_b32 s4, s2
	s_cbranch_execz .LBB96_50
.LBB96_67:                              ;   in Loop: Header=BB96_13 Depth=1
	s_waitcnt lgkmcnt(0)
	v_add_f32_e32 v21, v23, v25
	s_waitcnt vmcnt(9)
	v_cvt_f32_f16_e32 v22, v38
	s_delay_alu instid0(VALU_DEP_1) | instskip(NEXT) | instid1(VALU_DEP_1)
	v_dual_mov_b32 v66, v63 :: v_dual_add_f32 v23, v21, v22
	v_lshlrev_b64 v[21:22], 1, v[65:66]
	s_delay_alu instid0(VALU_DEP_2) | instskip(NEXT) | instid1(VALU_DEP_2)
	v_cvt_f16_f32_e32 v23, v23
	v_add_co_u32 v21, s3, s18, v21
	s_delay_alu instid0(VALU_DEP_1) | instskip(SKIP_3) | instid1(VALU_DEP_1)
	v_add_co_ci_u32_e64 v22, s3, s19, v22, s3
	global_store_b16 v[21:22], v23, off
	s_or_b32 exec_lo, exec_lo, s4
	v_cmp_ne_u32_e64 s3, 0, v4
	s_and_saveexec_b32 s29, s3
	s_cbranch_execz .LBB96_51
.LBB96_68:                              ;   in Loop: Header=BB96_13 Depth=1
	s_waitcnt lgkmcnt(0)
	v_dual_add_f32 v18, v18, v20 :: v_dual_mov_b32 v65, v63
	s_waitcnt vmcnt(8)
	v_cvt_f32_f16_e32 v20, v37
	s_delay_alu instid0(VALU_DEP_1) | instskip(NEXT) | instid1(VALU_DEP_3)
	v_add_f32_e32 v18, v18, v20
	v_lshlrev_b64 v[20:21], 1, v[64:65]
	s_delay_alu instid0(VALU_DEP_2) | instskip(NEXT) | instid1(VALU_DEP_2)
	v_cvt_f16_f32_e32 v18, v18
	v_add_co_u32 v20, s4, s18, v20
	s_delay_alu instid0(VALU_DEP_1)
	v_add_co_ci_u32_e64 v21, s4, s19, v21, s4
	global_store_b16 v[20:21], v18, off
	s_or_b32 exec_lo, exec_lo, s29
	v_add_nc_u32_e32 v62, s11, v61
	s_and_saveexec_b32 s29, vcc_lo
	s_cbranch_execz .LBB96_52
.LBB96_69:                              ;   in Loop: Header=BB96_13 Depth=1
	s_waitcnt lgkmcnt(0)
	v_add_f32_e32 v13, v13, v15
	s_waitcnt vmcnt(7)
	v_cvt_f32_f16_e32 v15, v36
	v_lshlrev_b64 v[20:21], 1, v[62:63]
	s_delay_alu instid0(VALU_DEP_2) | instskip(NEXT) | instid1(VALU_DEP_2)
	v_add_f32_e32 v13, v13, v15
	v_add_co_u32 v20, s4, s18, v20
	s_delay_alu instid0(VALU_DEP_1) | instskip(NEXT) | instid1(VALU_DEP_3)
	v_add_co_ci_u32_e64 v21, s4, s19, v21, s4
	v_cvt_f16_f32_e32 v13, v13
	global_store_b16 v[20:21], v13, off
	s_or_b32 exec_lo, exec_lo, s29
	s_and_saveexec_b32 s29, s1
	s_cbranch_execz .LBB96_53
.LBB96_70:                              ;   in Loop: Header=BB96_13 Depth=1
	s_waitcnt lgkmcnt(0)
	v_dual_add_f32 v10, v10, v12 :: v_dual_mov_b32 v13, v63
	v_add_nc_u32_e32 v12, 1, v62
	s_waitcnt vmcnt(6)
	v_cvt_f32_f16_e32 v15, v35
	s_delay_alu instid0(VALU_DEP_2) | instskip(NEXT) | instid1(VALU_DEP_2)
	v_lshlrev_b64 v[12:13], 1, v[12:13]
	v_add_f32_e32 v10, v10, v15
	s_delay_alu instid0(VALU_DEP_1) | instskip(NEXT) | instid1(VALU_DEP_3)
	v_cvt_f16_f32_e32 v10, v10
	v_add_co_u32 v12, s4, s18, v12
	s_delay_alu instid0(VALU_DEP_1)
	v_add_co_ci_u32_e64 v13, s4, s19, v13, s4
	global_store_b16 v[12:13], v10, off
	s_or_b32 exec_lo, exec_lo, s29
	s_and_saveexec_b32 s29, s2
	s_cbranch_execz .LBB96_54
.LBB96_71:                              ;   in Loop: Header=BB96_13 Depth=1
	s_waitcnt lgkmcnt(0)
	v_dual_add_f32 v6, v6, v8 :: v_dual_mov_b32 v13, v63
	v_add_nc_u32_e32 v12, 2, v62
	s_waitcnt vmcnt(5)
	v_cvt_f32_f16_e32 v8, v34
	s_delay_alu instid0(VALU_DEP_2) | instskip(NEXT) | instid1(VALU_DEP_2)
	v_lshlrev_b64 v[12:13], 1, v[12:13]
	v_add_f32_e32 v6, v6, v8
	s_delay_alu instid0(VALU_DEP_1) | instskip(NEXT) | instid1(VALU_DEP_3)
	v_cvt_f16_f32_e32 v6, v6
	v_add_co_u32 v12, s4, s18, v12
	s_delay_alu instid0(VALU_DEP_1)
	v_add_co_ci_u32_e64 v13, s4, s19, v13, s4
	global_store_b16 v[12:13], v6, off
	s_or_b32 exec_lo, exec_lo, s29
	s_and_saveexec_b32 s29, s3
	s_cbranch_execz .LBB96_55
.LBB96_72:                              ;   in Loop: Header=BB96_13 Depth=1
	s_waitcnt lgkmcnt(0)
	v_dual_add_f32 v6, v24, v26 :: v_dual_mov_b32 v13, v63
	v_add_nc_u32_e32 v12, 3, v62
	s_waitcnt vmcnt(4)
	v_cvt_f32_f16_e32 v8, v33
	s_delay_alu instid0(VALU_DEP_2) | instskip(NEXT) | instid1(VALU_DEP_2)
	v_lshlrev_b64 v[12:13], 1, v[12:13]
	v_add_f32_e32 v6, v6, v8
	s_delay_alu instid0(VALU_DEP_1) | instskip(NEXT) | instid1(VALU_DEP_3)
	v_cvt_f16_f32_e32 v6, v6
	v_add_co_u32 v12, s4, s18, v12
	s_delay_alu instid0(VALU_DEP_1)
	v_add_co_ci_u32_e64 v13, s4, s19, v13, s4
	global_store_b16 v[12:13], v6, off
	s_or_b32 exec_lo, exec_lo, s29
	v_add_nc_u32_e32 v62, s11, v62
	s_and_saveexec_b32 s4, vcc_lo
	s_cbranch_execz .LBB96_56
.LBB96_73:                              ;   in Loop: Header=BB96_13 Depth=1
	s_waitcnt lgkmcnt(0)
	v_add_f32_e32 v6, v17, v19
	s_waitcnt vmcnt(3)
	v_cvt_f32_f16_e32 v8, v32
	v_lshlrev_b64 v[12:13], 1, v[62:63]
	s_delay_alu instid0(VALU_DEP_2) | instskip(NEXT) | instid1(VALU_DEP_2)
	v_add_f32_e32 v6, v6, v8
	v_add_co_u32 v12, vcc_lo, s18, v12
	s_delay_alu instid0(VALU_DEP_3) | instskip(NEXT) | instid1(VALU_DEP_3)
	v_add_co_ci_u32_e32 v13, vcc_lo, s19, v13, vcc_lo
	v_cvt_f16_f32_e32 v6, v6
	global_store_b16 v[12:13], v6, off
	s_or_b32 exec_lo, exec_lo, s4
	s_and_saveexec_b32 s4, s1
	s_cbranch_execz .LBB96_57
.LBB96_74:                              ;   in Loop: Header=BB96_13 Depth=1
	s_waitcnt lgkmcnt(0)
	v_dual_add_f32 v6, v14, v16 :: v_dual_mov_b32 v13, v63
	v_add_nc_u32_e32 v12, 1, v62
	s_waitcnt vmcnt(2)
	v_cvt_f32_f16_e32 v8, v31
	s_delay_alu instid0(VALU_DEP_2) | instskip(NEXT) | instid1(VALU_DEP_2)
	v_lshlrev_b64 v[12:13], 1, v[12:13]
	v_add_f32_e32 v6, v6, v8
	s_delay_alu instid0(VALU_DEP_1) | instskip(NEXT) | instid1(VALU_DEP_3)
	v_cvt_f16_f32_e32 v6, v6
	v_add_co_u32 v12, vcc_lo, s18, v12
	s_delay_alu instid0(VALU_DEP_4)
	v_add_co_ci_u32_e32 v13, vcc_lo, s19, v13, vcc_lo
	global_store_b16 v[12:13], v6, off
	s_or_b32 exec_lo, exec_lo, s4
	s_and_saveexec_b32 s1, s2
	s_cbranch_execz .LBB96_58
.LBB96_75:                              ;   in Loop: Header=BB96_13 Depth=1
	s_waitcnt lgkmcnt(0)
	v_dual_add_f32 v6, v9, v11 :: v_dual_mov_b32 v9, v63
	v_add_nc_u32_e32 v8, 2, v62
	s_waitcnt vmcnt(1)
	v_cvt_f32_f16_e32 v10, v30
	s_delay_alu instid0(VALU_DEP_2) | instskip(NEXT) | instid1(VALU_DEP_2)
	v_lshlrev_b64 v[8:9], 1, v[8:9]
	v_add_f32_e32 v6, v6, v10
	s_delay_alu instid0(VALU_DEP_1) | instskip(NEXT) | instid1(VALU_DEP_3)
	v_cvt_f16_f32_e32 v6, v6
	v_add_co_u32 v8, vcc_lo, s18, v8
	s_delay_alu instid0(VALU_DEP_4) | instskip(SKIP_2) | instid1(SALU_CYCLE_1)
	v_add_co_ci_u32_e32 v9, vcc_lo, s19, v9, vcc_lo
	global_store_b16 v[8:9], v6, off
	s_or_b32 exec_lo, exec_lo, s1
	s_and_b32 exec_lo, exec_lo, s3
	s_cbranch_execnz .LBB96_59
	s_branch .LBB96_60
.LBB96_76:
	s_nop 0
	s_sendmsg sendmsg(MSG_DEALLOC_VGPRS)
	s_endpgm
	.section	.rodata,"a",@progbits
	.p2align	6, 0x0
	.amdhsa_kernel _Z12wvSplitK_hf_I6__halfLi64ELi4ELi16ELi8ELi2ELi3EEviiiiiiPKT_S3_S3_PS1_ii
		.amdhsa_group_segment_fixed_size 65536
		.amdhsa_private_segment_fixed_size 0
		.amdhsa_kernarg_size 64
		.amdhsa_user_sgpr_count 15
		.amdhsa_user_sgpr_dispatch_ptr 0
		.amdhsa_user_sgpr_queue_ptr 0
		.amdhsa_user_sgpr_kernarg_segment_ptr 1
		.amdhsa_user_sgpr_dispatch_id 0
		.amdhsa_user_sgpr_private_segment_size 0
		.amdhsa_wavefront_size32 1
		.amdhsa_uses_dynamic_stack 0
		.amdhsa_enable_private_segment 0
		.amdhsa_system_sgpr_workgroup_id_x 1
		.amdhsa_system_sgpr_workgroup_id_y 0
		.amdhsa_system_sgpr_workgroup_id_z 0
		.amdhsa_system_sgpr_workgroup_info 0
		.amdhsa_system_vgpr_workitem_id 1
		.amdhsa_next_free_vgpr 97
		.amdhsa_next_free_sgpr 32
		.amdhsa_reserve_vcc 1
		.amdhsa_float_round_mode_32 0
		.amdhsa_float_round_mode_16_64 0
		.amdhsa_float_denorm_mode_32 3
		.amdhsa_float_denorm_mode_16_64 3
		.amdhsa_dx10_clamp 1
		.amdhsa_ieee_mode 1
		.amdhsa_fp16_overflow 0
		.amdhsa_workgroup_processor_mode 1
		.amdhsa_memory_ordered 1
		.amdhsa_forward_progress 0
		.amdhsa_shared_vgpr_count 0
		.amdhsa_exception_fp_ieee_invalid_op 0
		.amdhsa_exception_fp_denorm_src 0
		.amdhsa_exception_fp_ieee_div_zero 0
		.amdhsa_exception_fp_ieee_overflow 0
		.amdhsa_exception_fp_ieee_underflow 0
		.amdhsa_exception_fp_ieee_inexact 0
		.amdhsa_exception_int_div_zero 0
	.end_amdhsa_kernel
	.section	.text._Z12wvSplitK_hf_I6__halfLi64ELi4ELi16ELi8ELi2ELi3EEviiiiiiPKT_S3_S3_PS1_ii,"axG",@progbits,_Z12wvSplitK_hf_I6__halfLi64ELi4ELi16ELi8ELi2ELi3EEviiiiiiPKT_S3_S3_PS1_ii,comdat
.Lfunc_end96:
	.size	_Z12wvSplitK_hf_I6__halfLi64ELi4ELi16ELi8ELi2ELi3EEviiiiiiPKT_S3_S3_PS1_ii, .Lfunc_end96-_Z12wvSplitK_hf_I6__halfLi64ELi4ELi16ELi8ELi2ELi3EEviiiiiiPKT_S3_S3_PS1_ii
                                        ; -- End function
	.section	.AMDGPU.csdata,"",@progbits
; Kernel info:
; codeLenInByte = 7088
; NumSgprs: 34
; NumVgprs: 97
; ScratchSize: 0
; MemoryBound: 0
; FloatMode: 240
; IeeeMode: 1
; LDSByteSize: 65536 bytes/workgroup (compile time only)
; SGPRBlocks: 4
; VGPRBlocks: 12
; NumSGPRsForWavesPerEU: 34
; NumVGPRsForWavesPerEU: 97
; Occupancy: 12
; WaveLimiterHint : 0
; COMPUTE_PGM_RSRC2:SCRATCH_EN: 0
; COMPUTE_PGM_RSRC2:USER_SGPR: 15
; COMPUTE_PGM_RSRC2:TRAP_HANDLER: 0
; COMPUTE_PGM_RSRC2:TGID_X_EN: 1
; COMPUTE_PGM_RSRC2:TGID_Y_EN: 0
; COMPUTE_PGM_RSRC2:TGID_Z_EN: 0
; COMPUTE_PGM_RSRC2:TIDIG_COMP_CNT: 1
	.section	.text._Z16wvSplitK_hf_big_I6__halfLi64ELi4ELi16ELi8ELi2ELi3EEviiiiiiPKT_S3_S3_PS1_ii,"axG",@progbits,_Z16wvSplitK_hf_big_I6__halfLi64ELi4ELi16ELi8ELi2ELi3EEviiiiiiPKT_S3_S3_PS1_ii,comdat
	.protected	_Z16wvSplitK_hf_big_I6__halfLi64ELi4ELi16ELi8ELi2ELi3EEviiiiiiPKT_S3_S3_PS1_ii ; -- Begin function _Z16wvSplitK_hf_big_I6__halfLi64ELi4ELi16ELi8ELi2ELi3EEviiiiiiPKT_S3_S3_PS1_ii
	.globl	_Z16wvSplitK_hf_big_I6__halfLi64ELi4ELi16ELi8ELi2ELi3EEviiiiiiPKT_S3_S3_PS1_ii
	.p2align	8
	.type	_Z16wvSplitK_hf_big_I6__halfLi64ELi4ELi16ELi8ELi2ELi3EEviiiiiiPKT_S3_S3_PS1_ii,@function
_Z16wvSplitK_hf_big_I6__halfLi64ELi4ELi16ELi8ELi2ELi3EEviiiiiiPKT_S3_S3_PS1_ii: ; @_Z16wvSplitK_hf_big_I6__halfLi64ELi4ELi16ELi8ELi2ELi3EEviiiiiiPKT_S3_S3_PS1_ii
; %bb.0:
	s_load_b64 s[20:21], s[0:1], 0x38
	v_bfe_u32 v5, v0, 10, 10
	s_mov_b32 s2, exec_lo
	s_waitcnt lgkmcnt(0)
	s_delay_alu instid0(VALU_DEP_1)
	v_cmpx_gt_u32_e64 s20, v5
	s_cbranch_execz .LBB97_64
; %bb.1:
	s_load_b128 s[16:19], s[0:1], 0x0
	s_mul_i32 s15, s15, s20
	s_mov_b32 s4, 1
	v_add_lshl_u32 v61, s15, v5, 2
	s_mov_b32 s5, s4
	s_mov_b32 s6, s4
	s_mov_b32 s7, s4
	s_delay_alu instid0(VALU_DEP_1) | instskip(SKIP_2) | instid1(VALU_DEP_2)
	v_add_nc_u32_e32 v1, 4, v61
	s_waitcnt lgkmcnt(0)
	v_cmp_gt_u32_e32 vcc_lo, s19, v61
	v_cmp_le_u32_e64 s2, s19, v1
	v_dual_mov_b32 v1, s4 :: v_dual_mov_b32 v4, s7
	v_dual_mov_b32 v2, s5 :: v_dual_mov_b32 v3, s6
	s_delay_alu instid0(VALU_DEP_3) | instskip(NEXT) | instid1(SALU_CYCLE_1)
	s_and_b32 s2, vcc_lo, s2
	s_and_saveexec_b32 s8, s2
	s_cbranch_execz .LBB97_7
; %bb.2:
	v_dual_mov_b32 v1, s4 :: v_dual_mov_b32 v2, s5
	v_dual_mov_b32 v3, s6 :: v_dual_mov_b32 v4, s7
	s_add_i32 s9, s19, -4
	s_mov_b32 s10, exec_lo
	v_cmpx_ne_u32_e64 s9, v61
	s_cbranch_execz .LBB97_6
; %bb.3:
	v_subrev_nc_u32_e32 v1, s9, v61
	s_mov_b32 s11, 0
	s_mov_b64 s[2:3], 0
	s_mov_b32 s5, s4
	s_mov_b32 s6, s4
	v_cmp_lt_u32_e32 vcc_lo, 1, v1
	s_mov_b32 s7, s4
	v_cndmask_b32_e32 v6, 1, v1, vcc_lo
	.p2align	6
.LBB97_4:                               ; =>This Inner Loop Header: Depth=1
	s_cmp_lg_u32 s2, 3
	s_cselect_b32 s7, s7, 0
	s_cmp_lg_u32 s2, 2
	s_cselect_b32 s6, s6, 0
	;; [unrolled: 2-line block ×4, first 2 shown]
	s_add_u32 s2, s2, 1
	v_dual_mov_b32 v1, s4 :: v_dual_mov_b32 v2, s5
	v_cmp_eq_u32_e32 vcc_lo, s2, v6
	v_dual_mov_b32 v3, s6 :: v_dual_mov_b32 v4, s7
	s_addc_u32 s3, s3, 0
	s_or_b32 s11, vcc_lo, s11
	s_delay_alu instid0(SALU_CYCLE_1)
	s_and_not1_b32 exec_lo, exec_lo, s11
	s_cbranch_execnz .LBB97_4
; %bb.5:
	s_or_b32 exec_lo, exec_lo, s11
	v_mov_b32_e32 v61, s9
.LBB97_6:
	s_or_b32 exec_lo, exec_lo, s10
.LBB97_7:
	s_delay_alu instid0(SALU_CYCLE_1)
	s_or_b32 exec_lo, exec_lo, s8
	s_lshl_b32 s2, s20, 2
	s_abs_i32 s6, s19
	s_abs_i32 s3, s2
	s_mov_b32 s23, 0
	v_cvt_f32_u32_e32 v6, s3
	s_sub_i32 s5, 0, s3
	s_delay_alu instid0(VALU_DEP_1) | instskip(SKIP_2) | instid1(VALU_DEP_1)
	v_rcp_iflag_f32_e32 v6, v6
	s_waitcnt_depctr 0xfff
	v_mul_f32_e32 v6, 0x4f7ffffe, v6
	v_cvt_u32_f32_e32 v6, v6
	s_delay_alu instid0(VALU_DEP_1) | instskip(NEXT) | instid1(VALU_DEP_1)
	v_readfirstlane_b32 s4, v6
	s_mul_i32 s5, s5, s4
	s_delay_alu instid0(SALU_CYCLE_1) | instskip(NEXT) | instid1(SALU_CYCLE_1)
	s_mul_hi_u32 s5, s4, s5
	s_add_i32 s4, s4, s5
	s_ashr_i32 s5, s19, 31
	s_mul_hi_u32 s4, s6, s4
	s_delay_alu instid0(SALU_CYCLE_1) | instskip(NEXT) | instid1(SALU_CYCLE_1)
	s_mul_i32 s4, s4, s3
	s_sub_i32 s4, s6, s4
	s_delay_alu instid0(SALU_CYCLE_1) | instskip(SKIP_2) | instid1(SALU_CYCLE_1)
	s_sub_i32 s6, s4, s3
	s_cmp_ge_u32 s4, s3
	s_cselect_b32 s4, s6, s4
	s_sub_i32 s6, s4, s3
	s_cmp_ge_u32 s4, s3
	s_cselect_b32 s3, s6, s4
	s_add_i32 s2, s2, s19
	s_xor_b32 s3, s3, s5
	s_delay_alu instid0(SALU_CYCLE_1) | instskip(NEXT) | instid1(SALU_CYCLE_1)
	s_sub_i32 s3, s3, s5
	s_sub_i32 s2, s2, s3
	s_cmp_eq_u32 s3, 0
	s_cselect_b32 s22, s19, s2
	s_delay_alu instid0(SALU_CYCLE_1)
	v_cmp_gt_u32_e32 vcc_lo, s22, v61
	s_and_b32 exec_lo, exec_lo, vcc_lo
	s_cbranch_execz .LBB97_64
; %bb.8:
	s_load_b256 s[8:15], s[0:1], 0x10
	s_min_u32 s24, s18, 0x2800
	s_cmp_lg_u32 s16, 0
	s_mul_i32 s2, s21, s20
	s_cselect_b32 s25, -1, 0
	s_cmp_lg_u32 s18, 0
	s_load_b64 s[6:7], s[0:1], 0x30
	s_cselect_b32 s21, -1, 0
	s_lshl_b32 s26, s20, 9
	s_add_i32 s27, s16, -8
	s_add_i32 s28, s19, -1
	s_lshl_b32 s29, s2, 2
	v_and_b32_e32 v8, 0x3ff, v0
	v_mbcnt_lo_u32_b32 v0, -1, 0
	s_delay_alu instid0(VALU_DEP_2)
	v_dual_mov_b32 v63, 0 :: v_dual_lshlrev_b32 v72, 3, v8
	v_cmp_eq_u32_e64 s0, 63, v8
	v_lshlrev_b32_e32 v8, 4, v8
	s_waitcnt lgkmcnt(0)
	s_cmp_lg_u64 s[14:15], 0
	v_cvt_f32_u32_e32 v7, s8
	s_cselect_b32 s30, -1, 0
	s_abs_i32 s2, s9
	s_add_i32 s9, s19, -4
	v_cvt_f32_u32_e32 v6, s2
	v_rcp_iflag_f32_e32 v7, v7
	s_sub_i32 s3, 0, s2
	s_sub_i32 s4, 0, s8
	;; [unrolled: 1-line block ×3, first 2 shown]
	v_rcp_iflag_f32_e32 v6, v6
	v_lshl_add_u32 v73, v5, 9, v72
	v_lshl_add_u32 v74, v5, 10, v8
	s_delay_alu instid0(VALU_DEP_2) | instskip(SKIP_3) | instid1(VALU_DEP_1)
	v_lshl_add_u32 v75, s18, 1, v73
	v_add_nc_u32_e32 v76, s18, v73
	s_waitcnt_depctr 0xfff
	v_mul_f32_e32 v6, 0x4f7ffffe, v6
	v_cvt_u32_f32_e32 v6, v6
	s_delay_alu instid0(VALU_DEP_1) | instskip(SKIP_1) | instid1(VALU_DEP_2)
	v_readfirstlane_b32 s1, v6
	v_mul_f32_e32 v6, 0x4f7ffffe, v7
	s_mul_i32 s3, s3, s1
	s_delay_alu instid0(VALU_DEP_1) | instskip(SKIP_1) | instid1(SALU_CYCLE_1)
	v_cvt_u32_f32_e32 v6, v6
	s_mul_hi_u32 s3, s1, s3
	s_add_i32 s1, s1, s3
	s_cmp_lt_u32 s2, 2
	s_delay_alu instid0(VALU_DEP_1) | instskip(SKIP_1) | instid1(SALU_CYCLE_1)
	v_mul_lo_u32 v7, s4, v6
	s_cselect_b32 s3, s5, 1
	s_sub_i32 s4, s3, s2
	s_cmp_ge_u32 s3, s2
	s_cselect_b32 s31, s4, s3
	s_lshr_b32 s1, s1, 31
	s_delay_alu instid0(VALU_DEP_1) | instskip(SKIP_3) | instid1(SALU_CYCLE_1)
	v_mul_hi_u32 v7, v6, v7
	s_mul_i32 s1, s1, s2
	s_mul_i32 s31, s31, s8
	s_sub_i32 s1, 2, s1
	s_sub_i32 s3, s1, s2
	s_cmp_ge_u32 s1, s2
	s_cselect_b32 s1, s3, s1
	s_delay_alu instid0(VALU_DEP_1)
	v_add_nc_u32_e32 v77, v6, v7
	s_sub_i32 s3, s1, s2
	s_cmp_ge_u32 s1, s2
	s_cselect_b32 s36, s3, s1
	s_add_u32 s33, s6, 2
	s_addc_u32 s34, s7, 0
	s_lshl_b32 s35, s24, 2
	s_lshl_b32 s20, s20, 10
	s_mul_i32 s36, s36, s8
	s_lshl_b32 s37, s24, 1
	s_branch .LBB97_12
.LBB97_9:                               ;   in Loop: Header=BB97_12 Depth=1
	s_or_b32 exec_lo, exec_lo, s40
	v_mov_b32_e32 v61, s9
.LBB97_10:                              ;   in Loop: Header=BB97_12 Depth=1
	s_or_b32 exec_lo, exec_lo, s39
.LBB97_11:                              ;   in Loop: Header=BB97_12 Depth=1
	s_delay_alu instid0(SALU_CYCLE_1) | instskip(NEXT) | instid1(VALU_DEP_1)
	s_or_b32 exec_lo, exec_lo, s38
	v_cmp_le_u32_e32 vcc_lo, s22, v61
	s_or_b32 s23, vcc_lo, s23
	s_delay_alu instid0(SALU_CYCLE_1)
	s_and_not1_b32 exec_lo, exec_lo, s23
	s_cbranch_execz .LBB97_64
.LBB97_12:                              ; =>This Loop Header: Depth=1
                                        ;     Child Loop BB97_17 Depth 2
                                        ;       Child Loop BB97_22 Depth 3
                                        ;     Child Loop BB97_51 Depth 2
	v_mov_b32_e32 v89, v63
	v_mov_b32_e32 v88, v63
	;; [unrolled: 1-line block ×12, first 2 shown]
	s_and_not1_b32 vcc_lo, exec_lo, s25
	s_mov_b32 s3, 0
	s_cbranch_vccnz .LBB97_29
; %bb.13:                               ;   in Loop: Header=BB97_12 Depth=1
	v_dual_mov_b32 v79, 0 :: v_dual_add_nc_u32 v6, 2, v61
	v_add_nc_u32_e32 v5, 1, v61
	v_add_nc_u32_e32 v7, 3, v61
	v_min_u32_e32 v8, s28, v61
	s_delay_alu instid0(VALU_DEP_4)
	v_min_u32_e32 v6, s28, v6
	s_waitcnt lgkmcnt(0)
	v_dual_mov_b32 v10, v63 :: v_dual_mov_b32 v81, 0
	v_cmp_gt_u32_e64 s1, s19, v61
	v_mul_lo_u32 v62, v8, s17
	v_mov_b32_e32 v8, v63
	v_min_u32_e32 v9, s28, v7
	v_mul_lo_u32 v7, v6, s17
	v_mov_b32_e32 v6, v63
	v_min_u32_e32 v5, s28, v5
	v_dual_mov_b32 v82, 0 :: v_dual_mov_b32 v83, 0
	v_mul_lo_u32 v9, v9, s17
	v_lshlrev_b64 v[64:65], 1, v[62:63]
	s_delay_alu instid0(VALU_DEP_4)
	v_mul_lo_u32 v5, v5, s17
	v_lshlrev_b64 v[68:69], 1, v[7:8]
	v_dual_mov_b32 v80, 0 :: v_dual_mov_b32 v85, 0
	v_dual_mov_b32 v78, 0 :: v_dual_mov_b32 v87, 0
	v_lshlrev_b64 v[70:71], 1, v[9:10]
	v_dual_mov_b32 v84, 0 :: v_dual_mov_b32 v89, 0
	v_lshlrev_b64 v[66:67], 1, v[5:6]
	v_mov_b32_e32 v86, 0
	v_mov_b32_e32 v88, 0
	s_mov_b32 s4, 0
	s_branch .LBB97_17
.LBB97_14:                              ;   in Loop: Header=BB97_17 Depth=2
	s_or_b32 exec_lo, exec_lo, s38
.LBB97_15:                              ;   in Loop: Header=BB97_17 Depth=2
	s_delay_alu instid0(SALU_CYCLE_1)
	s_or_b32 exec_lo, exec_lo, s5
	s_waitcnt vmcnt(7) lgkmcnt(2)
	;;#ASMSTART
	v_dot2_f32_f16 v89, v57, v45, v89
	;;#ASMEND
	s_waitcnt vmcnt(6)
	;;#ASMSTART
	v_dot2_f32_f16 v88, v57, v37, v88
	;;#ASMEND
	s_waitcnt vmcnt(5)
	;;#ASMSTART
	v_dot2_f32_f16 v87, v57, v41, v87
	;;#ASMEND
	s_waitcnt vmcnt(4)
	;;#ASMSTART
	v_dot2_f32_f16 v86, v57, v33, v86
	;;#ASMEND
	s_waitcnt lgkmcnt(1)
	;;#ASMSTART
	v_dot2_f32_f16 v85, v53, v45, v85
	;;#ASMEND
	;;#ASMSTART
	v_dot2_f32_f16 v84, v53, v37, v84
	;;#ASMEND
	;; [unrolled: 3-line block ×4, first 2 shown]
	s_waitcnt lgkmcnt(0)
	;;#ASMSTART
	v_dot2_f32_f16 v79, v49, v45, v79
	;;#ASMEND
	;;#ASMSTART
	v_dot2_f32_f16 v82, v49, v37, v82
	;;#ASMEND
	;; [unrolled: 3-line block ×40, first 2 shown]
	s_waitcnt vmcnt(3)
	;;#ASMSTART
	v_dot2_f32_f16 v89, v29, v17, v89
	;;#ASMEND
	s_waitcnt vmcnt(2)
	;;#ASMSTART
	v_dot2_f32_f16 v88, v29, v13, v88
	;;#ASMEND
	;; [unrolled: 4-line block ×4, first 2 shown]
	;;#ASMSTART
	v_dot2_f32_f16 v85, v25, v17, v85
	;;#ASMEND
	;;#ASMSTART
	v_dot2_f32_f16 v84, v25, v13, v84
	;;#ASMEND
	;; [unrolled: 3-line block ×44, first 2 shown]
.LBB97_16:                              ;   in Loop: Header=BB97_17 Depth=2
	s_or_b32 exec_lo, exec_lo, s2
	s_addk_i32 s4, 0x400
	s_delay_alu instid0(SALU_CYCLE_1)
	s_cmp_ge_u32 s4, s16
	s_cbranch_scc1 .LBB97_29
.LBB97_17:                              ;   Parent Loop BB97_12 Depth=1
                                        ; =>  This Loop Header: Depth=2
                                        ;       Child Loop BB97_22 Depth 3
	s_cmp_eq_u32 s4, 0
	s_cselect_b32 s5, -1, 0
	s_add_i32 s2, s3, s24
	s_delay_alu instid0(SALU_CYCLE_1) | instskip(SKIP_1) | instid1(SALU_CYCLE_1)
	s_cmp_eq_u32 s4, s2
	s_cselect_b32 s38, -1, 0
	s_or_b32 s38, s5, s38
	s_delay_alu instid0(SALU_CYCLE_1)
	s_and_not1_b32 vcc_lo, exec_lo, s38
	s_cbranch_vccz .LBB97_19
; %bb.18:                               ;   in Loop: Header=BB97_17 Depth=2
	s_and_saveexec_b32 s2, s1
	s_cbranch_execz .LBB97_16
	s_branch .LBB97_26
.LBB97_19:                              ;   in Loop: Header=BB97_17 Depth=2
	s_and_b32 s5, s5, exec_lo
	s_cselect_b32 s3, s3, s2
	s_and_not1_b32 vcc_lo, exec_lo, s21
	s_waitcnt vmcnt(0)
	s_waitcnt_vscnt null, 0x0
	s_barrier
	buffer_gl0_inv
	s_cbranch_vccnz .LBB97_25
; %bb.20:                               ;   in Loop: Header=BB97_17 Depth=2
	v_dual_mov_b32 v8, v74 :: v_dual_add_nc_u32 v5, s3, v75
	v_add_nc_u32_e32 v6, s3, v76
	v_add_nc_u32_e32 v7, s3, v73
	s_mov_b32 s5, 0
	s_mov_b32 s38, 0
                                        ; implicit-def: $sgpr39
	s_branch .LBB97_22
.LBB97_21:                              ;   in Loop: Header=BB97_22 Depth=3
	s_or_b32 exec_lo, exec_lo, s2
	s_delay_alu instid0(SALU_CYCLE_1) | instskip(NEXT) | instid1(SALU_CYCLE_1)
	s_and_b32 s2, exec_lo, s39
	s_or_b32 s5, s2, s5
	s_delay_alu instid0(SALU_CYCLE_1)
	s_and_not1_b32 exec_lo, exec_lo, s5
	s_cbranch_execz .LBB97_24
.LBB97_22:                              ;   Parent Loop BB97_12 Depth=1
                                        ;     Parent Loop BB97_17 Depth=2
                                        ; =>    This Inner Loop Header: Depth=3
	s_delay_alu instid0(VALU_DEP_1) | instskip(SKIP_2) | instid1(VALU_DEP_2)
	v_add_nc_u32_e32 v62, s38, v7
	v_add_nc_u32_e32 v9, s38, v73
	s_or_b32 s39, s39, exec_lo
	v_cmp_gt_u32_e32 vcc_lo, s18, v62
	s_delay_alu instid0(VALU_DEP_2) | instskip(NEXT) | instid1(VALU_DEP_1)
	v_cmp_gt_u32_e64 s2, s24, v9
	s_and_b32 s40, s2, vcc_lo
	s_delay_alu instid0(SALU_CYCLE_1)
	s_and_saveexec_b32 s2, s40
	s_cbranch_execz .LBB97_21
; %bb.23:                               ;   in Loop: Header=BB97_22 Depth=3
	v_lshlrev_b64 v[9:10], 1, v[62:63]
	v_add_nc_u32_e32 v62, s38, v6
	v_add_nc_u32_e32 v21, s37, v8
	;; [unrolled: 1-line block ×3, first 2 shown]
	s_delay_alu instid0(VALU_DEP_3) | instskip(SKIP_3) | instid1(VALU_DEP_3)
	v_lshlrev_b64 v[11:12], 1, v[62:63]
	v_add_nc_u32_e32 v62, s38, v5
	v_add_co_u32 v9, vcc_lo, s12, v9
	v_add_co_ci_u32_e32 v10, vcc_lo, s13, v10, vcc_lo
	v_lshlrev_b64 v[13:14], 1, v[62:63]
	v_add_co_u32 v15, vcc_lo, s12, v11
	v_add_co_ci_u32_e32 v16, vcc_lo, s13, v12, vcc_lo
	s_add_i32 s38, s38, s26
	s_delay_alu instid0(VALU_DEP_3) | instskip(NEXT) | instid1(VALU_DEP_4)
	v_add_co_u32 v17, vcc_lo, s12, v13
	v_add_co_ci_u32_e32 v18, vcc_lo, s13, v14, vcc_lo
	s_clause 0x2
	global_load_b128 v[9:12], v[9:10], off
	global_load_b128 v[13:16], v[15:16], off
	;; [unrolled: 1-line block ×3, first 2 shown]
	s_cmp_ge_u32 s38, s24
	s_cselect_b32 s40, -1, 0
	s_and_not1_b32 s39, s39, exec_lo
	s_and_b32 s40, s40, exec_lo
	s_delay_alu instid0(SALU_CYCLE_1)
	s_or_b32 s39, s39, s40
	s_waitcnt vmcnt(2)
	ds_store_b128 v8, v[9:12]
	v_add_nc_u32_e32 v8, s20, v8
	s_waitcnt vmcnt(1)
	ds_store_2addr_b64 v21, v[13:14], v[15:16] offset1:1
	s_waitcnt vmcnt(0)
	ds_store_2addr_b32 v22, v17, v18 offset1:1
	ds_store_2addr_b32 v22, v19, v20 offset0:2 offset1:3
	s_branch .LBB97_21
.LBB97_24:                              ;   in Loop: Header=BB97_17 Depth=2
	s_or_b32 exec_lo, exec_lo, s5
.LBB97_25:                              ;   in Loop: Header=BB97_17 Depth=2
	s_waitcnt lgkmcnt(0)
	s_barrier
	buffer_gl0_inv
	s_and_saveexec_b32 s2, s1
	s_cbranch_execz .LBB97_16
.LBB97_26:                              ;   in Loop: Header=BB97_17 Depth=2
	v_dual_mov_b32 v57, 0 :: v_dual_add_nc_u32 v90, s4, v72
	v_dual_mov_b32 v59, 0 :: v_dual_mov_b32 v60, 0
	v_dual_mov_b32 v29, 0 :: v_dual_mov_b32 v30, 0
	s_delay_alu instid0(VALU_DEP_3) | instskip(SKIP_3) | instid1(VALU_DEP_3)
	v_min_u32_e32 v62, s27, v90
	v_dual_mov_b32 v58, 0 :: v_dual_add_nc_u32 v91, 0x200, v90
	s_waitcnt vmcnt(0)
	v_dual_mov_b32 v31, 0 :: v_dual_mov_b32 v32, 0
	v_lshlrev_b64 v[5:6], 1, v[62:63]
	s_delay_alu instid0(VALU_DEP_3) | instskip(SKIP_2) | instid1(VALU_DEP_4)
	v_min_u32_e32 v62, s27, v91
	v_dual_mov_b32 v53, 0 :: v_dual_mov_b32 v54, 0
	v_dual_mov_b32 v55, 0 :: v_dual_mov_b32 v56, 0
	v_add_co_u32 v13, vcc_lo, s10, v5
	v_add_co_ci_u32_e32 v14, vcc_lo, s11, v6, vcc_lo
	v_lshlrev_b64 v[5:6], 1, v[62:63]
	s_delay_alu instid0(VALU_DEP_3) | instskip(NEXT) | instid1(VALU_DEP_3)
	v_add_co_u32 v7, vcc_lo, v13, v64
	v_add_co_ci_u32_e32 v8, vcc_lo, v14, v65, vcc_lo
	v_add_co_u32 v9, vcc_lo, v13, v66
	v_add_co_ci_u32_e32 v10, vcc_lo, v14, v67, vcc_lo
	;; [unrolled: 2-line block ×5, first 2 shown]
	s_clause 0x1
	global_load_b128 v[45:48], v[7:8], off slc dlc
	global_load_b128 v[37:40], v[9:10], off slc dlc
	v_add_co_u32 v7, vcc_lo, v15, v64
	v_add_co_ci_u32_e32 v8, vcc_lo, v16, v65, vcc_lo
	v_add_co_u32 v9, vcc_lo, v15, v66
	v_add_co_ci_u32_e32 v10, vcc_lo, v16, v67, vcc_lo
	;; [unrolled: 2-line block ×4, first 2 shown]
	s_clause 0x5
	global_load_b128 v[41:44], v[11:12], off slc dlc
	global_load_b128 v[33:36], v[5:6], off slc dlc
	;; [unrolled: 1-line block ×6, first 2 shown]
	v_cmp_gt_u32_e32 vcc_lo, s16, v90
	v_dual_mov_b32 v25, 0 :: v_dual_mov_b32 v26, 0
	v_dual_mov_b32 v27, 0 :: v_dual_mov_b32 v28, 0
	;; [unrolled: 1-line block ×6, first 2 shown]
	s_and_saveexec_b32 s5, vcc_lo
	s_cbranch_execz .LBB97_15
; %bb.27:                               ;   in Loop: Header=BB97_17 Depth=2
	v_subrev_nc_u32_e32 v21, s3, v90
	v_dual_mov_b32 v24, 0 :: v_dual_mov_b32 v25, 0
	v_dual_mov_b32 v22, 0 :: v_dual_mov_b32 v31, 0
	s_delay_alu instid0(VALU_DEP_3) | instskip(SKIP_2) | instid1(VALU_DEP_3)
	v_dual_mov_b32 v23, 0 :: v_dual_lshlrev_b32 v92, 1, v21
	v_dual_mov_b32 v28, 0 :: v_dual_mov_b32 v29, 0
	v_mov_b32_e32 v26, 0
	v_dual_mov_b32 v21, 0 :: v_dual_add_nc_u32 v90, s37, v92
	v_mov_b32_e32 v32, 0
	v_mov_b32_e32 v30, 0
	s_mov_b32 s38, exec_lo
	s_delay_alu instid0(VALU_DEP_3)
	v_dual_mov_b32 v27, 0 :: v_dual_add_nc_u32 v62, s37, v90
	ds_load_b128 v[57:60], v92
	ds_load_b128 v[53:56], v90
	;; [unrolled: 1-line block ×3, first 2 shown]
	v_cmpx_gt_u32_e64 s16, v91
	s_cbranch_execz .LBB97_14
; %bb.28:                               ;   in Loop: Header=BB97_17 Depth=2
	ds_load_b128 v[29:32], v92 offset:1024
	ds_load_b128 v[25:28], v90 offset:1024
	;; [unrolled: 1-line block ×3, first 2 shown]
	s_branch .LBB97_14
.LBB97_29:                              ;   in Loop: Header=BB97_12 Depth=1
	s_mov_b32 s1, exec_lo
	v_cmpx_le_u32_e64 s19, v61
	s_xor_b32 s1, exec_lo, s1
; %bb.30:                               ;   in Loop: Header=BB97_12 Depth=1
	v_add_nc_u32_e32 v61, s29, v61
                                        ; implicit-def: $vgpr89
                                        ; implicit-def: $vgpr88
                                        ; implicit-def: $vgpr87
                                        ; implicit-def: $vgpr86
                                        ; implicit-def: $vgpr85
                                        ; implicit-def: $vgpr84
                                        ; implicit-def: $vgpr83
                                        ; implicit-def: $vgpr81
                                        ; implicit-def: $vgpr78
                                        ; implicit-def: $vgpr80
                                        ; implicit-def: $vgpr82
                                        ; implicit-def: $vgpr79
; %bb.31:                               ;   in Loop: Header=BB97_12 Depth=1
	s_and_not1_saveexec_b32 s38, s1
	s_cbranch_execz .LBB97_11
; %bb.32:                               ;   in Loop: Header=BB97_12 Depth=1
	v_cvt_i32_f32_e32 v5, v89
	v_cvt_i32_f32_e32 v6, v88
	v_xor_b32_e32 v7, 16, v0
	v_cvt_i32_f32_e32 v8, v87
	v_cvt_i32_f32_e32 v9, v86
	v_cvt_f32_i32_dpp v5, v5 row_shr:8 row_mask:0xf bank_mask:0xf bound_ctrl:1
	v_cvt_f32_i32_dpp v6, v6 row_shr:8 row_mask:0xf bank_mask:0xf bound_ctrl:1
	v_cmp_gt_i32_e32 vcc_lo, 32, v7
	v_cvt_i32_f32_e32 v12, v83
	v_cvt_f32_i32_dpp v8, v8 row_shr:8 row_mask:0xf bank_mask:0xf bound_ctrl:1
	s_delay_alu instid0(VALU_DEP_4) | instskip(SKIP_1) | instid1(VALU_DEP_4)
	v_dual_add_f32 v5, v89, v5 :: v_dual_add_f32 v6, v88, v6
	v_cvt_f32_i32_dpp v9, v9 row_shr:8 row_mask:0xf bank_mask:0xf bound_ctrl:1
	v_cvt_f32_i32_dpp v12, v12 row_shr:8 row_mask:0xf bank_mask:0xf bound_ctrl:1
	s_waitcnt lgkmcnt(0)
	v_cvt_i32_f32_e32 v10, v85
	v_cvt_i32_f32_e32 v13, v5
	;; [unrolled: 1-line block ×4, first 2 shown]
	v_add_f32_e32 v12, v83, v12
	v_cvt_f32_i32_dpp v10, v10 row_shr:8 row_mask:0xf bank_mask:0xf bound_ctrl:1
	v_cvt_f32_i32_dpp v13, v13 row_shr:4 row_mask:0xf bank_mask:0xf bound_ctrl:1
	;; [unrolled: 1-line block ×3, first 2 shown]
	v_cndmask_b32_e32 v7, v0, v7, vcc_lo
	v_cvt_f32_i32_dpp v11, v11 row_shr:8 row_mask:0xf bank_mask:0xf bound_ctrl:1
	s_delay_alu instid0(VALU_DEP_3) | instskip(SKIP_1) | instid1(VALU_DEP_3)
	v_dual_add_f32 v5, v5, v13 :: v_dual_add_f32 v6, v6, v14
	s_waitcnt vmcnt(0)
	v_lshlrev_b32_e32 v31, 2, v7
	s_delay_alu instid0(VALU_DEP_2) | instskip(NEXT) | instid1(VALU_DEP_1)
	v_cvt_i32_f32_e32 v13, v6
	v_cvt_f32_i32_dpp v13, v13 row_shr:2 row_mask:0xf bank_mask:0xf bound_ctrl:1
	v_dual_add_f32 v7, v87, v8 :: v_dual_add_f32 v8, v86, v9
	s_delay_alu instid0(VALU_DEP_2) | instskip(NEXT) | instid1(VALU_DEP_2)
	v_add_f32_e32 v6, v6, v13
	v_cvt_i32_f32_e32 v14, v7
	s_delay_alu instid0(VALU_DEP_3) | instskip(NEXT) | instid1(VALU_DEP_3)
	v_cvt_i32_f32_e32 v15, v8
	v_cvt_i32_f32_e32 v18, v6
	s_delay_alu instid0(VALU_DEP_3) | instskip(NEXT) | instid1(VALU_DEP_3)
	v_cvt_f32_i32_dpp v13, v14 row_shr:4 row_mask:0xf bank_mask:0xf bound_ctrl:1
	v_cvt_f32_i32_dpp v14, v15 row_shr:4 row_mask:0xf bank_mask:0xf bound_ctrl:1
	s_delay_alu instid0(VALU_DEP_3) | instskip(NEXT) | instid1(VALU_DEP_2)
	v_cvt_f32_i32_dpp v18, v18 row_shr:1 row_mask:0xf bank_mask:0xf bound_ctrl:1
	v_dual_add_f32 v13, v7, v13 :: v_dual_add_f32 v8, v8, v14
	v_add_f32_e32 v9, v85, v10
	v_cvt_i32_f32_e32 v10, v5
	s_delay_alu instid0(VALU_DEP_4) | instskip(NEXT) | instid1(VALU_DEP_2)
	v_add_f32_e32 v7, v6, v18
	v_cvt_f32_i32_dpp v10, v10 row_shr:2 row_mask:0xf bank_mask:0xf bound_ctrl:1
	s_delay_alu instid0(VALU_DEP_1) | instskip(SKIP_1) | instid1(VALU_DEP_2)
	v_add_f32_e32 v5, v5, v10
	v_cvt_i32_f32_e32 v10, v12
	v_cvt_i32_f32_e32 v15, v5
	s_delay_alu instid0(VALU_DEP_2) | instskip(NEXT) | instid1(VALU_DEP_2)
	v_cvt_f32_i32_dpp v10, v10 row_shr:4 row_mask:0xf bank_mask:0xf bound_ctrl:1
	v_cvt_f32_i32_dpp v15, v15 row_shr:1 row_mask:0xf bank_mask:0xf bound_ctrl:1
	s_delay_alu instid0(VALU_DEP_2) | instskip(SKIP_1) | instid1(VALU_DEP_3)
	v_add_f32_e32 v6, v12, v10
	v_cvt_i32_f32_e32 v10, v13
	v_add_f32_e32 v29, v5, v15
	s_delay_alu instid0(VALU_DEP_3) | instskip(NEXT) | instid1(VALU_DEP_3)
	v_cvt_i32_f32_e32 v15, v6
	v_cvt_f32_i32_dpp v10, v10 row_shr:2 row_mask:0xf bank_mask:0xf bound_ctrl:1
	v_add_f32_e32 v11, v84, v11
	ds_bpermute_b32 v30, v31, v29
	v_cvt_f32_i32_dpp v15, v15 row_shr:2 row_mask:0xf bank_mask:0xf bound_ctrl:1
	v_add_f32_e32 v10, v13, v10
	v_cvt_i32_f32_e32 v17, v11
	s_delay_alu instid0(VALU_DEP_3) | instskip(NEXT) | instid1(VALU_DEP_2)
	v_add_f32_e32 v6, v6, v15
	v_cvt_f32_i32_dpp v17, v17 row_shr:4 row_mask:0xf bank_mask:0xf bound_ctrl:1
	s_delay_alu instid0(VALU_DEP_2) | instskip(NEXT) | instid1(VALU_DEP_2)
	v_cvt_i32_f32_e32 v15, v6
	v_add_f32_e32 v5, v11, v17
	v_cvt_i32_f32_e32 v11, v8
	s_delay_alu instid0(VALU_DEP_3) | instskip(NEXT) | instid1(VALU_DEP_2)
	v_cvt_f32_i32_dpp v15, v15 row_shr:1 row_mask:0xf bank_mask:0xf bound_ctrl:1
	v_cvt_f32_i32_dpp v11, v11 row_shr:2 row_mask:0xf bank_mask:0xf bound_ctrl:1
	s_delay_alu instid0(VALU_DEP_1) | instskip(SKIP_2) | instid1(VALU_DEP_2)
	v_add_f32_e32 v8, v8, v11
	v_cvt_i32_f32_e32 v16, v9
	v_cvt_i32_f32_e32 v11, v10
	v_cvt_f32_i32_dpp v16, v16 row_shr:4 row_mask:0xf bank_mask:0xf bound_ctrl:1
	s_delay_alu instid0(VALU_DEP_2) | instskip(NEXT) | instid1(VALU_DEP_2)
	v_cvt_f32_i32_dpp v11, v11 row_shr:1 row_mask:0xf bank_mask:0xf bound_ctrl:1
	v_add_f32_e32 v9, v9, v16
	s_delay_alu instid0(VALU_DEP_2) | instskip(SKIP_1) | instid1(VALU_DEP_3)
	v_add_f32_e32 v25, v10, v11
	v_cvt_i32_f32_e32 v10, v80
	v_cvt_i32_f32_e32 v12, v9
	s_delay_alu instid0(VALU_DEP_2) | instskip(NEXT) | instid1(VALU_DEP_2)
	v_cvt_f32_i32_dpp v10, v10 row_shr:8 row_mask:0xf bank_mask:0xf bound_ctrl:1
	v_cvt_f32_i32_dpp v12, v12 row_shr:2 row_mask:0xf bank_mask:0xf bound_ctrl:1
	s_delay_alu instid0(VALU_DEP_1) | instskip(SKIP_1) | instid1(VALU_DEP_2)
	v_dual_add_f32 v10, v80, v10 :: v_dual_add_f32 v9, v9, v12
	v_cvt_i32_f32_e32 v12, v8
	v_cvt_i32_f32_e32 v20, v10
	s_delay_alu instid0(VALU_DEP_3) | instskip(NEXT) | instid1(VALU_DEP_3)
	v_cvt_i32_f32_e32 v13, v9
	v_cvt_f32_i32_dpp v12, v12 row_shr:1 row_mask:0xf bank_mask:0xf bound_ctrl:1
	s_delay_alu instid0(VALU_DEP_3) | instskip(NEXT) | instid1(VALU_DEP_3)
	v_cvt_f32_i32_dpp v20, v20 row_shr:4 row_mask:0xf bank_mask:0xf bound_ctrl:1
	v_cvt_f32_i32_dpp v13, v13 row_shr:1 row_mask:0xf bank_mask:0xf bound_ctrl:1
	s_delay_alu instid0(VALU_DEP_2) | instskip(NEXT) | instid1(VALU_DEP_2)
	v_add_f32_e32 v10, v10, v20
	v_dual_add_f32 v16, v9, v13 :: v_dual_add_f32 v9, v6, v15
	v_cvt_i32_f32_e32 v6, v79
	ds_bpermute_b32 v24, v31, v7
	v_cvt_i32_f32_e32 v20, v10
	ds_bpermute_b32 v18, v31, v16
	v_cvt_f32_i32_dpp v6, v6 row_shr:8 row_mask:0xf bank_mask:0xf bound_ctrl:1
	v_cvt_f32_i32_dpp v20, v20 row_shr:2 row_mask:0xf bank_mask:0xf bound_ctrl:1
	s_delay_alu instid0(VALU_DEP_2) | instskip(NEXT) | instid1(VALU_DEP_1)
	v_add_f32_e32 v6, v79, v6
	v_cvt_i32_f32_e32 v17, v6
	s_delay_alu instid0(VALU_DEP_1) | instskip(SKIP_3) | instid1(VALU_DEP_4)
	v_cvt_f32_i32_dpp v17, v17 row_shr:4 row_mask:0xf bank_mask:0xf bound_ctrl:1
	v_add_f32_e32 v21, v8, v12
	v_cvt_i32_f32_e32 v8, v82
	v_cvt_i32_f32_e32 v12, v78
	v_add_f32_e32 v6, v6, v17
	ds_bpermute_b32 v23, v31, v21
	v_cvt_f32_i32_dpp v8, v8 row_shr:8 row_mask:0xf bank_mask:0xf bound_ctrl:1
	v_cvt_f32_i32_dpp v12, v12 row_shr:8 row_mask:0xf bank_mask:0xf bound_ctrl:1
	v_cvt_i32_f32_e32 v17, v6
	s_delay_alu instid0(VALU_DEP_3) | instskip(SKIP_1) | instid1(VALU_DEP_4)
	v_add_f32_e32 v8, v82, v8
	v_cvt_i32_f32_e32 v14, v5
	v_add_f32_e32 v12, v78, v12
	s_delay_alu instid0(VALU_DEP_4) | instskip(NEXT) | instid1(VALU_DEP_4)
	v_cvt_f32_i32_dpp v17, v17 row_shr:2 row_mask:0xf bank_mask:0xf bound_ctrl:1
	v_cvt_i32_f32_e32 v19, v8
	s_delay_alu instid0(VALU_DEP_4) | instskip(NEXT) | instid1(VALU_DEP_4)
	v_cvt_f32_i32_dpp v14, v14 row_shr:2 row_mask:0xf bank_mask:0xf bound_ctrl:1
	v_cvt_i32_f32_e32 v22, v12
	s_delay_alu instid0(VALU_DEP_4) | instskip(NEXT) | instid1(VALU_DEP_4)
	v_add_f32_e32 v6, v6, v17
	v_cvt_f32_i32_dpp v19, v19 row_shr:4 row_mask:0xf bank_mask:0xf bound_ctrl:1
	s_delay_alu instid0(VALU_DEP_4) | instskip(NEXT) | instid1(VALU_DEP_4)
	v_add_f32_e32 v5, v5, v14
	v_cvt_f32_i32_dpp v22, v22 row_shr:4 row_mask:0xf bank_mask:0xf bound_ctrl:1
	s_delay_alu instid0(VALU_DEP_4) | instskip(NEXT) | instid1(VALU_DEP_4)
	v_cvt_i32_f32_e32 v17, v6
	v_add_f32_e32 v8, v8, v19
	s_delay_alu instid0(VALU_DEP_4) | instskip(NEXT) | instid1(VALU_DEP_4)
	v_cvt_i32_f32_e32 v14, v5
	v_add_f32_e32 v12, v12, v22
	ds_bpermute_b32 v27, v31, v25
	v_cvt_f32_i32_dpp v17, v17 row_shr:1 row_mask:0xf bank_mask:0xf bound_ctrl:1
	v_cvt_i32_f32_e32 v19, v8
	v_cvt_f32_i32_dpp v14, v14 row_shr:1 row_mask:0xf bank_mask:0xf bound_ctrl:1
	v_cvt_i32_f32_e32 v22, v12
	s_delay_alu instid0(VALU_DEP_3) | instskip(NEXT) | instid1(VALU_DEP_3)
	v_cvt_f32_i32_dpp v19, v19 row_shr:2 row_mask:0xf bank_mask:0xf bound_ctrl:1
	v_add_f32_e32 v13, v5, v14
	v_cvt_i32_f32_e32 v5, v81
	s_delay_alu instid0(VALU_DEP_4) | instskip(NEXT) | instid1(VALU_DEP_4)
	v_cvt_f32_i32_dpp v22, v22 row_shr:2 row_mask:0xf bank_mask:0xf bound_ctrl:1
	v_add_f32_e32 v8, v8, v19
	ds_bpermute_b32 v15, v31, v13
	v_cvt_f32_i32_dpp v5, v5 row_shr:8 row_mask:0xf bank_mask:0xf bound_ctrl:1
	v_cvt_i32_f32_e32 v19, v8
	s_delay_alu instid0(VALU_DEP_2) | instskip(NEXT) | instid1(VALU_DEP_2)
	v_add_f32_e32 v5, v81, v5
	v_cvt_f32_i32_dpp v19, v19 row_shr:1 row_mask:0xf bank_mask:0xf bound_ctrl:1
	v_add_f32_e32 v10, v10, v20
	s_delay_alu instid0(VALU_DEP_3) | instskip(NEXT) | instid1(VALU_DEP_2)
	v_cvt_i32_f32_e32 v14, v5
	v_cvt_i32_f32_e32 v20, v10
	s_delay_alu instid0(VALU_DEP_2) | instskip(NEXT) | instid1(VALU_DEP_2)
	v_cvt_f32_i32_dpp v14, v14 row_shr:4 row_mask:0xf bank_mask:0xf bound_ctrl:1
	v_cvt_f32_i32_dpp v28, v20 row_shr:1 row_mask:0xf bank_mask:0xf bound_ctrl:1
	s_delay_alu instid0(VALU_DEP_2) | instskip(SKIP_1) | instid1(VALU_DEP_2)
	v_dual_add_f32 v5, v5, v14 :: v_dual_add_f32 v20, v6, v17
	v_add_f32_e32 v17, v8, v19
	v_cvt_i32_f32_e32 v14, v5
	ds_bpermute_b32 v19, v31, v17
	v_cvt_f32_i32_dpp v14, v14 row_shr:2 row_mask:0xf bank_mask:0xf bound_ctrl:1
	s_delay_alu instid0(VALU_DEP_1) | instskip(SKIP_4) | instid1(VALU_DEP_2)
	v_add_f32_e32 v5, v5, v14
	v_add_f32_e32 v14, v12, v22
	ds_bpermute_b32 v11, v31, v9
	v_cvt_i32_f32_e32 v12, v5
	v_cvt_i32_f32_e32 v22, v14
	v_cvt_f32_i32_dpp v12, v12 row_shr:1 row_mask:0xf bank_mask:0xf bound_ctrl:1
	s_delay_alu instid0(VALU_DEP_2) | instskip(NEXT) | instid1(VALU_DEP_2)
	v_cvt_f32_i32_dpp v22, v22 row_shr:1 row_mask:0xf bank_mask:0xf bound_ctrl:1
	v_add_f32_e32 v26, v5, v12
	v_add_f32_e32 v12, v10, v28
	s_delay_alu instid0(VALU_DEP_3)
	v_add_f32_e32 v8, v14, v22
	ds_bpermute_b32 v22, v31, v20
	ds_bpermute_b32 v28, v31, v26
	;; [unrolled: 1-line block ×4, first 2 shown]
	s_and_saveexec_b32 s5, s0
	s_cbranch_execz .LBB97_48
; %bb.33:                               ;   in Loop: Header=BB97_12 Depth=1
	v_dual_mov_b32 v42, 0 :: v_dual_add_nc_u32 v5, 3, v61
	v_dual_mov_b32 v41, 0 :: v_dual_add_nc_u32 v6, 2, v61
	v_dual_mov_b32 v40, 0 :: v_dual_mov_b32 v39, 0
	v_dual_mov_b32 v38, 0 :: v_dual_mov_b32 v37, 0
	;; [unrolled: 1-line block ×5, first 2 shown]
	s_and_not1_b32 vcc_lo, exec_lo, s30
	s_cbranch_vccnz .LBB97_35
; %bb.34:                               ;   in Loop: Header=BB97_12 Depth=1
	v_mul_hi_u32 v31, v61, v77
	v_mul_hi_u32 v32, v6, v77
	v_add_nc_u32_e32 v33, 1, v61
	v_mul_hi_u32 v34, v5, v77
	v_mov_b32_e32 v48, v63
	v_mov_b32_e32 v52, v63
	v_mul_lo_u32 v31, v31, s8
	v_mul_lo_u32 v36, v32, s8
	v_mov_b32_e32 v32, v63
	v_mul_hi_u32 v35, v33, v77
	v_mul_lo_u32 v37, v34, s8
	v_sub_nc_u32_e32 v31, v61, v31
	v_sub_nc_u32_e32 v38, v6, v36
	s_delay_alu instid0(VALU_DEP_4) | instskip(NEXT) | instid1(VALU_DEP_4)
	v_mul_lo_u32 v35, v35, s8
	v_sub_nc_u32_e32 v37, v5, v37
	s_delay_alu instid0(VALU_DEP_4) | instskip(SKIP_1) | instid1(VALU_DEP_3)
	v_subrev_nc_u32_e32 v39, s8, v31
	v_cmp_le_u32_e32 vcc_lo, s8, v31
	v_subrev_nc_u32_e32 v40, s8, v37
	v_sub_nc_u32_e32 v33, v33, v35
	v_subrev_nc_u32_e32 v35, s8, v38
	v_cndmask_b32_e32 v31, v31, v39, vcc_lo
	v_cmp_le_u32_e32 vcc_lo, s8, v38
	v_mov_b32_e32 v34, v63
	v_subrev_nc_u32_e32 v39, s8, v33
	v_cndmask_b32_e32 v35, v38, v35, vcc_lo
	v_cmp_le_u32_e32 vcc_lo, s8, v37
	v_mov_b32_e32 v36, v63
	v_subrev_nc_u32_e32 v38, s8, v31
	v_cndmask_b32_e32 v37, v37, v40, vcc_lo
	v_cmp_le_u32_e32 vcc_lo, s8, v33
	s_delay_alu instid0(VALU_DEP_2)
	v_subrev_nc_u32_e32 v40, s8, v37
	v_cndmask_b32_e32 v39, v33, v39, vcc_lo
	v_cmp_le_u32_e32 vcc_lo, s8, v31
	v_subrev_nc_u32_e32 v33, s8, v35
	v_cndmask_b32_e32 v62, v31, v38, vcc_lo
	v_cmp_le_u32_e32 vcc_lo, s8, v35
	v_subrev_nc_u32_e32 v31, s8, v39
	s_delay_alu instid0(VALU_DEP_4) | instskip(SKIP_4) | instid1(VALU_DEP_3)
	v_cndmask_b32_e32 v33, v35, v33, vcc_lo
	v_cmp_le_u32_e32 vcc_lo, s8, v37
	v_cndmask_b32_e32 v35, v37, v40, vcc_lo
	v_cmp_le_u32_e32 vcc_lo, s8, v39
	v_lshlrev_b64 v[37:38], 1, v[62:63]
	v_lshlrev_b64 v[41:42], 1, v[35:36]
	v_add_nc_u32_e32 v36, s31, v62
	v_dual_cndmask_b32 v31, v39, v31 :: v_dual_add_nc_u32 v62, s36, v62
	v_lshlrev_b64 v[39:40], 1, v[33:34]
	v_add_co_u32 v45, vcc_lo, s14, v37
	v_mov_b32_e32 v37, v63
	s_delay_alu instid0(VALU_DEP_4) | instskip(SKIP_2) | instid1(VALU_DEP_4)
	v_lshlrev_b64 v[43:44], 1, v[31:32]
	v_add_co_ci_u32_e32 v46, vcc_lo, s15, v38, vcc_lo
	v_add_nc_u32_e32 v47, s31, v31
	v_lshlrev_b64 v[36:37], 1, v[36:37]
	v_add_nc_u32_e32 v51, s31, v35
	v_add_co_u32 v43, vcc_lo, s14, v43
	v_add_co_ci_u32_e32 v44, vcc_lo, s15, v44, vcc_lo
	v_add_co_u32 v38, vcc_lo, s14, v39
	v_add_co_ci_u32_e32 v39, vcc_lo, s15, v40, vcc_lo
	v_add_co_u32 v49, vcc_lo, s14, v41
	v_lshlrev_b64 v[40:41], 1, v[47:48]
	v_add_nc_u32_e32 v47, s31, v33
	v_add_co_ci_u32_e32 v50, vcc_lo, s15, v42, vcc_lo
	v_add_co_u32 v36, vcc_lo, s14, v36
	v_add_co_ci_u32_e32 v37, vcc_lo, s15, v37, vcc_lo
	s_delay_alu instid0(VALU_DEP_4) | instskip(SKIP_3) | instid1(VALU_DEP_4)
	v_lshlrev_b64 v[47:48], 1, v[47:48]
	v_add_co_u32 v53, vcc_lo, s14, v40
	v_add_co_ci_u32_e32 v54, vcc_lo, s15, v41, vcc_lo
	v_lshlrev_b64 v[40:41], 1, v[51:52]
	v_add_co_u32 v47, vcc_lo, s14, v47
	v_lshlrev_b64 v[51:52], 1, v[62:63]
	v_add_nc_u32_e32 v62, s36, v31
	v_add_co_ci_u32_e32 v48, vcc_lo, s15, v48, vcc_lo
	v_add_co_u32 v31, vcc_lo, s14, v40
	v_add_co_ci_u32_e32 v32, vcc_lo, s15, v41, vcc_lo
	s_delay_alu instid0(VALU_DEP_4) | instskip(SKIP_3) | instid1(VALU_DEP_3)
	v_lshlrev_b64 v[40:41], 1, v[62:63]
	v_add_nc_u32_e32 v62, s36, v33
	v_add_co_u32 v33, vcc_lo, s14, v51
	v_add_co_ci_u32_e32 v34, vcc_lo, s15, v52, vcc_lo
	v_lshlrev_b64 v[51:52], 1, v[62:63]
	v_add_nc_u32_e32 v62, s36, v35
	v_add_co_u32 v55, vcc_lo, s14, v40
	v_add_co_ci_u32_e32 v56, vcc_lo, s15, v41, vcc_lo
	s_delay_alu instid0(VALU_DEP_3) | instskip(SKIP_2) | instid1(VALU_DEP_3)
	v_lshlrev_b64 v[40:41], 1, v[62:63]
	v_add_co_u32 v51, vcc_lo, s14, v51
	v_add_co_ci_u32_e32 v52, vcc_lo, s15, v52, vcc_lo
	v_add_co_u32 v57, vcc_lo, s14, v40
	s_delay_alu instid0(VALU_DEP_4)
	v_add_co_ci_u32_e32 v58, vcc_lo, s15, v41, vcc_lo
	s_clause 0xb
	global_load_u16 v42, v[45:46], off
	global_load_u16 v41, v[43:44], off
	;; [unrolled: 1-line block ×12, first 2 shown]
.LBB97_35:                              ;   in Loop: Header=BB97_12 Depth=1
	v_cmp_ne_u32_e32 vcc_lo, 0, v1
	s_and_saveexec_b32 s2, vcc_lo
	s_cbranch_execnz .LBB97_53
; %bb.36:                               ;   in Loop: Header=BB97_12 Depth=1
	s_or_b32 exec_lo, exec_lo, s2
	v_cmp_ne_u32_e64 s1, 0, v2
	s_delay_alu instid0(VALU_DEP_1)
	s_and_saveexec_b32 s3, s1
	s_cbranch_execnz .LBB97_54
.LBB97_37:                              ;   in Loop: Header=BB97_12 Depth=1
	s_or_b32 exec_lo, exec_lo, s3
	v_cmp_ne_u32_e64 s2, 0, v3
	s_delay_alu instid0(VALU_DEP_1)
	s_and_saveexec_b32 s4, s2
	s_cbranch_execnz .LBB97_55
.LBB97_38:                              ;   in Loop: Header=BB97_12 Depth=1
	s_or_b32 exec_lo, exec_lo, s4
	v_cmp_ne_u32_e64 s3, 0, v4
	s_delay_alu instid0(VALU_DEP_1)
	s_and_saveexec_b32 s39, s3
	s_cbranch_execnz .LBB97_56
.LBB97_39:                              ;   in Loop: Header=BB97_12 Depth=1
	s_or_b32 exec_lo, exec_lo, s39
	v_add_nc_u32_e32 v62, s19, v61
	s_and_saveexec_b32 s39, vcc_lo
	s_cbranch_execnz .LBB97_57
.LBB97_40:                              ;   in Loop: Header=BB97_12 Depth=1
	s_or_b32 exec_lo, exec_lo, s39
	s_and_saveexec_b32 s39, s1
	s_cbranch_execnz .LBB97_58
.LBB97_41:                              ;   in Loop: Header=BB97_12 Depth=1
	s_or_b32 exec_lo, exec_lo, s39
	s_and_saveexec_b32 s39, s2
	s_cbranch_execnz .LBB97_59
.LBB97_42:                              ;   in Loop: Header=BB97_12 Depth=1
	s_or_b32 exec_lo, exec_lo, s39
	s_and_saveexec_b32 s39, s3
	s_cbranch_execnz .LBB97_60
.LBB97_43:                              ;   in Loop: Header=BB97_12 Depth=1
	s_or_b32 exec_lo, exec_lo, s39
	v_add_nc_u32_e32 v62, s19, v62
	s_and_saveexec_b32 s4, vcc_lo
	s_cbranch_execnz .LBB97_61
.LBB97_44:                              ;   in Loop: Header=BB97_12 Depth=1
	s_or_b32 exec_lo, exec_lo, s4
	s_and_saveexec_b32 s4, s1
	s_cbranch_execnz .LBB97_62
.LBB97_45:                              ;   in Loop: Header=BB97_12 Depth=1
	s_or_b32 exec_lo, exec_lo, s4
	s_and_saveexec_b32 s1, s2
	s_cbranch_execnz .LBB97_63
.LBB97_46:                              ;   in Loop: Header=BB97_12 Depth=1
	s_or_b32 exec_lo, exec_lo, s1
	s_delay_alu instid0(SALU_CYCLE_1)
	s_and_b32 exec_lo, exec_lo, s3
	s_cbranch_execz .LBB97_48
.LBB97_47:                              ;   in Loop: Header=BB97_12 Depth=1
	s_waitcnt lgkmcnt(0)
	v_add_f32_e32 v5, v8, v10
	s_waitcnt vmcnt(0)
	v_cvt_f32_f16_e32 v6, v31
	v_add_nc_u32_e32 v62, 3, v62
	s_delay_alu instid0(VALU_DEP_2) | instskip(NEXT) | instid1(VALU_DEP_2)
	v_add_f32_e32 v7, v5, v6
	v_lshlrev_b64 v[5:6], 1, v[62:63]
	s_delay_alu instid0(VALU_DEP_2) | instskip(NEXT) | instid1(VALU_DEP_2)
	v_cvt_f16_f32_e32 v7, v7
	v_add_co_u32 v5, vcc_lo, s6, v5
	s_delay_alu instid0(VALU_DEP_3)
	v_add_co_ci_u32_e32 v6, vcc_lo, s7, v6, vcc_lo
	global_store_b16 v[5:6], v7, off
.LBB97_48:                              ;   in Loop: Header=BB97_12 Depth=1
	s_or_b32 exec_lo, exec_lo, s5
	v_add_nc_u32_e32 v61, s29, v61
	s_delay_alu instid0(VALU_DEP_1) | instskip(SKIP_1) | instid1(VALU_DEP_2)
	v_add_nc_u32_e32 v5, 4, v61
	v_cmp_gt_u32_e32 vcc_lo, s19, v61
	v_cmp_le_u32_e64 s1, s19, v5
	s_delay_alu instid0(VALU_DEP_1) | instskip(NEXT) | instid1(SALU_CYCLE_1)
	s_and_b32 s1, vcc_lo, s1
	s_and_saveexec_b32 s39, s1
	s_cbranch_execz .LBB97_10
; %bb.49:                               ;   in Loop: Header=BB97_12 Depth=1
	s_mov_b32 s40, exec_lo
	v_cmpx_ne_u32_e64 s9, v61
	s_cbranch_execz .LBB97_9
; %bb.50:                               ;   in Loop: Header=BB97_12 Depth=1
	v_subrev_nc_u32_e32 v5, s9, v61
	s_mov_b32 s41, 0
	s_mov_b64 s[4:5], 0
	s_delay_alu instid0(VALU_DEP_1)
	v_cmp_lt_u32_e32 vcc_lo, 1, v5
	v_cndmask_b32_e32 v5, 1, v5, vcc_lo
	.p2align	6
.LBB97_51:                              ;   Parent Loop BB97_12 Depth=1
                                        ; =>  This Inner Loop Header: Depth=2
	s_cmp_lg_u32 s4, 3
	s_cselect_b32 vcc_lo, -1, 0
	s_cmp_lg_u32 s4, 2
	v_cndmask_b32_e32 v4, 0, v4, vcc_lo
	s_cselect_b32 s1, -1, 0
	s_cmp_lg_u32 s4, 1
	v_cndmask_b32_e64 v3, 0, v3, s1
	s_cselect_b32 s2, -1, 0
	s_cmp_lg_u32 s4, 0
	v_cndmask_b32_e64 v2, 0, v2, s2
	s_cselect_b32 s3, -1, 0
	s_add_u32 s4, s4, 1
	v_cndmask_b32_e64 v1, 0, v1, s3
	v_cmp_eq_u32_e32 vcc_lo, s4, v5
	s_addc_u32 s5, s5, 0
	s_or_b32 s41, vcc_lo, s41
	s_delay_alu instid0(SALU_CYCLE_1)
	s_and_not1_b32 exec_lo, exec_lo, s41
	s_cbranch_execnz .LBB97_51
; %bb.52:                               ;   in Loop: Header=BB97_12 Depth=1
	s_or_b32 exec_lo, exec_lo, s41
	s_branch .LBB97_9
.LBB97_53:                              ;   in Loop: Header=BB97_12 Depth=1
	s_waitcnt lgkmcnt(11)
	v_dual_add_f32 v29, v29, v30 :: v_dual_mov_b32 v62, v63
	s_waitcnt vmcnt(11)
	v_cvt_f32_f16_e32 v30, v42
	s_delay_alu instid0(VALU_DEP_1) | instskip(NEXT) | instid1(VALU_DEP_3)
	v_add_f32_e32 v42, v29, v30
	v_lshlrev_b64 v[29:30], 1, v[61:62]
	s_delay_alu instid0(VALU_DEP_2) | instskip(NEXT) | instid1(VALU_DEP_2)
	v_cvt_f16_f32_e32 v42, v42
	v_add_co_u32 v29, s1, s6, v29
	s_delay_alu instid0(VALU_DEP_1) | instskip(SKIP_3) | instid1(VALU_DEP_1)
	v_add_co_ci_u32_e64 v30, s1, s7, v30, s1
	global_store_b16 v[29:30], v42, off
	s_or_b32 exec_lo, exec_lo, s2
	v_cmp_ne_u32_e64 s1, 0, v2
	s_and_saveexec_b32 s3, s1
	s_cbranch_execz .LBB97_37
.LBB97_54:                              ;   in Loop: Header=BB97_12 Depth=1
	v_mov_b32_e32 v62, v63
	s_waitcnt lgkmcnt(10)
	v_add_f32_e32 v7, v7, v24
	s_waitcnt vmcnt(10)
	v_cvt_f32_f16_e32 v24, v41
	v_lshlrev_b64 v[29:30], 1, v[61:62]
	s_delay_alu instid0(VALU_DEP_2) | instskip(NEXT) | instid1(VALU_DEP_2)
	v_add_f32_e32 v7, v7, v24
	v_add_co_u32 v29, s2, s33, v29
	s_delay_alu instid0(VALU_DEP_2) | instskip(NEXT) | instid1(VALU_DEP_4)
	v_cvt_f16_f32_e32 v7, v7
	v_add_co_ci_u32_e64 v30, s2, s34, v30, s2
	global_store_b16 v[29:30], v7, off
	s_or_b32 exec_lo, exec_lo, s3
	v_cmp_ne_u32_e64 s2, 0, v3
	s_delay_alu instid0(VALU_DEP_1)
	s_and_saveexec_b32 s4, s2
	s_cbranch_execz .LBB97_38
.LBB97_55:                              ;   in Loop: Header=BB97_12 Depth=1
	s_waitcnt lgkmcnt(7)
	v_dual_add_f32 v24, v25, v27 :: v_dual_mov_b32 v7, v63
	s_waitcnt vmcnt(9)
	v_cvt_f32_f16_e32 v25, v40
	s_delay_alu instid0(VALU_DEP_2) | instskip(NEXT) | instid1(VALU_DEP_2)
	v_lshlrev_b64 v[6:7], 1, v[6:7]
	v_add_f32_e32 v24, v24, v25
	s_delay_alu instid0(VALU_DEP_1) | instskip(NEXT) | instid1(VALU_DEP_3)
	v_cvt_f16_f32_e32 v24, v24
	v_add_co_u32 v6, s3, s6, v6
	s_delay_alu instid0(VALU_DEP_1) | instskip(SKIP_3) | instid1(VALU_DEP_1)
	v_add_co_ci_u32_e64 v7, s3, s7, v7, s3
	global_store_b16 v[6:7], v24, off
	s_or_b32 exec_lo, exec_lo, s4
	v_cmp_ne_u32_e64 s3, 0, v4
	s_and_saveexec_b32 s39, s3
	s_cbranch_execz .LBB97_39
.LBB97_56:                              ;   in Loop: Header=BB97_12 Depth=1
	s_waitcnt lgkmcnt(8)
	v_dual_add_f32 v7, v21, v23 :: v_dual_mov_b32 v6, v63
	s_waitcnt vmcnt(8)
	v_cvt_f32_f16_e32 v21, v39
	s_delay_alu instid0(VALU_DEP_2) | instskip(NEXT) | instid1(VALU_DEP_2)
	v_lshlrev_b64 v[5:6], 1, v[5:6]
	v_add_f32_e32 v7, v7, v21
	s_delay_alu instid0(VALU_DEP_1) | instskip(NEXT) | instid1(VALU_DEP_3)
	v_cvt_f16_f32_e32 v7, v7
	v_add_co_u32 v5, s4, s6, v5
	s_delay_alu instid0(VALU_DEP_1)
	v_add_co_ci_u32_e64 v6, s4, s7, v6, s4
	global_store_b16 v[5:6], v7, off
	s_or_b32 exec_lo, exec_lo, s39
	v_add_nc_u32_e32 v62, s19, v61
	s_and_saveexec_b32 s39, vcc_lo
	s_cbranch_execz .LBB97_40
.LBB97_57:                              ;   in Loop: Header=BB97_12 Depth=1
	s_waitcnt lgkmcnt(9)
	v_add_f32_e32 v5, v16, v18
	s_waitcnt vmcnt(7)
	v_cvt_f32_f16_e32 v6, v38
	s_delay_alu instid0(VALU_DEP_1) | instskip(SKIP_1) | instid1(VALU_DEP_2)
	v_add_f32_e32 v7, v5, v6
	v_lshlrev_b64 v[5:6], 1, v[62:63]
	v_cvt_f16_f32_e32 v7, v7
	s_delay_alu instid0(VALU_DEP_2) | instskip(NEXT) | instid1(VALU_DEP_1)
	v_add_co_u32 v5, s4, s6, v5
	v_add_co_ci_u32_e64 v6, s4, s7, v6, s4
	global_store_b16 v[5:6], v7, off
	s_or_b32 exec_lo, exec_lo, s39
	s_and_saveexec_b32 s39, s1
	s_cbranch_execz .LBB97_41
.LBB97_58:                              ;   in Loop: Header=BB97_12 Depth=1
	s_waitcnt lgkmcnt(6)
	v_dual_add_f32 v7, v13, v15 :: v_dual_mov_b32 v6, v63
	v_add_nc_u32_e32 v5, 1, v62
	s_waitcnt vmcnt(6)
	v_cvt_f32_f16_e32 v13, v37
	s_delay_alu instid0(VALU_DEP_2) | instskip(NEXT) | instid1(VALU_DEP_2)
	v_lshlrev_b64 v[5:6], 1, v[5:6]
	v_add_f32_e32 v7, v7, v13
	s_delay_alu instid0(VALU_DEP_1) | instskip(NEXT) | instid1(VALU_DEP_3)
	v_cvt_f16_f32_e32 v7, v7
	v_add_co_u32 v5, s4, s6, v5
	s_delay_alu instid0(VALU_DEP_1)
	v_add_co_ci_u32_e64 v6, s4, s7, v6, s4
	global_store_b16 v[5:6], v7, off
	s_or_b32 exec_lo, exec_lo, s39
	s_and_saveexec_b32 s39, s2
	s_cbranch_execz .LBB97_42
.LBB97_59:                              ;   in Loop: Header=BB97_12 Depth=1
	s_waitcnt lgkmcnt(4)
	v_dual_add_f32 v7, v9, v11 :: v_dual_mov_b32 v6, v63
	v_add_nc_u32_e32 v5, 2, v62
	s_waitcnt vmcnt(5)
	v_cvt_f32_f16_e32 v9, v36
	s_delay_alu instid0(VALU_DEP_2) | instskip(NEXT) | instid1(VALU_DEP_2)
	v_lshlrev_b64 v[5:6], 1, v[5:6]
	v_add_f32_e32 v7, v7, v9
	s_delay_alu instid0(VALU_DEP_1) | instskip(NEXT) | instid1(VALU_DEP_3)
	v_cvt_f16_f32_e32 v7, v7
	v_add_co_u32 v5, s4, s6, v5
	s_delay_alu instid0(VALU_DEP_1)
	v_add_co_ci_u32_e64 v6, s4, s7, v6, s4
	global_store_b16 v[5:6], v7, off
	s_or_b32 exec_lo, exec_lo, s39
	s_and_saveexec_b32 s39, s3
	s_cbranch_execz .LBB97_43
.LBB97_60:                              ;   in Loop: Header=BB97_12 Depth=1
	s_waitcnt lgkmcnt(2)
	v_dual_add_f32 v7, v26, v28 :: v_dual_mov_b32 v6, v63
	v_add_nc_u32_e32 v5, 3, v62
	s_waitcnt vmcnt(4)
	v_cvt_f32_f16_e32 v9, v35
	s_delay_alu instid0(VALU_DEP_2) | instskip(NEXT) | instid1(VALU_DEP_2)
	v_lshlrev_b64 v[5:6], 1, v[5:6]
	v_add_f32_e32 v7, v7, v9
	s_delay_alu instid0(VALU_DEP_1) | instskip(NEXT) | instid1(VALU_DEP_3)
	v_cvt_f16_f32_e32 v7, v7
	v_add_co_u32 v5, s4, s6, v5
	s_delay_alu instid0(VALU_DEP_1)
	v_add_co_ci_u32_e64 v6, s4, s7, v6, s4
	global_store_b16 v[5:6], v7, off
	s_or_b32 exec_lo, exec_lo, s39
	v_add_nc_u32_e32 v62, s19, v62
	s_and_saveexec_b32 s4, vcc_lo
	s_cbranch_execz .LBB97_44
.LBB97_61:                              ;   in Loop: Header=BB97_12 Depth=1
	s_waitcnt lgkmcnt(3)
	v_add_f32_e32 v5, v20, v22
	s_waitcnt vmcnt(3)
	v_cvt_f32_f16_e32 v6, v34
	s_delay_alu instid0(VALU_DEP_1) | instskip(SKIP_1) | instid1(VALU_DEP_2)
	v_add_f32_e32 v7, v5, v6
	v_lshlrev_b64 v[5:6], 1, v[62:63]
	v_cvt_f16_f32_e32 v7, v7
	s_delay_alu instid0(VALU_DEP_2) | instskip(NEXT) | instid1(VALU_DEP_3)
	v_add_co_u32 v5, vcc_lo, s6, v5
	v_add_co_ci_u32_e32 v6, vcc_lo, s7, v6, vcc_lo
	global_store_b16 v[5:6], v7, off
	s_or_b32 exec_lo, exec_lo, s4
	s_and_saveexec_b32 s4, s1
	s_cbranch_execz .LBB97_45
.LBB97_62:                              ;   in Loop: Header=BB97_12 Depth=1
	s_waitcnt lgkmcnt(5)
	v_dual_add_f32 v7, v17, v19 :: v_dual_mov_b32 v6, v63
	v_add_nc_u32_e32 v5, 1, v62
	s_waitcnt vmcnt(2)
	v_cvt_f32_f16_e32 v9, v33
	s_delay_alu instid0(VALU_DEP_2) | instskip(NEXT) | instid1(VALU_DEP_2)
	v_lshlrev_b64 v[5:6], 1, v[5:6]
	v_add_f32_e32 v7, v7, v9
	s_delay_alu instid0(VALU_DEP_1) | instskip(NEXT) | instid1(VALU_DEP_3)
	v_cvt_f16_f32_e32 v7, v7
	v_add_co_u32 v5, vcc_lo, s6, v5
	s_delay_alu instid0(VALU_DEP_4)
	v_add_co_ci_u32_e32 v6, vcc_lo, s7, v6, vcc_lo
	global_store_b16 v[5:6], v7, off
	s_or_b32 exec_lo, exec_lo, s4
	s_and_saveexec_b32 s1, s2
	s_cbranch_execz .LBB97_46
.LBB97_63:                              ;   in Loop: Header=BB97_12 Depth=1
	s_waitcnt lgkmcnt(1)
	v_dual_add_f32 v7, v12, v14 :: v_dual_mov_b32 v6, v63
	v_add_nc_u32_e32 v5, 2, v62
	s_waitcnt vmcnt(1)
	v_cvt_f32_f16_e32 v9, v32
	s_delay_alu instid0(VALU_DEP_2) | instskip(NEXT) | instid1(VALU_DEP_2)
	v_lshlrev_b64 v[5:6], 1, v[5:6]
	v_add_f32_e32 v7, v7, v9
	s_delay_alu instid0(VALU_DEP_1) | instskip(NEXT) | instid1(VALU_DEP_3)
	v_cvt_f16_f32_e32 v7, v7
	v_add_co_u32 v5, vcc_lo, s6, v5
	s_delay_alu instid0(VALU_DEP_4) | instskip(SKIP_2) | instid1(SALU_CYCLE_1)
	v_add_co_ci_u32_e32 v6, vcc_lo, s7, v6, vcc_lo
	global_store_b16 v[5:6], v7, off
	s_or_b32 exec_lo, exec_lo, s1
	s_and_b32 exec_lo, exec_lo, s3
	s_cbranch_execnz .LBB97_47
	s_branch .LBB97_48
.LBB97_64:
	s_nop 0
	s_sendmsg sendmsg(MSG_DEALLOC_VGPRS)
	s_endpgm
	.section	.rodata,"a",@progbits
	.p2align	6, 0x0
	.amdhsa_kernel _Z16wvSplitK_hf_big_I6__halfLi64ELi4ELi16ELi8ELi2ELi3EEviiiiiiPKT_S3_S3_PS1_ii
		.amdhsa_group_segment_fixed_size 65536
		.amdhsa_private_segment_fixed_size 0
		.amdhsa_kernarg_size 64
		.amdhsa_user_sgpr_count 15
		.amdhsa_user_sgpr_dispatch_ptr 0
		.amdhsa_user_sgpr_queue_ptr 0
		.amdhsa_user_sgpr_kernarg_segment_ptr 1
		.amdhsa_user_sgpr_dispatch_id 0
		.amdhsa_user_sgpr_private_segment_size 0
		.amdhsa_wavefront_size32 1
		.amdhsa_uses_dynamic_stack 0
		.amdhsa_enable_private_segment 0
		.amdhsa_system_sgpr_workgroup_id_x 1
		.amdhsa_system_sgpr_workgroup_id_y 0
		.amdhsa_system_sgpr_workgroup_id_z 0
		.amdhsa_system_sgpr_workgroup_info 0
		.amdhsa_system_vgpr_workitem_id 1
		.amdhsa_next_free_vgpr 93
		.amdhsa_next_free_sgpr 42
		.amdhsa_reserve_vcc 1
		.amdhsa_float_round_mode_32 0
		.amdhsa_float_round_mode_16_64 0
		.amdhsa_float_denorm_mode_32 3
		.amdhsa_float_denorm_mode_16_64 3
		.amdhsa_dx10_clamp 1
		.amdhsa_ieee_mode 1
		.amdhsa_fp16_overflow 0
		.amdhsa_workgroup_processor_mode 1
		.amdhsa_memory_ordered 1
		.amdhsa_forward_progress 0
		.amdhsa_shared_vgpr_count 0
		.amdhsa_exception_fp_ieee_invalid_op 0
		.amdhsa_exception_fp_denorm_src 0
		.amdhsa_exception_fp_ieee_div_zero 0
		.amdhsa_exception_fp_ieee_overflow 0
		.amdhsa_exception_fp_ieee_underflow 0
		.amdhsa_exception_fp_ieee_inexact 0
		.amdhsa_exception_int_div_zero 0
	.end_amdhsa_kernel
	.section	.text._Z16wvSplitK_hf_big_I6__halfLi64ELi4ELi16ELi8ELi2ELi3EEviiiiiiPKT_S3_S3_PS1_ii,"axG",@progbits,_Z16wvSplitK_hf_big_I6__halfLi64ELi4ELi16ELi8ELi2ELi3EEviiiiiiPKT_S3_S3_PS1_ii,comdat
.Lfunc_end97:
	.size	_Z16wvSplitK_hf_big_I6__halfLi64ELi4ELi16ELi8ELi2ELi3EEviiiiiiPKT_S3_S3_PS1_ii, .Lfunc_end97-_Z16wvSplitK_hf_big_I6__halfLi64ELi4ELi16ELi8ELi2ELi3EEviiiiiiPKT_S3_S3_PS1_ii
                                        ; -- End function
	.section	.AMDGPU.csdata,"",@progbits
; Kernel info:
; codeLenInByte = 7156
; NumSgprs: 44
; NumVgprs: 93
; ScratchSize: 0
; MemoryBound: 0
; FloatMode: 240
; IeeeMode: 1
; LDSByteSize: 65536 bytes/workgroup (compile time only)
; SGPRBlocks: 5
; VGPRBlocks: 11
; NumSGPRsForWavesPerEU: 44
; NumVGPRsForWavesPerEU: 93
; Occupancy: 16
; WaveLimiterHint : 0
; COMPUTE_PGM_RSRC2:SCRATCH_EN: 0
; COMPUTE_PGM_RSRC2:USER_SGPR: 15
; COMPUTE_PGM_RSRC2:TRAP_HANDLER: 0
; COMPUTE_PGM_RSRC2:TGID_X_EN: 1
; COMPUTE_PGM_RSRC2:TGID_Y_EN: 0
; COMPUTE_PGM_RSRC2:TGID_Z_EN: 0
; COMPUTE_PGM_RSRC2:TIDIG_COMP_CNT: 1
	.section	.text._Z16wvSplitK_hf_sml_I6__halfLi32ELi1ELi16ELi8ELi4ELi4EEviiiiiiPKT_S3_S3_PS1_ii,"axG",@progbits,_Z16wvSplitK_hf_sml_I6__halfLi32ELi1ELi16ELi8ELi4ELi4EEviiiiiiPKT_S3_S3_PS1_ii,comdat
	.protected	_Z16wvSplitK_hf_sml_I6__halfLi32ELi1ELi16ELi8ELi4ELi4EEviiiiiiPKT_S3_S3_PS1_ii ; -- Begin function _Z16wvSplitK_hf_sml_I6__halfLi32ELi1ELi16ELi8ELi4ELi4EEviiiiiiPKT_S3_S3_PS1_ii
	.globl	_Z16wvSplitK_hf_sml_I6__halfLi32ELi1ELi16ELi8ELi4ELi4EEviiiiiiPKT_S3_S3_PS1_ii
	.p2align	8
	.type	_Z16wvSplitK_hf_sml_I6__halfLi32ELi1ELi16ELi8ELi4ELi4EEviiiiiiPKT_S3_S3_PS1_ii,@function
_Z16wvSplitK_hf_sml_I6__halfLi32ELi1ELi16ELi8ELi4ELi4EEviiiiiiPKT_S3_S3_PS1_ii: ; @_Z16wvSplitK_hf_sml_I6__halfLi32ELi1ELi16ELi8ELi4ELi4EEviiiiiiPKT_S3_S3_PS1_ii
; %bb.0:
	s_load_b128 s[4:7], s[0:1], 0x0
	v_and_b32_e32 v1, 0x3ff, v0
	v_bfe_u32 v0, v0, 10, 10
	s_mov_b32 s8, exec_lo
	s_delay_alu instid0(VALU_DEP_2) | instskip(NEXT) | instid1(VALU_DEP_1)
	v_lshlrev_b32_e32 v82, 3, v1
	v_lshl_add_u32 v3, v0, 8, v82
	s_waitcnt lgkmcnt(0)
	s_lshl_b32 s14, s6, 2
	s_delay_alu instid0(SALU_CYCLE_1)
	s_min_u32 s9, s14, 0x8000
	s_delay_alu instid0(VALU_DEP_1) | instid1(SALU_CYCLE_1)
	v_cmpx_gt_u32_e64 s9, v3
	s_cbranch_execz .LBB98_9
; %bb.1:
	s_load_b64 s[2:3], s[0:1], 0x20
	v_lshlrev_b32_e32 v2, 1, v3
	v_add_nc_u32_e32 v8, 0x1000, v3
	s_mov_b32 s10, exec_lo
	s_waitcnt lgkmcnt(0)
	global_load_b128 v[4:7], v2, s[2:3]
	s_waitcnt vmcnt(0)
	ds_store_b128 v2, v[4:7]
	v_cmpx_gt_u32_e64 s9, v8
	s_xor_b32 s10, exec_lo, s10
	s_cbranch_execz .LBB98_9
; %bb.2:
	v_add_co_u32 v4, s2, s2, v2
	s_delay_alu instid0(VALU_DEP_1) | instskip(SKIP_1) | instid1(VALU_DEP_3)
	v_add_co_ci_u32_e64 v5, null, s3, 0, s2
	v_add_nc_u32_e32 v10, 0x2000, v3
	v_add_co_u32 v6, vcc_lo, 0x2000, v4
	s_delay_alu instid0(VALU_DEP_3)
	v_add_co_ci_u32_e32 v7, vcc_lo, 0, v5, vcc_lo
	s_mov_b32 s2, exec_lo
	global_load_b128 v[6:9], v[6:7], off
	s_waitcnt vmcnt(0)
	ds_store_b128 v2, v[6:9] offset:8192
	v_cmpx_gt_u32_e64 s9, v10
	s_xor_b32 s2, exec_lo, s2
	s_cbranch_execz .LBB98_9
; %bb.3:
	v_add_co_u32 v6, vcc_lo, 0x4000, v4
	v_add_co_ci_u32_e32 v7, vcc_lo, 0, v5, vcc_lo
	v_add_nc_u32_e32 v10, 0x3000, v3
	s_mov_b32 s2, exec_lo
	global_load_b128 v[6:9], v[6:7], off
	s_waitcnt vmcnt(0)
	ds_store_b128 v2, v[6:9] offset:16384
	v_cmpx_gt_u32_e64 s9, v10
	s_xor_b32 s2, exec_lo, s2
	s_cbranch_execz .LBB98_9
; %bb.4:
	v_add_co_u32 v6, vcc_lo, 0x6000, v4
	v_add_co_ci_u32_e32 v7, vcc_lo, 0, v5, vcc_lo
	v_add_nc_u32_e32 v10, 0x4000, v3
	;; [unrolled: 11-line block ×5, first 2 shown]
	s_mov_b32 s2, exec_lo
	global_load_b128 v[6:9], v[6:7], off
	s_waitcnt vmcnt(0)
	ds_store_b128 v2, v[6:9] offset:49152
	v_cmpx_gt_u32_e64 s9, v3
	s_xor_b32 s2, exec_lo, s2
	s_cbranch_execz .LBB98_9
; %bb.8:
	v_add_co_u32 v3, vcc_lo, 0xe000, v4
	v_add_co_ci_u32_e32 v4, vcc_lo, 0, v5, vcc_lo
	global_load_b128 v[3:6], v[3:4], off
	s_waitcnt vmcnt(0)
	ds_store_b128 v2, v[3:6] offset:57344
.LBB98_9:
	s_or_b32 exec_lo, exec_lo, s8
	s_load_b64 s[16:17], s[0:1], 0x38
	s_waitcnt lgkmcnt(0)
	s_barrier
	buffer_gl0_inv
	s_mov_b32 s2, exec_lo
	v_cmpx_gt_u32_e64 s16, v0
	s_cbranch_execz .LBB98_30
; %bb.10:
	s_load_b64 s[2:3], s[0:1], 0x10
	v_mad_u64_u32 v[64:65], null, s15, s16, v[0:1]
	s_delay_alu instid0(VALU_DEP_1)
	v_cmp_gt_u32_e32 vcc_lo, s7, v64
	s_and_b32 exec_lo, exec_lo, vcc_lo
	s_cbranch_execz .LBB98_30
; %bb.11:
	s_clause 0x1
	s_load_b128 s[8:11], s[0:1], 0x28
	s_load_b64 s[12:13], s[0:1], 0x18
	s_cmp_lg_u32 s4, 0
	s_waitcnt lgkmcnt(0)
	v_cvt_f32_u32_e32 v2, s2
	s_cselect_b32 s1, -1, 0
	s_add_i32 s15, s4, -8
	s_add_i32 s18, s7, -1
	s_mul_i32 s16, s17, s16
	v_rcp_iflag_f32_e32 v2, v2
	v_cmp_eq_u32_e64 s0, 31, v1
	v_mbcnt_lo_u32_b32 v84, -1, 0
	v_mov_b32_e32 v67, 0
	v_lshlrev_b32_e32 v83, 4, v1
	s_cmp_lg_u64 s[8:9], 0
	s_cselect_b32 s19, -1, 0
	s_abs_i32 s20, s3
	s_sub_i32 s23, 0, s2
	v_cvt_f32_u32_e32 v0, s20
	s_sub_i32 s22, 0, s20
	s_sub_i32 s24, 1, s20
	s_mov_b32 s3, 0
	s_delay_alu instid0(VALU_DEP_1) | instskip(SKIP_2) | instid1(VALU_DEP_1)
	v_rcp_iflag_f32_e32 v0, v0
	s_waitcnt_depctr 0xfff
	v_mul_f32_e32 v0, 0x4f7ffffe, v0
	v_cvt_u32_f32_e32 v0, v0
	s_delay_alu instid0(VALU_DEP_1) | instskip(SKIP_1) | instid1(VALU_DEP_2)
	v_readfirstlane_b32 s21, v0
	v_mul_f32_e32 v0, 0x4f7ffffe, v2
	s_mul_i32 s22, s22, s21
	s_delay_alu instid0(VALU_DEP_1) | instskip(SKIP_1) | instid1(SALU_CYCLE_1)
	v_cvt_u32_f32_e32 v0, v0
	s_mul_hi_u32 s22, s21, s22
	s_add_i32 s21, s21, s22
	s_cmp_lt_u32 s20, 2
	s_delay_alu instid0(VALU_DEP_1) | instskip(SKIP_1) | instid1(SALU_CYCLE_1)
	v_mul_lo_u32 v2, s23, v0
	s_cselect_b32 s22, s24, 1
	s_sub_i32 s17, s22, s20
	s_cmp_ge_u32 s22, s20
	s_cselect_b32 s22, s17, s22
	s_lshr_b32 s17, s21, 31
	s_mul_hi_u32 s21, s21, 3
	s_mul_i32 s23, s17, s20
	s_mul_i32 s21, s21, s20
	s_sub_i32 s23, 2, s23
	v_mul_hi_u32 v1, v0, v2
	s_sub_i32 s24, s23, s20
	s_cmp_ge_u32 s23, s20
	s_mul_i32 s17, s6, 6
	s_cselect_b32 s23, s24, s23
	s_delay_alu instid0(SALU_CYCLE_1) | instskip(SKIP_1) | instid1(VALU_DEP_1)
	s_sub_i32 s24, s23, s20
	s_cmp_ge_u32 s23, s20
	v_add_nc_u32_e32 v85, v0, v1
	s_cselect_b32 s23, s24, s23
	s_sub_i32 s21, 3, s21
	s_delay_alu instid0(SALU_CYCLE_1) | instskip(SKIP_2) | instid1(SALU_CYCLE_1)
	s_sub_i32 s24, s21, s20
	s_cmp_ge_u32 s21, s20
	s_cselect_b32 s21, s24, s21
	s_sub_i32 s24, s21, s20
	s_cmp_ge_u32 s21, s20
	s_mul_i32 s20, s22, s2
	s_cselect_b32 s22, s24, s21
	s_mul_i32 s21, s23, s2
	s_mul_i32 s22, s22, s2
	s_lshl_b32 s6, s6, 1
	s_branch .LBB98_14
.LBB98_12:                              ;   in Loop: Header=BB98_14 Depth=1
	s_waitcnt lgkmcnt(2)
	v_add_f32_e32 v2, v2, v4
	s_waitcnt lgkmcnt(1)
	v_add_f32_e32 v4, v3, v5
	v_add_f32_e32 v6, v6, v7
	s_waitcnt vmcnt(3)
	v_cvt_f32_f16_e32 v7, v11
	s_waitcnt vmcnt(2)
	v_cvt_f32_f16_e32 v3, v10
	v_add_nc_u32_e32 v66, s7, v64
	s_waitcnt vmcnt(0)
	v_cvt_f32_f16_e32 v8, v8
	v_add_f32_e32 v5, v6, v7
	v_add_f32_e32 v7, v2, v3
	v_lshlrev_b64 v[2:3], 1, v[66:67]
	v_add_nc_u32_e32 v66, s7, v66
	s_waitcnt lgkmcnt(0)
	v_add_f32_e32 v6, v0, v1
	v_cvt_f16_f32_e32 v10, v5
	v_cvt_f32_f16_e32 v5, v9
	v_lshlrev_b64 v[0:1], 1, v[64:65]
	v_cvt_f16_f32_e32 v9, v7
	s_delay_alu instid0(VALU_DEP_3)
	v_dual_add_f32 v8, v6, v8 :: v_dual_add_f32 v7, v4, v5
	v_lshlrev_b64 v[4:5], 1, v[66:67]
	v_add_nc_u32_e32 v66, s7, v66
	v_add_co_u32 v0, vcc_lo, s10, v0
	v_add_co_ci_u32_e32 v1, vcc_lo, s11, v1, vcc_lo
	v_add_co_u32 v2, vcc_lo, s10, v2
	v_cvt_f16_f32_e32 v11, v7
	v_lshlrev_b64 v[6:7], 1, v[66:67]
	v_add_co_ci_u32_e32 v3, vcc_lo, s11, v3, vcc_lo
	v_add_co_u32 v4, vcc_lo, s10, v4
	v_add_co_ci_u32_e32 v5, vcc_lo, s11, v5, vcc_lo
	s_delay_alu instid0(VALU_DEP_4)
	v_add_co_u32 v6, vcc_lo, s10, v6
	v_cvt_f16_f32_e32 v8, v8
	v_add_co_ci_u32_e32 v7, vcc_lo, s11, v7, vcc_lo
	s_clause 0x3
	global_store_b16 v[0:1], v10, off
	global_store_b16 v[2:3], v9, off
	;; [unrolled: 1-line block ×4, first 2 shown]
.LBB98_13:                              ;   in Loop: Header=BB98_14 Depth=1
	s_or_b32 exec_lo, exec_lo, s23
	v_add_nc_u32_e32 v64, s16, v64
	s_delay_alu instid0(VALU_DEP_1) | instskip(SKIP_1) | instid1(SALU_CYCLE_1)
	v_cmp_le_u32_e32 vcc_lo, s7, v64
	s_or_b32 s3, vcc_lo, s3
	s_and_not1_b32 exec_lo, exec_lo, s3
	s_cbranch_execz .LBB98_30
.LBB98_14:                              ; =>This Loop Header: Depth=1
                                        ;     Child Loop BB98_20 Depth 2
	v_mov_b32_e32 v89, v67
	v_mov_b32_e32 v88, v67
	;; [unrolled: 1-line block ×4, first 2 shown]
	s_and_not1_b32 vcc_lo, exec_lo, s1
	s_cbranch_vccnz .LBB98_25
; %bb.15:                               ;   in Loop: Header=BB98_14 Depth=1
	v_min_u32_e32 v0, s18, v64
	v_dual_mov_b32 v86, 0 :: v_dual_mov_b32 v87, 0
	v_dual_mov_b32 v90, v83 :: v_dual_mov_b32 v89, 0
	s_delay_alu instid0(VALU_DEP_3) | instskip(SKIP_3) | instid1(VALU_DEP_2)
	v_mul_lo_u32 v66, v0, s5
	v_mov_b32_e32 v88, 0
	s_mov_b32 s23, 0
	s_waitcnt lgkmcnt(0)
	v_lshlrev_b64 v[0:1], 1, v[66:67]
	s_delay_alu instid0(VALU_DEP_1) | instskip(NEXT) | instid1(VALU_DEP_2)
	v_add_co_u32 v91, vcc_lo, s12, v0
	v_add_co_ci_u32_e32 v92, vcc_lo, s13, v1, vcc_lo
	s_branch .LBB98_20
.LBB98_16:                              ;   in Loop: Header=BB98_20 Depth=2
	s_or_b32 exec_lo, exec_lo, s27
.LBB98_17:                              ;   in Loop: Header=BB98_20 Depth=2
	s_delay_alu instid0(SALU_CYCLE_1)
	s_or_b32 exec_lo, exec_lo, s26
.LBB98_18:                              ;   in Loop: Header=BB98_20 Depth=2
	s_delay_alu instid0(SALU_CYCLE_1)
	s_or_b32 exec_lo, exec_lo, s25
.LBB98_19:                              ;   in Loop: Header=BB98_20 Depth=2
	s_delay_alu instid0(SALU_CYCLE_1)
	s_or_b32 exec_lo, exec_lo, s24
	s_waitcnt vmcnt(3) lgkmcnt(4)
	;;#ASMSTART
	v_dot2_f32_f16 v89, v28, v16, v89
	;;#ASMEND
	s_waitcnt lgkmcnt(3)
	;;#ASMSTART
	v_dot2_f32_f16 v88, v40, v16, v88
	;;#ASMEND
	s_waitcnt lgkmcnt(2)
	;; [unrolled: 4-line block ×3, first 2 shown]
	;;#ASMSTART
	v_dot2_f32_f16 v86, v60, v16, v86
	;;#ASMEND
	;;#ASMSTART
	v_dot2_f32_f16 v89, v29, v17, v89
	;;#ASMEND
	;; [unrolled: 3-line block ×13, first 2 shown]
	s_waitcnt vmcnt(2)
	;;#ASMSTART
	v_dot2_f32_f16 v89, v52, v8, v89
	;;#ASMEND
	;;#ASMSTART
	v_dot2_f32_f16 v88, v48, v8, v88
	;;#ASMEND
	;; [unrolled: 3-line block ×16, first 2 shown]
	s_waitcnt vmcnt(1)
	;;#ASMSTART
	v_dot2_f32_f16 v89, v56, v4, v89
	;;#ASMEND
	;;#ASMSTART
	v_dot2_f32_f16 v88, v36, v4, v88
	;;#ASMEND
	;; [unrolled: 3-line block ×12, first 2 shown]
	v_add_nc_u32_e32 v90, 0x800, v90
	;;#ASMSTART
	v_dot2_f32_f16 v89, v59, v7, v89
	;;#ASMEND
	;;#ASMSTART
	v_dot2_f32_f16 v88, v39, v7, v88
	;;#ASMEND
	;; [unrolled: 3-line block ×4, first 2 shown]
	s_addk_i32 s23, 0x400
	s_waitcnt vmcnt(0)
	;;#ASMSTART
	v_dot2_f32_f16 v89, v44, v0, v89
	;;#ASMEND
	;;#ASMSTART
	v_dot2_f32_f16 v88, v24, v0, v88
	;;#ASMEND
	;; [unrolled: 3-line block ×8, first 2 shown]
	s_cmp_ge_u32 s23, s4
	;;#ASMSTART
	v_dot2_f32_f16 v89, v46, v2, v89
	;;#ASMEND
	;;#ASMSTART
	v_dot2_f32_f16 v88, v26, v2, v88
	;;#ASMEND
	;; [unrolled: 3-line block ×8, first 2 shown]
	s_cbranch_scc1 .LBB98_25
.LBB98_20:                              ;   Parent Loop BB98_14 Depth=1
                                        ; =>  This Inner Loop Header: Depth=2
	v_dual_mov_b32 v29, 0 :: v_dual_add_nc_u32 v14, s23, v82
	v_dual_mov_b32 v30, 0 :: v_dual_mov_b32 v55, 0
	v_dual_mov_b32 v52, 0 :: v_dual_mov_b32 v57, 0
	s_delay_alu instid0(VALU_DEP_3) | instskip(SKIP_2) | instid1(VALU_DEP_3)
	v_min_u32_e32 v66, s15, v14
	v_dual_mov_b32 v31, 0 :: v_dual_add_nc_u32 v98, 0x100, v14
	v_dual_mov_b32 v53, 0 :: v_dual_add_nc_u32 v94, 0x200, v14
	v_lshlrev_b64 v[0:1], 1, v[66:67]
	s_delay_alu instid0(VALU_DEP_3) | instskip(SKIP_2) | instid1(VALU_DEP_3)
	v_min_u32_e32 v66, s15, v98
	v_dual_mov_b32 v28, 0 :: v_dual_add_nc_u32 v93, 0x300, v14
	v_dual_mov_b32 v54, 0 :: v_dual_mov_b32 v59, 0
	v_lshlrev_b64 v[2:3], 1, v[66:67]
	v_min_u32_e32 v66, s15, v94
	v_add_co_u32 v0, vcc_lo, v91, v0
	v_add_co_ci_u32_e32 v1, vcc_lo, v92, v1, vcc_lo
	s_delay_alu instid0(VALU_DEP_3) | instskip(SKIP_3) | instid1(VALU_DEP_3)
	v_lshlrev_b64 v[4:5], 1, v[66:67]
	v_min_u32_e32 v66, s15, v93
	v_add_co_u32 v2, vcc_lo, v91, v2
	v_add_co_ci_u32_e32 v3, vcc_lo, v92, v3, vcc_lo
	v_lshlrev_b64 v[6:7], 1, v[66:67]
	v_add_co_u32 v4, vcc_lo, v91, v4
	v_add_co_ci_u32_e32 v5, vcc_lo, v92, v5, vcc_lo
	v_dual_mov_b32 v56, 0 :: v_dual_mov_b32 v45, 0
	s_delay_alu instid0(VALU_DEP_4)
	v_add_co_u32 v12, vcc_lo, v91, v6
	v_add_co_ci_u32_e32 v13, vcc_lo, v92, v7, vcc_lo
	s_clause 0x3
	global_load_b128 v[16:19], v[0:1], off slc dlc
	global_load_b128 v[8:11], v[2:3], off slc dlc
	;; [unrolled: 1-line block ×4, first 2 shown]
	v_cmp_gt_u32_e32 vcc_lo, s4, v14
	v_dual_mov_b32 v58, 0 :: v_dual_mov_b32 v47, 0
	v_dual_mov_b32 v44, 0 :: v_dual_mov_b32 v41, 0
	;; [unrolled: 1-line block ×25, first 2 shown]
	v_mov_b32_e32 v12, 0
	v_mov_b32_e32 v14, 0
	s_and_saveexec_b32 s24, vcc_lo
	s_cbranch_execz .LBB98_19
; %bb.21:                               ;   in Loop: Header=BB98_20 Depth=2
	v_dual_mov_b32 v14, 0 :: v_dual_add_nc_u32 v95, s6, v90
	v_dual_mov_b32 v12, 0 :: v_dual_add_nc_u32 v97, s14, v90
	;; [unrolled: 1-line block ×3, first 2 shown]
	ds_load_b128 v[28:31], v90
	ds_load_b128 v[40:43], v95
	ds_load_2addr_b32 v[80:81], v97 offset1:1
	ds_load_2addr_b32 v[78:79], v97 offset0:2 offset1:3
	ds_load_b128 v[60:63], v96
	v_cmp_gt_u32_e32 vcc_lo, s4, v98
	v_dual_mov_b32 v13, 0 :: v_dual_mov_b32 v22, 0
	v_dual_mov_b32 v23, 0 :: v_dual_mov_b32 v20, 0
	;; [unrolled: 1-line block ×22, first 2 shown]
	v_mov_b32_e32 v53, 0
	s_and_saveexec_b32 s25, vcc_lo
	s_cbranch_execz .LBB98_18
; %bb.22:                               ;   in Loop: Header=BB98_20 Depth=2
	ds_load_b128 v[52:55], v90 offset:512
	ds_load_b128 v[48:51], v95 offset:512
	ds_load_2addr_b32 v[76:77], v97 offset0:128 offset1:129
	ds_load_2addr_b32 v[74:75], v97 offset0:130 offset1:131
	ds_load_b128 v[32:35], v96 offset:512
	v_cmp_gt_u32_e32 vcc_lo, s4, v94
	v_dual_mov_b32 v15, 0 :: v_dual_mov_b32 v14, 0
	v_dual_mov_b32 v13, 0 :: v_dual_mov_b32 v12, 0
	;; [unrolled: 1-line block ×16, first 2 shown]
	s_and_saveexec_b32 s26, vcc_lo
	s_cbranch_execz .LBB98_17
; %bb.23:                               ;   in Loop: Header=BB98_20 Depth=2
	v_dual_mov_b32 v15, 0 :: v_dual_add_nc_u32 v12, 0x400, v97
	v_dual_mov_b32 v14, 0 :: v_dual_add_nc_u32 v13, 0x408, v97
	ds_load_b128 v[56:59], v90 offset:1024
	ds_load_2addr_b32 v[72:73], v12 offset1:1
	ds_load_2addr_b32 v[70:71], v13 offset1:1
	ds_load_b128 v[36:39], v95 offset:1024
	ds_load_b128 v[20:23], v96 offset:1024
	v_dual_mov_b32 v13, 0 :: v_dual_mov_b32 v12, 0
	v_dual_mov_b32 v66, 0 :: v_dual_mov_b32 v65, 0
	;; [unrolled: 1-line block ×7, first 2 shown]
	s_mov_b32 s27, exec_lo
	v_cmpx_gt_u32_e64 s4, v93
	s_cbranch_execz .LBB98_16
; %bb.24:                               ;   in Loop: Header=BB98_20 Depth=2
	v_add_nc_u32_e32 v12, 0x600, v97
	v_add_nc_u32_e32 v13, 0x608, v97
	ds_load_b128 v[44:47], v90 offset:1536
	ds_load_2addr_b32 v[68:69], v12 offset1:1
	ds_load_2addr_b32 v[65:66], v13 offset1:1
	ds_load_b128 v[24:27], v95 offset:1536
	ds_load_b128 v[12:15], v96 offset:1536
	s_branch .LBB98_16
.LBB98_25:                              ;   in Loop: Header=BB98_14 Depth=1
	; sched_barrier mask(0x00000000)
	v_cvt_i32_f32_e32 v0, v89
	s_waitcnt lgkmcnt(0)
	v_cvt_i32_f32_e32 v1, v88
	v_cvt_i32_f32_e32 v2, v87
	;; [unrolled: 1-line block ×3, first 2 shown]
	v_cvt_f32_i32_dpp v0, v0 row_shr:8 row_mask:0xf bank_mask:0xf bound_ctrl:1
	s_delay_alu instid0(VALU_DEP_4) | instskip(NEXT) | instid1(VALU_DEP_4)
	v_cvt_f32_i32_dpp v1, v1 row_shr:8 row_mask:0xf bank_mask:0xf bound_ctrl:1
	v_cvt_f32_i32_dpp v2, v2 row_shr:8 row_mask:0xf bank_mask:0xf bound_ctrl:1
	s_delay_alu instid0(VALU_DEP_4) | instskip(NEXT) | instid1(VALU_DEP_3)
	v_cvt_f32_i32_dpp v3, v3 row_shr:8 row_mask:0xf bank_mask:0xf bound_ctrl:1
	v_dual_add_f32 v0, v89, v0 :: v_dual_add_f32 v1, v88, v1
	s_delay_alu instid0(VALU_DEP_2) | instskip(NEXT) | instid1(VALU_DEP_2)
	v_dual_add_f32 v2, v87, v2 :: v_dual_add_f32 v3, v86, v3
	v_cvt_i32_f32_e32 v4, v0
	s_delay_alu instid0(VALU_DEP_3) | instskip(NEXT) | instid1(VALU_DEP_3)
	v_cvt_i32_f32_e32 v5, v1
	v_cvt_i32_f32_e32 v6, v2
	s_delay_alu instid0(VALU_DEP_4) | instskip(NEXT) | instid1(VALU_DEP_4)
	v_cvt_i32_f32_e32 v7, v3
	v_cvt_f32_i32_dpp v4, v4 row_shr:4 row_mask:0xf bank_mask:0xf bound_ctrl:1
	s_delay_alu instid0(VALU_DEP_4) | instskip(NEXT) | instid1(VALU_DEP_4)
	v_cvt_f32_i32_dpp v5, v5 row_shr:4 row_mask:0xf bank_mask:0xf bound_ctrl:1
	v_cvt_f32_i32_dpp v6, v6 row_shr:4 row_mask:0xf bank_mask:0xf bound_ctrl:1
	s_delay_alu instid0(VALU_DEP_4) | instskip(NEXT) | instid1(VALU_DEP_3)
	v_cvt_f32_i32_dpp v7, v7 row_shr:4 row_mask:0xf bank_mask:0xf bound_ctrl:1
	v_dual_add_f32 v0, v0, v4 :: v_dual_add_f32 v1, v1, v5
	s_delay_alu instid0(VALU_DEP_2) | instskip(NEXT) | instid1(VALU_DEP_2)
	v_dual_add_f32 v2, v2, v6 :: v_dual_add_f32 v3, v3, v7
	v_cvt_i32_f32_e32 v4, v0
	s_delay_alu instid0(VALU_DEP_3) | instskip(NEXT) | instid1(VALU_DEP_3)
	v_cvt_i32_f32_e32 v5, v1
	v_cvt_i32_f32_e32 v6, v2
	s_delay_alu instid0(VALU_DEP_4) | instskip(NEXT) | instid1(VALU_DEP_4)
	v_cvt_i32_f32_e32 v7, v3
	v_cvt_f32_i32_dpp v4, v4 row_shr:2 row_mask:0xf bank_mask:0xf bound_ctrl:1
	s_delay_alu instid0(VALU_DEP_4) | instskip(NEXT) | instid1(VALU_DEP_4)
	v_cvt_f32_i32_dpp v5, v5 row_shr:2 row_mask:0xf bank_mask:0xf bound_ctrl:1
	v_cvt_f32_i32_dpp v6, v6 row_shr:2 row_mask:0xf bank_mask:0xf bound_ctrl:1
	s_delay_alu instid0(VALU_DEP_4) | instskip(NEXT) | instid1(VALU_DEP_3)
	v_cvt_f32_i32_dpp v7, v7 row_shr:2 row_mask:0xf bank_mask:0xf bound_ctrl:1
	v_dual_add_f32 v0, v0, v4 :: v_dual_add_f32 v1, v1, v5
	s_delay_alu instid0(VALU_DEP_2) | instskip(SKIP_1) | instid1(VALU_DEP_3)
	v_dual_add_f32 v4, v2, v6 :: v_dual_add_f32 v5, v3, v7
	v_xor_b32_e32 v2, 16, v84
	v_cvt_i32_f32_e32 v3, v0
	s_delay_alu instid0(VALU_DEP_4) | instskip(NEXT) | instid1(VALU_DEP_4)
	v_cvt_i32_f32_e32 v6, v1
	v_cvt_i32_f32_e32 v7, v4
	;; [unrolled: 1-line block ×3, first 2 shown]
	v_cmp_gt_i32_e32 vcc_lo, 32, v2
	v_cvt_f32_i32_dpp v3, v3 row_shr:1 row_mask:0xf bank_mask:0xf bound_ctrl:1
	v_cvt_f32_i32_dpp v9, v6 row_shr:1 row_mask:0xf bank_mask:0xf bound_ctrl:1
	;; [unrolled: 1-line block ×4, first 2 shown]
	v_cndmask_b32_e32 v2, v84, v2, vcc_lo
	v_add_f32_e32 v6, v0, v3
	s_delay_alu instid0(VALU_DEP_3) | instskip(NEXT) | instid1(VALU_DEP_3)
	v_dual_add_f32 v3, v4, v7 :: v_dual_add_f32 v0, v5, v8
	v_lshlrev_b32_e32 v10, 2, v2
	v_add_f32_e32 v2, v1, v9
	ds_bpermute_b32 v7, v10, v6
	ds_bpermute_b32 v4, v10, v2
	;; [unrolled: 1-line block ×4, first 2 shown]
	s_and_saveexec_b32 s23, s0
	s_cbranch_execz .LBB98_13
; %bb.26:                               ;   in Loop: Header=BB98_14 Depth=1
	s_and_b32 vcc_lo, exec_lo, s19
	s_cbranch_vccz .LBB98_28
; %bb.27:                               ;   in Loop: Header=BB98_14 Depth=1
	v_mul_hi_u32 v8, v64, v85
	v_mov_b32_e32 v11, v67
	v_mov_b32_e32 v65, v67
	s_delay_alu instid0(VALU_DEP_3) | instskip(NEXT) | instid1(VALU_DEP_1)
	v_mul_lo_u32 v8, v8, s2
	v_sub_nc_u32_e32 v8, v64, v8
	s_delay_alu instid0(VALU_DEP_1) | instskip(SKIP_1) | instid1(VALU_DEP_2)
	v_subrev_nc_u32_e32 v9, s2, v8
	v_cmp_le_u32_e32 vcc_lo, s2, v8
	v_cndmask_b32_e32 v8, v8, v9, vcc_lo
	s_delay_alu instid0(VALU_DEP_1) | instskip(SKIP_1) | instid1(VALU_DEP_2)
	v_subrev_nc_u32_e32 v9, s2, v8
	v_cmp_le_u32_e32 vcc_lo, s2, v8
	v_dual_cndmask_b32 v66, v8, v9 :: v_dual_mov_b32 v9, v67
	s_delay_alu instid0(VALU_DEP_1) | instskip(SKIP_3) | instid1(VALU_DEP_4)
	v_add_nc_u32_e32 v8, s20, v66
	v_lshlrev_b64 v[12:13], 1, v[66:67]
	v_add_nc_u32_e32 v10, s21, v66
	v_add_nc_u32_e32 v66, s22, v66
	v_lshlrev_b64 v[8:9], 1, v[8:9]
	s_delay_alu instid0(VALU_DEP_3)
	v_lshlrev_b64 v[10:11], 1, v[10:11]
	v_add_co_u32 v12, vcc_lo, s8, v12
	v_add_co_ci_u32_e32 v13, vcc_lo, s9, v13, vcc_lo
	v_lshlrev_b64 v[14:15], 1, v[66:67]
	v_add_co_u32 v8, vcc_lo, s8, v8
	v_add_co_ci_u32_e32 v9, vcc_lo, s9, v9, vcc_lo
	v_add_co_u32 v16, vcc_lo, s8, v10
	v_add_co_ci_u32_e32 v17, vcc_lo, s9, v11, vcc_lo
	;; [unrolled: 2-line block ×3, first 2 shown]
	s_clause 0x3
	global_load_u16 v11, v[12:13], off
	global_load_u16 v10, v[8:9], off
	;; [unrolled: 1-line block ×4, first 2 shown]
	s_cbranch_execnz .LBB98_12
	s_branch .LBB98_29
.LBB98_28:                              ;   in Loop: Header=BB98_14 Depth=1
                                        ; implicit-def: $vgpr11
                                        ; implicit-def: $vgpr10
                                        ; implicit-def: $vgpr9
                                        ; implicit-def: $vgpr8
.LBB98_29:                              ;   in Loop: Header=BB98_14 Depth=1
	s_waitcnt vmcnt(0)
	v_dual_mov_b32 v65, v67 :: v_dual_mov_b32 v8, 0
	v_dual_mov_b32 v9, 0 :: v_dual_mov_b32 v10, 0
	v_mov_b32_e32 v11, 0
	s_branch .LBB98_12
.LBB98_30:
	s_nop 0
	s_sendmsg sendmsg(MSG_DEALLOC_VGPRS)
	s_endpgm
	.section	.rodata,"a",@progbits
	.p2align	6, 0x0
	.amdhsa_kernel _Z16wvSplitK_hf_sml_I6__halfLi32ELi1ELi16ELi8ELi4ELi4EEviiiiiiPKT_S3_S3_PS1_ii
		.amdhsa_group_segment_fixed_size 65536
		.amdhsa_private_segment_fixed_size 0
		.amdhsa_kernarg_size 64
		.amdhsa_user_sgpr_count 15
		.amdhsa_user_sgpr_dispatch_ptr 0
		.amdhsa_user_sgpr_queue_ptr 0
		.amdhsa_user_sgpr_kernarg_segment_ptr 1
		.amdhsa_user_sgpr_dispatch_id 0
		.amdhsa_user_sgpr_private_segment_size 0
		.amdhsa_wavefront_size32 1
		.amdhsa_uses_dynamic_stack 0
		.amdhsa_enable_private_segment 0
		.amdhsa_system_sgpr_workgroup_id_x 1
		.amdhsa_system_sgpr_workgroup_id_y 0
		.amdhsa_system_sgpr_workgroup_id_z 0
		.amdhsa_system_sgpr_workgroup_info 0
		.amdhsa_system_vgpr_workitem_id 1
		.amdhsa_next_free_vgpr 99
		.amdhsa_next_free_sgpr 28
		.amdhsa_reserve_vcc 1
		.amdhsa_float_round_mode_32 0
		.amdhsa_float_round_mode_16_64 0
		.amdhsa_float_denorm_mode_32 3
		.amdhsa_float_denorm_mode_16_64 3
		.amdhsa_dx10_clamp 1
		.amdhsa_ieee_mode 1
		.amdhsa_fp16_overflow 0
		.amdhsa_workgroup_processor_mode 1
		.amdhsa_memory_ordered 1
		.amdhsa_forward_progress 0
		.amdhsa_shared_vgpr_count 0
		.amdhsa_exception_fp_ieee_invalid_op 0
		.amdhsa_exception_fp_denorm_src 0
		.amdhsa_exception_fp_ieee_div_zero 0
		.amdhsa_exception_fp_ieee_overflow 0
		.amdhsa_exception_fp_ieee_underflow 0
		.amdhsa_exception_fp_ieee_inexact 0
		.amdhsa_exception_int_div_zero 0
	.end_amdhsa_kernel
	.section	.text._Z16wvSplitK_hf_sml_I6__halfLi32ELi1ELi16ELi8ELi4ELi4EEviiiiiiPKT_S3_S3_PS1_ii,"axG",@progbits,_Z16wvSplitK_hf_sml_I6__halfLi32ELi1ELi16ELi8ELi4ELi4EEviiiiiiPKT_S3_S3_PS1_ii,comdat
.Lfunc_end98:
	.size	_Z16wvSplitK_hf_sml_I6__halfLi32ELi1ELi16ELi8ELi4ELi4EEviiiiiiPKT_S3_S3_PS1_ii, .Lfunc_end98-_Z16wvSplitK_hf_sml_I6__halfLi32ELi1ELi16ELi8ELi4ELi4EEviiiiiiPKT_S3_S3_PS1_ii
                                        ; -- End function
	.section	.AMDGPU.csdata,"",@progbits
; Kernel info:
; codeLenInByte = 4396
; NumSgprs: 30
; NumVgprs: 99
; ScratchSize: 0
; MemoryBound: 0
; FloatMode: 240
; IeeeMode: 1
; LDSByteSize: 65536 bytes/workgroup (compile time only)
; SGPRBlocks: 3
; VGPRBlocks: 12
; NumSGPRsForWavesPerEU: 30
; NumVGPRsForWavesPerEU: 99
; Occupancy: 8
; WaveLimiterHint : 0
; COMPUTE_PGM_RSRC2:SCRATCH_EN: 0
; COMPUTE_PGM_RSRC2:USER_SGPR: 15
; COMPUTE_PGM_RSRC2:TRAP_HANDLER: 0
; COMPUTE_PGM_RSRC2:TGID_X_EN: 1
; COMPUTE_PGM_RSRC2:TGID_Y_EN: 0
; COMPUTE_PGM_RSRC2:TGID_Z_EN: 0
; COMPUTE_PGM_RSRC2:TIDIG_COMP_CNT: 1
	.section	.text._Z12wvSplitK_hf_I6__halfLi32ELi1ELi16ELi8ELi4ELi4EEviiiiiiPKT_S3_S3_PS1_ii,"axG",@progbits,_Z12wvSplitK_hf_I6__halfLi32ELi1ELi16ELi8ELi4ELi4EEviiiiiiPKT_S3_S3_PS1_ii,comdat
	.protected	_Z12wvSplitK_hf_I6__halfLi32ELi1ELi16ELi8ELi4ELi4EEviiiiiiPKT_S3_S3_PS1_ii ; -- Begin function _Z12wvSplitK_hf_I6__halfLi32ELi1ELi16ELi8ELi4ELi4EEviiiiiiPKT_S3_S3_PS1_ii
	.globl	_Z12wvSplitK_hf_I6__halfLi32ELi1ELi16ELi8ELi4ELi4EEviiiiiiPKT_S3_S3_PS1_ii
	.p2align	8
	.type	_Z12wvSplitK_hf_I6__halfLi32ELi1ELi16ELi8ELi4ELi4EEviiiiiiPKT_S3_S3_PS1_ii,@function
_Z12wvSplitK_hf_I6__halfLi32ELi1ELi16ELi8ELi4ELi4EEviiiiiiPKT_S3_S3_PS1_ii: ; @_Z12wvSplitK_hf_I6__halfLi32ELi1ELi16ELi8ELi4ELi4EEviiiiiiPKT_S3_S3_PS1_ii
; %bb.0:
	s_clause 0x1
	s_load_b64 s[18:19], s[0:1], 0x38
	s_load_b128 s[4:7], s[0:1], 0x0
	v_bfe_u32 v1, v0, 10, 10
	s_clause 0x1
	s_load_b64 s[12:13], s[0:1], 0x20
	s_load_b64 s[16:17], s[0:1], 0x10
	v_mov_b32_e32 v95, 1
	s_waitcnt lgkmcnt(0)
	v_mad_u64_u32 v[80:81], null, s15, s18, v[1:2]
	s_delay_alu instid0(VALU_DEP_1) | instskip(SKIP_1) | instid1(VALU_DEP_2)
	v_add_nc_u32_e32 v2, 1, v80
	v_cmp_gt_u32_e32 vcc_lo, s7, v80
	v_cmp_le_u32_e64 s2, s7, v2
	s_delay_alu instid0(VALU_DEP_1) | instskip(NEXT) | instid1(SALU_CYCLE_1)
	s_and_b32 s3, vcc_lo, s2
	s_and_saveexec_b32 s2, s3
; %bb.1:
	v_subrev_nc_u32_e32 v2, s7, v80
	s_add_i32 s3, s7, -1
	s_delay_alu instid0(SALU_CYCLE_1) | instskip(NEXT) | instid1(VALU_DEP_2)
	v_mov_b32_e32 v80, s3
	v_cmp_eq_u32_e32 vcc_lo, -1, v2
	v_cndmask_b32_e64 v95, 0, 1, vcc_lo
; %bb.2:
	s_or_b32 exec_lo, exec_lo, s2
	v_and_b32_e32 v0, 0x3ff, v0
	s_lshl_b32 s3, s6, 2
	s_mov_b32 s2, exec_lo
	s_min_u32 s8, s3, 0x8000
	s_delay_alu instid0(VALU_DEP_1) | instskip(NEXT) | instid1(VALU_DEP_1)
	v_lshlrev_b32_e32 v82, 3, v0
	v_lshl_add_u32 v3, v1, 8, v82
	s_delay_alu instid0(VALU_DEP_1)
	v_cmpx_gt_u32_e64 s8, v3
	s_cbranch_execz .LBB99_11
; %bb.3:
	v_lshlrev_b32_e32 v2, 1, v3
	v_add_nc_u32_e32 v8, 0x1000, v3
	s_mov_b32 s9, exec_lo
	global_load_b128 v[4:7], v2, s[12:13]
	s_waitcnt vmcnt(0)
	ds_store_b128 v2, v[4:7]
	v_cmpx_gt_u32_e64 s8, v8
	s_xor_b32 s9, exec_lo, s9
	s_cbranch_execz .LBB99_11
; %bb.4:
	v_add_co_u32 v4, s9, s12, v2
	s_delay_alu instid0(VALU_DEP_1) | instskip(SKIP_1) | instid1(VALU_DEP_3)
	v_add_co_ci_u32_e64 v5, null, s13, 0, s9
	v_add_nc_u32_e32 v10, 0x2000, v3
	v_add_co_u32 v6, vcc_lo, 0x2000, v4
	s_delay_alu instid0(VALU_DEP_3)
	v_add_co_ci_u32_e32 v7, vcc_lo, 0, v5, vcc_lo
	s_mov_b32 s9, exec_lo
	global_load_b128 v[6:9], v[6:7], off
	s_waitcnt vmcnt(0)
	ds_store_b128 v2, v[6:9] offset:8192
	v_cmpx_gt_u32_e64 s8, v10
	s_xor_b32 s9, exec_lo, s9
	s_cbranch_execz .LBB99_11
; %bb.5:
	v_add_co_u32 v6, vcc_lo, 0x4000, v4
	v_add_co_ci_u32_e32 v7, vcc_lo, 0, v5, vcc_lo
	v_add_nc_u32_e32 v10, 0x3000, v3
	s_mov_b32 s9, exec_lo
	global_load_b128 v[6:9], v[6:7], off
	s_waitcnt vmcnt(0)
	ds_store_b128 v2, v[6:9] offset:16384
	v_cmpx_gt_u32_e64 s8, v10
	s_xor_b32 s9, exec_lo, s9
	s_cbranch_execz .LBB99_11
; %bb.6:
	v_add_co_u32 v6, vcc_lo, 0x6000, v4
	v_add_co_ci_u32_e32 v7, vcc_lo, 0, v5, vcc_lo
	v_add_nc_u32_e32 v10, 0x4000, v3
	;; [unrolled: 11-line block ×5, first 2 shown]
	global_load_b128 v[6:9], v[6:7], off
	v_cmp_gt_u32_e32 vcc_lo, s8, v3
	s_waitcnt vmcnt(0)
	ds_store_b128 v2, v[6:9] offset:49152
	s_and_saveexec_b32 s8, vcc_lo
	s_delay_alu instid0(SALU_CYCLE_1)
	s_xor_b32 s8, exec_lo, s8
	s_cbranch_execz .LBB99_11
; %bb.10:
	v_add_co_u32 v3, vcc_lo, 0xe000, v4
	v_add_co_ci_u32_e32 v4, vcc_lo, 0, v5, vcc_lo
	global_load_b128 v[3:6], v[3:4], off
	s_waitcnt vmcnt(0)
	ds_store_b128 v2, v[3:6] offset:57344
.LBB99_11:
	s_or_b32 exec_lo, exec_lo, s2
	v_cmp_gt_u32_e32 vcc_lo, s18, v1
	v_cmp_gt_u32_e64 s2, s7, v80
	s_waitcnt lgkmcnt(0)
	s_barrier
	buffer_gl0_inv
	s_and_b32 s2, vcc_lo, s2
	s_delay_alu instid0(SALU_CYCLE_1)
	s_and_saveexec_b32 s8, s2
	s_cbranch_execz .LBB99_94
; %bb.12:
	s_clause 0x1
	s_load_b128 s[8:11], s[0:1], 0x28
	s_load_b64 s[14:15], s[0:1], 0x18
	s_cmp_lg_u32 s4, 0
	v_cvt_f32_u32_e32 v2, s16
	s_cselect_b32 s20, -1, 0
	s_add_i32 s21, s4, -8
	s_add_i32 s22, s7, -1
	s_mul_i32 s18, s19, s18
	v_rcp_iflag_f32_e32 v2, v2
	v_cmp_eq_u32_e64 s0, 31, v0
	v_lshlrev_b32_e32 v96, 4, v0
	v_mad_u64_u32 v[85:86], null, s6, 3, v[82:83]
	v_add_nc_u32_e32 v97, s6, v82
	v_mbcnt_lo_u32_b32 v98, -1, 0
	v_mov_b32_e32 v84, 0
	s_delay_alu instid0(TRANS32_DEP_1)
	v_mul_f32_e32 v2, 0x4f7ffffe, v2
	s_waitcnt lgkmcnt(0)
	s_cmp_lg_u64 s[8:9], 0
	s_cselect_b32 s23, -1, 0
	s_abs_i32 s1, s17
	s_sub_i32 s24, s18, s7
	v_cvt_f32_u32_e32 v1, s1
	s_sub_i32 s25, 0, s1
	s_lshl_b32 s19, s6, 1
	s_sub_i32 s26, 0, s16
	s_add_i32 s24, s24, 2
	v_rcp_iflag_f32_e32 v1, v1
	s_sub_i32 s27, 1, s1
	v_add_nc_u32_e32 v99, s19, v82
	s_mov_b32 s17, 0
	s_mul_i32 s6, s6, 6
	s_waitcnt_depctr 0xfff
	v_mul_f32_e32 v1, 0x4f7ffffe, v1
	s_delay_alu instid0(VALU_DEP_1) | instskip(NEXT) | instid1(VALU_DEP_1)
	v_cvt_u32_f32_e32 v1, v1
	v_readfirstlane_b32 s2, v1
	v_cvt_u32_f32_e32 v1, v2
	s_delay_alu instid0(VALU_DEP_2) | instskip(NEXT) | instid1(VALU_DEP_1)
	s_mul_i32 s25, s25, s2
	v_mul_lo_u32 v0, s26, v1
	s_mul_hi_u32 s25, s2, s25
	s_delay_alu instid0(SALU_CYCLE_1) | instskip(SKIP_2) | instid1(SALU_CYCLE_1)
	s_add_i32 s2, s2, s25
	s_cmp_lt_u32 s1, 2
	s_cselect_b32 s25, s27, 1
	s_sub_i32 s27, s25, s1
	s_cmp_ge_u32 s25, s1
	s_delay_alu instid0(VALU_DEP_1)
	v_mul_hi_u32 v0, v1, v0
	s_cselect_b32 s25, s27, s25
	s_lshr_b32 s26, s2, 31
	s_mul_hi_u32 s2, s2, 3
	s_mul_i32 s26, s26, s1
	s_mul_i32 s2, s2, s1
	s_sub_i32 s26, 2, s26
	s_mul_i32 s25, s25, s16
	s_sub_i32 s27, s26, s1
	s_cmp_ge_u32 s26, s1
	v_add_nc_u32_e32 v100, v1, v0
	s_cselect_b32 s26, s27, s26
	s_delay_alu instid0(SALU_CYCLE_1)
	s_sub_i32 s27, s26, s1
	s_cmp_ge_u32 s26, s1
	s_cselect_b32 s26, s27, s26
	s_sub_i32 s2, 3, s2
	s_mul_i32 s26, s26, s16
	s_sub_i32 s27, s2, s1
	s_cmp_ge_u32 s2, s1
	s_cselect_b32 s2, s27, s2
	s_delay_alu instid0(SALU_CYCLE_1) | instskip(SKIP_2) | instid1(SALU_CYCLE_1)
	s_sub_i32 s27, s2, s1
	s_cmp_ge_u32 s2, s1
	s_cselect_b32 s27, s27, s2
	s_mul_i32 s27, s27, s16
	s_branch .LBB99_14
.LBB99_13:                              ;   in Loop: Header=BB99_14 Depth=1
	s_or_b32 exec_lo, exec_lo, s1
	v_add_nc_u32_e32 v0, s18, v80
	s_waitcnt lgkmcnt(0)
	s_delay_alu instid0(VALU_DEP_1) | instskip(SKIP_1) | instid1(VALU_DEP_2)
	v_add_nc_u32_e32 v1, 1, v0
	v_cmp_le_u32_e32 vcc_lo, s7, v0
	v_cmp_gt_u32_e64 s1, s7, v1
	v_add_nc_u32_e32 v1, s24, v80
	s_delay_alu instid0(VALU_DEP_2) | instskip(NEXT) | instid1(VALU_DEP_1)
	s_or_b32 vcc_lo, vcc_lo, s1
	v_cmp_eq_u32_e64 s1, 1, v1
	v_cndmask_b32_e32 v80, s22, v0, vcc_lo
	s_delay_alu instid0(VALU_DEP_2) | instskip(NEXT) | instid1(VALU_DEP_1)
	s_or_b32 vcc_lo, vcc_lo, s1
	v_cmp_le_u32_e64 s2, s7, v80
	v_cndmask_b32_e32 v95, 0, v95, vcc_lo
	s_delay_alu instid0(VALU_DEP_2) | instskip(NEXT) | instid1(SALU_CYCLE_1)
	s_or_b32 s17, s2, s17
	s_and_not1_b32 exec_lo, exec_lo, s17
	s_cbranch_execz .LBB99_94
.LBB99_14:                              ; =>This Loop Header: Depth=1
                                        ;     Child Loop BB99_21 Depth 2
	v_mov_b32_e32 v103, v84
	v_mov_b32_e32 v102, v84
	;; [unrolled: 1-line block ×4, first 2 shown]
	s_and_not1_b32 vcc_lo, exec_lo, s20
	s_cbranch_vccnz .LBB99_89
; %bb.15:                               ;   in Loop: Header=BB99_14 Depth=1
	v_min_u32_e32 v0, s22, v80
	v_dual_mov_b32 v81, 0 :: v_dual_mov_b32 v104, v96
	v_dual_mov_b32 v101, 0 :: v_dual_mov_b32 v102, 0
	s_delay_alu instid0(VALU_DEP_3) | instskip(SKIP_2) | instid1(VALU_DEP_2)
	v_mul_lo_u32 v83, v0, s5
	v_mov_b32_e32 v103, 0
	s_mov_b32 s1, 0
	v_lshlrev_b64 v[0:1], 1, v[83:84]
	s_delay_alu instid0(VALU_DEP_1) | instskip(NEXT) | instid1(VALU_DEP_2)
	v_add_co_u32 v105, vcc_lo, s14, v0
	v_add_co_ci_u32_e32 v106, vcc_lo, s15, v1, vcc_lo
	s_branch .LBB99_21
.LBB99_16:                              ;   in Loop: Header=BB99_21 Depth=2
	s_or_b32 exec_lo, exec_lo, s31
.LBB99_17:                              ;   in Loop: Header=BB99_21 Depth=2
	s_delay_alu instid0(SALU_CYCLE_1)
	s_or_b32 exec_lo, exec_lo, s30
.LBB99_18:                              ;   in Loop: Header=BB99_21 Depth=2
	s_delay_alu instid0(SALU_CYCLE_1)
	s_or_b32 exec_lo, exec_lo, s29
.LBB99_19:                              ;   in Loop: Header=BB99_21 Depth=2
	s_delay_alu instid0(SALU_CYCLE_1)
	s_or_b32 exec_lo, exec_lo, s28
.LBB99_20:                              ;   in Loop: Header=BB99_21 Depth=2
	s_delay_alu instid0(SALU_CYCLE_1)
	s_or_b32 exec_lo, exec_lo, s2
	s_waitcnt vmcnt(0) lgkmcnt(0)
	;;#ASMSTART
	v_dot2_f32_f16 v103, v24, v12, v103
	;;#ASMEND
	;;#ASMSTART
	v_dot2_f32_f16 v102, v20, v12, v102
	;;#ASMEND
	;; [unrolled: 3-line block ×44, first 2 shown]
	v_add_nc_u32_e32 v104, 0x800, v104
	;;#ASMSTART
	v_dot2_f32_f16 v103, v63, v7, v103
	;;#ASMEND
	;;#ASMSTART
	v_dot2_f32_f16 v102, v59, v7, v102
	;;#ASMEND
	;;#ASMSTART
	v_dot2_f32_f16 v101, v55, v7, v101
	;;#ASMEND
	;;#ASMSTART
	v_dot2_f32_f16 v81, v51, v7, v81
	;;#ASMEND
	s_addk_i32 s1, 0x400
	;;#ASMSTART
	v_dot2_f32_f16 v103, v76, v0, v103
	;;#ASMEND
	;;#ASMSTART
	v_dot2_f32_f16 v102, v72, v0, v102
	;;#ASMEND
	;; [unrolled: 3-line block ×8, first 2 shown]
	s_cmp_ge_u32 s1, s4
	;;#ASMSTART
	v_dot2_f32_f16 v103, v78, v2, v103
	;;#ASMEND
	;;#ASMSTART
	v_dot2_f32_f16 v102, v74, v2, v102
	;;#ASMEND
	;; [unrolled: 3-line block ×8, first 2 shown]
	s_cbranch_scc1 .LBB99_89
.LBB99_21:                              ;   Parent Loop BB99_14 Depth=1
                                        ; =>  This Inner Loop Header: Depth=2
	v_dual_mov_b32 v66, 0 :: v_dual_add_nc_u32 v87, s1, v82
	v_dual_mov_b32 v51, 0 :: v_dual_mov_b32 v50, 0
	v_dual_mov_b32 v49, 0 :: v_dual_mov_b32 v48, 0
	s_delay_alu instid0(VALU_DEP_3) | instskip(SKIP_2) | instid1(VALU_DEP_3)
	v_min_u32_e32 v83, s21, v87
	v_dual_mov_b32 v64, 0 :: v_dual_add_nc_u32 v93, 0x100, v87
	v_dual_mov_b32 v67, 0 :: v_dual_add_nc_u32 v92, 0x200, v87
	v_lshlrev_b64 v[0:1], 1, v[83:84]
	s_delay_alu instid0(VALU_DEP_3) | instskip(SKIP_2) | instid1(VALU_DEP_3)
	v_min_u32_e32 v83, s21, v93
	v_dual_mov_b32 v65, 0 :: v_dual_add_nc_u32 v86, 0x300, v87
	v_dual_mov_b32 v35, 0 :: v_dual_mov_b32 v34, 0
	v_lshlrev_b64 v[2:3], 1, v[83:84]
	v_min_u32_e32 v83, s21, v92
	v_add_co_u32 v0, vcc_lo, v105, v0
	v_add_co_ci_u32_e32 v1, vcc_lo, v106, v1, vcc_lo
	s_delay_alu instid0(VALU_DEP_3) | instskip(SKIP_3) | instid1(VALU_DEP_3)
	v_lshlrev_b64 v[4:5], 1, v[83:84]
	v_min_u32_e32 v83, s21, v86
	v_add_co_u32 v2, vcc_lo, v105, v2
	v_add_co_ci_u32_e32 v3, vcc_lo, v106, v3, vcc_lo
	v_lshlrev_b64 v[6:7], 1, v[83:84]
	v_add_co_u32 v4, vcc_lo, v105, v4
	v_add_co_ci_u32_e32 v5, vcc_lo, v106, v5, vcc_lo
	v_dual_mov_b32 v33, 0 :: v_dual_mov_b32 v32, 0
	s_delay_alu instid0(VALU_DEP_4)
	v_add_co_u32 v16, vcc_lo, v105, v6
	v_add_co_ci_u32_e32 v17, vcc_lo, v106, v7, vcc_lo
	s_clause 0x3
	global_load_b128 v[12:15], v[0:1], off slc dlc
	global_load_b128 v[8:11], v[2:3], off slc dlc
	;; [unrolled: 1-line block ×4, first 2 shown]
	v_cmp_gt_u32_e32 vcc_lo, s4, v87
	v_dual_mov_b32 v31, 0 :: v_dual_mov_b32 v30, 0
	v_dual_mov_b32 v29, 0 :: v_dual_mov_b32 v28, 0
	;; [unrolled: 1-line block ×26, first 2 shown]
	s_and_saveexec_b32 s2, vcc_lo
	s_cbranch_execz .LBB99_20
; %bb.22:                               ;   in Loop: Header=BB99_21 Depth=2
	s_mov_b32 s28, exec_lo
                                        ; implicit-def: $vgpr27
	v_cmpx_lt_u32_e32 0x7fff, v87
	s_xor_b32 s28, exec_lo, s28
	s_cbranch_execz .LBB99_24
; %bb.23:                               ;   in Loop: Header=BB99_21 Depth=2
	v_mov_b32_e32 v88, v84
	s_delay_alu instid0(VALU_DEP_1) | instskip(NEXT) | instid1(VALU_DEP_1)
	v_lshlrev_b64 v[16:17], 1, v[87:88]
	v_add_co_u32 v16, vcc_lo, s12, v16
	s_delay_alu instid0(VALU_DEP_2)
	v_add_co_ci_u32_e32 v17, vcc_lo, s13, v17, vcc_lo
	global_load_b128 v[24:27], v[16:17], off
.LBB99_24:                              ;   in Loop: Header=BB99_21 Depth=2
	s_and_not1_saveexec_b32 s28, s28
	s_cbranch_execz .LBB99_26
; %bb.25:                               ;   in Loop: Header=BB99_21 Depth=2
	s_waitcnt vmcnt(0)
	ds_load_b128 v[24:27], v104
.LBB99_26:                              ;   in Loop: Header=BB99_21 Depth=2
	s_or_b32 exec_lo, exec_lo, s28
	v_add_nc_u32_e32 v83, s1, v97
	s_mov_b32 s28, exec_lo
                                        ; implicit-def: $vgpr23
	s_delay_alu instid0(VALU_DEP_1)
	v_cmpx_lt_u32_e32 0x7fff, v83
	s_xor_b32 s28, exec_lo, s28
	s_cbranch_execz .LBB99_28
; %bb.27:                               ;   in Loop: Header=BB99_21 Depth=2
	v_lshlrev_b64 v[16:17], 1, v[83:84]
	s_delay_alu instid0(VALU_DEP_1) | instskip(NEXT) | instid1(VALU_DEP_2)
	v_add_co_u32 v16, vcc_lo, s12, v16
	v_add_co_ci_u32_e32 v17, vcc_lo, s13, v17, vcc_lo
	global_load_b128 v[20:23], v[16:17], off
.LBB99_28:                              ;   in Loop: Header=BB99_21 Depth=2
	s_and_not1_saveexec_b32 s28, s28
	s_cbranch_execz .LBB99_30
; %bb.29:                               ;   in Loop: Header=BB99_21 Depth=2
	v_add_nc_u32_e32 v16, s19, v104
	s_waitcnt vmcnt(0)
	ds_load_b128 v[20:23], v16
.LBB99_30:                              ;   in Loop: Header=BB99_21 Depth=2
	s_or_b32 exec_lo, exec_lo, s28
	v_add_nc_u32_e32 v90, s1, v99
	s_mov_b32 s28, exec_lo
                                        ; implicit-def: $vgpr19
	s_delay_alu instid0(VALU_DEP_1)
	v_cmpx_lt_u32_e32 0x7fff, v90
	s_xor_b32 s28, exec_lo, s28
	s_cbranch_execz .LBB99_32
; %bb.31:                               ;   in Loop: Header=BB99_21 Depth=2
	v_mov_b32_e32 v91, v84
	s_delay_alu instid0(VALU_DEP_1) | instskip(NEXT) | instid1(VALU_DEP_1)
	v_lshlrev_b64 v[16:17], 1, v[90:91]
	v_add_co_u32 v16, vcc_lo, s12, v16
	s_delay_alu instid0(VALU_DEP_2)
	v_add_co_ci_u32_e32 v17, vcc_lo, s13, v17, vcc_lo
	global_load_b128 v[16:19], v[16:17], off
.LBB99_32:                              ;   in Loop: Header=BB99_21 Depth=2
	s_and_not1_saveexec_b32 s28, s28
	s_cbranch_execz .LBB99_34
; %bb.33:                               ;   in Loop: Header=BB99_21 Depth=2
	s_waitcnt vmcnt(0)
	v_add_nc_u32_e32 v18, s3, v104
	ds_load_2addr_b32 v[16:17], v18 offset1:1
	ds_load_2addr_b32 v[18:19], v18 offset0:2 offset1:3
.LBB99_34:                              ;   in Loop: Header=BB99_21 Depth=2
	s_or_b32 exec_lo, exec_lo, s28
	v_add_nc_u32_e32 v88, s1, v85
	s_mov_b32 s28, exec_lo
                                        ; implicit-def: $vgpr31
	s_delay_alu instid0(VALU_DEP_1)
	v_cmpx_lt_u32_e32 0x7fff, v88
	s_xor_b32 s28, exec_lo, s28
	s_cbranch_execz .LBB99_36
; %bb.35:                               ;   in Loop: Header=BB99_21 Depth=2
	v_mov_b32_e32 v89, v84
	s_delay_alu instid0(VALU_DEP_1) | instskip(NEXT) | instid1(VALU_DEP_1)
	v_lshlrev_b64 v[28:29], 1, v[88:89]
	v_add_co_u32 v28, vcc_lo, s12, v28
	s_delay_alu instid0(VALU_DEP_2)
	v_add_co_ci_u32_e32 v29, vcc_lo, s13, v29, vcc_lo
	global_load_b128 v[28:31], v[28:29], off
.LBB99_36:                              ;   in Loop: Header=BB99_21 Depth=2
	s_and_not1_saveexec_b32 s28, s28
	s_cbranch_execz .LBB99_38
; %bb.37:                               ;   in Loop: Header=BB99_21 Depth=2
	s_waitcnt vmcnt(0)
	v_add_nc_u32_e32 v28, s6, v104
	ds_load_b128 v[28:31], v28
.LBB99_38:                              ;   in Loop: Header=BB99_21 Depth=2
	s_or_b32 exec_lo, exec_lo, s28
	v_cmp_gt_u32_e32 vcc_lo, s4, v93
	v_dual_mov_b32 v67, 0 :: v_dual_mov_b32 v66, 0
	v_dual_mov_b32 v65, 0 :: v_dual_mov_b32 v64, 0
	;; [unrolled: 1-line block ×24, first 2 shown]
	s_and_saveexec_b32 s28, vcc_lo
	s_cbranch_execz .LBB99_19
; %bb.39:                               ;   in Loop: Header=BB99_21 Depth=2
	s_mov_b32 s29, exec_lo
                                        ; implicit-def: $vgpr47
	v_cmpx_lt_u32_e32 0x7fff, v93
	s_xor_b32 s29, exec_lo, s29
	s_cbranch_execz .LBB99_41
; %bb.40:                               ;   in Loop: Header=BB99_21 Depth=2
	v_mov_b32_e32 v94, v84
	s_delay_alu instid0(VALU_DEP_1) | instskip(NEXT) | instid1(VALU_DEP_1)
	v_lshlrev_b64 v[32:33], 1, v[93:94]
	v_add_co_u32 v32, vcc_lo, s12, v32
	s_delay_alu instid0(VALU_DEP_2)
	v_add_co_ci_u32_e32 v33, vcc_lo, s13, v33, vcc_lo
	global_load_b128 v[44:47], v[32:33], off
.LBB99_41:                              ;   in Loop: Header=BB99_21 Depth=2
	s_and_not1_saveexec_b32 s29, s29
	s_cbranch_execz .LBB99_43
; %bb.42:                               ;   in Loop: Header=BB99_21 Depth=2
	s_waitcnt vmcnt(0)
	ds_load_b128 v[44:47], v104 offset:512
.LBB99_43:                              ;   in Loop: Header=BB99_21 Depth=2
	s_or_b32 exec_lo, exec_lo, s29
	v_add_nc_u32_e32 v32, 0x100, v83
	s_mov_b32 s29, exec_lo
                                        ; implicit-def: $vgpr43
	s_delay_alu instid0(VALU_DEP_1)
	v_cmpx_lt_u32_e32 0x7fff, v32
	s_xor_b32 s29, exec_lo, s29
	s_cbranch_execz .LBB99_45
; %bb.44:                               ;   in Loop: Header=BB99_21 Depth=2
	v_mov_b32_e32 v33, v84
	s_delay_alu instid0(VALU_DEP_1) | instskip(NEXT) | instid1(VALU_DEP_1)
	v_lshlrev_b64 v[32:33], 1, v[32:33]
	v_add_co_u32 v32, vcc_lo, s12, v32
	s_delay_alu instid0(VALU_DEP_2)
	v_add_co_ci_u32_e32 v33, vcc_lo, s13, v33, vcc_lo
	global_load_b128 v[40:43], v[32:33], off
.LBB99_45:                              ;   in Loop: Header=BB99_21 Depth=2
	s_and_not1_saveexec_b32 s29, s29
	s_cbranch_execz .LBB99_47
; %bb.46:                               ;   in Loop: Header=BB99_21 Depth=2
	v_add_nc_u32_e32 v32, s19, v104
	s_waitcnt vmcnt(0)
	ds_load_b128 v[40:43], v32 offset:512
.LBB99_47:                              ;   in Loop: Header=BB99_21 Depth=2
	s_or_b32 exec_lo, exec_lo, s29
	v_add_nc_u32_e32 v32, 0x100, v90
	s_mov_b32 s29, exec_lo
                                        ; implicit-def: $vgpr39
	s_delay_alu instid0(VALU_DEP_1)
	v_cmpx_lt_u32_e32 0x7fff, v32
	s_xor_b32 s29, exec_lo, s29
	s_cbranch_execz .LBB99_49
; %bb.48:                               ;   in Loop: Header=BB99_21 Depth=2
	v_mov_b32_e32 v33, v84
	s_delay_alu instid0(VALU_DEP_1) | instskip(NEXT) | instid1(VALU_DEP_1)
	v_lshlrev_b64 v[32:33], 1, v[32:33]
	v_add_co_u32 v32, vcc_lo, s12, v32
	s_delay_alu instid0(VALU_DEP_2)
	v_add_co_ci_u32_e32 v33, vcc_lo, s13, v33, vcc_lo
	global_load_b128 v[36:39], v[32:33], off
.LBB99_49:                              ;   in Loop: Header=BB99_21 Depth=2
	s_and_not1_saveexec_b32 s29, s29
	s_cbranch_execz .LBB99_51
; %bb.50:                               ;   in Loop: Header=BB99_21 Depth=2
	v_add_nc_u32_e32 v32, s3, v104
	s_waitcnt vmcnt(0)
	ds_load_2addr_b32 v[36:37], v32 offset0:128 offset1:129
	ds_load_2addr_b32 v[38:39], v32 offset0:130 offset1:131
.LBB99_51:                              ;   in Loop: Header=BB99_21 Depth=2
	s_or_b32 exec_lo, exec_lo, s29
	v_add_nc_u32_e32 v32, 0x100, v88
	s_mov_b32 s29, exec_lo
                                        ; implicit-def: $vgpr35
	s_delay_alu instid0(VALU_DEP_1)
	v_cmpx_lt_u32_e32 0x7fff, v32
	s_xor_b32 s29, exec_lo, s29
	s_cbranch_execz .LBB99_53
; %bb.52:                               ;   in Loop: Header=BB99_21 Depth=2
	v_mov_b32_e32 v33, v84
	s_delay_alu instid0(VALU_DEP_1) | instskip(NEXT) | instid1(VALU_DEP_1)
	v_lshlrev_b64 v[32:33], 1, v[32:33]
	v_add_co_u32 v32, vcc_lo, s12, v32
	s_delay_alu instid0(VALU_DEP_2)
	v_add_co_ci_u32_e32 v33, vcc_lo, s13, v33, vcc_lo
	global_load_b128 v[32:35], v[32:33], off
.LBB99_53:                              ;   in Loop: Header=BB99_21 Depth=2
	s_and_not1_saveexec_b32 s29, s29
	s_cbranch_execz .LBB99_55
; %bb.54:                               ;   in Loop: Header=BB99_21 Depth=2
	s_waitcnt vmcnt(0)
	v_add_nc_u32_e32 v32, s6, v104
	ds_load_b128 v[32:35], v32 offset:512
.LBB99_55:                              ;   in Loop: Header=BB99_21 Depth=2
	s_or_b32 exec_lo, exec_lo, s29
	v_cmp_gt_u32_e32 vcc_lo, s4, v92
	v_dual_mov_b32 v67, 0 :: v_dual_mov_b32 v66, 0
	v_dual_mov_b32 v65, 0 :: v_dual_mov_b32 v64, 0
	;; [unrolled: 1-line block ×16, first 2 shown]
	s_and_saveexec_b32 s29, vcc_lo
	s_cbranch_execz .LBB99_18
; %bb.56:                               ;   in Loop: Header=BB99_21 Depth=2
	s_mov_b32 s30, exec_lo
                                        ; implicit-def: $vgpr63
	v_cmpx_lt_u32_e32 0x7fff, v92
	s_xor_b32 s30, exec_lo, s30
	s_cbranch_execz .LBB99_58
; %bb.57:                               ;   in Loop: Header=BB99_21 Depth=2
	v_mov_b32_e32 v93, v84
	s_delay_alu instid0(VALU_DEP_1) | instskip(NEXT) | instid1(VALU_DEP_1)
	v_lshlrev_b64 v[48:49], 1, v[92:93]
	v_add_co_u32 v48, vcc_lo, s12, v48
	s_delay_alu instid0(VALU_DEP_2)
	v_add_co_ci_u32_e32 v49, vcc_lo, s13, v49, vcc_lo
	global_load_b128 v[60:63], v[48:49], off
.LBB99_58:                              ;   in Loop: Header=BB99_21 Depth=2
	s_and_not1_saveexec_b32 s30, s30
	s_cbranch_execz .LBB99_60
; %bb.59:                               ;   in Loop: Header=BB99_21 Depth=2
	s_waitcnt vmcnt(0)
	ds_load_b128 v[60:63], v104 offset:1024
.LBB99_60:                              ;   in Loop: Header=BB99_21 Depth=2
	s_or_b32 exec_lo, exec_lo, s30
	v_add_nc_u32_e32 v48, 0x200, v83
	s_mov_b32 s30, exec_lo
                                        ; implicit-def: $vgpr59
	s_delay_alu instid0(VALU_DEP_1)
	v_cmpx_lt_u32_e32 0x7fff, v48
	s_xor_b32 s30, exec_lo, s30
	s_cbranch_execz .LBB99_62
; %bb.61:                               ;   in Loop: Header=BB99_21 Depth=2
	v_mov_b32_e32 v49, v84
	s_delay_alu instid0(VALU_DEP_1) | instskip(NEXT) | instid1(VALU_DEP_1)
	v_lshlrev_b64 v[48:49], 1, v[48:49]
	v_add_co_u32 v48, vcc_lo, s12, v48
	s_delay_alu instid0(VALU_DEP_2)
	v_add_co_ci_u32_e32 v49, vcc_lo, s13, v49, vcc_lo
	global_load_b128 v[56:59], v[48:49], off
.LBB99_62:                              ;   in Loop: Header=BB99_21 Depth=2
	s_and_not1_saveexec_b32 s30, s30
	s_cbranch_execz .LBB99_64
; %bb.63:                               ;   in Loop: Header=BB99_21 Depth=2
	v_add_nc_u32_e32 v48, s19, v104
	s_waitcnt vmcnt(0)
	ds_load_b128 v[56:59], v48 offset:1024
.LBB99_64:                              ;   in Loop: Header=BB99_21 Depth=2
	s_or_b32 exec_lo, exec_lo, s30
	v_add_nc_u32_e32 v48, 0x200, v90
	s_mov_b32 s30, exec_lo
                                        ; implicit-def: $vgpr55
	s_delay_alu instid0(VALU_DEP_1)
	v_cmpx_lt_u32_e32 0x7fff, v48
	s_xor_b32 s30, exec_lo, s30
	s_cbranch_execz .LBB99_66
; %bb.65:                               ;   in Loop: Header=BB99_21 Depth=2
	v_mov_b32_e32 v49, v84
	s_delay_alu instid0(VALU_DEP_1) | instskip(NEXT) | instid1(VALU_DEP_1)
	v_lshlrev_b64 v[48:49], 1, v[48:49]
	v_add_co_u32 v48, vcc_lo, s12, v48
	s_delay_alu instid0(VALU_DEP_2)
	v_add_co_ci_u32_e32 v49, vcc_lo, s13, v49, vcc_lo
	global_load_b128 v[52:55], v[48:49], off
.LBB99_66:                              ;   in Loop: Header=BB99_21 Depth=2
	s_and_not1_saveexec_b32 s30, s30
	s_cbranch_execz .LBB99_68
; %bb.67:                               ;   in Loop: Header=BB99_21 Depth=2
	v_add_nc_u32_e32 v48, s3, v104
	s_delay_alu instid0(VALU_DEP_1)
	v_add_nc_u32_e32 v49, 0x400, v48
	v_add_nc_u32_e32 v48, 0x408, v48
	s_waitcnt vmcnt(0)
	ds_load_2addr_b32 v[52:53], v49 offset1:1
	ds_load_2addr_b32 v[54:55], v48 offset1:1
.LBB99_68:                              ;   in Loop: Header=BB99_21 Depth=2
	s_or_b32 exec_lo, exec_lo, s30
	v_add_nc_u32_e32 v48, 0x200, v88
	s_mov_b32 s30, exec_lo
                                        ; implicit-def: $vgpr51
	s_delay_alu instid0(VALU_DEP_1)
	v_cmpx_lt_u32_e32 0x7fff, v48
	s_xor_b32 s30, exec_lo, s30
	s_cbranch_execz .LBB99_70
; %bb.69:                               ;   in Loop: Header=BB99_21 Depth=2
	v_mov_b32_e32 v49, v84
	s_delay_alu instid0(VALU_DEP_1) | instskip(NEXT) | instid1(VALU_DEP_1)
	v_lshlrev_b64 v[48:49], 1, v[48:49]
	v_add_co_u32 v48, vcc_lo, s12, v48
	s_delay_alu instid0(VALU_DEP_2)
	v_add_co_ci_u32_e32 v49, vcc_lo, s13, v49, vcc_lo
	global_load_b128 v[48:51], v[48:49], off
.LBB99_70:                              ;   in Loop: Header=BB99_21 Depth=2
	s_and_not1_saveexec_b32 s30, s30
	s_cbranch_execz .LBB99_72
; %bb.71:                               ;   in Loop: Header=BB99_21 Depth=2
	s_waitcnt vmcnt(0)
	v_add_nc_u32_e32 v48, s6, v104
	ds_load_b128 v[48:51], v48 offset:1024
.LBB99_72:                              ;   in Loop: Header=BB99_21 Depth=2
	s_or_b32 exec_lo, exec_lo, s30
	v_dual_mov_b32 v67, 0 :: v_dual_mov_b32 v66, 0
	v_dual_mov_b32 v65, 0 :: v_dual_mov_b32 v64, 0
	;; [unrolled: 1-line block ×8, first 2 shown]
	s_mov_b32 s30, exec_lo
	v_cmpx_gt_u32_e64 s4, v86
	s_cbranch_execz .LBB99_17
; %bb.73:                               ;   in Loop: Header=BB99_21 Depth=2
	s_mov_b32 s31, exec_lo
                                        ; implicit-def: $vgpr79
	v_cmpx_lt_u32_e32 0x7fff, v86
	s_xor_b32 s31, exec_lo, s31
	s_cbranch_execz .LBB99_75
; %bb.74:                               ;   in Loop: Header=BB99_21 Depth=2
	v_mov_b32_e32 v87, v84
	s_delay_alu instid0(VALU_DEP_1) | instskip(NEXT) | instid1(VALU_DEP_1)
	v_lshlrev_b64 v[64:65], 1, v[86:87]
	v_add_co_u32 v64, vcc_lo, s12, v64
	s_delay_alu instid0(VALU_DEP_2)
	v_add_co_ci_u32_e32 v65, vcc_lo, s13, v65, vcc_lo
	global_load_b128 v[76:79], v[64:65], off
.LBB99_75:                              ;   in Loop: Header=BB99_21 Depth=2
	s_and_not1_saveexec_b32 s31, s31
	s_cbranch_execz .LBB99_77
; %bb.76:                               ;   in Loop: Header=BB99_21 Depth=2
	s_waitcnt vmcnt(0)
	ds_load_b128 v[76:79], v104 offset:1536
.LBB99_77:                              ;   in Loop: Header=BB99_21 Depth=2
	s_or_b32 exec_lo, exec_lo, s31
	v_add_nc_u32_e32 v83, 0x300, v83
	s_mov_b32 s31, exec_lo
                                        ; implicit-def: $vgpr75
	s_delay_alu instid0(VALU_DEP_1)
	v_cmpx_lt_u32_e32 0x7fff, v83
	s_xor_b32 s31, exec_lo, s31
	s_cbranch_execz .LBB99_79
; %bb.78:                               ;   in Loop: Header=BB99_21 Depth=2
	v_lshlrev_b64 v[64:65], 1, v[83:84]
	s_delay_alu instid0(VALU_DEP_1) | instskip(NEXT) | instid1(VALU_DEP_2)
	v_add_co_u32 v64, vcc_lo, s12, v64
	v_add_co_ci_u32_e32 v65, vcc_lo, s13, v65, vcc_lo
	global_load_b128 v[72:75], v[64:65], off
.LBB99_79:                              ;   in Loop: Header=BB99_21 Depth=2
	s_and_not1_saveexec_b32 s31, s31
	s_cbranch_execz .LBB99_81
; %bb.80:                               ;   in Loop: Header=BB99_21 Depth=2
	v_add_nc_u32_e32 v64, s19, v104
	s_waitcnt vmcnt(0)
	ds_load_b128 v[72:75], v64 offset:1536
.LBB99_81:                              ;   in Loop: Header=BB99_21 Depth=2
	s_or_b32 exec_lo, exec_lo, s31
	v_add_nc_u32_e32 v83, 0x300, v90
	s_mov_b32 s31, exec_lo
                                        ; implicit-def: $vgpr71
	s_delay_alu instid0(VALU_DEP_1)
	v_cmpx_lt_u32_e32 0x7fff, v83
	s_xor_b32 s31, exec_lo, s31
	s_cbranch_execz .LBB99_83
; %bb.82:                               ;   in Loop: Header=BB99_21 Depth=2
	v_lshlrev_b64 v[64:65], 1, v[83:84]
	s_delay_alu instid0(VALU_DEP_1) | instskip(NEXT) | instid1(VALU_DEP_2)
	v_add_co_u32 v64, vcc_lo, s12, v64
	v_add_co_ci_u32_e32 v65, vcc_lo, s13, v65, vcc_lo
	global_load_b128 v[68:71], v[64:65], off
.LBB99_83:                              ;   in Loop: Header=BB99_21 Depth=2
	s_and_not1_saveexec_b32 s31, s31
	s_cbranch_execz .LBB99_85
; %bb.84:                               ;   in Loop: Header=BB99_21 Depth=2
	v_add_nc_u32_e32 v64, s3, v104
	s_delay_alu instid0(VALU_DEP_1)
	v_add_nc_u32_e32 v65, 0x600, v64
	v_add_nc_u32_e32 v64, 0x608, v64
	s_waitcnt vmcnt(0)
	ds_load_2addr_b32 v[68:69], v65 offset1:1
	ds_load_2addr_b32 v[70:71], v64 offset1:1
.LBB99_85:                              ;   in Loop: Header=BB99_21 Depth=2
	s_or_b32 exec_lo, exec_lo, s31
	v_add_nc_u32_e32 v83, 0x300, v88
	s_mov_b32 s31, exec_lo
                                        ; implicit-def: $vgpr67
	s_delay_alu instid0(VALU_DEP_1)
	v_cmpx_lt_u32_e32 0x7fff, v83
	s_xor_b32 s31, exec_lo, s31
	s_cbranch_execz .LBB99_87
; %bb.86:                               ;   in Loop: Header=BB99_21 Depth=2
	v_lshlrev_b64 v[64:65], 1, v[83:84]
	s_delay_alu instid0(VALU_DEP_1) | instskip(NEXT) | instid1(VALU_DEP_2)
	v_add_co_u32 v64, vcc_lo, s12, v64
	v_add_co_ci_u32_e32 v65, vcc_lo, s13, v65, vcc_lo
	global_load_b128 v[64:67], v[64:65], off
.LBB99_87:                              ;   in Loop: Header=BB99_21 Depth=2
	s_and_not1_saveexec_b32 s31, s31
	s_cbranch_execz .LBB99_16
; %bb.88:                               ;   in Loop: Header=BB99_21 Depth=2
	s_waitcnt vmcnt(0)
	v_add_nc_u32_e32 v64, s6, v104
	ds_load_b128 v[64:67], v64 offset:1536
	s_branch .LBB99_16
.LBB99_89:                              ;   in Loop: Header=BB99_14 Depth=1
	v_cvt_i32_f32_e32 v0, v103
	v_cvt_i32_f32_e32 v1, v102
	;; [unrolled: 1-line block ×4, first 2 shown]
	s_delay_alu instid0(VALU_DEP_4) | instskip(NEXT) | instid1(VALU_DEP_4)
	v_cvt_f32_i32_dpp v0, v0 row_shr:8 row_mask:0xf bank_mask:0xf bound_ctrl:1
	v_cvt_f32_i32_dpp v1, v1 row_shr:8 row_mask:0xf bank_mask:0xf bound_ctrl:1
	s_delay_alu instid0(VALU_DEP_4) | instskip(NEXT) | instid1(VALU_DEP_4)
	v_cvt_f32_i32_dpp v3, v3 row_shr:8 row_mask:0xf bank_mask:0xf bound_ctrl:1
	v_cvt_f32_i32_dpp v2, v2 row_shr:8 row_mask:0xf bank_mask:0xf bound_ctrl:1
	s_delay_alu instid0(VALU_DEP_3) | instskip(NEXT) | instid1(VALU_DEP_1)
	v_dual_add_f32 v0, v103, v0 :: v_dual_add_f32 v1, v102, v1
	v_cvt_i32_f32_e32 v4, v0
	s_delay_alu instid0(VALU_DEP_2) | instskip(NEXT) | instid1(VALU_DEP_2)
	v_cvt_i32_f32_e32 v5, v1
	v_cvt_f32_i32_dpp v4, v4 row_shr:4 row_mask:0xf bank_mask:0xf bound_ctrl:1
	v_add_f32_e32 v3, v81, v3
	s_delay_alu instid0(VALU_DEP_3) | instskip(NEXT) | instid1(VALU_DEP_3)
	v_cvt_f32_i32_dpp v5, v5 row_shr:4 row_mask:0xf bank_mask:0xf bound_ctrl:1
	v_add_f32_e32 v0, v0, v4
	s_delay_alu instid0(VALU_DEP_3) | instskip(NEXT) | instid1(VALU_DEP_2)
	v_cvt_i32_f32_e32 v7, v3
	v_cvt_i32_f32_e32 v4, v0
	s_delay_alu instid0(VALU_DEP_2) | instskip(SKIP_1) | instid1(VALU_DEP_3)
	v_cvt_f32_i32_dpp v7, v7 row_shr:4 row_mask:0xf bank_mask:0xf bound_ctrl:1
	v_add_f32_e32 v2, v101, v2
	v_cvt_f32_i32_dpp v4, v4 row_shr:2 row_mask:0xf bank_mask:0xf bound_ctrl:1
	s_delay_alu instid0(VALU_DEP_3) | instskip(NEXT) | instid1(VALU_DEP_3)
	v_add_f32_e32 v3, v3, v7
	v_cvt_i32_f32_e32 v6, v2
	s_delay_alu instid0(VALU_DEP_2) | instskip(NEXT) | instid1(VALU_DEP_2)
	v_cvt_i32_f32_e32 v7, v3
	v_cvt_f32_i32_dpp v6, v6 row_shr:4 row_mask:0xf bank_mask:0xf bound_ctrl:1
	v_add_f32_e32 v1, v1, v5
	s_delay_alu instid0(VALU_DEP_3) | instskip(NEXT) | instid1(VALU_DEP_3)
	v_cvt_f32_i32_dpp v7, v7 row_shr:2 row_mask:0xf bank_mask:0xf bound_ctrl:1
	v_add_f32_e32 v2, v2, v6
	s_delay_alu instid0(VALU_DEP_3) | instskip(NEXT) | instid1(VALU_DEP_2)
	v_cvt_i32_f32_e32 v5, v1
	v_cvt_i32_f32_e32 v6, v2
	s_delay_alu instid0(VALU_DEP_2) | instskip(SKIP_1) | instid1(VALU_DEP_3)
	v_cvt_f32_i32_dpp v5, v5 row_shr:2 row_mask:0xf bank_mask:0xf bound_ctrl:1
	v_add_f32_e32 v0, v0, v4
	v_cvt_f32_i32_dpp v6, v6 row_shr:2 row_mask:0xf bank_mask:0xf bound_ctrl:1
	s_delay_alu instid0(VALU_DEP_3) | instskip(SKIP_1) | instid1(VALU_DEP_4)
	v_add_f32_e32 v1, v1, v5
	v_add_f32_e32 v5, v3, v7
	v_cvt_i32_f32_e32 v3, v0
	s_delay_alu instid0(VALU_DEP_4)
	v_add_f32_e32 v4, v2, v6
	v_xor_b32_e32 v2, 16, v98
	v_cvt_i32_f32_e32 v6, v1
	s_waitcnt vmcnt(0)
	v_cvt_i32_f32_e32 v8, v5
	v_cvt_f32_i32_dpp v3, v3 row_shr:1 row_mask:0xf bank_mask:0xf bound_ctrl:1
	v_cvt_i32_f32_e32 v7, v4
	v_cmp_gt_i32_e32 vcc_lo, 32, v2
	v_cvt_f32_i32_dpp v9, v6 row_shr:1 row_mask:0xf bank_mask:0xf bound_ctrl:1
	v_cvt_f32_i32_dpp v8, v8 row_shr:1 row_mask:0xf bank_mask:0xf bound_ctrl:1
	v_add_f32_e32 v6, v0, v3
	v_cvt_f32_i32_dpp v7, v7 row_shr:1 row_mask:0xf bank_mask:0xf bound_ctrl:1
	v_cndmask_b32_e32 v2, v98, v2, vcc_lo
	s_delay_alu instid0(VALU_DEP_2) | instskip(NEXT) | instid1(VALU_DEP_2)
	v_dual_add_f32 v0, v5, v8 :: v_dual_add_f32 v3, v4, v7
	v_lshlrev_b32_e32 v10, 2, v2
	v_add_f32_e32 v2, v1, v9
	ds_bpermute_b32 v7, v10, v6
	ds_bpermute_b32 v4, v10, v2
	;; [unrolled: 1-line block ×4, first 2 shown]
	s_and_saveexec_b32 s1, s0
	s_cbranch_execz .LBB99_13
; %bb.90:                               ;   in Loop: Header=BB99_14 Depth=1
	v_dual_mov_b32 v8, 0 :: v_dual_mov_b32 v9, 0
	v_dual_mov_b32 v10, 0 :: v_dual_mov_b32 v11, 0
	s_and_not1_b32 vcc_lo, exec_lo, s23
	s_cbranch_vccnz .LBB99_92
; %bb.91:                               ;   in Loop: Header=BB99_14 Depth=1
	v_mul_hi_u32 v8, v80, v100
	s_delay_alu instid0(VALU_DEP_1) | instskip(NEXT) | instid1(VALU_DEP_1)
	v_mul_lo_u32 v8, v8, s16
	v_sub_nc_u32_e32 v8, v80, v8
	s_delay_alu instid0(VALU_DEP_1) | instskip(SKIP_1) | instid1(VALU_DEP_2)
	v_subrev_nc_u32_e32 v9, s16, v8
	v_cmp_le_u32_e32 vcc_lo, s16, v8
	v_cndmask_b32_e32 v8, v8, v9, vcc_lo
	s_delay_alu instid0(VALU_DEP_1) | instskip(SKIP_1) | instid1(VALU_DEP_2)
	v_subrev_nc_u32_e32 v9, s16, v8
	v_cmp_le_u32_e32 vcc_lo, s16, v8
	v_cndmask_b32_e32 v83, v8, v9, vcc_lo
	v_mov_b32_e32 v9, v84
	s_delay_alu instid0(VALU_DEP_2) | instskip(SKIP_3) | instid1(VALU_DEP_4)
	v_dual_mov_b32 v11, v84 :: v_dual_add_nc_u32 v10, s26, v83
	v_add_nc_u32_e32 v8, s25, v83
	v_lshlrev_b64 v[12:13], 1, v[83:84]
	v_add_nc_u32_e32 v83, s27, v83
	v_lshlrev_b64 v[10:11], 1, v[10:11]
	s_delay_alu instid0(VALU_DEP_4) | instskip(NEXT) | instid1(VALU_DEP_4)
	v_lshlrev_b64 v[8:9], 1, v[8:9]
	v_add_co_u32 v12, vcc_lo, s8, v12
	v_add_co_ci_u32_e32 v13, vcc_lo, s9, v13, vcc_lo
	v_lshlrev_b64 v[14:15], 1, v[83:84]
	s_delay_alu instid0(VALU_DEP_4)
	v_add_co_u32 v8, vcc_lo, s8, v8
	v_add_co_ci_u32_e32 v9, vcc_lo, s9, v9, vcc_lo
	v_add_co_u32 v16, vcc_lo, s8, v10
	v_add_co_ci_u32_e32 v17, vcc_lo, s9, v11, vcc_lo
	;; [unrolled: 2-line block ×3, first 2 shown]
	s_clause 0x3
	global_load_u16 v11, v[12:13], off
	global_load_u16 v10, v[8:9], off
	;; [unrolled: 1-line block ×4, first 2 shown]
.LBB99_92:                              ;   in Loop: Header=BB99_14 Depth=1
	v_cmp_ne_u32_e32 vcc_lo, 0, v95
	s_and_b32 exec_lo, exec_lo, vcc_lo
	s_cbranch_execz .LBB99_13
; %bb.93:                               ;   in Loop: Header=BB99_14 Depth=1
	s_waitcnt lgkmcnt(3)
	v_dual_add_f32 v6, v6, v7 :: v_dual_mov_b32 v81, v84
	s_waitcnt vmcnt(3)
	v_cvt_f32_f16_e32 v7, v11
	v_add_nc_u32_e32 v83, s7, v80
	s_waitcnt lgkmcnt(2)
	v_add_f32_e32 v2, v2, v4
	s_waitcnt lgkmcnt(1)
	v_add_f32_e32 v4, v3, v5
	s_waitcnt vmcnt(2)
	v_cvt_f32_f16_e32 v5, v10
	s_waitcnt lgkmcnt(0)
	v_dual_add_f32 v3, v6, v7 :: v_dual_add_f32 v6, v0, v1
	s_waitcnt vmcnt(1)
	v_cvt_f32_f16_e32 v7, v9
	v_lshlrev_b64 v[0:1], 1, v[80:81]
	v_add_f32_e32 v5, v2, v5
	v_cvt_f16_f32_e32 v10, v3
	v_lshlrev_b64 v[2:3], 1, v[83:84]
	v_add_nc_u32_e32 v83, s7, v83
	s_waitcnt vmcnt(0)
	v_cvt_f32_f16_e32 v8, v8
	v_cvt_f16_f32_e32 v9, v5
	v_add_f32_e32 v7, v4, v7
	v_add_co_u32 v0, vcc_lo, s10, v0
	s_delay_alu instid0(VALU_DEP_4)
	v_add_f32_e32 v8, v6, v8
	v_lshlrev_b64 v[4:5], 1, v[83:84]
	v_add_nc_u32_e32 v83, s7, v83
	v_add_co_ci_u32_e32 v1, vcc_lo, s11, v1, vcc_lo
	v_add_co_u32 v2, vcc_lo, s10, v2
	v_cvt_f16_f32_e32 v11, v7
	s_delay_alu instid0(VALU_DEP_4) | instskip(SKIP_3) | instid1(VALU_DEP_4)
	v_lshlrev_b64 v[6:7], 1, v[83:84]
	v_add_co_ci_u32_e32 v3, vcc_lo, s11, v3, vcc_lo
	v_add_co_u32 v4, vcc_lo, s10, v4
	v_add_co_ci_u32_e32 v5, vcc_lo, s11, v5, vcc_lo
	v_add_co_u32 v6, vcc_lo, s10, v6
	v_cvt_f16_f32_e32 v8, v8
	v_add_co_ci_u32_e32 v7, vcc_lo, s11, v7, vcc_lo
	s_clause 0x3
	global_store_b16 v[0:1], v10, off
	global_store_b16 v[2:3], v9, off
	;; [unrolled: 1-line block ×4, first 2 shown]
	s_branch .LBB99_13
.LBB99_94:
	s_nop 0
	s_sendmsg sendmsg(MSG_DEALLOC_VGPRS)
	s_endpgm
	.section	.rodata,"a",@progbits
	.p2align	6, 0x0
	.amdhsa_kernel _Z12wvSplitK_hf_I6__halfLi32ELi1ELi16ELi8ELi4ELi4EEviiiiiiPKT_S3_S3_PS1_ii
		.amdhsa_group_segment_fixed_size 65536
		.amdhsa_private_segment_fixed_size 0
		.amdhsa_kernarg_size 64
		.amdhsa_user_sgpr_count 15
		.amdhsa_user_sgpr_dispatch_ptr 0
		.amdhsa_user_sgpr_queue_ptr 0
		.amdhsa_user_sgpr_kernarg_segment_ptr 1
		.amdhsa_user_sgpr_dispatch_id 0
		.amdhsa_user_sgpr_private_segment_size 0
		.amdhsa_wavefront_size32 1
		.amdhsa_uses_dynamic_stack 0
		.amdhsa_enable_private_segment 0
		.amdhsa_system_sgpr_workgroup_id_x 1
		.amdhsa_system_sgpr_workgroup_id_y 0
		.amdhsa_system_sgpr_workgroup_id_z 0
		.amdhsa_system_sgpr_workgroup_info 0
		.amdhsa_system_vgpr_workitem_id 1
		.amdhsa_next_free_vgpr 107
		.amdhsa_next_free_sgpr 32
		.amdhsa_reserve_vcc 1
		.amdhsa_float_round_mode_32 0
		.amdhsa_float_round_mode_16_64 0
		.amdhsa_float_denorm_mode_32 3
		.amdhsa_float_denorm_mode_16_64 3
		.amdhsa_dx10_clamp 1
		.amdhsa_ieee_mode 1
		.amdhsa_fp16_overflow 0
		.amdhsa_workgroup_processor_mode 1
		.amdhsa_memory_ordered 1
		.amdhsa_forward_progress 0
		.amdhsa_shared_vgpr_count 0
		.amdhsa_exception_fp_ieee_invalid_op 0
		.amdhsa_exception_fp_denorm_src 0
		.amdhsa_exception_fp_ieee_div_zero 0
		.amdhsa_exception_fp_ieee_overflow 0
		.amdhsa_exception_fp_ieee_underflow 0
		.amdhsa_exception_fp_ieee_inexact 0
		.amdhsa_exception_int_div_zero 0
	.end_amdhsa_kernel
	.section	.text._Z12wvSplitK_hf_I6__halfLi32ELi1ELi16ELi8ELi4ELi4EEviiiiiiPKT_S3_S3_PS1_ii,"axG",@progbits,_Z12wvSplitK_hf_I6__halfLi32ELi1ELi16ELi8ELi4ELi4EEviiiiiiPKT_S3_S3_PS1_ii,comdat
.Lfunc_end99:
	.size	_Z12wvSplitK_hf_I6__halfLi32ELi1ELi16ELi8ELi4ELi4EEviiiiiiPKT_S3_S3_PS1_ii, .Lfunc_end99-_Z12wvSplitK_hf_I6__halfLi32ELi1ELi16ELi8ELi4ELi4EEviiiiiiPKT_S3_S3_PS1_ii
                                        ; -- End function
	.section	.AMDGPU.csdata,"",@progbits
; Kernel info:
; codeLenInByte = 5896
; NumSgprs: 34
; NumVgprs: 107
; ScratchSize: 0
; MemoryBound: 0
; FloatMode: 240
; IeeeMode: 1
; LDSByteSize: 65536 bytes/workgroup (compile time only)
; SGPRBlocks: 4
; VGPRBlocks: 13
; NumSGPRsForWavesPerEU: 34
; NumVGPRsForWavesPerEU: 107
; Occupancy: 8
; WaveLimiterHint : 0
; COMPUTE_PGM_RSRC2:SCRATCH_EN: 0
; COMPUTE_PGM_RSRC2:USER_SGPR: 15
; COMPUTE_PGM_RSRC2:TRAP_HANDLER: 0
; COMPUTE_PGM_RSRC2:TGID_X_EN: 1
; COMPUTE_PGM_RSRC2:TGID_Y_EN: 0
; COMPUTE_PGM_RSRC2:TGID_Z_EN: 0
; COMPUTE_PGM_RSRC2:TIDIG_COMP_CNT: 1
	.section	.text._Z16wvSplitK_hf_big_I6__halfLi32ELi1ELi16ELi8ELi4ELi4EEviiiiiiPKT_S3_S3_PS1_ii,"axG",@progbits,_Z16wvSplitK_hf_big_I6__halfLi32ELi1ELi16ELi8ELi4ELi4EEviiiiiiPKT_S3_S3_PS1_ii,comdat
	.protected	_Z16wvSplitK_hf_big_I6__halfLi32ELi1ELi16ELi8ELi4ELi4EEviiiiiiPKT_S3_S3_PS1_ii ; -- Begin function _Z16wvSplitK_hf_big_I6__halfLi32ELi1ELi16ELi8ELi4ELi4EEviiiiiiPKT_S3_S3_PS1_ii
	.globl	_Z16wvSplitK_hf_big_I6__halfLi32ELi1ELi16ELi8ELi4ELi4EEviiiiiiPKT_S3_S3_PS1_ii
	.p2align	8
	.type	_Z16wvSplitK_hf_big_I6__halfLi32ELi1ELi16ELi8ELi4ELi4EEviiiiiiPKT_S3_S3_PS1_ii,@function
_Z16wvSplitK_hf_big_I6__halfLi32ELi1ELi16ELi8ELi4ELi4EEviiiiiiPKT_S3_S3_PS1_ii: ; @_Z16wvSplitK_hf_big_I6__halfLi32ELi1ELi16ELi8ELi4ELi4EEviiiiiiPKT_S3_S3_PS1_ii
; %bb.0:
	s_load_b64 s[20:21], s[0:1], 0x38
	v_bfe_u32 v1, v0, 10, 10
	s_mov_b32 s2, exec_lo
	s_waitcnt lgkmcnt(0)
	s_delay_alu instid0(VALU_DEP_1)
	v_cmpx_gt_u32_e64 s20, v1
	s_cbranch_execz .LBB100_38
; %bb.1:
	s_load_b128 s[16:19], s[0:1], 0x0
	v_mad_u64_u32 v[80:81], null, s15, s20, v[1:2]
	s_delay_alu instid0(VALU_DEP_1) | instskip(SKIP_2) | instid1(VALU_DEP_2)
	v_dual_mov_b32 v87, 1 :: v_dual_add_nc_u32 v2, 1, v80
	s_waitcnt lgkmcnt(0)
	v_cmp_gt_u32_e32 vcc_lo, s19, v80
	v_cmp_le_u32_e64 s2, s19, v2
	s_delay_alu instid0(VALU_DEP_1) | instskip(NEXT) | instid1(SALU_CYCLE_1)
	s_and_b32 s3, vcc_lo, s2
	s_and_saveexec_b32 s2, s3
; %bb.2:
	v_subrev_nc_u32_e32 v2, s19, v80
	s_add_i32 s3, s19, -1
	s_delay_alu instid0(SALU_CYCLE_1) | instskip(NEXT) | instid1(VALU_DEP_2)
	v_mov_b32_e32 v80, s3
	v_cmp_eq_u32_e32 vcc_lo, -1, v2
	v_cndmask_b32_e64 v87, 0, 1, vcc_lo
; %bb.3:
	s_or_b32 exec_lo, exec_lo, s2
	s_abs_i32 s2, s20
	s_abs_i32 s5, s19
	v_cvt_f32_u32_e32 v2, s2
	s_sub_i32 s4, 0, s2
	s_mov_b32 s14, 0
	s_delay_alu instid0(VALU_DEP_1) | instskip(SKIP_2) | instid1(VALU_DEP_1)
	v_rcp_iflag_f32_e32 v2, v2
	s_waitcnt_depctr 0xfff
	v_mul_f32_e32 v2, 0x4f7ffffe, v2
	v_cvt_u32_f32_e32 v2, v2
	s_delay_alu instid0(VALU_DEP_1) | instskip(NEXT) | instid1(VALU_DEP_1)
	v_readfirstlane_b32 s3, v2
	s_mul_i32 s4, s4, s3
	s_delay_alu instid0(SALU_CYCLE_1) | instskip(NEXT) | instid1(SALU_CYCLE_1)
	s_mul_hi_u32 s4, s3, s4
	s_add_i32 s3, s3, s4
	s_ashr_i32 s4, s19, 31
	s_mul_hi_u32 s3, s5, s3
	s_delay_alu instid0(SALU_CYCLE_1) | instskip(NEXT) | instid1(SALU_CYCLE_1)
	s_mul_i32 s3, s3, s2
	s_sub_i32 s3, s5, s3
	s_delay_alu instid0(SALU_CYCLE_1) | instskip(SKIP_2) | instid1(SALU_CYCLE_1)
	s_sub_i32 s5, s3, s2
	s_cmp_ge_u32 s3, s2
	s_cselect_b32 s3, s5, s3
	s_sub_i32 s5, s3, s2
	s_cmp_ge_u32 s3, s2
	s_cselect_b32 s2, s5, s3
	s_add_i32 s3, s20, s19
	s_xor_b32 s2, s2, s4
	s_delay_alu instid0(SALU_CYCLE_1) | instskip(NEXT) | instid1(SALU_CYCLE_1)
	s_sub_i32 s2, s2, s4
	s_sub_i32 s3, s3, s2
	s_cmp_eq_u32 s2, 0
	s_cselect_b32 s3, s19, s3
	s_delay_alu instid0(SALU_CYCLE_1)
	v_cmp_gt_u32_e32 vcc_lo, s3, v80
	s_and_b32 exec_lo, exec_lo, vcc_lo
	s_cbranch_execz .LBB100_38
; %bb.4:
	s_load_b256 s[4:11], s[0:1], 0x10
	s_min_u32 s15, s18, 0x2000
	s_cmp_lg_u32 s16, 0
	v_dual_mov_b32 v83, 0 :: v_dual_and_b32 v0, 0x3ff, v0
	s_cselect_b32 s22, -1, 0
	s_cmp_lg_u32 s18, 0
	s_load_b64 s[12:13], s[0:1], 0x30
	s_cselect_b32 s23, -1, 0
	s_lshl_b32 s24, s20, 8
	s_add_i32 s25, s16, -8
	s_add_i32 s26, s19, -1
	v_cmp_eq_u32_e64 s0, 31, v0
	v_mbcnt_lo_u32_b32 v88, -1, 0
	v_lshlrev_b32_e32 v89, 3, v0
	v_lshlrev_b32_e32 v0, 4, v0
	s_delay_alu instid0(VALU_DEP_2)
	v_lshl_add_u32 v84, v1, 8, v89
	s_waitcnt lgkmcnt(0)
	s_cmp_lg_u64 s[10:11], 0
	v_cvt_f32_u32_e32 v3, s4
	s_cselect_b32 s27, -1, 0
	s_abs_i32 s2, s5
	s_mul_i32 s5, s21, s20
	v_cvt_f32_u32_e32 v2, s2
	v_rcp_iflag_f32_e32 v3, v3
	s_sub_i32 s30, 0, s2
	s_sub_i32 s28, s5, s19
	;; [unrolled: 1-line block ×3, first 2 shown]
	v_rcp_iflag_f32_e32 v2, v2
	s_add_i32 s28, s28, 2
	s_sub_i32 s31, 1, s2
	v_lshl_add_u32 v90, v1, 9, v0
	s_mul_i32 s21, s15, 6
	v_mad_u64_u32 v[85:86], null, s18, 3, v[84:85]
	v_lshl_add_u32 v91, s18, 1, v84
	v_add_nc_u32_e32 v86, s18, v84
	s_waitcnt_depctr 0xfff
	v_mul_f32_e32 v2, 0x4f7ffffe, v2
	s_delay_alu instid0(VALU_DEP_1) | instskip(NEXT) | instid1(VALU_DEP_1)
	v_cvt_u32_f32_e32 v2, v2
	v_readfirstlane_b32 s1, v2
	v_mul_f32_e32 v2, 0x4f7ffffe, v3
	s_delay_alu instid0(VALU_DEP_2) | instskip(NEXT) | instid1(VALU_DEP_1)
	s_mul_i32 s30, s30, s1
	v_cvt_u32_f32_e32 v0, v2
	s_mul_hi_u32 s30, s1, s30
	s_delay_alu instid0(SALU_CYCLE_1) | instskip(SKIP_1) | instid1(VALU_DEP_1)
	s_add_i32 s1, s1, s30
	s_cmp_lt_u32 s2, 2
	v_mul_lo_u32 v1, s29, v0
	s_cselect_b32 s30, s31, 1
	s_delay_alu instid0(SALU_CYCLE_1)
	s_sub_i32 s31, s30, s2
	s_cmp_ge_u32 s30, s2
	s_cselect_b32 s30, s31, s30
	s_lshr_b32 s31, s1, 31
	s_mul_hi_u32 s1, s1, 3
	s_mul_i32 s31, s31, s2
	s_mul_i32 s1, s1, s2
	s_sub_i32 s29, 2, s31
	v_mul_hi_u32 v1, v0, v1
	s_sub_i32 s31, s29, s2
	s_cmp_ge_u32 s29, s2
	s_cselect_b32 s29, s31, s29
	s_delay_alu instid0(SALU_CYCLE_1) | instskip(SKIP_1) | instid1(VALU_DEP_1)
	s_sub_i32 s31, s29, s2
	s_cmp_ge_u32 s29, s2
	v_add_nc_u32_e32 v92, v0, v1
	s_cselect_b32 s31, s31, s29
	s_sub_i32 s1, 3, s1
	s_delay_alu instid0(SALU_CYCLE_1)
	s_sub_i32 s29, s1, s2
	s_cmp_ge_u32 s1, s2
	s_cselect_b32 s1, s29, s1
	s_mul_i32 s29, s30, s4
	s_sub_i32 s33, s1, s2
	s_cmp_ge_u32 s1, s2
	s_mul_i32 s30, s31, s4
	s_cselect_b32 s33, s33, s1
	s_lshl_b32 s20, s20, 9
	s_lshl_b32 s31, s15, 2
	s_mul_i32 s33, s33, s4
	s_lshl_b32 s34, s15, 1
	s_branch .LBB100_7
.LBB100_5:                              ;   in Loop: Header=BB100_7 Depth=1
	s_or_b32 exec_lo, exec_lo, s1
.LBB100_6:                              ;   in Loop: Header=BB100_7 Depth=1
	s_delay_alu instid0(SALU_CYCLE_1) | instskip(NEXT) | instid1(VALU_DEP_1)
	s_or_b32 exec_lo, exec_lo, s2
	v_cmp_le_u32_e32 vcc_lo, s3, v0
	v_mov_b32_e32 v80, v0
	s_or_b32 s14, vcc_lo, s14
	s_delay_alu instid0(SALU_CYCLE_1)
	s_and_not1_b32 exec_lo, exec_lo, s14
	s_cbranch_execz .LBB100_38
.LBB100_7:                              ; =>This Loop Header: Depth=1
                                        ;     Child Loop BB100_14 Depth 2
                                        ;       Child Loop BB100_19 Depth 3
	v_mov_b32_e32 v95, v83
	v_mov_b32_e32 v94, v83
	;; [unrolled: 1-line block ×4, first 2 shown]
	s_and_not1_b32 vcc_lo, exec_lo, s22
	s_mov_b32 s35, 0
	s_cbranch_vccnz .LBB100_28
; %bb.8:                                ;   in Loop: Header=BB100_7 Depth=1
	v_min_u32_e32 v0, s26, v80
	v_cmp_gt_u32_e64 s1, s19, v80
	v_dual_mov_b32 v81, 0 :: v_dual_mov_b32 v94, 0
	v_mov_b32_e32 v93, 0
	s_delay_alu instid0(VALU_DEP_4) | instskip(SKIP_2) | instid1(VALU_DEP_2)
	v_mul_lo_u32 v82, v0, s17
	v_mov_b32_e32 v95, 0
	s_mov_b32 s36, 0
	v_lshlrev_b64 v[0:1], 1, v[82:83]
	s_delay_alu instid0(VALU_DEP_1) | instskip(NEXT) | instid1(VALU_DEP_2)
	v_add_co_u32 v96, vcc_lo, s6, v0
	v_add_co_ci_u32_e32 v97, vcc_lo, s7, v1, vcc_lo
	s_branch .LBB100_14
.LBB100_9:                              ;   in Loop: Header=BB100_14 Depth=2
	s_or_b32 exec_lo, exec_lo, s40
.LBB100_10:                             ;   in Loop: Header=BB100_14 Depth=2
	s_delay_alu instid0(SALU_CYCLE_1)
	s_or_b32 exec_lo, exec_lo, s39
.LBB100_11:                             ;   in Loop: Header=BB100_14 Depth=2
	s_delay_alu instid0(SALU_CYCLE_1)
	s_or_b32 exec_lo, exec_lo, s38
.LBB100_12:                             ;   in Loop: Header=BB100_14 Depth=2
	s_delay_alu instid0(SALU_CYCLE_1)
	s_or_b32 exec_lo, exec_lo, s37
	s_waitcnt vmcnt(3) lgkmcnt(3)
	;;#ASMSTART
	v_dot2_f32_f16 v95, v72, v40, v95
	;;#ASMEND
	s_waitcnt lgkmcnt(2)
	;;#ASMSTART
	v_dot2_f32_f16 v94, v64, v40, v94
	;;#ASMEND
	s_waitcnt lgkmcnt(1)
	;; [unrolled: 4-line block ×3, first 2 shown]
	;;#ASMSTART
	v_dot2_f32_f16 v81, v76, v40, v81
	;;#ASMEND
	;;#ASMSTART
	v_dot2_f32_f16 v95, v73, v41, v95
	;;#ASMEND
	;;#ASMSTART
	v_dot2_f32_f16 v94, v65, v41, v94
	;;#ASMEND
	;;#ASMSTART
	v_dot2_f32_f16 v93, v69, v41, v93
	;;#ASMEND
	;;#ASMSTART
	v_dot2_f32_f16 v81, v77, v41, v81
	;;#ASMEND
	;;#ASMSTART
	v_dot2_f32_f16 v95, v74, v42, v95
	;;#ASMEND
	;;#ASMSTART
	v_dot2_f32_f16 v94, v66, v42, v94
	;;#ASMEND
	;;#ASMSTART
	v_dot2_f32_f16 v93, v70, v42, v93
	;;#ASMEND
	;;#ASMSTART
	v_dot2_f32_f16 v81, v78, v42, v81
	;;#ASMEND
	;;#ASMSTART
	v_dot2_f32_f16 v95, v75, v43, v95
	;;#ASMEND
	;;#ASMSTART
	v_dot2_f32_f16 v94, v67, v43, v94
	;;#ASMEND
	;;#ASMSTART
	v_dot2_f32_f16 v93, v71, v43, v93
	;;#ASMEND
	;;#ASMSTART
	v_dot2_f32_f16 v81, v79, v43, v81
	;;#ASMEND
	s_waitcnt vmcnt(2)
	;;#ASMSTART
	v_dot2_f32_f16 v95, v60, v16, v95
	;;#ASMEND
	;;#ASMSTART
	v_dot2_f32_f16 v94, v56, v16, v94
	;;#ASMEND
	;;#ASMSTART
	v_dot2_f32_f16 v93, v52, v16, v93
	;;#ASMEND
	;;#ASMSTART
	v_dot2_f32_f16 v81, v44, v16, v81
	;;#ASMEND
	;;#ASMSTART
	v_dot2_f32_f16 v95, v61, v17, v95
	;;#ASMEND
	;;#ASMSTART
	v_dot2_f32_f16 v94, v57, v17, v94
	;;#ASMEND
	;;#ASMSTART
	v_dot2_f32_f16 v93, v53, v17, v93
	;;#ASMEND
	;;#ASMSTART
	v_dot2_f32_f16 v81, v45, v17, v81
	;;#ASMEND
	;;#ASMSTART
	v_dot2_f32_f16 v95, v62, v18, v95
	;;#ASMEND
	;;#ASMSTART
	v_dot2_f32_f16 v94, v58, v18, v94
	;;#ASMEND
	;;#ASMSTART
	v_dot2_f32_f16 v93, v54, v18, v93
	;;#ASMEND
	;;#ASMSTART
	v_dot2_f32_f16 v81, v46, v18, v81
	;;#ASMEND
	;;#ASMSTART
	v_dot2_f32_f16 v95, v63, v19, v95
	;;#ASMEND
	;;#ASMSTART
	v_dot2_f32_f16 v94, v59, v19, v94
	;;#ASMEND
	;;#ASMSTART
	v_dot2_f32_f16 v93, v55, v19, v93
	;;#ASMEND
	;;#ASMSTART
	v_dot2_f32_f16 v81, v47, v19, v81
	;;#ASMEND
	s_waitcnt vmcnt(1)
	;;#ASMSTART
	v_dot2_f32_f16 v95, v48, v4, v95
	;;#ASMEND
	;;#ASMSTART
	v_dot2_f32_f16 v94, v36, v4, v94
	;;#ASMEND
	;;#ASMSTART
	v_dot2_f32_f16 v93, v32, v4, v93
	;;#ASMEND
	;; [unrolled: 49-line block ×3, first 2 shown]
	;;#ASMSTART
	v_dot2_f32_f16 v81, v8, v0, v81
	;;#ASMEND
	;;#ASMSTART
	v_dot2_f32_f16 v95, v29, v1, v95
	;;#ASMEND
	;; [unrolled: 3-line block ×13, first 2 shown]
.LBB100_13:                             ;   in Loop: Header=BB100_14 Depth=2
	s_or_b32 exec_lo, exec_lo, s2
	s_addk_i32 s36, 0x400
	s_delay_alu instid0(SALU_CYCLE_1)
	s_cmp_ge_u32 s36, s16
	s_cbranch_scc1 .LBB100_28
.LBB100_14:                             ;   Parent Loop BB100_7 Depth=1
                                        ; =>  This Loop Header: Depth=2
                                        ;       Child Loop BB100_19 Depth 3
	s_cmp_eq_u32 s36, 0
	s_cselect_b32 s37, -1, 0
	s_add_i32 s2, s35, s15
	s_delay_alu instid0(SALU_CYCLE_1) | instskip(SKIP_1) | instid1(SALU_CYCLE_1)
	s_cmp_eq_u32 s36, s2
	s_cselect_b32 s38, -1, 0
	s_or_b32 s38, s37, s38
	s_delay_alu instid0(SALU_CYCLE_1)
	s_and_not1_b32 vcc_lo, exec_lo, s38
	s_cbranch_vccz .LBB100_16
; %bb.15:                               ;   in Loop: Header=BB100_14 Depth=2
	s_and_saveexec_b32 s2, s1
	s_cbranch_execz .LBB100_13
	s_branch .LBB100_23
.LBB100_16:                             ;   in Loop: Header=BB100_14 Depth=2
	s_and_b32 s37, s37, exec_lo
	s_cselect_b32 s35, s35, s2
	s_and_not1_b32 vcc_lo, exec_lo, s23
	s_waitcnt vmcnt(0)
	s_waitcnt_vscnt null, 0x0
	s_barrier
	buffer_gl0_inv
	s_cbranch_vccnz .LBB100_22
; %bb.17:                               ;   in Loop: Header=BB100_14 Depth=2
	v_add_nc_u32_e32 v0, s35, v91
	v_dual_mov_b32 v4, v90 :: v_dual_add_nc_u32 v1, s35, v85
	v_add_nc_u32_e32 v2, s35, v86
	v_add_nc_u32_e32 v3, s35, v84
	s_mov_b32 s37, 0
	s_mov_b32 s38, 0
                                        ; implicit-def: $sgpr39
	s_branch .LBB100_19
.LBB100_18:                             ;   in Loop: Header=BB100_19 Depth=3
	s_or_b32 exec_lo, exec_lo, s2
	s_delay_alu instid0(SALU_CYCLE_1) | instskip(NEXT) | instid1(SALU_CYCLE_1)
	s_and_b32 s2, exec_lo, s39
	s_or_b32 s37, s2, s37
	s_delay_alu instid0(SALU_CYCLE_1)
	s_and_not1_b32 exec_lo, exec_lo, s37
	s_cbranch_execz .LBB100_21
.LBB100_19:                             ;   Parent Loop BB100_7 Depth=1
                                        ;     Parent Loop BB100_14 Depth=2
                                        ; =>    This Inner Loop Header: Depth=3
	s_delay_alu instid0(VALU_DEP_1) | instskip(SKIP_2) | instid1(VALU_DEP_2)
	v_add_nc_u32_e32 v82, s38, v3
	v_add_nc_u32_e32 v5, s38, v84
	s_or_b32 s39, s39, exec_lo
	v_cmp_gt_u32_e32 vcc_lo, s18, v82
	s_delay_alu instid0(VALU_DEP_2) | instskip(NEXT) | instid1(VALU_DEP_1)
	v_cmp_gt_u32_e64 s2, s15, v5
	s_and_b32 s40, s2, vcc_lo
	s_delay_alu instid0(SALU_CYCLE_1)
	s_and_saveexec_b32 s2, s40
	s_cbranch_execz .LBB100_18
; %bb.20:                               ;   in Loop: Header=BB100_19 Depth=3
	v_lshlrev_b64 v[5:6], 1, v[82:83]
	v_add_nc_u32_e32 v82, s38, v2
	v_add_nc_u32_e32 v21, s34, v4
	;; [unrolled: 1-line block ×3, first 2 shown]
	s_delay_alu instid0(VALU_DEP_3) | instskip(SKIP_3) | instid1(VALU_DEP_3)
	v_lshlrev_b64 v[7:8], 1, v[82:83]
	v_add_nc_u32_e32 v82, s38, v0
	v_add_co_u32 v5, vcc_lo, s8, v5
	v_add_co_ci_u32_e32 v6, vcc_lo, s9, v6, vcc_lo
	v_lshlrev_b64 v[13:14], 1, v[82:83]
	v_add_nc_u32_e32 v82, s38, v1
	v_add_co_u32 v9, vcc_lo, s8, v7
	v_add_co_ci_u32_e32 v10, vcc_lo, s9, v8, vcc_lo
	s_delay_alu instid0(VALU_DEP_3)
	v_lshlrev_b64 v[15:16], 1, v[82:83]
	v_add_co_u32 v13, vcc_lo, s8, v13
	v_add_co_ci_u32_e32 v14, vcc_lo, s9, v14, vcc_lo
	s_clause 0x1
	global_load_b128 v[5:8], v[5:6], off
	global_load_b128 v[9:12], v[9:10], off
	v_add_co_u32 v17, vcc_lo, s8, v15
	v_add_co_ci_u32_e32 v18, vcc_lo, s9, v16, vcc_lo
	s_clause 0x1
	global_load_b128 v[13:16], v[13:14], off
	global_load_b128 v[17:20], v[17:18], off
	s_add_i32 s38, s38, s24
	s_waitcnt vmcnt(3)
	ds_store_b128 v4, v[5:8]
	s_waitcnt vmcnt(2)
	ds_store_2addr_b64 v21, v[9:10], v[11:12] offset1:1
	s_cmp_ge_u32 s38, s15
	v_add_nc_u32_e32 v5, s21, v4
	s_cselect_b32 s40, -1, 0
	v_add_nc_u32_e32 v4, s20, v4
	s_and_not1_b32 s39, s39, exec_lo
	s_and_b32 s40, s40, exec_lo
	s_waitcnt vmcnt(1)
	ds_store_2addr_b32 v22, v13, v14 offset1:1
	ds_store_2addr_b32 v22, v15, v16 offset0:2 offset1:3
	s_or_b32 s39, s39, s40
	s_waitcnt vmcnt(0)
	ds_store_2addr_b64 v5, v[17:18], v[19:20] offset1:1
	s_branch .LBB100_18
.LBB100_21:                             ;   in Loop: Header=BB100_14 Depth=2
	s_or_b32 exec_lo, exec_lo, s37
.LBB100_22:                             ;   in Loop: Header=BB100_14 Depth=2
	s_waitcnt lgkmcnt(0)
	s_barrier
	buffer_gl0_inv
	s_and_saveexec_b32 s2, s1
	s_cbranch_execz .LBB100_13
.LBB100_23:                             ;   in Loop: Header=BB100_14 Depth=2
	v_dual_mov_b32 v73, 0 :: v_dual_add_nc_u32 v100, s36, v89
	v_dual_mov_b32 v60, 0 :: v_dual_mov_b32 v61, 0
	v_dual_mov_b32 v62, 0 :: v_dual_mov_b32 v63, 0
	s_delay_alu instid0(VALU_DEP_3) | instskip(SKIP_2) | instid1(VALU_DEP_3)
	v_min_u32_e32 v82, s25, v100
	v_dual_mov_b32 v72, 0 :: v_dual_add_nc_u32 v101, 0x100, v100
	v_dual_mov_b32 v74, 0 :: v_dual_add_nc_u32 v99, 0x200, v100
	v_lshlrev_b64 v[0:1], 1, v[82:83]
	s_delay_alu instid0(VALU_DEP_3) | instskip(SKIP_2) | instid1(VALU_DEP_3)
	v_min_u32_e32 v82, s25, v101
	v_dual_mov_b32 v75, 0 :: v_dual_add_nc_u32 v98, 0x300, v100
	v_dual_mov_b32 v48, 0 :: v_dual_mov_b32 v49, 0
	v_lshlrev_b64 v[2:3], 1, v[82:83]
	v_min_u32_e32 v82, s25, v99
	v_add_co_u32 v0, vcc_lo, v96, v0
	v_add_co_ci_u32_e32 v1, vcc_lo, v97, v1, vcc_lo
	s_delay_alu instid0(VALU_DEP_3) | instskip(SKIP_3) | instid1(VALU_DEP_3)
	v_lshlrev_b64 v[4:5], 1, v[82:83]
	v_min_u32_e32 v82, s25, v98
	v_add_co_u32 v2, vcc_lo, v96, v2
	v_add_co_ci_u32_e32 v3, vcc_lo, v97, v3, vcc_lo
	v_lshlrev_b64 v[6:7], 1, v[82:83]
	v_add_co_u32 v4, vcc_lo, v96, v4
	v_add_co_ci_u32_e32 v5, vcc_lo, v97, v5, vcc_lo
	v_dual_mov_b32 v50, 0 :: v_dual_mov_b32 v51, 0
	s_waitcnt vmcnt(0)
	s_delay_alu instid0(VALU_DEP_4)
	v_add_co_u32 v8, vcc_lo, v96, v6
	v_add_co_ci_u32_e32 v9, vcc_lo, v97, v7, vcc_lo
	s_clause 0x3
	global_load_b128 v[40:43], v[0:1], off slc dlc
	global_load_b128 v[16:19], v[2:3], off slc dlc
	;; [unrolled: 1-line block ×4, first 2 shown]
	v_cmp_gt_u32_e32 vcc_lo, s16, v100
	v_dual_mov_b32 v28, 0 :: v_dual_mov_b32 v29, 0
	v_dual_mov_b32 v30, 0 :: v_dual_mov_b32 v31, 0
	;; [unrolled: 1-line block ×26, first 2 shown]
	s_and_saveexec_b32 s37, vcc_lo
	s_cbranch_execz .LBB100_12
; %bb.24:                               ;   in Loop: Header=BB100_14 Depth=2
	v_subrev_nc_u32_e32 v8, s35, v100
	v_mov_b32_e32 v9, 0
	v_cmp_gt_u32_e32 vcc_lo, s16, v101
	v_dual_mov_b32 v11, 0 :: v_dual_mov_b32 v10, 0
	s_delay_alu instid0(VALU_DEP_4) | instskip(SKIP_2) | instid1(VALU_DEP_3)
	v_lshlrev_b32_e32 v82, 1, v8
	v_dual_mov_b32 v8, 0 :: v_dual_mov_b32 v27, 0
	v_dual_mov_b32 v26, 0 :: v_dual_mov_b32 v25, 0
	v_dual_mov_b32 v47, 0 :: v_dual_add_nc_u32 v100, s34, v82
	v_mov_b32_e32 v46, 0
	v_dual_mov_b32 v24, 0 :: v_dual_mov_b32 v45, 0
	s_delay_alu instid0(VALU_DEP_3) | instskip(SKIP_1) | instid1(VALU_DEP_2)
	v_dual_mov_b32 v44, 0 :: v_dual_add_nc_u32 v101, s34, v100
	v_dual_mov_b32 v15, 0 :: v_dual_mov_b32 v14, 0
	v_dual_mov_b32 v13, 0 :: v_dual_add_nc_u32 v102, s34, v101
	v_mov_b32_e32 v35, 0
	ds_load_b128 v[72:75], v82
	ds_load_b128 v[64:67], v100
	;; [unrolled: 1-line block ×4, first 2 shown]
	v_dual_mov_b32 v12, 0 :: v_dual_mov_b32 v33, 0
	v_dual_mov_b32 v34, 0 :: v_dual_mov_b32 v55, 0
	;; [unrolled: 1-line block ×15, first 2 shown]
	v_mov_b32_e32 v62, 0
	v_mov_b32_e32 v60, 0
	s_and_saveexec_b32 s38, vcc_lo
	s_cbranch_execz .LBB100_11
; %bb.25:                               ;   in Loop: Header=BB100_14 Depth=2
	ds_load_b128 v[60:63], v82 offset:512
	ds_load_b128 v[56:59], v100 offset:512
	;; [unrolled: 1-line block ×4, first 2 shown]
	v_cmp_gt_u32_e32 vcc_lo, s16, v99
	v_dual_mov_b32 v11, 0 :: v_dual_mov_b32 v10, 0
	v_dual_mov_b32 v9, 0 :: v_dual_mov_b32 v8, 0
	;; [unrolled: 1-line block ×16, first 2 shown]
	s_and_saveexec_b32 s39, vcc_lo
	s_cbranch_execz .LBB100_10
; %bb.26:                               ;   in Loop: Header=BB100_14 Depth=2
	ds_load_b128 v[48:51], v82 offset:1024
	ds_load_b128 v[36:39], v100 offset:1024
	;; [unrolled: 1-line block ×4, first 2 shown]
	v_dual_mov_b32 v11, 0 :: v_dual_mov_b32 v10, 0
	v_dual_mov_b32 v9, 0 :: v_dual_mov_b32 v8, 0
	;; [unrolled: 1-line block ×8, first 2 shown]
	s_mov_b32 s40, exec_lo
	v_cmpx_gt_u32_e64 s16, v98
	s_cbranch_execz .LBB100_9
; %bb.27:                               ;   in Loop: Header=BB100_14 Depth=2
	ds_load_b128 v[28:31], v82 offset:1536
	ds_load_b128 v[20:23], v100 offset:1536
	ds_load_b128 v[12:15], v101 offset:1536
	ds_load_b128 v[8:11], v102 offset:1536
	s_branch .LBB100_9
.LBB100_28:                             ;   in Loop: Header=BB100_7 Depth=1
	s_mov_b32 s1, exec_lo
                                        ; implicit-def: $vgpr0
	v_cmpx_le_u32_e64 s19, v80
	s_xor_b32 s1, exec_lo, s1
; %bb.29:                               ;   in Loop: Header=BB100_7 Depth=1
	v_add_nc_u32_e32 v0, s5, v80
                                        ; implicit-def: $vgpr80
                                        ; implicit-def: $vgpr95
                                        ; implicit-def: $vgpr94
                                        ; implicit-def: $vgpr93
                                        ; implicit-def: $vgpr81
; %bb.30:                               ;   in Loop: Header=BB100_7 Depth=1
	s_and_not1_saveexec_b32 s2, s1
	s_cbranch_execz .LBB100_6
; %bb.31:                               ;   in Loop: Header=BB100_7 Depth=1
	v_cvt_i32_f32_e32 v0, v95
	v_cvt_i32_f32_e32 v1, v94
	;; [unrolled: 1-line block ×4, first 2 shown]
	s_delay_alu instid0(VALU_DEP_4) | instskip(NEXT) | instid1(VALU_DEP_4)
	v_cvt_f32_i32_dpp v0, v0 row_shr:8 row_mask:0xf bank_mask:0xf bound_ctrl:1
	v_cvt_f32_i32_dpp v1, v1 row_shr:8 row_mask:0xf bank_mask:0xf bound_ctrl:1
	s_delay_alu instid0(VALU_DEP_4) | instskip(NEXT) | instid1(VALU_DEP_4)
	v_cvt_f32_i32_dpp v3, v3 row_shr:8 row_mask:0xf bank_mask:0xf bound_ctrl:1
	v_cvt_f32_i32_dpp v2, v2 row_shr:8 row_mask:0xf bank_mask:0xf bound_ctrl:1
	s_delay_alu instid0(VALU_DEP_3) | instskip(NEXT) | instid1(VALU_DEP_1)
	v_dual_add_f32 v0, v95, v0 :: v_dual_add_f32 v1, v94, v1
	v_cvt_i32_f32_e32 v4, v0
	s_delay_alu instid0(VALU_DEP_2) | instskip(NEXT) | instid1(VALU_DEP_2)
	v_cvt_i32_f32_e32 v5, v1
	v_cvt_f32_i32_dpp v4, v4 row_shr:4 row_mask:0xf bank_mask:0xf bound_ctrl:1
	v_add_f32_e32 v3, v81, v3
	s_delay_alu instid0(VALU_DEP_3) | instskip(NEXT) | instid1(VALU_DEP_3)
	v_cvt_f32_i32_dpp v5, v5 row_shr:4 row_mask:0xf bank_mask:0xf bound_ctrl:1
	v_add_f32_e32 v0, v0, v4
	s_delay_alu instid0(VALU_DEP_3) | instskip(NEXT) | instid1(VALU_DEP_2)
	v_cvt_i32_f32_e32 v7, v3
	v_cvt_i32_f32_e32 v4, v0
	s_delay_alu instid0(VALU_DEP_2) | instskip(SKIP_1) | instid1(VALU_DEP_3)
	v_cvt_f32_i32_dpp v7, v7 row_shr:4 row_mask:0xf bank_mask:0xf bound_ctrl:1
	v_add_f32_e32 v2, v93, v2
	v_cvt_f32_i32_dpp v4, v4 row_shr:2 row_mask:0xf bank_mask:0xf bound_ctrl:1
	s_delay_alu instid0(VALU_DEP_3) | instskip(NEXT) | instid1(VALU_DEP_3)
	v_add_f32_e32 v3, v3, v7
	v_cvt_i32_f32_e32 v6, v2
	s_delay_alu instid0(VALU_DEP_2) | instskip(NEXT) | instid1(VALU_DEP_2)
	v_cvt_i32_f32_e32 v7, v3
	v_cvt_f32_i32_dpp v6, v6 row_shr:4 row_mask:0xf bank_mask:0xf bound_ctrl:1
	v_add_f32_e32 v1, v1, v5
	s_delay_alu instid0(VALU_DEP_3) | instskip(NEXT) | instid1(VALU_DEP_3)
	v_cvt_f32_i32_dpp v7, v7 row_shr:2 row_mask:0xf bank_mask:0xf bound_ctrl:1
	v_add_f32_e32 v2, v2, v6
	s_delay_alu instid0(VALU_DEP_3) | instskip(NEXT) | instid1(VALU_DEP_2)
	v_cvt_i32_f32_e32 v5, v1
	v_cvt_i32_f32_e32 v6, v2
	s_delay_alu instid0(VALU_DEP_2) | instskip(SKIP_1) | instid1(VALU_DEP_3)
	v_cvt_f32_i32_dpp v5, v5 row_shr:2 row_mask:0xf bank_mask:0xf bound_ctrl:1
	v_add_f32_e32 v0, v0, v4
	v_cvt_f32_i32_dpp v6, v6 row_shr:2 row_mask:0xf bank_mask:0xf bound_ctrl:1
	s_delay_alu instid0(VALU_DEP_3) | instskip(SKIP_1) | instid1(VALU_DEP_4)
	v_add_f32_e32 v1, v1, v5
	v_add_f32_e32 v5, v3, v7
	v_cvt_i32_f32_e32 v3, v0
	s_delay_alu instid0(VALU_DEP_4)
	v_add_f32_e32 v4, v2, v6
	v_xor_b32_e32 v2, 16, v88
	v_cvt_i32_f32_e32 v6, v1
	s_waitcnt vmcnt(0)
	v_cvt_i32_f32_e32 v8, v5
	v_cvt_f32_i32_dpp v3, v3 row_shr:1 row_mask:0xf bank_mask:0xf bound_ctrl:1
	v_cvt_i32_f32_e32 v7, v4
	v_cmp_gt_i32_e32 vcc_lo, 32, v2
	v_cvt_f32_i32_dpp v9, v6 row_shr:1 row_mask:0xf bank_mask:0xf bound_ctrl:1
	v_cvt_f32_i32_dpp v8, v8 row_shr:1 row_mask:0xf bank_mask:0xf bound_ctrl:1
	v_add_f32_e32 v6, v0, v3
	v_cvt_f32_i32_dpp v7, v7 row_shr:1 row_mask:0xf bank_mask:0xf bound_ctrl:1
	v_cndmask_b32_e32 v2, v88, v2, vcc_lo
	s_delay_alu instid0(VALU_DEP_2) | instskip(NEXT) | instid1(VALU_DEP_2)
	v_dual_add_f32 v0, v5, v8 :: v_dual_add_f32 v3, v4, v7
	v_lshlrev_b32_e32 v10, 2, v2
	v_add_f32_e32 v2, v1, v9
	ds_bpermute_b32 v7, v10, v6
	ds_bpermute_b32 v4, v10, v2
	;; [unrolled: 1-line block ×4, first 2 shown]
	s_and_saveexec_b32 s1, s0
	s_cbranch_execz .LBB100_36
; %bb.32:                               ;   in Loop: Header=BB100_7 Depth=1
	v_dual_mov_b32 v8, 0 :: v_dual_mov_b32 v9, 0
	v_dual_mov_b32 v10, 0 :: v_dual_mov_b32 v11, 0
	s_and_not1_b32 vcc_lo, exec_lo, s27
	s_cbranch_vccnz .LBB100_34
; %bb.33:                               ;   in Loop: Header=BB100_7 Depth=1
	v_mul_hi_u32 v8, v80, v92
	v_mov_b32_e32 v11, v83
	s_delay_alu instid0(VALU_DEP_2) | instskip(NEXT) | instid1(VALU_DEP_1)
	v_mul_lo_u32 v8, v8, s4
	v_sub_nc_u32_e32 v8, v80, v8
	s_delay_alu instid0(VALU_DEP_1) | instskip(SKIP_1) | instid1(VALU_DEP_2)
	v_subrev_nc_u32_e32 v9, s4, v8
	v_cmp_le_u32_e32 vcc_lo, s4, v8
	v_cndmask_b32_e32 v8, v8, v9, vcc_lo
	s_delay_alu instid0(VALU_DEP_1) | instskip(SKIP_1) | instid1(VALU_DEP_2)
	v_subrev_nc_u32_e32 v9, s4, v8
	v_cmp_le_u32_e32 vcc_lo, s4, v8
	v_dual_cndmask_b32 v82, v8, v9 :: v_dual_mov_b32 v9, v83
	s_delay_alu instid0(VALU_DEP_1) | instskip(SKIP_3) | instid1(VALU_DEP_4)
	v_add_nc_u32_e32 v8, s29, v82
	v_lshlrev_b64 v[12:13], 1, v[82:83]
	v_add_nc_u32_e32 v10, s30, v82
	v_add_nc_u32_e32 v82, s33, v82
	v_lshlrev_b64 v[8:9], 1, v[8:9]
	s_delay_alu instid0(VALU_DEP_3)
	v_lshlrev_b64 v[10:11], 1, v[10:11]
	v_add_co_u32 v12, vcc_lo, s10, v12
	v_add_co_ci_u32_e32 v13, vcc_lo, s11, v13, vcc_lo
	v_lshlrev_b64 v[14:15], 1, v[82:83]
	v_add_co_u32 v8, vcc_lo, s10, v8
	v_add_co_ci_u32_e32 v9, vcc_lo, s11, v9, vcc_lo
	v_add_co_u32 v16, vcc_lo, s10, v10
	v_add_co_ci_u32_e32 v17, vcc_lo, s11, v11, vcc_lo
	;; [unrolled: 2-line block ×3, first 2 shown]
	s_clause 0x3
	global_load_u16 v11, v[12:13], off
	global_load_u16 v10, v[8:9], off
	;; [unrolled: 1-line block ×4, first 2 shown]
.LBB100_34:                             ;   in Loop: Header=BB100_7 Depth=1
	v_cmp_ne_u32_e32 vcc_lo, 0, v87
	s_and_b32 exec_lo, exec_lo, vcc_lo
	s_cbranch_execz .LBB100_36
; %bb.35:                               ;   in Loop: Header=BB100_7 Depth=1
	s_waitcnt lgkmcnt(3)
	v_dual_add_f32 v6, v6, v7 :: v_dual_mov_b32 v81, v83
	s_waitcnt vmcnt(3)
	v_cvt_f32_f16_e32 v7, v11
	s_waitcnt lgkmcnt(2)
	v_add_f32_e32 v2, v2, v4
	s_waitcnt lgkmcnt(1)
	v_add_f32_e32 v4, v3, v5
	s_waitcnt vmcnt(2)
	v_cvt_f32_f16_e32 v5, v10
	s_waitcnt vmcnt(0)
	v_cvt_f32_f16_e32 v8, v8
	v_add_f32_e32 v3, v6, v7
	v_cvt_f32_f16_e32 v7, v9
	s_waitcnt lgkmcnt(0)
	v_add_f32_e32 v6, v0, v1
	v_lshlrev_b64 v[0:1], 1, v[80:81]
	v_cvt_f16_f32_e32 v10, v3
	v_dual_add_f32 v7, v4, v7 :: v_dual_add_nc_u32 v82, s19, v80
	v_add_f32_e32 v5, v2, v5
	s_delay_alu instid0(VALU_DEP_4) | instskip(SKIP_1) | instid1(VALU_DEP_4)
	v_add_co_u32 v0, vcc_lo, s12, v0
	v_add_co_ci_u32_e32 v1, vcc_lo, s13, v1, vcc_lo
	v_lshlrev_b64 v[2:3], 1, v[82:83]
	v_add_nc_u32_e32 v82, s19, v82
	v_cvt_f16_f32_e32 v9, v5
	v_cvt_f16_f32_e32 v11, v7
	v_add_f32_e32 v8, v6, v8
	s_delay_alu instid0(VALU_DEP_4) | instskip(SKIP_3) | instid1(VALU_DEP_3)
	v_lshlrev_b64 v[4:5], 1, v[82:83]
	v_add_nc_u32_e32 v82, s19, v82
	v_add_co_u32 v2, vcc_lo, s12, v2
	v_add_co_ci_u32_e32 v3, vcc_lo, s13, v3, vcc_lo
	v_lshlrev_b64 v[6:7], 1, v[82:83]
	v_add_co_u32 v4, vcc_lo, s12, v4
	v_add_co_ci_u32_e32 v5, vcc_lo, s13, v5, vcc_lo
	v_cvt_f16_f32_e32 v8, v8
	s_delay_alu instid0(VALU_DEP_4)
	v_add_co_u32 v6, vcc_lo, s12, v6
	v_add_co_ci_u32_e32 v7, vcc_lo, s13, v7, vcc_lo
	s_clause 0x3
	global_store_b16 v[0:1], v10, off
	global_store_b16 v[2:3], v9, off
	;; [unrolled: 1-line block ×4, first 2 shown]
.LBB100_36:                             ;   in Loop: Header=BB100_7 Depth=1
	s_or_b32 exec_lo, exec_lo, s1
	v_add_nc_u32_e32 v0, s5, v80
	s_waitcnt lgkmcnt(0)
	s_delay_alu instid0(VALU_DEP_1) | instskip(SKIP_1) | instid1(VALU_DEP_2)
	v_add_nc_u32_e32 v1, 1, v0
	v_cmp_gt_u32_e32 vcc_lo, s19, v0
	v_cmp_le_u32_e64 s1, s19, v1
	s_delay_alu instid0(VALU_DEP_1) | instskip(NEXT) | instid1(SALU_CYCLE_1)
	s_and_b32 s35, vcc_lo, s1
	s_and_saveexec_b32 s1, s35
	s_cbranch_execz .LBB100_5
; %bb.37:                               ;   in Loop: Header=BB100_7 Depth=1
	v_add_nc_u32_e32 v0, s28, v80
	s_delay_alu instid0(VALU_DEP_1)
	v_cmp_eq_u32_e32 vcc_lo, 1, v0
	v_dual_mov_b32 v0, s26 :: v_dual_cndmask_b32 v87, 0, v87
	s_branch .LBB100_5
.LBB100_38:
	s_nop 0
	s_sendmsg sendmsg(MSG_DEALLOC_VGPRS)
	s_endpgm
	.section	.rodata,"a",@progbits
	.p2align	6, 0x0
	.amdhsa_kernel _Z16wvSplitK_hf_big_I6__halfLi32ELi1ELi16ELi8ELi4ELi4EEviiiiiiPKT_S3_S3_PS1_ii
		.amdhsa_group_segment_fixed_size 65536
		.amdhsa_private_segment_fixed_size 0
		.amdhsa_kernarg_size 64
		.amdhsa_user_sgpr_count 15
		.amdhsa_user_sgpr_dispatch_ptr 0
		.amdhsa_user_sgpr_queue_ptr 0
		.amdhsa_user_sgpr_kernarg_segment_ptr 1
		.amdhsa_user_sgpr_dispatch_id 0
		.amdhsa_user_sgpr_private_segment_size 0
		.amdhsa_wavefront_size32 1
		.amdhsa_uses_dynamic_stack 0
		.amdhsa_enable_private_segment 0
		.amdhsa_system_sgpr_workgroup_id_x 1
		.amdhsa_system_sgpr_workgroup_id_y 0
		.amdhsa_system_sgpr_workgroup_id_z 0
		.amdhsa_system_sgpr_workgroup_info 0
		.amdhsa_system_vgpr_workitem_id 1
		.amdhsa_next_free_vgpr 103
		.amdhsa_next_free_sgpr 41
		.amdhsa_reserve_vcc 1
		.amdhsa_float_round_mode_32 0
		.amdhsa_float_round_mode_16_64 0
		.amdhsa_float_denorm_mode_32 3
		.amdhsa_float_denorm_mode_16_64 3
		.amdhsa_dx10_clamp 1
		.amdhsa_ieee_mode 1
		.amdhsa_fp16_overflow 0
		.amdhsa_workgroup_processor_mode 1
		.amdhsa_memory_ordered 1
		.amdhsa_forward_progress 0
		.amdhsa_shared_vgpr_count 0
		.amdhsa_exception_fp_ieee_invalid_op 0
		.amdhsa_exception_fp_denorm_src 0
		.amdhsa_exception_fp_ieee_div_zero 0
		.amdhsa_exception_fp_ieee_overflow 0
		.amdhsa_exception_fp_ieee_underflow 0
		.amdhsa_exception_fp_ieee_inexact 0
		.amdhsa_exception_int_div_zero 0
	.end_amdhsa_kernel
	.section	.text._Z16wvSplitK_hf_big_I6__halfLi32ELi1ELi16ELi8ELi4ELi4EEviiiiiiPKT_S3_S3_PS1_ii,"axG",@progbits,_Z16wvSplitK_hf_big_I6__halfLi32ELi1ELi16ELi8ELi4ELi4EEviiiiiiPKT_S3_S3_PS1_ii,comdat
.Lfunc_end100:
	.size	_Z16wvSplitK_hf_big_I6__halfLi32ELi1ELi16ELi8ELi4ELi4EEviiiiiiPKT_S3_S3_PS1_ii, .Lfunc_end100-_Z16wvSplitK_hf_big_I6__halfLi32ELi1ELi16ELi8ELi4ELi4EEviiiiiiPKT_S3_S3_PS1_ii
                                        ; -- End function
	.section	.AMDGPU.csdata,"",@progbits
; Kernel info:
; codeLenInByte = 4632
; NumSgprs: 43
; NumVgprs: 103
; ScratchSize: 0
; MemoryBound: 0
; FloatMode: 240
; IeeeMode: 1
; LDSByteSize: 65536 bytes/workgroup (compile time only)
; SGPRBlocks: 5
; VGPRBlocks: 12
; NumSGPRsForWavesPerEU: 43
; NumVGPRsForWavesPerEU: 103
; Occupancy: 8
; WaveLimiterHint : 0
; COMPUTE_PGM_RSRC2:SCRATCH_EN: 0
; COMPUTE_PGM_RSRC2:USER_SGPR: 15
; COMPUTE_PGM_RSRC2:TRAP_HANDLER: 0
; COMPUTE_PGM_RSRC2:TGID_X_EN: 1
; COMPUTE_PGM_RSRC2:TGID_Y_EN: 0
; COMPUTE_PGM_RSRC2:TGID_Z_EN: 0
; COMPUTE_PGM_RSRC2:TIDIG_COMP_CNT: 1
	.section	.text._Z16wvSplitK_hf_sml_I6__halfLi32ELi2ELi16ELi8ELi2ELi4EEviiiiiiPKT_S3_S3_PS1_ii,"axG",@progbits,_Z16wvSplitK_hf_sml_I6__halfLi32ELi2ELi16ELi8ELi2ELi4EEviiiiiiPKT_S3_S3_PS1_ii,comdat
	.protected	_Z16wvSplitK_hf_sml_I6__halfLi32ELi2ELi16ELi8ELi2ELi4EEviiiiiiPKT_S3_S3_PS1_ii ; -- Begin function _Z16wvSplitK_hf_sml_I6__halfLi32ELi2ELi16ELi8ELi2ELi4EEviiiiiiPKT_S3_S3_PS1_ii
	.globl	_Z16wvSplitK_hf_sml_I6__halfLi32ELi2ELi16ELi8ELi2ELi4EEviiiiiiPKT_S3_S3_PS1_ii
	.p2align	8
	.type	_Z16wvSplitK_hf_sml_I6__halfLi32ELi2ELi16ELi8ELi2ELi4EEviiiiiiPKT_S3_S3_PS1_ii,@function
_Z16wvSplitK_hf_sml_I6__halfLi32ELi2ELi16ELi8ELi2ELi4EEviiiiiiPKT_S3_S3_PS1_ii: ; @_Z16wvSplitK_hf_sml_I6__halfLi32ELi2ELi16ELi8ELi2ELi4EEviiiiiiPKT_S3_S3_PS1_ii
; %bb.0:
	s_load_b128 s[4:7], s[0:1], 0x0
	v_and_b32_e32 v1, 0x3ff, v0
	v_bfe_u32 v0, v0, 10, 10
	s_mov_b32 s8, exec_lo
	s_delay_alu instid0(VALU_DEP_2) | instskip(NEXT) | instid1(VALU_DEP_1)
	v_lshlrev_b32_e32 v55, 3, v1
	v_lshl_add_u32 v3, v0, 8, v55
	s_waitcnt lgkmcnt(0)
	s_lshl_b32 s14, s6, 2
	s_delay_alu instid0(SALU_CYCLE_1)
	s_min_u32 s9, s14, 0x8000
	s_delay_alu instid0(VALU_DEP_1) | instid1(SALU_CYCLE_1)
	v_cmpx_gt_u32_e64 s9, v3
	s_cbranch_execz .LBB101_9
; %bb.1:
	s_load_b64 s[2:3], s[0:1], 0x20
	v_lshlrev_b32_e32 v2, 1, v3
	v_add_nc_u32_e32 v8, 0x1000, v3
	s_mov_b32 s10, exec_lo
	s_waitcnt lgkmcnt(0)
	global_load_b128 v[4:7], v2, s[2:3]
	s_waitcnt vmcnt(0)
	ds_store_b128 v2, v[4:7]
	v_cmpx_gt_u32_e64 s9, v8
	s_xor_b32 s10, exec_lo, s10
	s_cbranch_execz .LBB101_9
; %bb.2:
	v_add_co_u32 v4, s2, s2, v2
	s_delay_alu instid0(VALU_DEP_1) | instskip(SKIP_1) | instid1(VALU_DEP_3)
	v_add_co_ci_u32_e64 v5, null, s3, 0, s2
	v_add_nc_u32_e32 v10, 0x2000, v3
	v_add_co_u32 v6, vcc_lo, 0x2000, v4
	s_delay_alu instid0(VALU_DEP_3)
	v_add_co_ci_u32_e32 v7, vcc_lo, 0, v5, vcc_lo
	s_mov_b32 s2, exec_lo
	global_load_b128 v[6:9], v[6:7], off
	s_waitcnt vmcnt(0)
	ds_store_b128 v2, v[6:9] offset:8192
	v_cmpx_gt_u32_e64 s9, v10
	s_xor_b32 s2, exec_lo, s2
	s_cbranch_execz .LBB101_9
; %bb.3:
	v_add_co_u32 v6, vcc_lo, 0x4000, v4
	v_add_co_ci_u32_e32 v7, vcc_lo, 0, v5, vcc_lo
	v_add_nc_u32_e32 v10, 0x3000, v3
	s_mov_b32 s2, exec_lo
	global_load_b128 v[6:9], v[6:7], off
	s_waitcnt vmcnt(0)
	ds_store_b128 v2, v[6:9] offset:16384
	v_cmpx_gt_u32_e64 s9, v10
	s_xor_b32 s2, exec_lo, s2
	s_cbranch_execz .LBB101_9
; %bb.4:
	v_add_co_u32 v6, vcc_lo, 0x6000, v4
	v_add_co_ci_u32_e32 v7, vcc_lo, 0, v5, vcc_lo
	v_add_nc_u32_e32 v10, 0x4000, v3
	;; [unrolled: 11-line block ×5, first 2 shown]
	s_mov_b32 s2, exec_lo
	global_load_b128 v[6:9], v[6:7], off
	s_waitcnt vmcnt(0)
	ds_store_b128 v2, v[6:9] offset:49152
	v_cmpx_gt_u32_e64 s9, v3
	s_xor_b32 s2, exec_lo, s2
	s_cbranch_execz .LBB101_9
; %bb.8:
	v_add_co_u32 v3, vcc_lo, 0xe000, v4
	v_add_co_ci_u32_e32 v4, vcc_lo, 0, v5, vcc_lo
	global_load_b128 v[3:6], v[3:4], off
	s_waitcnt vmcnt(0)
	ds_store_b128 v2, v[3:6] offset:57344
.LBB101_9:
	s_or_b32 exec_lo, exec_lo, s8
	s_load_b64 s[16:17], s[0:1], 0x38
	s_waitcnt lgkmcnt(0)
	s_barrier
	buffer_gl0_inv
	s_mov_b32 s2, exec_lo
	v_cmpx_gt_u32_e64 s16, v0
	s_cbranch_execz .LBB101_26
; %bb.10:
	s_load_b64 s[2:3], s[0:1], 0x10
	s_mul_i32 s15, s15, s16
	s_delay_alu instid0(SALU_CYCLE_1) | instskip(NEXT) | instid1(VALU_DEP_1)
	v_add_lshl_u32 v40, s15, v0, 1
	v_cmp_gt_u32_e32 vcc_lo, s7, v40
	s_and_b32 exec_lo, exec_lo, vcc_lo
	s_cbranch_execz .LBB101_26
; %bb.11:
	s_clause 0x1
	s_load_b128 s[8:11], s[0:1], 0x28
	s_load_b64 s[12:13], s[0:1], 0x18
	s_cmp_lg_u32 s4, 0
	s_waitcnt lgkmcnt(0)
	v_cvt_f32_u32_e32 v2, s2
	s_cselect_b32 s1, -1, 0
	s_add_i32 s15, s4, -8
	s_add_i32 s18, s7, -1
	s_mul_i32 s0, s16, s17
	v_rcp_iflag_f32_e32 v2, v2
	v_lshlrev_b32_e32 v56, 4, v1
	v_mov_b32_e32 v42, 0
	v_mbcnt_lo_u32_b32 v57, -1, 0
	s_cmp_lg_u64 s[8:9], 0
	s_cselect_b32 s19, -1, 0
	s_abs_i32 s20, s3
	s_lshl_b32 s16, s0, 1
	v_cvt_f32_u32_e32 v0, s20
	s_sub_i32 s21, 0, s20
	s_sub_i32 s22, 0, s2
	s_mov_b32 s3, 0
	s_delay_alu instid0(VALU_DEP_1) | instskip(SKIP_2) | instid1(VALU_DEP_1)
	v_rcp_iflag_f32_e32 v0, v0
	s_waitcnt_depctr 0xfff
	v_mul_f32_e32 v0, 0x4f7ffffe, v0
	v_cvt_u32_f32_e32 v0, v0
	s_delay_alu instid0(VALU_DEP_1) | instskip(SKIP_1) | instid1(VALU_DEP_2)
	v_readfirstlane_b32 s17, v0
	v_mul_f32_e32 v0, 0x4f7ffffe, v2
	s_mul_i32 s21, s21, s17
	s_delay_alu instid0(VALU_DEP_1)
	v_cvt_u32_f32_e32 v0, v0
	s_mul_hi_u32 s0, s17, s21
	s_sub_i32 s21, 1, s20
	s_add_i32 s23, s17, s0
	s_cmp_lt_u32 s20, 2
	v_mul_lo_u32 v2, s22, v0
	s_cselect_b32 s17, s21, 1
	v_cmp_eq_u32_e64 s0, 31, v1
	s_sub_i32 s21, s17, s20
	s_cmp_ge_u32 s17, s20
	s_cselect_b32 s21, s21, s17
	s_lshr_b32 s17, s23, 31
	s_mul_hi_u32 s23, s23, 3
	s_mul_i32 s22, s17, s20
	s_mul_i32 s23, s23, s20
	s_sub_i32 s22, 2, s22
	v_mul_hi_u32 v1, v0, v2
	s_sub_i32 s24, s22, s20
	s_cmp_ge_u32 s22, s20
	s_mul_i32 s17, s6, 6
	s_cselect_b32 s22, s24, s22
	s_delay_alu instid0(SALU_CYCLE_1) | instskip(SKIP_1) | instid1(VALU_DEP_1)
	s_sub_i32 s24, s22, s20
	s_cmp_ge_u32 s22, s20
	v_add_nc_u32_e32 v58, v0, v1
	s_cselect_b32 s22, s24, s22
	s_sub_i32 s23, 3, s23
	s_delay_alu instid0(SALU_CYCLE_1) | instskip(SKIP_2) | instid1(SALU_CYCLE_1)
	s_sub_i32 s24, s23, s20
	s_cmp_ge_u32 s23, s20
	s_cselect_b32 s23, s24, s23
	s_sub_i32 s24, s23, s20
	s_cmp_ge_u32 s23, s20
	s_mul_i32 s20, s21, s2
	s_cselect_b32 s23, s24, s23
	s_mul_i32 s21, s22, s2
	s_mul_i32 s22, s23, s2
	s_lshl_b32 s6, s6, 1
	s_branch .LBB101_14
.LBB101_12:                             ;   in Loop: Header=BB101_14 Depth=1
	s_waitcnt lgkmcnt(6)
	v_dual_add_f32 v2, v2, v4 :: v_dual_add_f32 v3, v3, v5
	s_waitcnt vmcnt(7)
	v_cvt_f32_f16_e32 v4, v23
	s_waitcnt vmcnt(6)
	v_cvt_f32_f16_e32 v5, v22
	s_waitcnt lgkmcnt(2)
	v_add_f32_e32 v12, v12, v15
	v_add_f32_e32 v22, v0, v1
	v_lshlrev_b64 v[0:1], 1, v[40:41]
	v_add_nc_u32_e32 v41, s7, v40
	v_dual_add_f32 v2, v2, v4 :: v_dual_add_f32 v7, v7, v9
	v_add_f32_e32 v3, v3, v5
	s_waitcnt vmcnt(5)
	v_cvt_f32_f16_e32 v5, v21
	v_add_co_u32 v0, vcc_lo, s10, v0
	v_cvt_f16_f32_e32 v2, v2
	v_cvt_f16_f32_e32 v3, v3
	s_waitcnt lgkmcnt(1)
	v_add_f32_e32 v4, v10, v13
	v_dual_add_f32 v10, v11, v14 :: v_dual_add_f32 v5, v22, v5
	v_add_co_ci_u32_e32 v1, vcc_lo, s11, v1, vcc_lo
	v_pack_b32_f16 v11, v2, v3
	v_lshlrev_b64 v[2:3], 1, v[41:42]
	s_waitcnt vmcnt(2)
	v_cvt_f32_f16_e32 v9, v18
	s_waitcnt vmcnt(0)
	v_cvt_f32_f16_e32 v14, v16
	global_store_b32 v[0:1], v11, off
	v_cvt_f16_f32_e32 v11, v5
	v_cvt_f32_f16_e32 v5, v20
	v_add_co_u32 v0, vcc_lo, s10, v2
	s_waitcnt lgkmcnt(0)
	v_add_f32_e32 v8, v6, v8
	v_add_nc_u32_e32 v2, 1, v41
	v_add_f32_e32 v5, v12, v5
	v_cvt_f32_f16_e32 v6, v19
	v_add_nc_u32_e32 v41, s7, v41
	v_add_co_ci_u32_e32 v1, vcc_lo, s11, v3, vcc_lo
	s_delay_alu instid0(VALU_DEP_3) | instskip(SKIP_1) | instid1(VALU_DEP_4)
	v_dual_mov_b32 v3, v42 :: v_dual_add_f32 v6, v4, v6
	v_cvt_f16_f32_e32 v12, v5
	v_lshlrev_b64 v[4:5], 1, v[41:42]
	v_add_f32_e32 v9, v10, v9
	v_dual_add_f32 v14, v8, v14 :: v_dual_add_nc_u32 v41, s7, v41
	v_cvt_f32_f16_e32 v10, v17
	v_lshlrev_b64 v[2:3], 1, v[2:3]
	v_cvt_f16_f32_e32 v13, v6
	s_delay_alu instid0(VALU_DEP_4) | instskip(NEXT) | instid1(VALU_DEP_4)
	v_cvt_f16_f32_e32 v14, v14
	v_add_f32_e32 v10, v7, v10
	v_cvt_f16_f32_e32 v9, v9
	v_lshlrev_b64 v[6:7], 1, v[41:42]
	v_add_nc_u32_e32 v41, 1, v41
	v_add_co_u32 v2, vcc_lo, s10, v2
	v_add_co_ci_u32_e32 v3, vcc_lo, s11, v3, vcc_lo
	v_add_co_u32 v4, vcc_lo, s10, v4
	v_pack_b32_f16 v13, v13, v9
	v_lshlrev_b64 v[8:9], 1, v[41:42]
	v_add_co_ci_u32_e32 v5, vcc_lo, s11, v5, vcc_lo
	v_add_co_u32 v6, vcc_lo, s10, v6
	v_add_co_ci_u32_e32 v7, vcc_lo, s11, v7, vcc_lo
	s_delay_alu instid0(VALU_DEP_4)
	v_add_co_u32 v8, vcc_lo, s10, v8
	v_cvt_f16_f32_e32 v10, v10
	v_add_co_ci_u32_e32 v9, vcc_lo, s11, v9, vcc_lo
	s_clause 0x4
	global_store_b16 v[0:1], v11, off
	global_store_b16 v[2:3], v12, off
	global_store_b32 v[4:5], v13, off
	global_store_b16 v[6:7], v10, off
	global_store_b16 v[8:9], v14, off
.LBB101_13:                             ;   in Loop: Header=BB101_14 Depth=1
	s_or_b32 exec_lo, exec_lo, s23
	v_add_nc_u32_e32 v40, s16, v40
	s_delay_alu instid0(VALU_DEP_1) | instskip(SKIP_1) | instid1(SALU_CYCLE_1)
	v_cmp_le_u32_e32 vcc_lo, s7, v40
	s_or_b32 s3, vcc_lo, s3
	s_and_not1_b32 exec_lo, exec_lo, s3
	s_cbranch_execz .LBB101_26
.LBB101_14:                             ; =>This Loop Header: Depth=1
                                        ;     Child Loop BB101_18 Depth 2
	v_mov_b32_e32 v66, v42
	v_mov_b32_e32 v65, v42
	;; [unrolled: 1-line block ×8, first 2 shown]
	s_and_not1_b32 vcc_lo, exec_lo, s1
	s_cbranch_vccnz .LBB101_21
; %bb.15:                               ;   in Loop: Header=BB101_14 Depth=1
	v_or_b32_e32 v0, 1, v40
	v_min_u32_e32 v2, s18, v40
	s_waitcnt lgkmcnt(5)
	v_dual_mov_b32 v1, v42 :: v_dual_mov_b32 v60, 0
	v_dual_mov_b32 v67, v56 :: v_dual_mov_b32 v62, 0
	v_min_u32_e32 v0, s18, v0
	v_mul_lo_u32 v41, v2, s5
	v_dual_mov_b32 v61, 0 :: v_dual_mov_b32 v64, 0
	v_dual_mov_b32 v59, 0 :: v_dual_mov_b32 v66, 0
	s_delay_alu instid0(VALU_DEP_4) | instskip(SKIP_4) | instid1(VALU_DEP_4)
	v_mul_lo_u32 v0, v0, s5
	v_mov_b32_e32 v63, 0
	v_mov_b32_e32 v65, 0
	v_lshlrev_b64 v[43:44], 1, v[41:42]
	s_mov_b32 s23, 0
	v_lshlrev_b64 v[45:46], 1, v[0:1]
	s_branch .LBB101_18
.LBB101_16:                             ;   in Loop: Header=BB101_18 Depth=2
	s_or_b32 exec_lo, exec_lo, s25
.LBB101_17:                             ;   in Loop: Header=BB101_18 Depth=2
	s_delay_alu instid0(SALU_CYCLE_1)
	s_or_b32 exec_lo, exec_lo, s24
	s_waitcnt vmcnt(3) lgkmcnt(4)
	;;#ASMSTART
	v_dot2_f32_f16 v66, v36, v20, v66
	;;#ASMEND
	s_waitcnt vmcnt(2)
	;;#ASMSTART
	v_dot2_f32_f16 v65, v36, v16, v65
	;;#ASMEND
	s_waitcnt lgkmcnt(3)
	;;#ASMSTART
	v_dot2_f32_f16 v64, v32, v20, v64
	;;#ASMEND
	;;#ASMSTART
	v_dot2_f32_f16 v63, v32, v16, v63
	;;#ASMEND
	s_waitcnt lgkmcnt(2)
	;;#ASMSTART
	v_dot2_f32_f16 v60, v53, v20, v60
	;;#ASMEND
	;; [unrolled: 7-line block ×3, first 2 shown]
	;;#ASMSTART
	v_dot2_f32_f16 v59, v28, v16, v59
	;;#ASMEND
	;;#ASMSTART
	v_dot2_f32_f16 v66, v37, v21, v66
	;;#ASMEND
	;; [unrolled: 3-line block ×17, first 2 shown]
	v_add_nc_u32_e32 v67, 0x400, v67
	;;#ASMSTART
	v_dot2_f32_f16 v66, v39, v23, v66
	;;#ASMEND
	;;#ASMSTART
	v_dot2_f32_f16 v65, v39, v19, v65
	;;#ASMEND
	;; [unrolled: 3-line block ×8, first 2 shown]
	s_addk_i32 s23, 0x200
	s_waitcnt vmcnt(1)
	;;#ASMSTART
	v_dot2_f32_f16 v66, v24, v4, v66
	;;#ASMEND
	s_waitcnt vmcnt(0)
	;;#ASMSTART
	v_dot2_f32_f16 v65, v24, v0, v65
	;;#ASMEND
	;;#ASMSTART
	v_dot2_f32_f16 v64, v12, v4, v64
	;;#ASMEND
	;; [unrolled: 3-line block ×15, first 2 shown]
	s_cmp_ge_u32 s23, s4
	;;#ASMSTART
	v_dot2_f32_f16 v66, v26, v6, v66
	;;#ASMEND
	;;#ASMSTART
	v_dot2_f32_f16 v65, v26, v2, v65
	;;#ASMEND
	;; [unrolled: 3-line block ×16, first 2 shown]
	s_cbranch_scc1 .LBB101_21
.LBB101_18:                             ;   Parent Loop BB101_14 Depth=1
                                        ; =>  This Inner Loop Header: Depth=2
	v_dual_mov_b32 v37, 0 :: v_dual_add_nc_u32 v10, s23, v55
	v_dual_mov_b32 v36, 0 :: v_dual_mov_b32 v25, 0
	v_dual_mov_b32 v38, 0 :: v_dual_mov_b32 v27, 0
	s_delay_alu instid0(VALU_DEP_3) | instskip(SKIP_2) | instid1(VALU_DEP_3)
	v_min_u32_e32 v41, s15, v10
	v_dual_mov_b32 v39, 0 :: v_dual_add_nc_u32 v68, 0x100, v10
	v_dual_mov_b32 v24, 0 :: v_dual_mov_b32 v33, 0
	v_lshlrev_b64 v[0:1], 1, v[41:42]
	s_delay_alu instid0(VALU_DEP_3) | instskip(SKIP_3) | instid1(VALU_DEP_4)
	v_min_u32_e32 v41, s15, v68
	v_dual_mov_b32 v26, 0 :: v_dual_mov_b32 v35, 0
	s_waitcnt lgkmcnt(1)
	v_dual_mov_b32 v32, 0 :: v_dual_mov_b32 v13, 0
	v_add_co_u32 v4, vcc_lo, s12, v0
	v_add_co_ci_u32_e32 v5, vcc_lo, s13, v1, vcc_lo
	v_lshlrev_b64 v[0:1], 1, v[41:42]
	s_delay_alu instid0(VALU_DEP_3) | instskip(NEXT) | instid1(VALU_DEP_3)
	v_add_co_u32 v2, vcc_lo, v4, v43
	v_add_co_ci_u32_e32 v3, vcc_lo, v5, v44, vcc_lo
	v_dual_mov_b32 v34, 0 :: v_dual_mov_b32 v15, 0
	s_delay_alu instid0(VALU_DEP_4) | instskip(SKIP_3) | instid1(VALU_DEP_4)
	v_add_co_u32 v6, vcc_lo, s12, v0
	v_add_co_ci_u32_e32 v7, vcc_lo, s13, v1, vcc_lo
	v_add_co_u32 v0, vcc_lo, v4, v45
	v_add_co_ci_u32_e32 v1, vcc_lo, v5, v46, vcc_lo
	v_add_co_u32 v4, vcc_lo, v6, v43
	s_delay_alu instid0(VALU_DEP_4)
	v_add_co_ci_u32_e32 v5, vcc_lo, v7, v44, vcc_lo
	s_waitcnt lgkmcnt(0)
	v_add_co_u32 v8, vcc_lo, v6, v45
	v_add_co_ci_u32_e32 v9, vcc_lo, v7, v46, vcc_lo
	s_clause 0x3
	global_load_b128 v[20:23], v[2:3], off slc dlc
	global_load_b128 v[16:19], v[0:1], off slc dlc
	;; [unrolled: 1-line block ×4, first 2 shown]
	v_cmp_gt_u32_e32 vcc_lo, s4, v10
	v_dual_mov_b32 v12, 0 :: v_dual_mov_b32 v53, 0
	v_dual_mov_b32 v14, 0 :: v_dual_mov_b32 v51, 0
	v_dual_mov_b32 v54, 0 :: v_dual_mov_b32 v49, 0
	v_dual_mov_b32 v52, 0 :: v_dual_mov_b32 v47, 0
	v_dual_mov_b32 v50, 0 :: v_dual_mov_b32 v29, 0
	v_dual_mov_b32 v48, 0 :: v_dual_mov_b32 v31, 0
	v_dual_mov_b32 v28, 0 :: v_dual_mov_b32 v9, 0
	v_dual_mov_b32 v30, 0 :: v_dual_mov_b32 v11, 0
	v_mov_b32_e32 v8, 0
	v_mov_b32_e32 v10, 0
	s_and_saveexec_b32 s24, vcc_lo
	s_cbranch_execz .LBB101_17
; %bb.19:                               ;   in Loop: Header=BB101_18 Depth=2
	v_dual_mov_b32 v11, 0 :: v_dual_add_nc_u32 v70, s6, v67
	v_dual_mov_b32 v10, 0 :: v_dual_add_nc_u32 v41, s14, v67
	;; [unrolled: 1-line block ×3, first 2 shown]
	ds_load_b128 v[36:39], v67
	ds_load_b128 v[32:35], v70
	ds_load_2addr_b32 v[53:54], v41 offset1:1
	ds_load_2addr_b32 v[51:52], v41 offset0:2 offset1:3
	ds_load_b128 v[28:31], v69
	v_dual_mov_b32 v9, 0 :: v_dual_mov_b32 v48, 0
	v_dual_mov_b32 v47, 0 :: v_dual_mov_b32 v50, 0
	;; [unrolled: 1-line block ×6, first 2 shown]
	v_mov_b32_e32 v25, 0
	s_mov_b32 s25, exec_lo
	v_cmpx_gt_u32_e64 s4, v68
	s_cbranch_execz .LBB101_16
; %bb.20:                               ;   in Loop: Header=BB101_18 Depth=2
	ds_load_b128 v[24:27], v67 offset:512
	ds_load_b128 v[12:15], v70 offset:512
	ds_load_2addr_b32 v[49:50], v41 offset0:128 offset1:129
	ds_load_2addr_b32 v[47:48], v41 offset0:130 offset1:131
	ds_load_b128 v[8:11], v69 offset:512
	s_branch .LBB101_16
.LBB101_21:                             ;   in Loop: Header=BB101_14 Depth=1
	; sched_barrier mask(0x00000000)
	v_cvt_i32_f32_e32 v0, v66
	s_waitcnt lgkmcnt(5)
	v_cvt_i32_f32_e32 v1, v65
	v_cvt_i32_f32_e32 v2, v64
	v_xor_b32_e32 v3, 16, v57
	v_cvt_i32_f32_e32 v10, v61
	v_cvt_f32_i32_dpp v0, v0 row_shr:8 row_mask:0xf bank_mask:0xf bound_ctrl:1
	v_cvt_f32_i32_dpp v1, v1 row_shr:8 row_mask:0xf bank_mask:0xf bound_ctrl:1
	;; [unrolled: 1-line block ×3, first 2 shown]
	v_cmp_gt_i32_e32 vcc_lo, 32, v3
	v_cvt_f32_i32_dpp v10, v10 row_shr:8 row_mask:0xf bank_mask:0xf bound_ctrl:1
	s_delay_alu instid0(VALU_DEP_4) | instskip(NEXT) | instid1(VALU_DEP_4)
	v_dual_add_f32 v0, v66, v0 :: v_dual_add_f32 v1, v65, v1
	v_dual_add_f32 v2, v64, v2 :: v_dual_cndmask_b32 v3, v57, v3
	s_delay_alu instid0(VALU_DEP_3) | instskip(NEXT) | instid1(VALU_DEP_3)
	v_add_f32_e32 v10, v61, v10
	v_cvt_i32_f32_e32 v7, v0
	s_waitcnt lgkmcnt(0)
	v_cvt_i32_f32_e32 v8, v1
	v_cvt_i32_f32_e32 v9, v2
	;; [unrolled: 1-line block ×4, first 2 shown]
	v_cvt_f32_i32_dpp v7, v7 row_shr:4 row_mask:0xf bank_mask:0xf bound_ctrl:1
	v_cvt_f32_i32_dpp v8, v8 row_shr:4 row_mask:0xf bank_mask:0xf bound_ctrl:1
	;; [unrolled: 1-line block ×3, first 2 shown]
	v_cvt_i32_f32_e32 v5, v60
	v_cvt_f32_i32_dpp v4, v4 row_shr:8 row_mask:0xf bank_mask:0xf bound_ctrl:1
	s_delay_alu instid0(VALU_DEP_4) | instskip(SKIP_1) | instid1(VALU_DEP_4)
	v_dual_add_f32 v0, v0, v7 :: v_dual_add_f32 v1, v1, v8
	v_cvt_f32_i32_dpp v14, v14 row_shr:4 row_mask:0xf bank_mask:0xf bound_ctrl:1
	v_cvt_f32_i32_dpp v5, v5 row_shr:8 row_mask:0xf bank_mask:0xf bound_ctrl:1
	v_cvt_i32_f32_e32 v6, v62
	s_delay_alu instid0(VALU_DEP_4) | instskip(SKIP_2) | instid1(VALU_DEP_4)
	v_cvt_i32_f32_e32 v7, v0
	v_cvt_i32_f32_e32 v8, v1
	;; [unrolled: 1-line block ×3, first 2 shown]
	v_cvt_f32_i32_dpp v6, v6 row_shr:8 row_mask:0xf bank_mask:0xf bound_ctrl:1
	s_delay_alu instid0(VALU_DEP_4) | instskip(NEXT) | instid1(VALU_DEP_4)
	v_cvt_f32_i32_dpp v7, v7 row_shr:2 row_mask:0xf bank_mask:0xf bound_ctrl:1
	v_cvt_f32_i32_dpp v8, v8 row_shr:2 row_mask:0xf bank_mask:0xf bound_ctrl:1
	v_add_f32_e32 v2, v2, v9
	v_cvt_f32_i32_dpp v11, v11 row_shr:8 row_mask:0xf bank_mask:0xf bound_ctrl:1
	v_add_f32_e32 v6, v62, v6
	s_delay_alu instid0(VALU_DEP_4) | instskip(NEXT) | instid1(VALU_DEP_4)
	v_dual_add_f32 v0, v0, v7 :: v_dual_add_f32 v1, v1, v8
	v_cvt_i32_f32_e32 v9, v2
	v_add_f32_e32 v8, v63, v4
	v_add_f32_e32 v11, v59, v11
	v_cvt_i32_f32_e32 v13, v6
	s_delay_alu instid0(VALU_DEP_4) | instskip(SKIP_2) | instid1(VALU_DEP_4)
	v_cvt_f32_i32_dpp v9, v9 row_shr:2 row_mask:0xf bank_mask:0xf bound_ctrl:1
	v_lshlrev_b32_e32 v16, 2, v3
	v_cvt_i32_f32_e32 v3, v1
	v_cvt_f32_i32_dpp v13, v13 row_shr:4 row_mask:0xf bank_mask:0xf bound_ctrl:1
	v_cvt_i32_f32_e32 v15, v11
	v_add_f32_e32 v7, v2, v9
	v_cvt_i32_f32_e32 v2, v0
	v_add_f32_e32 v9, v60, v5
	v_cvt_f32_i32_dpp v3, v3 row_shr:1 row_mask:0xf bank_mask:0xf bound_ctrl:1
	v_cvt_i32_f32_e32 v12, v8
	v_cvt_i32_f32_e32 v4, v7
	v_cvt_f32_i32_dpp v2, v2 row_shr:1 row_mask:0xf bank_mask:0xf bound_ctrl:1
	v_cvt_f32_i32_dpp v15, v15 row_shr:4 row_mask:0xf bank_mask:0xf bound_ctrl:1
	v_add_f32_e32 v3, v1, v3
	v_cvt_f32_i32_dpp v12, v12 row_shr:4 row_mask:0xf bank_mask:0xf bound_ctrl:1
	v_cvt_f32_i32_dpp v4, v4 row_shr:1 row_mask:0xf bank_mask:0xf bound_ctrl:1
	v_add_f32_e32 v2, v0, v2
	ds_bpermute_b32 v5, v16, v3
	v_add_f32_e32 v8, v8, v12
	v_add_f32_e32 v0, v7, v4
	v_cvt_i32_f32_e32 v7, v9
	ds_bpermute_b32 v4, v16, v2
	v_cvt_f32_i32_dpp v7, v7 row_shr:4 row_mask:0xf bank_mask:0xf bound_ctrl:1
	s_delay_alu instid0(VALU_DEP_1) | instskip(SKIP_2) | instid1(VALU_DEP_1)
	v_add_f32_e32 v7, v9, v7
	ds_bpermute_b32 v1, v16, v0
	v_cvt_i32_f32_e32 v12, v7
	v_cvt_f32_i32_dpp v12, v12 row_shr:2 row_mask:0xf bank_mask:0xf bound_ctrl:1
	s_delay_alu instid0(VALU_DEP_1) | instskip(SKIP_1) | instid1(VALU_DEP_1)
	v_add_f32_e32 v7, v7, v12
	v_add_f32_e32 v9, v10, v14
	v_cvt_i32_f32_e32 v14, v9
	s_delay_alu instid0(VALU_DEP_1) | instskip(NEXT) | instid1(VALU_DEP_1)
	v_cvt_f32_i32_dpp v14, v14 row_shr:2 row_mask:0xf bank_mask:0xf bound_ctrl:1
	v_add_f32_e32 v9, v9, v14
	s_delay_alu instid0(VALU_DEP_1) | instskip(NEXT) | instid1(VALU_DEP_1)
	v_cvt_i32_f32_e32 v14, v9
	v_cvt_f32_i32_dpp v14, v14 row_shr:1 row_mask:0xf bank_mask:0xf bound_ctrl:1
	v_add_f32_e32 v6, v6, v13
	s_delay_alu instid0(VALU_DEP_1) | instskip(NEXT) | instid1(VALU_DEP_1)
	v_cvt_i32_f32_e32 v13, v6
	v_cvt_f32_i32_dpp v13, v13 row_shr:2 row_mask:0xf bank_mask:0xf bound_ctrl:1
	s_delay_alu instid0(VALU_DEP_1) | instskip(NEXT) | instid1(VALU_DEP_1)
	v_add_f32_e32 v6, v6, v13
	v_cvt_i32_f32_e32 v12, v6
	s_delay_alu instid0(VALU_DEP_1) | instskip(SKIP_2) | instid1(VALU_DEP_2)
	v_cvt_f32_i32_dpp v17, v12 row_shr:1 row_mask:0xf bank_mask:0xf bound_ctrl:1
	v_add_f32_e32 v10, v11, v15
	v_cvt_i32_f32_e32 v11, v8
	v_cvt_i32_f32_e32 v15, v10
	s_delay_alu instid0(VALU_DEP_2) | instskip(NEXT) | instid1(VALU_DEP_2)
	v_cvt_f32_i32_dpp v11, v11 row_shr:2 row_mask:0xf bank_mask:0xf bound_ctrl:1
	v_cvt_f32_i32_dpp v15, v15 row_shr:2 row_mask:0xf bank_mask:0xf bound_ctrl:1
	s_delay_alu instid0(VALU_DEP_2) | instskip(SKIP_1) | instid1(VALU_DEP_3)
	v_add_f32_e32 v8, v8, v11
	v_cvt_i32_f32_e32 v11, v7
	v_add_f32_e32 v13, v10, v15
	s_delay_alu instid0(VALU_DEP_3) | instskip(NEXT) | instid1(VALU_DEP_3)
	v_cvt_i32_f32_e32 v10, v8
	v_cvt_f32_i32_dpp v11, v11 row_shr:1 row_mask:0xf bank_mask:0xf bound_ctrl:1
	s_delay_alu instid0(VALU_DEP_2) | instskip(NEXT) | instid1(VALU_DEP_1)
	v_cvt_f32_i32_dpp v10, v10 row_shr:1 row_mask:0xf bank_mask:0xf bound_ctrl:1
	v_add_f32_e32 v12, v8, v10
	v_cvt_i32_f32_e32 v15, v13
	s_delay_alu instid0(VALU_DEP_4) | instskip(SKIP_1) | instid1(VALU_DEP_3)
	v_dual_add_f32 v10, v7, v11 :: v_dual_add_f32 v11, v6, v17
	v_add_f32_e32 v7, v9, v14
	v_cvt_f32_i32_dpp v15, v15 row_shr:1 row_mask:0xf bank_mask:0xf bound_ctrl:1
	ds_bpermute_b32 v14, v16, v11
	ds_bpermute_b32 v9, v16, v7
	v_add_f32_e32 v6, v13, v15
	ds_bpermute_b32 v15, v16, v12
	ds_bpermute_b32 v13, v16, v10
	;; [unrolled: 1-line block ×3, first 2 shown]
	s_and_saveexec_b32 s23, s0
	s_cbranch_execz .LBB101_13
; %bb.22:                               ;   in Loop: Header=BB101_14 Depth=1
	s_and_b32 vcc_lo, exec_lo, s19
	s_cbranch_vccz .LBB101_24
; %bb.23:                               ;   in Loop: Header=BB101_14 Depth=1
	v_or_b32_e32 v16, 1, v40
	v_mul_hi_u32 v17, v40, v58
	s_delay_alu instid0(VALU_DEP_2) | instskip(NEXT) | instid1(VALU_DEP_2)
	v_mul_hi_u32 v18, v16, v58
	v_mul_lo_u32 v17, v17, s2
	s_delay_alu instid0(VALU_DEP_2) | instskip(NEXT) | instid1(VALU_DEP_2)
	v_mul_lo_u32 v18, v18, s2
	v_sub_nc_u32_e32 v17, v40, v17
	s_delay_alu instid0(VALU_DEP_2) | instskip(NEXT) | instid1(VALU_DEP_2)
	v_sub_nc_u32_e32 v16, v16, v18
	v_subrev_nc_u32_e32 v18, s2, v17
	v_cmp_le_u32_e32 vcc_lo, s2, v17
	s_delay_alu instid0(VALU_DEP_3) | instskip(NEXT) | instid1(VALU_DEP_3)
	v_subrev_nc_u32_e32 v19, s2, v16
	v_dual_cndmask_b32 v18, v17, v18 :: v_dual_mov_b32 v17, v42
	v_cmp_le_u32_e32 vcc_lo, s2, v16
	s_delay_alu instid0(VALU_DEP_2) | instskip(NEXT) | instid1(VALU_DEP_4)
	v_subrev_nc_u32_e32 v21, s2, v18
	v_dual_cndmask_b32 v16, v16, v19 :: v_dual_mov_b32 v19, v42
	v_cmp_le_u32_e32 vcc_lo, s2, v18
	s_delay_alu instid0(VALU_DEP_2) | instskip(NEXT) | instid1(VALU_DEP_4)
	v_subrev_nc_u32_e32 v24, s2, v16
	v_cndmask_b32_e32 v41, v18, v21, vcc_lo
	v_cmp_le_u32_e32 vcc_lo, s2, v16
	s_delay_alu instid0(VALU_DEP_3) | instskip(NEXT) | instid1(VALU_DEP_3)
	v_cndmask_b32_e32 v16, v16, v24, vcc_lo
	v_lshlrev_b64 v[24:25], 1, v[41:42]
	v_dual_mov_b32 v23, v42 :: v_dual_add_nc_u32 v18, s20, v41
	v_dual_mov_b32 v20, v42 :: v_dual_add_nc_u32 v21, s21, v41
	s_delay_alu instid0(VALU_DEP_4) | instskip(SKIP_1) | instid1(VALU_DEP_4)
	v_lshlrev_b64 v[26:27], 1, v[16:17]
	v_dual_mov_b32 v22, v42 :: v_dual_add_nc_u32 v41, s22, v41
	v_lshlrev_b64 v[17:18], 1, v[18:19]
	v_add_co_u32 v24, vcc_lo, s8, v24
	v_add_nc_u32_e32 v19, s20, v16
	v_add_co_ci_u32_e32 v25, vcc_lo, s9, v25, vcc_lo
	v_lshlrev_b64 v[28:29], 1, v[21:22]
	v_add_co_u32 v26, vcc_lo, s8, v26
	v_add_nc_u32_e32 v22, s21, v16
	v_add_co_ci_u32_e32 v27, vcc_lo, s9, v27, vcc_lo
	v_lshlrev_b64 v[30:31], 1, v[41:42]
	v_add_nc_u32_e32 v41, s22, v16
	v_lshlrev_b64 v[19:20], 1, v[19:20]
	v_add_co_u32 v16, vcc_lo, s8, v17
	v_add_co_ci_u32_e32 v17, vcc_lo, s9, v18, vcc_lo
	v_lshlrev_b64 v[21:22], 1, v[22:23]
	v_add_co_u32 v28, vcc_lo, s8, v28
	v_add_co_ci_u32_e32 v29, vcc_lo, s9, v29, vcc_lo
	v_add_co_u32 v18, vcc_lo, s8, v19
	v_add_co_ci_u32_e32 v19, vcc_lo, s9, v20, vcc_lo
	v_add_co_u32 v32, vcc_lo, s8, v21
	v_lshlrev_b64 v[20:21], 1, v[41:42]
	v_mov_b32_e32 v41, v42
	v_add_co_ci_u32_e32 v33, vcc_lo, s9, v22, vcc_lo
	v_add_co_u32 v30, vcc_lo, s8, v30
	v_add_co_ci_u32_e32 v31, vcc_lo, s9, v31, vcc_lo
	v_add_co_u32 v34, vcc_lo, s8, v20
	v_add_co_ci_u32_e32 v35, vcc_lo, s9, v21, vcc_lo
	s_clause 0x7
	global_load_u16 v23, v[24:25], off
	global_load_u16 v22, v[26:27], off
	;; [unrolled: 1-line block ×8, first 2 shown]
	s_cbranch_execnz .LBB101_12
	s_branch .LBB101_25
.LBB101_24:                             ;   in Loop: Header=BB101_14 Depth=1
                                        ; implicit-def: $vgpr16
                                        ; implicit-def: $vgpr17
                                        ; implicit-def: $vgpr18
                                        ; implicit-def: $vgpr19
                                        ; implicit-def: $vgpr20
                                        ; implicit-def: $vgpr21
                                        ; implicit-def: $vgpr22
                                        ; implicit-def: $vgpr23
.LBB101_25:                             ;   in Loop: Header=BB101_14 Depth=1
	s_waitcnt vmcnt(6)
	v_dual_mov_b32 v41, v42 :: v_dual_mov_b32 v22, 0
	s_waitcnt vmcnt(4)
	v_dual_mov_b32 v23, 0 :: v_dual_mov_b32 v20, 0
	;; [unrolled: 2-line block ×4, first 2 shown]
	v_mov_b32_e32 v17, 0
	s_branch .LBB101_12
.LBB101_26:
	s_nop 0
	s_sendmsg sendmsg(MSG_DEALLOC_VGPRS)
	s_endpgm
	.section	.rodata,"a",@progbits
	.p2align	6, 0x0
	.amdhsa_kernel _Z16wvSplitK_hf_sml_I6__halfLi32ELi2ELi16ELi8ELi2ELi4EEviiiiiiPKT_S3_S3_PS1_ii
		.amdhsa_group_segment_fixed_size 65536
		.amdhsa_private_segment_fixed_size 0
		.amdhsa_kernarg_size 64
		.amdhsa_user_sgpr_count 15
		.amdhsa_user_sgpr_dispatch_ptr 0
		.amdhsa_user_sgpr_queue_ptr 0
		.amdhsa_user_sgpr_kernarg_segment_ptr 1
		.amdhsa_user_sgpr_dispatch_id 0
		.amdhsa_user_sgpr_private_segment_size 0
		.amdhsa_wavefront_size32 1
		.amdhsa_uses_dynamic_stack 0
		.amdhsa_enable_private_segment 0
		.amdhsa_system_sgpr_workgroup_id_x 1
		.amdhsa_system_sgpr_workgroup_id_y 0
		.amdhsa_system_sgpr_workgroup_id_z 0
		.amdhsa_system_sgpr_workgroup_info 0
		.amdhsa_system_vgpr_workitem_id 1
		.amdhsa_next_free_vgpr 71
		.amdhsa_next_free_sgpr 26
		.amdhsa_reserve_vcc 1
		.amdhsa_float_round_mode_32 0
		.amdhsa_float_round_mode_16_64 0
		.amdhsa_float_denorm_mode_32 3
		.amdhsa_float_denorm_mode_16_64 3
		.amdhsa_dx10_clamp 1
		.amdhsa_ieee_mode 1
		.amdhsa_fp16_overflow 0
		.amdhsa_workgroup_processor_mode 1
		.amdhsa_memory_ordered 1
		.amdhsa_forward_progress 0
		.amdhsa_shared_vgpr_count 0
		.amdhsa_exception_fp_ieee_invalid_op 0
		.amdhsa_exception_fp_denorm_src 0
		.amdhsa_exception_fp_ieee_div_zero 0
		.amdhsa_exception_fp_ieee_overflow 0
		.amdhsa_exception_fp_ieee_underflow 0
		.amdhsa_exception_fp_ieee_inexact 0
		.amdhsa_exception_int_div_zero 0
	.end_amdhsa_kernel
	.section	.text._Z16wvSplitK_hf_sml_I6__halfLi32ELi2ELi16ELi8ELi2ELi4EEviiiiiiPKT_S3_S3_PS1_ii,"axG",@progbits,_Z16wvSplitK_hf_sml_I6__halfLi32ELi2ELi16ELi8ELi2ELi4EEviiiiiiPKT_S3_S3_PS1_ii,comdat
.Lfunc_end101:
	.size	_Z16wvSplitK_hf_sml_I6__halfLi32ELi2ELi16ELi8ELi2ELi4EEviiiiiiPKT_S3_S3_PS1_ii, .Lfunc_end101-_Z16wvSplitK_hf_sml_I6__halfLi32ELi2ELi16ELi8ELi2ELi4EEviiiiiiPKT_S3_S3_PS1_ii
                                        ; -- End function
	.section	.AMDGPU.csdata,"",@progbits
; Kernel info:
; codeLenInByte = 4536
; NumSgprs: 28
; NumVgprs: 71
; ScratchSize: 0
; MemoryBound: 0
; FloatMode: 240
; IeeeMode: 1
; LDSByteSize: 65536 bytes/workgroup (compile time only)
; SGPRBlocks: 3
; VGPRBlocks: 8
; NumSGPRsForWavesPerEU: 28
; NumVGPRsForWavesPerEU: 71
; Occupancy: 8
; WaveLimiterHint : 0
; COMPUTE_PGM_RSRC2:SCRATCH_EN: 0
; COMPUTE_PGM_RSRC2:USER_SGPR: 15
; COMPUTE_PGM_RSRC2:TRAP_HANDLER: 0
; COMPUTE_PGM_RSRC2:TGID_X_EN: 1
; COMPUTE_PGM_RSRC2:TGID_Y_EN: 0
; COMPUTE_PGM_RSRC2:TGID_Z_EN: 0
; COMPUTE_PGM_RSRC2:TIDIG_COMP_CNT: 1
	.section	.text._Z12wvSplitK_hf_I6__halfLi32ELi2ELi16ELi8ELi2ELi4EEviiiiiiPKT_S3_S3_PS1_ii,"axG",@progbits,_Z12wvSplitK_hf_I6__halfLi32ELi2ELi16ELi8ELi2ELi4EEviiiiiiPKT_S3_S3_PS1_ii,comdat
	.protected	_Z12wvSplitK_hf_I6__halfLi32ELi2ELi16ELi8ELi2ELi4EEviiiiiiPKT_S3_S3_PS1_ii ; -- Begin function _Z12wvSplitK_hf_I6__halfLi32ELi2ELi16ELi8ELi2ELi4EEviiiiiiPKT_S3_S3_PS1_ii
	.globl	_Z12wvSplitK_hf_I6__halfLi32ELi2ELi16ELi8ELi2ELi4EEviiiiiiPKT_S3_S3_PS1_ii
	.p2align	8
	.type	_Z12wvSplitK_hf_I6__halfLi32ELi2ELi16ELi8ELi2ELi4EEviiiiiiPKT_S3_S3_PS1_ii,@function
_Z12wvSplitK_hf_I6__halfLi32ELi2ELi16ELi8ELi2ELi4EEviiiiiiPKT_S3_S3_PS1_ii: ; @_Z12wvSplitK_hf_I6__halfLi32ELi2ELi16ELi8ELi2ELi4EEviiiiiiPKT_S3_S3_PS1_ii
; %bb.0:
	s_clause 0x1
	s_load_b64 s[18:19], s[0:1], 0x38
	s_load_b128 s[4:7], s[0:1], 0x0
	v_bfe_u32 v1, v0, 10, 10
	s_clause 0x1
	s_load_b64 s[12:13], s[0:1], 0x20
	s_load_b64 s[16:17], s[0:1], 0x10
	s_mov_b32 s8, 1
	s_delay_alu instid0(SALU_CYCLE_1) | instskip(NEXT) | instid1(SALU_CYCLE_1)
	s_mov_b32 s9, s8
	v_dual_mov_b32 v49, s9 :: v_dual_mov_b32 v48, s8
	s_waitcnt lgkmcnt(0)
	s_mul_i32 s15, s15, s18
	s_delay_alu instid0(SALU_CYCLE_1) | instskip(NEXT) | instid1(VALU_DEP_1)
	v_add_lshl_u32 v50, s15, v1, 1
	v_add_nc_u32_e32 v2, 2, v50
	v_cmp_gt_u32_e32 vcc_lo, s7, v50
	s_delay_alu instid0(VALU_DEP_2) | instskip(NEXT) | instid1(VALU_DEP_1)
	v_cmp_le_u32_e64 s2, s7, v2
	s_and_b32 s2, vcc_lo, s2
	s_delay_alu instid0(SALU_CYCLE_1)
	s_and_saveexec_b32 s10, s2
	s_cbranch_execz .LBB102_6
; %bb.1:
	v_dual_mov_b32 v49, s9 :: v_dual_mov_b32 v48, s8
	s_add_i32 s11, s7, -2
	s_mov_b32 s14, exec_lo
	v_cmpx_ne_u32_e64 s11, v50
	s_cbranch_execz .LBB102_5
; %bb.2:
	v_subrev_nc_u32_e32 v2, s11, v50
	s_mov_b32 s2, 1
	s_mov_b32 s15, 0
	s_mov_b64 s[8:9], 0
	s_mov_b32 s3, s2
	v_cmp_lt_u32_e32 vcc_lo, 1, v2
	v_cndmask_b32_e32 v2, 1, v2, vcc_lo
.LBB102_3:                              ; =>This Inner Loop Header: Depth=1
	s_cmp_lg_u32 s8, 1
	s_cselect_b32 s3, s3, 0
	s_cmp_lg_u32 s8, 0
	s_cselect_b32 s2, s2, 0
	s_add_u32 s8, s8, 1
	v_dual_mov_b32 v49, s3 :: v_dual_mov_b32 v48, s2
	v_cmp_eq_u32_e32 vcc_lo, s8, v2
	s_addc_u32 s9, s9, 0
	s_or_b32 s15, vcc_lo, s15
	s_delay_alu instid0(SALU_CYCLE_1)
	s_and_not1_b32 exec_lo, exec_lo, s15
	s_cbranch_execnz .LBB102_3
; %bb.4:
	s_or_b32 exec_lo, exec_lo, s15
	v_mov_b32_e32 v50, s11
.LBB102_5:
	s_or_b32 exec_lo, exec_lo, s14
.LBB102_6:
	s_delay_alu instid0(SALU_CYCLE_1) | instskip(SKIP_4) | instid1(VALU_DEP_1)
	s_or_b32 exec_lo, exec_lo, s10
	v_and_b32_e32 v0, 0x3ff, v0
	s_lshl_b32 s3, s6, 2
	s_mov_b32 s2, exec_lo
	s_min_u32 s8, s3, 0x8000
	v_lshlrev_b32_e32 v52, 3, v0
	s_delay_alu instid0(VALU_DEP_1) | instskip(NEXT) | instid1(VALU_DEP_1)
	v_lshl_add_u32 v3, v1, 8, v52
	v_cmpx_gt_u32_e64 s8, v3
	s_cbranch_execz .LBB102_15
; %bb.7:
	v_lshlrev_b32_e32 v2, 1, v3
	v_add_nc_u32_e32 v8, 0x1000, v3
	s_mov_b32 s9, exec_lo
	global_load_b128 v[4:7], v2, s[12:13]
	s_waitcnt vmcnt(0)
	ds_store_b128 v2, v[4:7]
	v_cmpx_gt_u32_e64 s8, v8
	s_xor_b32 s9, exec_lo, s9
	s_cbranch_execz .LBB102_15
; %bb.8:
	v_add_co_u32 v4, s9, s12, v2
	s_delay_alu instid0(VALU_DEP_1) | instskip(SKIP_1) | instid1(VALU_DEP_3)
	v_add_co_ci_u32_e64 v5, null, s13, 0, s9
	v_add_nc_u32_e32 v10, 0x2000, v3
	v_add_co_u32 v6, vcc_lo, 0x2000, v4
	s_delay_alu instid0(VALU_DEP_3)
	v_add_co_ci_u32_e32 v7, vcc_lo, 0, v5, vcc_lo
	s_mov_b32 s9, exec_lo
	global_load_b128 v[6:9], v[6:7], off
	s_waitcnt vmcnt(0)
	ds_store_b128 v2, v[6:9] offset:8192
	v_cmpx_gt_u32_e64 s8, v10
	s_xor_b32 s9, exec_lo, s9
	s_cbranch_execz .LBB102_15
; %bb.9:
	v_add_co_u32 v6, vcc_lo, 0x4000, v4
	v_add_co_ci_u32_e32 v7, vcc_lo, 0, v5, vcc_lo
	v_add_nc_u32_e32 v10, 0x3000, v3
	s_mov_b32 s9, exec_lo
	global_load_b128 v[6:9], v[6:7], off
	s_waitcnt vmcnt(0)
	ds_store_b128 v2, v[6:9] offset:16384
	v_cmpx_gt_u32_e64 s8, v10
	s_xor_b32 s9, exec_lo, s9
	s_cbranch_execz .LBB102_15
; %bb.10:
	v_add_co_u32 v6, vcc_lo, 0x6000, v4
	v_add_co_ci_u32_e32 v7, vcc_lo, 0, v5, vcc_lo
	v_add_nc_u32_e32 v10, 0x4000, v3
	;; [unrolled: 11-line block ×5, first 2 shown]
	global_load_b128 v[6:9], v[6:7], off
	v_cmp_gt_u32_e32 vcc_lo, s8, v3
	s_waitcnt vmcnt(0)
	ds_store_b128 v2, v[6:9] offset:49152
	s_and_saveexec_b32 s8, vcc_lo
	s_delay_alu instid0(SALU_CYCLE_1)
	s_xor_b32 s8, exec_lo, s8
	s_cbranch_execz .LBB102_15
; %bb.14:
	v_add_co_u32 v3, vcc_lo, 0xe000, v4
	v_add_co_ci_u32_e32 v4, vcc_lo, 0, v5, vcc_lo
	global_load_b128 v[3:6], v[3:4], off
	s_waitcnt vmcnt(0)
	ds_store_b128 v2, v[3:6] offset:57344
.LBB102_15:
	s_or_b32 exec_lo, exec_lo, s2
	v_cmp_gt_u32_e32 vcc_lo, s18, v1
	v_cmp_gt_u32_e64 s2, s7, v50
	s_waitcnt lgkmcnt(0)
	s_barrier
	buffer_gl0_inv
	s_and_b32 s2, vcc_lo, s2
	s_delay_alu instid0(SALU_CYCLE_1)
	s_and_saveexec_b32 s8, s2
	s_cbranch_execz .LBB102_82
; %bb.16:
	s_clause 0x1
	s_load_b128 s[8:11], s[0:1], 0x28
	s_load_b64 s[14:15], s[0:1], 0x18
	s_cmp_lg_u32 s4, 0
	v_cvt_f32_u32_e32 v2, s16
	s_cselect_b32 s20, -1, 0
	s_add_i32 s21, s4, -8
	s_add_i32 s22, s7, -1
	s_mul_i32 s0, s18, s19
	v_lshlrev_b32_e32 v67, 4, v0
	v_mad_u64_u32 v[55:56], null, s6, 3, v[52:53]
	v_mbcnt_lo_u32_b32 v71, -1, 0
	v_mov_b32_e32 v54, 0
	v_add_nc_u32_e32 v68, s6, v52
	s_waitcnt lgkmcnt(0)
	s_cmp_lg_u64 s[8:9], 0
	s_cselect_b32 s23, -1, 0
	s_abs_i32 s1, s17
	s_lshl_b32 s24, s0, 1
	v_cvt_f32_u32_e32 v1, s1
	s_sub_i32 s0, 0, s1
	s_add_i32 s25, s7, -2
	s_sub_i32 s18, 0, s16
	s_sub_i32 s19, 1, s1
	v_rcp_iflag_f32_e32 v1, v1
	s_mov_b32 s17, 0
	s_waitcnt_depctr 0xfff
	v_mul_f32_e32 v1, 0x4f7ffffe, v1
	s_delay_alu instid0(VALU_DEP_1) | instskip(NEXT) | instid1(VALU_DEP_1)
	v_cvt_u32_f32_e32 v1, v1
	v_readfirstlane_b32 s2, v1
	v_rcp_iflag_f32_e32 v1, v2
	s_delay_alu instid0(VALU_DEP_1) | instskip(NEXT) | instid1(SALU_CYCLE_1)
	s_mul_i32 s0, s0, s2
	s_mul_hi_u32 s0, s2, s0
	s_delay_alu instid0(SALU_CYCLE_1)
	s_add_i32 s2, s2, s0
	s_cmp_lt_u32 s1, 2
	s_waitcnt_depctr 0xfff
	v_mul_f32_e32 v1, 0x4f7ffffe, v1
	s_cselect_b32 s19, s19, 1
	v_cmp_eq_u32_e64 s0, 31, v0
	s_sub_i32 s26, s19, s1
	s_cmp_ge_u32 s19, s1
	v_cvt_u32_f32_e32 v0, v1
	s_cselect_b32 s27, s26, s19
	s_lshr_b32 s19, s2, 31
	s_mul_hi_u32 s2, s2, 3
	s_mul_i32 s19, s19, s1
	v_mul_lo_u32 v1, s18, v0
	s_sub_i32 s19, 2, s19
	s_mul_i32 s2, s2, s1
	s_sub_i32 s26, s19, s1
	s_cmp_ge_u32 s19, s1
	s_mul_i32 s27, s27, s16
	s_cselect_b32 s18, s26, s19
	s_delay_alu instid0(SALU_CYCLE_1)
	s_sub_i32 s19, s18, s1
	s_cmp_ge_u32 s18, s1
	v_mul_hi_u32 v1, v0, v1
	s_cselect_b32 s28, s19, s18
	s_sub_i32 s2, 3, s2
	s_mul_i32 s28, s28, s16
	s_sub_i32 s18, s2, s1
	s_cmp_ge_u32 s2, s1
	s_cselect_b32 s2, s18, s2
	s_delay_alu instid0(VALU_DEP_1)
	v_add_nc_u32_e32 v69, v0, v1
	s_sub_i32 s18, s2, s1
	s_cmp_ge_u32 s2, s1
	s_cselect_b32 s29, s18, s2
	s_lshl_b32 s26, s6, 1
	s_mul_i32 s29, s29, s16
	v_add_nc_u32_e32 v70, s26, v52
	s_mul_i32 s6, s6, 6
	s_branch .LBB102_19
.LBB102_17:                             ;   in Loop: Header=BB102_19 Depth=1
	s_or_b32 exec_lo, exec_lo, s31
	v_mov_b32_e32 v50, s25
.LBB102_18:                             ;   in Loop: Header=BB102_19 Depth=1
	s_or_b32 exec_lo, exec_lo, s30
	s_delay_alu instid0(VALU_DEP_1) | instskip(SKIP_1) | instid1(SALU_CYCLE_1)
	v_cmp_le_u32_e32 vcc_lo, s7, v50
	s_or_b32 s17, vcc_lo, s17
	s_and_not1_b32 exec_lo, exec_lo, s17
	s_cbranch_execz .LBB102_82
.LBB102_19:                             ; =>This Loop Header: Depth=1
                                        ;     Child Loop BB102_24 Depth 2
                                        ;     Child Loop BB102_73 Depth 2
	v_dual_mov_b32 v77, v54 :: v_dual_add_nc_u32 v56, 1, v50
	v_mov_b32_e32 v78, v54
	v_mov_b32_e32 v76, v54
	;; [unrolled: 1-line block ×7, first 2 shown]
	s_and_not1_b32 vcc_lo, exec_lo, s20
	s_cbranch_vccnz .LBB102_58
; %bb.20:                               ;   in Loop: Header=BB102_19 Depth=1
	v_min_u32_e32 v0, s22, v50
	v_min_u32_e32 v2, s22, v56
	s_waitcnt lgkmcnt(0)
	v_dual_mov_b32 v1, v54 :: v_dual_mov_b32 v72, 0
	v_dual_mov_b32 v79, v67 :: v_dual_mov_b32 v74, 0
	v_mul_lo_u32 v53, v0, s5
	v_mul_lo_u32 v0, v2, s5
	v_dual_mov_b32 v73, 0 :: v_dual_mov_b32 v76, 0
	v_dual_mov_b32 v51, 0 :: v_dual_mov_b32 v78, 0
	v_mov_b32_e32 v75, 0
	v_mov_b32_e32 v77, 0
	v_lshlrev_b64 v[57:58], 1, v[53:54]
	v_lshlrev_b64 v[59:60], 1, v[0:1]
	s_mov_b32 s1, 0
	s_branch .LBB102_24
.LBB102_21:                             ;   in Loop: Header=BB102_24 Depth=2
	s_or_b32 exec_lo, exec_lo, s19
.LBB102_22:                             ;   in Loop: Header=BB102_24 Depth=2
	s_delay_alu instid0(SALU_CYCLE_1)
	s_or_b32 exec_lo, exec_lo, s18
.LBB102_23:                             ;   in Loop: Header=BB102_24 Depth=2
	s_delay_alu instid0(SALU_CYCLE_1)
	s_or_b32 exec_lo, exec_lo, s2
	s_waitcnt vmcnt(0) lgkmcnt(0)
	;;#ASMSTART
	v_dot2_f32_f16 v78, v24, v12, v78
	;;#ASMEND
	;;#ASMSTART
	v_dot2_f32_f16 v77, v24, v8, v77
	;;#ASMEND
	;;#ASMSTART
	v_dot2_f32_f16 v76, v16, v12, v76
	;;#ASMEND
	;;#ASMSTART
	v_dot2_f32_f16 v75, v16, v8, v75
	;;#ASMEND
	;;#ASMSTART
	v_dot2_f32_f16 v72, v20, v12, v72
	;;#ASMEND
	;;#ASMSTART
	v_dot2_f32_f16 v74, v20, v8, v74
	;;#ASMEND
	;;#ASMSTART
	v_dot2_f32_f16 v73, v28, v12, v73
	;;#ASMEND
	;;#ASMSTART
	v_dot2_f32_f16 v51, v28, v8, v51
	;;#ASMEND
	;;#ASMSTART
	v_dot2_f32_f16 v78, v25, v13, v78
	;;#ASMEND
	;;#ASMSTART
	v_dot2_f32_f16 v77, v25, v9, v77
	;;#ASMEND
	;;#ASMSTART
	v_dot2_f32_f16 v76, v17, v13, v76
	;;#ASMEND
	;;#ASMSTART
	v_dot2_f32_f16 v75, v17, v9, v75
	;;#ASMEND
	;;#ASMSTART
	v_dot2_f32_f16 v72, v21, v13, v72
	;;#ASMEND
	;;#ASMSTART
	v_dot2_f32_f16 v74, v21, v9, v74
	;;#ASMEND
	;;#ASMSTART
	v_dot2_f32_f16 v73, v29, v13, v73
	;;#ASMEND
	;;#ASMSTART
	v_dot2_f32_f16 v51, v29, v9, v51
	;;#ASMEND
	;;#ASMSTART
	v_dot2_f32_f16 v78, v26, v14, v78
	;;#ASMEND
	;;#ASMSTART
	v_dot2_f32_f16 v77, v26, v10, v77
	;;#ASMEND
	;;#ASMSTART
	v_dot2_f32_f16 v76, v18, v14, v76
	;;#ASMEND
	;;#ASMSTART
	v_dot2_f32_f16 v75, v18, v10, v75
	;;#ASMEND
	;;#ASMSTART
	v_dot2_f32_f16 v72, v22, v14, v72
	;;#ASMEND
	;;#ASMSTART
	v_dot2_f32_f16 v74, v22, v10, v74
	;;#ASMEND
	;;#ASMSTART
	v_dot2_f32_f16 v73, v30, v14, v73
	;;#ASMEND
	;;#ASMSTART
	v_dot2_f32_f16 v51, v30, v10, v51
	;;#ASMEND
	v_add_nc_u32_e32 v79, 0x400, v79
	;;#ASMSTART
	v_dot2_f32_f16 v78, v27, v15, v78
	;;#ASMEND
	;;#ASMSTART
	v_dot2_f32_f16 v77, v27, v11, v77
	;;#ASMEND
	;; [unrolled: 3-line block ×8, first 2 shown]
	s_addk_i32 s1, 0x200
	;;#ASMSTART
	v_dot2_f32_f16 v78, v44, v4, v78
	;;#ASMEND
	;;#ASMSTART
	v_dot2_f32_f16 v77, v44, v0, v77
	;;#ASMEND
	;; [unrolled: 3-line block ×16, first 2 shown]
	s_cmp_ge_u32 s1, s4
	;;#ASMSTART
	v_dot2_f32_f16 v78, v46, v6, v78
	;;#ASMEND
	;;#ASMSTART
	v_dot2_f32_f16 v77, v46, v2, v77
	;;#ASMEND
	;; [unrolled: 3-line block ×16, first 2 shown]
	s_cbranch_scc1 .LBB102_58
.LBB102_24:                             ;   Parent Loop BB102_19 Depth=1
                                        ; =>  This Inner Loop Header: Depth=2
	v_dual_mov_b32 v35, 0 :: v_dual_add_nc_u32 v62, s1, v52
	v_dual_mov_b32 v33, 0 :: v_dual_mov_b32 v32, 0
	v_dual_mov_b32 v31, 0 :: v_dual_mov_b32 v30, 0
	s_delay_alu instid0(VALU_DEP_3) | instskip(SKIP_2) | instid1(VALU_DEP_3)
	v_min_u32_e32 v53, s21, v62
	v_dual_mov_b32 v34, 0 :: v_dual_add_nc_u32 v61, 0x100, v62
	v_dual_mov_b32 v29, 0 :: v_dual_mov_b32 v28, 0
	v_lshlrev_b64 v[0:1], 1, v[53:54]
	s_delay_alu instid0(VALU_DEP_3) | instskip(SKIP_2) | instid1(VALU_DEP_4)
	v_min_u32_e32 v53, s21, v61
	v_dual_mov_b32 v43, 0 :: v_dual_mov_b32 v42, 0
	v_dual_mov_b32 v41, 0 :: v_dual_mov_b32 v40, 0
	v_add_co_u32 v4, vcc_lo, s14, v0
	v_add_co_ci_u32_e32 v5, vcc_lo, s15, v1, vcc_lo
	v_lshlrev_b64 v[0:1], 1, v[53:54]
	s_delay_alu instid0(VALU_DEP_3) | instskip(NEXT) | instid1(VALU_DEP_3)
	v_add_co_u32 v2, vcc_lo, v4, v57
	v_add_co_ci_u32_e32 v3, vcc_lo, v5, v58, vcc_lo
	s_waitcnt vmcnt(6)
	v_dual_mov_b32 v23, 0 :: v_dual_mov_b32 v22, 0
	s_delay_alu instid0(VALU_DEP_4) | instskip(SKIP_3) | instid1(VALU_DEP_4)
	v_add_co_u32 v6, vcc_lo, s14, v0
	v_add_co_ci_u32_e32 v7, vcc_lo, s15, v1, vcc_lo
	v_add_co_u32 v0, vcc_lo, v4, v59
	v_add_co_ci_u32_e32 v1, vcc_lo, v5, v60, vcc_lo
	v_add_co_u32 v4, vcc_lo, v6, v57
	s_delay_alu instid0(VALU_DEP_4)
	v_add_co_ci_u32_e32 v5, vcc_lo, v7, v58, vcc_lo
	s_waitcnt vmcnt(0)
	v_add_co_u32 v16, vcc_lo, v6, v59
	v_add_co_ci_u32_e32 v17, vcc_lo, v7, v60, vcc_lo
	s_clause 0x3
	global_load_b128 v[12:15], v[2:3], off slc dlc
	global_load_b128 v[8:11], v[0:1], off slc dlc
	;; [unrolled: 1-line block ×4, first 2 shown]
	v_cmp_gt_u32_e32 vcc_lo, s4, v62
	v_dual_mov_b32 v21, 0 :: v_dual_mov_b32 v20, 0
	v_dual_mov_b32 v39, 0 :: v_dual_mov_b32 v38, 0
	;; [unrolled: 1-line block ×9, first 2 shown]
	s_and_saveexec_b32 s2, vcc_lo
	s_cbranch_execz .LBB102_23
; %bb.25:                               ;   in Loop: Header=BB102_24 Depth=2
	s_mov_b32 s18, exec_lo
                                        ; implicit-def: $vgpr27
	v_cmpx_lt_u32_e32 0x7fff, v62
	s_xor_b32 s18, exec_lo, s18
	s_cbranch_execz .LBB102_27
; %bb.26:                               ;   in Loop: Header=BB102_24 Depth=2
	v_mov_b32_e32 v63, v54
	s_delay_alu instid0(VALU_DEP_1) | instskip(NEXT) | instid1(VALU_DEP_1)
	v_lshlrev_b64 v[16:17], 1, v[62:63]
	v_add_co_u32 v16, vcc_lo, s12, v16
	s_delay_alu instid0(VALU_DEP_2)
	v_add_co_ci_u32_e32 v17, vcc_lo, s13, v17, vcc_lo
	global_load_b128 v[24:27], v[16:17], off
.LBB102_27:                             ;   in Loop: Header=BB102_24 Depth=2
	s_and_not1_saveexec_b32 s18, s18
	s_cbranch_execz .LBB102_29
; %bb.28:                               ;   in Loop: Header=BB102_24 Depth=2
	s_waitcnt vmcnt(0)
	ds_load_b128 v[24:27], v79
.LBB102_29:                             ;   in Loop: Header=BB102_24 Depth=2
	s_or_b32 exec_lo, exec_lo, s18
	v_add_nc_u32_e32 v53, s1, v68
	s_mov_b32 s18, exec_lo
                                        ; implicit-def: $vgpr19
	s_delay_alu instid0(VALU_DEP_1)
	v_cmpx_lt_u32_e32 0x7fff, v53
	s_xor_b32 s18, exec_lo, s18
	s_cbranch_execz .LBB102_31
; %bb.30:                               ;   in Loop: Header=BB102_24 Depth=2
	v_lshlrev_b64 v[16:17], 1, v[53:54]
	s_delay_alu instid0(VALU_DEP_1) | instskip(NEXT) | instid1(VALU_DEP_2)
	v_add_co_u32 v16, vcc_lo, s12, v16
	v_add_co_ci_u32_e32 v17, vcc_lo, s13, v17, vcc_lo
	global_load_b128 v[16:19], v[16:17], off
.LBB102_31:                             ;   in Loop: Header=BB102_24 Depth=2
	s_and_not1_saveexec_b32 s18, s18
	s_cbranch_execz .LBB102_33
; %bb.32:                               ;   in Loop: Header=BB102_24 Depth=2
	s_waitcnt vmcnt(0)
	v_add_nc_u32_e32 v16, s26, v79
	ds_load_b128 v[16:19], v16
.LBB102_33:                             ;   in Loop: Header=BB102_24 Depth=2
	s_or_b32 exec_lo, exec_lo, s18
	v_add_nc_u32_e32 v65, s1, v70
	s_mov_b32 s18, exec_lo
                                        ; implicit-def: $vgpr23
	s_delay_alu instid0(VALU_DEP_1)
	v_cmpx_lt_u32_e32 0x7fff, v65
	s_xor_b32 s18, exec_lo, s18
	s_cbranch_execz .LBB102_35
; %bb.34:                               ;   in Loop: Header=BB102_24 Depth=2
	v_mov_b32_e32 v66, v54
	s_delay_alu instid0(VALU_DEP_1) | instskip(NEXT) | instid1(VALU_DEP_1)
	v_lshlrev_b64 v[20:21], 1, v[65:66]
	v_add_co_u32 v20, vcc_lo, s12, v20
	s_delay_alu instid0(VALU_DEP_2)
	v_add_co_ci_u32_e32 v21, vcc_lo, s13, v21, vcc_lo
	global_load_b128 v[20:23], v[20:21], off
.LBB102_35:                             ;   in Loop: Header=BB102_24 Depth=2
	s_and_not1_saveexec_b32 s18, s18
	s_cbranch_execz .LBB102_37
; %bb.36:                               ;   in Loop: Header=BB102_24 Depth=2
	s_waitcnt vmcnt(0)
	v_add_nc_u32_e32 v22, s3, v79
	ds_load_2addr_b32 v[20:21], v22 offset1:1
	ds_load_2addr_b32 v[22:23], v22 offset0:2 offset1:3
.LBB102_37:                             ;   in Loop: Header=BB102_24 Depth=2
	s_or_b32 exec_lo, exec_lo, s18
	v_add_nc_u32_e32 v63, s1, v55
	s_mov_b32 s18, exec_lo
                                        ; implicit-def: $vgpr31
	s_delay_alu instid0(VALU_DEP_1)
	v_cmpx_lt_u32_e32 0x7fff, v63
	s_xor_b32 s18, exec_lo, s18
	s_cbranch_execz .LBB102_39
; %bb.38:                               ;   in Loop: Header=BB102_24 Depth=2
	v_mov_b32_e32 v64, v54
	s_delay_alu instid0(VALU_DEP_1) | instskip(NEXT) | instid1(VALU_DEP_1)
	v_lshlrev_b64 v[28:29], 1, v[63:64]
	v_add_co_u32 v28, vcc_lo, s12, v28
	s_delay_alu instid0(VALU_DEP_2)
	v_add_co_ci_u32_e32 v29, vcc_lo, s13, v29, vcc_lo
	global_load_b128 v[28:31], v[28:29], off
.LBB102_39:                             ;   in Loop: Header=BB102_24 Depth=2
	s_and_not1_saveexec_b32 s18, s18
	s_cbranch_execz .LBB102_41
; %bb.40:                               ;   in Loop: Header=BB102_24 Depth=2
	s_waitcnt vmcnt(0)
	v_add_nc_u32_e32 v28, s6, v79
	ds_load_b128 v[28:31], v28
.LBB102_41:                             ;   in Loop: Header=BB102_24 Depth=2
	s_or_b32 exec_lo, exec_lo, s18
	v_dual_mov_b32 v35, 0 :: v_dual_mov_b32 v34, 0
	v_dual_mov_b32 v33, 0 :: v_dual_mov_b32 v32, 0
	v_dual_mov_b32 v43, 0 :: v_dual_mov_b32 v42, 0
	v_dual_mov_b32 v41, 0 :: v_dual_mov_b32 v40, 0
	v_dual_mov_b32 v39, 0 :: v_dual_mov_b32 v38, 0
	v_dual_mov_b32 v37, 0 :: v_dual_mov_b32 v36, 0
	v_dual_mov_b32 v47, 0 :: v_dual_mov_b32 v46, 0
	v_dual_mov_b32 v45, 0 :: v_dual_mov_b32 v44, 0
	s_mov_b32 s18, exec_lo
	v_cmpx_gt_u32_e64 s4, v61
	s_cbranch_execz .LBB102_22
; %bb.42:                               ;   in Loop: Header=BB102_24 Depth=2
	s_mov_b32 s19, exec_lo
                                        ; implicit-def: $vgpr47
	v_cmpx_lt_u32_e32 0x7fff, v61
	s_xor_b32 s19, exec_lo, s19
	s_cbranch_execz .LBB102_44
; %bb.43:                               ;   in Loop: Header=BB102_24 Depth=2
	v_mov_b32_e32 v62, v54
	s_delay_alu instid0(VALU_DEP_1) | instskip(NEXT) | instid1(VALU_DEP_1)
	v_lshlrev_b64 v[32:33], 1, v[61:62]
	v_add_co_u32 v32, vcc_lo, s12, v32
	s_delay_alu instid0(VALU_DEP_2)
	v_add_co_ci_u32_e32 v33, vcc_lo, s13, v33, vcc_lo
	global_load_b128 v[44:47], v[32:33], off
.LBB102_44:                             ;   in Loop: Header=BB102_24 Depth=2
	s_and_not1_saveexec_b32 s19, s19
	s_cbranch_execz .LBB102_46
; %bb.45:                               ;   in Loop: Header=BB102_24 Depth=2
	s_waitcnt vmcnt(0)
	ds_load_b128 v[44:47], v79 offset:512
.LBB102_46:                             ;   in Loop: Header=BB102_24 Depth=2
	s_or_b32 exec_lo, exec_lo, s19
	v_add_nc_u32_e32 v53, 0x100, v53
	s_mov_b32 s19, exec_lo
                                        ; implicit-def: $vgpr39
	s_delay_alu instid0(VALU_DEP_1)
	v_cmpx_lt_u32_e32 0x7fff, v53
	s_xor_b32 s19, exec_lo, s19
	s_cbranch_execz .LBB102_48
; %bb.47:                               ;   in Loop: Header=BB102_24 Depth=2
	v_lshlrev_b64 v[32:33], 1, v[53:54]
	s_delay_alu instid0(VALU_DEP_1) | instskip(NEXT) | instid1(VALU_DEP_2)
	v_add_co_u32 v32, vcc_lo, s12, v32
	v_add_co_ci_u32_e32 v33, vcc_lo, s13, v33, vcc_lo
	global_load_b128 v[36:39], v[32:33], off
.LBB102_48:                             ;   in Loop: Header=BB102_24 Depth=2
	s_and_not1_saveexec_b32 s19, s19
	s_cbranch_execz .LBB102_50
; %bb.49:                               ;   in Loop: Header=BB102_24 Depth=2
	v_add_nc_u32_e32 v32, s26, v79
	s_waitcnt vmcnt(0)
	ds_load_b128 v[36:39], v32 offset:512
.LBB102_50:                             ;   in Loop: Header=BB102_24 Depth=2
	s_or_b32 exec_lo, exec_lo, s19
	v_add_nc_u32_e32 v53, 0x100, v65
	s_mov_b32 s19, exec_lo
                                        ; implicit-def: $vgpr43
	s_delay_alu instid0(VALU_DEP_1)
	v_cmpx_lt_u32_e32 0x7fff, v53
	s_xor_b32 s19, exec_lo, s19
	s_cbranch_execz .LBB102_52
; %bb.51:                               ;   in Loop: Header=BB102_24 Depth=2
	v_lshlrev_b64 v[32:33], 1, v[53:54]
	s_delay_alu instid0(VALU_DEP_1) | instskip(NEXT) | instid1(VALU_DEP_2)
	v_add_co_u32 v32, vcc_lo, s12, v32
	v_add_co_ci_u32_e32 v33, vcc_lo, s13, v33, vcc_lo
	global_load_b128 v[40:43], v[32:33], off
.LBB102_52:                             ;   in Loop: Header=BB102_24 Depth=2
	s_and_not1_saveexec_b32 s19, s19
	s_cbranch_execz .LBB102_54
; %bb.53:                               ;   in Loop: Header=BB102_24 Depth=2
	v_add_nc_u32_e32 v32, s3, v79
	s_waitcnt vmcnt(0)
	ds_load_2addr_b32 v[40:41], v32 offset0:128 offset1:129
	ds_load_2addr_b32 v[42:43], v32 offset0:130 offset1:131
.LBB102_54:                             ;   in Loop: Header=BB102_24 Depth=2
	s_or_b32 exec_lo, exec_lo, s19
	v_add_nc_u32_e32 v53, 0x100, v63
	s_mov_b32 s19, exec_lo
                                        ; implicit-def: $vgpr35
	s_delay_alu instid0(VALU_DEP_1)
	v_cmpx_lt_u32_e32 0x7fff, v53
	s_xor_b32 s19, exec_lo, s19
	s_cbranch_execz .LBB102_56
; %bb.55:                               ;   in Loop: Header=BB102_24 Depth=2
	v_lshlrev_b64 v[32:33], 1, v[53:54]
	s_delay_alu instid0(VALU_DEP_1) | instskip(NEXT) | instid1(VALU_DEP_2)
	v_add_co_u32 v32, vcc_lo, s12, v32
	v_add_co_ci_u32_e32 v33, vcc_lo, s13, v33, vcc_lo
	global_load_b128 v[32:35], v[32:33], off
.LBB102_56:                             ;   in Loop: Header=BB102_24 Depth=2
	s_and_not1_saveexec_b32 s19, s19
	s_cbranch_execz .LBB102_21
; %bb.57:                               ;   in Loop: Header=BB102_24 Depth=2
	s_waitcnt vmcnt(0)
	v_add_nc_u32_e32 v32, s6, v79
	ds_load_b128 v[32:35], v32 offset:512
	s_branch .LBB102_21
.LBB102_58:                             ;   in Loop: Header=BB102_19 Depth=1
	v_cvt_i32_f32_e32 v0, v78
	s_waitcnt lgkmcnt(0)
	v_cvt_i32_f32_e32 v1, v77
	v_cvt_i32_f32_e32 v2, v76
	v_xor_b32_e32 v3, 16, v71
	v_cvt_i32_f32_e32 v4, v75
	v_cvt_f32_i32_dpp v0, v0 row_shr:8 row_mask:0xf bank_mask:0xf bound_ctrl:1
	v_cvt_f32_i32_dpp v1, v1 row_shr:8 row_mask:0xf bank_mask:0xf bound_ctrl:1
	;; [unrolled: 1-line block ×3, first 2 shown]
	v_cmp_gt_i32_e32 vcc_lo, 32, v3
	v_cvt_i32_f32_e32 v11, v51
	s_delay_alu instid0(VALU_DEP_4) | instskip(NEXT) | instid1(VALU_DEP_4)
	v_dual_add_f32 v0, v78, v0 :: v_dual_add_f32 v1, v77, v1
	v_dual_add_f32 v2, v76, v2 :: v_dual_cndmask_b32 v3, v71, v3
	v_cvt_i32_f32_e32 v10, v73
	s_delay_alu instid0(VALU_DEP_3) | instskip(NEXT) | instid1(VALU_DEP_4)
	v_cvt_i32_f32_e32 v7, v0
	v_cvt_i32_f32_e32 v8, v1
	s_delay_alu instid0(VALU_DEP_4)
	v_cvt_i32_f32_e32 v9, v2
	v_cvt_f32_i32_dpp v4, v4 row_shr:8 row_mask:0xf bank_mask:0xf bound_ctrl:1
	v_cvt_f32_i32_dpp v11, v11 row_shr:8 row_mask:0xf bank_mask:0xf bound_ctrl:1
	;; [unrolled: 1-line block ×5, first 2 shown]
	v_cvt_i32_f32_e32 v5, v72
	v_cvt_i32_f32_e32 v6, v74
	s_delay_alu instid0(VALU_DEP_4) | instskip(SKIP_3) | instid1(VALU_DEP_3)
	v_dual_add_f32 v0, v0, v7 :: v_dual_add_f32 v1, v1, v8
	v_cvt_f32_i32_dpp v10, v10 row_shr:8 row_mask:0xf bank_mask:0xf bound_ctrl:1
	s_waitcnt vmcnt(0)
	v_dual_add_f32 v3, v75, v4 :: v_dual_lshlrev_b32 v16, 2, v3
	v_cvt_i32_f32_e32 v7, v0
	v_cvt_i32_f32_e32 v8, v1
	v_cvt_f32_i32_dpp v5, v5 row_shr:8 row_mask:0xf bank_mask:0xf bound_ctrl:1
	v_cvt_f32_i32_dpp v6, v6 row_shr:8 row_mask:0xf bank_mask:0xf bound_ctrl:1
	v_cvt_i32_f32_e32 v17, v3
	v_cvt_f32_i32_dpp v7, v7 row_shr:2 row_mask:0xf bank_mask:0xf bound_ctrl:1
	v_cvt_f32_i32_dpp v8, v8 row_shr:2 row_mask:0xf bank_mask:0xf bound_ctrl:1
	v_dual_add_f32 v2, v2, v9 :: v_dual_add_f32 v13, v73, v10
	v_add_f32_e32 v11, v51, v11
	s_delay_alu instid0(VALU_DEP_3) | instskip(NEXT) | instid1(VALU_DEP_3)
	v_dual_add_f32 v0, v0, v7 :: v_dual_add_f32 v1, v1, v8
	v_cvt_i32_f32_e32 v9, v2
	s_delay_alu instid0(VALU_DEP_2) | instskip(NEXT) | instid1(VALU_DEP_2)
	v_cvt_i32_f32_e32 v7, v1
	v_cvt_f32_i32_dpp v9, v9 row_shr:2 row_mask:0xf bank_mask:0xf bound_ctrl:1
	s_delay_alu instid0(VALU_DEP_2) | instskip(NEXT) | instid1(VALU_DEP_2)
	v_cvt_f32_i32_dpp v7, v7 row_shr:1 row_mask:0xf bank_mask:0xf bound_ctrl:1
	v_add_f32_e32 v2, v2, v9
	s_delay_alu instid0(VALU_DEP_2) | instskip(NEXT) | instid1(VALU_DEP_2)
	v_add_f32_e32 v10, v1, v7
	v_cvt_i32_f32_e32 v8, v2
	s_delay_alu instid0(VALU_DEP_1) | instskip(SKIP_2) | instid1(VALU_DEP_3)
	v_cvt_f32_i32_dpp v8, v8 row_shr:1 row_mask:0xf bank_mask:0xf bound_ctrl:1
	v_add_f32_e32 v4, v72, v5
	v_cvt_i32_f32_e32 v5, v0
	v_add_f32_e32 v7, v2, v8
	v_cvt_f32_i32_dpp v8, v17 row_shr:4 row_mask:0xf bank_mask:0xf bound_ctrl:1
	v_add_f32_e32 v6, v74, v6
	s_delay_alu instid0(VALU_DEP_4)
	v_cvt_f32_i32_dpp v5, v5 row_shr:1 row_mask:0xf bank_mask:0xf bound_ctrl:1
	v_cvt_i32_f32_e32 v2, v13
	ds_bpermute_b32 v9, v16, v7
	v_add_f32_e32 v3, v3, v8
	v_cvt_i32_f32_e32 v1, v6
	v_cvt_f32_i32_dpp v2, v2 row_shr:4 row_mask:0xf bank_mask:0xf bound_ctrl:1
	s_delay_alu instid0(VALU_DEP_2) | instskip(NEXT) | instid1(VALU_DEP_1)
	v_cvt_f32_i32_dpp v1, v1 row_shr:4 row_mask:0xf bank_mask:0xf bound_ctrl:1
	v_add_f32_e32 v1, v6, v1
	ds_bpermute_b32 v12, v16, v10
	v_cvt_i32_f32_e32 v8, v1
	s_delay_alu instid0(VALU_DEP_1) | instskip(SKIP_3) | instid1(VALU_DEP_4)
	v_cvt_f32_i32_dpp v8, v8 row_shr:2 row_mask:0xf bank_mask:0xf bound_ctrl:1
	v_add_f32_e32 v14, v0, v5
	v_cvt_i32_f32_e32 v0, v4
	v_cvt_i32_f32_e32 v5, v11
	v_add_f32_e32 v1, v1, v8
	ds_bpermute_b32 v15, v16, v14
	v_cvt_f32_i32_dpp v0, v0 row_shr:4 row_mask:0xf bank_mask:0xf bound_ctrl:1
	v_cvt_f32_i32_dpp v5, v5 row_shr:4 row_mask:0xf bank_mask:0xf bound_ctrl:1
	v_cvt_i32_f32_e32 v8, v1
	s_delay_alu instid0(VALU_DEP_3) | instskip(NEXT) | instid1(VALU_DEP_3)
	v_add_f32_e32 v0, v4, v0
	v_add_f32_e32 v4, v11, v5
	;; [unrolled: 1-line block ×3, first 2 shown]
	v_cvt_i32_f32_e32 v5, v3
	v_cvt_f32_i32_dpp v8, v8 row_shr:1 row_mask:0xf bank_mask:0xf bound_ctrl:1
	s_delay_alu instid0(VALU_DEP_4) | instskip(NEXT) | instid1(VALU_DEP_3)
	v_cvt_i32_f32_e32 v13, v4
	v_cvt_f32_i32_dpp v5, v5 row_shr:2 row_mask:0xf bank_mask:0xf bound_ctrl:1
	s_delay_alu instid0(VALU_DEP_2) | instskip(NEXT) | instid1(VALU_DEP_2)
	v_cvt_f32_i32_dpp v13, v13 row_shr:2 row_mask:0xf bank_mask:0xf bound_ctrl:1
	v_add_f32_e32 v3, v3, v5
	v_cvt_i32_f32_e32 v6, v0
	s_delay_alu instid0(VALU_DEP_3) | instskip(SKIP_1) | instid1(VALU_DEP_4)
	v_add_f32_e32 v5, v4, v13
	v_cvt_i32_f32_e32 v11, v2
	v_cvt_i32_f32_e32 v4, v3
	s_delay_alu instid0(VALU_DEP_4) | instskip(NEXT) | instid1(VALU_DEP_4)
	v_cvt_f32_i32_dpp v6, v6 row_shr:2 row_mask:0xf bank_mask:0xf bound_ctrl:1
	v_cvt_i32_f32_e32 v13, v5
	s_delay_alu instid0(VALU_DEP_4) | instskip(NEXT) | instid1(VALU_DEP_4)
	v_cvt_f32_i32_dpp v11, v11 row_shr:2 row_mask:0xf bank_mask:0xf bound_ctrl:1
	v_cvt_f32_i32_dpp v4, v4 row_shr:1 row_mask:0xf bank_mask:0xf bound_ctrl:1
	s_delay_alu instid0(VALU_DEP_4) | instskip(NEXT) | instid1(VALU_DEP_4)
	v_add_f32_e32 v0, v0, v6
	v_cvt_f32_i32_dpp v13, v13 row_shr:1 row_mask:0xf bank_mask:0xf bound_ctrl:1
	s_delay_alu instid0(VALU_DEP_4) | instskip(NEXT) | instid1(VALU_DEP_1)
	v_add_f32_e32 v2, v2, v11
	v_cvt_i32_f32_e32 v11, v2
	s_delay_alu instid0(VALU_DEP_1) | instskip(SKIP_3) | instid1(VALU_DEP_4)
	v_cvt_f32_i32_dpp v17, v11 row_shr:1 row_mask:0xf bank_mask:0xf bound_ctrl:1
	v_add_f32_e32 v11, v3, v4
	v_cvt_i32_f32_e32 v6, v0
	v_add_f32_e32 v4, v1, v8
	v_add_f32_e32 v2, v2, v17
	s_delay_alu instid0(VALU_DEP_3)
	v_cvt_f32_i32_dpp v6, v6 row_shr:1 row_mask:0xf bank_mask:0xf bound_ctrl:1
	ds_bpermute_b32 v3, v16, v2
	v_add_f32_e32 v6, v0, v6
	v_add_f32_e32 v0, v5, v13
	ds_bpermute_b32 v13, v16, v11
	ds_bpermute_b32 v5, v16, v4
	;; [unrolled: 1-line block ×4, first 2 shown]
	s_and_saveexec_b32 s18, s0
	s_cbranch_execz .LBB102_70
; %bb.59:                               ;   in Loop: Header=BB102_19 Depth=1
	v_dual_mov_b32 v23, 0 :: v_dual_mov_b32 v22, 0
	v_dual_mov_b32 v21, 0 :: v_dual_mov_b32 v20, 0
	v_dual_mov_b32 v19, 0 :: v_dual_mov_b32 v18, 0
	v_dual_mov_b32 v17, 0 :: v_dual_mov_b32 v16, 0
	s_and_not1_b32 vcc_lo, exec_lo, s23
	s_cbranch_vccnz .LBB102_61
; %bb.60:                               ;   in Loop: Header=BB102_19 Depth=1
	v_mul_hi_u32 v16, v50, v69
	v_mul_hi_u32 v17, v56, v69
	s_delay_alu instid0(VALU_DEP_2) | instskip(NEXT) | instid1(VALU_DEP_2)
	v_mul_lo_u32 v16, v16, s16
	v_mul_lo_u32 v17, v17, s16
	s_delay_alu instid0(VALU_DEP_2) | instskip(NEXT) | instid1(VALU_DEP_2)
	v_sub_nc_u32_e32 v16, v50, v16
	v_sub_nc_u32_e32 v17, v56, v17
	s_delay_alu instid0(VALU_DEP_2) | instskip(SKIP_1) | instid1(VALU_DEP_3)
	v_subrev_nc_u32_e32 v18, s16, v16
	v_cmp_le_u32_e32 vcc_lo, s16, v16
	v_subrev_nc_u32_e32 v19, s16, v17
	s_delay_alu instid0(VALU_DEP_3) | instskip(SKIP_1) | instid1(VALU_DEP_3)
	v_cndmask_b32_e32 v16, v16, v18, vcc_lo
	v_cmp_le_u32_e32 vcc_lo, s16, v17
	v_cndmask_b32_e32 v19, v17, v19, vcc_lo
	s_delay_alu instid0(VALU_DEP_3) | instskip(SKIP_2) | instid1(VALU_DEP_4)
	v_subrev_nc_u32_e32 v20, s16, v16
	v_cmp_le_u32_e32 vcc_lo, s16, v16
	v_mov_b32_e32 v18, v54
	v_subrev_nc_u32_e32 v21, s16, v19
	s_delay_alu instid0(VALU_DEP_4)
	v_cndmask_b32_e32 v53, v16, v20, vcc_lo
	v_cmp_le_u32_e32 vcc_lo, s16, v19
	v_mov_b32_e32 v17, v54
	v_mov_b32_e32 v20, v54
	;; [unrolled: 1-line block ×3, first 2 shown]
	v_lshlrev_b64 v[25:26], 1, v[53:54]
	v_cndmask_b32_e32 v16, v19, v21, vcc_lo
	v_dual_mov_b32 v22, v54 :: v_dual_add_nc_u32 v21, s28, v53
	s_delay_alu instid0(VALU_DEP_2) | instskip(SKIP_4) | instid1(VALU_DEP_3)
	v_add_nc_u32_e32 v19, s27, v16
	v_lshlrev_b64 v[27:28], 1, v[16:17]
	v_add_nc_u32_e32 v17, s27, v53
	v_add_co_u32 v25, vcc_lo, s8, v25
	v_add_co_ci_u32_e32 v26, vcc_lo, s9, v26, vcc_lo
	v_lshlrev_b64 v[17:18], 1, v[17:18]
	v_lshlrev_b64 v[19:20], 1, v[19:20]
	v_add_co_u32 v27, vcc_lo, s8, v27
	v_add_co_ci_u32_e32 v28, vcc_lo, s9, v28, vcc_lo
	v_add_nc_u32_e32 v23, s28, v16
	v_lshlrev_b64 v[21:22], 1, v[21:22]
	v_add_co_u32 v17, vcc_lo, s8, v17
	v_add_co_ci_u32_e32 v18, vcc_lo, s9, v18, vcc_lo
	v_add_nc_u32_e32 v53, s29, v53
	v_add_co_u32 v19, vcc_lo, s8, v19
	v_lshlrev_b64 v[23:24], 1, v[23:24]
	v_add_co_ci_u32_e32 v20, vcc_lo, s9, v20, vcc_lo
	v_add_co_u32 v29, vcc_lo, s8, v21
	v_add_co_ci_u32_e32 v30, vcc_lo, s9, v22, vcc_lo
	v_lshlrev_b64 v[21:22], 1, v[53:54]
	v_add_nc_u32_e32 v53, s29, v16
	v_add_co_u32 v31, vcc_lo, s8, v23
	v_add_co_ci_u32_e32 v32, vcc_lo, s9, v24, vcc_lo
	s_delay_alu instid0(VALU_DEP_3) | instskip(SKIP_2) | instid1(VALU_DEP_3)
	v_lshlrev_b64 v[23:24], 1, v[53:54]
	v_add_co_u32 v33, vcc_lo, s8, v21
	v_add_co_ci_u32_e32 v34, vcc_lo, s9, v22, vcc_lo
	v_add_co_u32 v35, vcc_lo, s8, v23
	s_delay_alu instid0(VALU_DEP_4)
	v_add_co_ci_u32_e32 v36, vcc_lo, s9, v24, vcc_lo
	s_clause 0x7
	global_load_u16 v23, v[25:26], off
	global_load_u16 v22, v[27:28], off
	;; [unrolled: 1-line block ×8, first 2 shown]
.LBB102_61:                             ;   in Loop: Header=BB102_19 Depth=1
	v_cmp_ne_u32_e32 vcc_lo, 0, v48
	s_and_saveexec_b32 s2, vcc_lo
	s_cbranch_execnz .LBB102_75
; %bb.62:                               ;   in Loop: Header=BB102_19 Depth=1
	s_or_b32 exec_lo, exec_lo, s2
	v_cmp_ne_u32_e64 s1, 0, v49
	s_delay_alu instid0(VALU_DEP_1)
	s_and_saveexec_b32 s19, s1
	s_cbranch_execnz .LBB102_76
.LBB102_63:                             ;   in Loop: Header=BB102_19 Depth=1
	s_or_b32 exec_lo, exec_lo, s19
	v_add_nc_u32_e32 v53, s7, v50
	s_and_saveexec_b32 s19, vcc_lo
	s_cbranch_execnz .LBB102_77
.LBB102_64:                             ;   in Loop: Header=BB102_19 Depth=1
	s_or_b32 exec_lo, exec_lo, s19
	s_and_saveexec_b32 s19, s1
	s_cbranch_execnz .LBB102_78
.LBB102_65:                             ;   in Loop: Header=BB102_19 Depth=1
	s_or_b32 exec_lo, exec_lo, s19
	v_add_nc_u32_e32 v53, s7, v53
	s_and_saveexec_b32 s19, vcc_lo
	s_cbranch_execnz .LBB102_79
.LBB102_66:                             ;   in Loop: Header=BB102_19 Depth=1
	s_or_b32 exec_lo, exec_lo, s19
	s_and_saveexec_b32 s19, s1
	s_cbranch_execnz .LBB102_80
.LBB102_67:                             ;   in Loop: Header=BB102_19 Depth=1
	s_or_b32 exec_lo, exec_lo, s19
	v_add_nc_u32_e32 v53, s7, v53
	s_and_saveexec_b32 s2, vcc_lo
	s_cbranch_execnz .LBB102_81
.LBB102_68:                             ;   in Loop: Header=BB102_19 Depth=1
	s_or_b32 exec_lo, exec_lo, s2
	s_delay_alu instid0(SALU_CYCLE_1)
	s_and_b32 exec_lo, exec_lo, s1
	s_cbranch_execz .LBB102_70
.LBB102_69:                             ;   in Loop: Header=BB102_19 Depth=1
	s_waitcnt lgkmcnt(0)
	v_add_f32_e32 v0, v0, v1
	s_waitcnt vmcnt(0)
	v_cvt_f32_f16_e32 v1, v16
	v_add_nc_u32_e32 v53, 1, v53
	s_delay_alu instid0(VALU_DEP_2) | instskip(NEXT) | instid1(VALU_DEP_2)
	v_add_f32_e32 v2, v0, v1
	v_lshlrev_b64 v[0:1], 1, v[53:54]
	s_delay_alu instid0(VALU_DEP_2) | instskip(NEXT) | instid1(VALU_DEP_2)
	v_cvt_f16_f32_e32 v2, v2
	v_add_co_u32 v0, vcc_lo, s10, v0
	s_delay_alu instid0(VALU_DEP_3)
	v_add_co_ci_u32_e32 v1, vcc_lo, s11, v1, vcc_lo
	global_store_b16 v[0:1], v2, off
.LBB102_70:                             ;   in Loop: Header=BB102_19 Depth=1
	s_or_b32 exec_lo, exec_lo, s18
	v_add_nc_u32_e32 v50, s24, v50
	s_delay_alu instid0(VALU_DEP_1) | instskip(SKIP_1) | instid1(VALU_DEP_2)
	v_add_nc_u32_e32 v0, 2, v50
	v_cmp_gt_u32_e32 vcc_lo, s7, v50
	v_cmp_le_u32_e64 s1, s7, v0
	s_delay_alu instid0(VALU_DEP_1) | instskip(NEXT) | instid1(SALU_CYCLE_1)
	s_and_b32 s1, vcc_lo, s1
	s_and_saveexec_b32 s30, s1
	s_cbranch_execz .LBB102_18
; %bb.71:                               ;   in Loop: Header=BB102_19 Depth=1
	s_mov_b32 s31, exec_lo
	v_cmpx_ne_u32_e64 s25, v50
	s_cbranch_execz .LBB102_17
; %bb.72:                               ;   in Loop: Header=BB102_19 Depth=1
	v_subrev_nc_u32_e32 v0, s25, v50
	s_mov_b32 s33, 0
	s_mov_b64 s[18:19], 0
	s_delay_alu instid0(VALU_DEP_1)
	v_cmp_lt_u32_e32 vcc_lo, 1, v0
	v_cndmask_b32_e32 v0, 1, v0, vcc_lo
.LBB102_73:                             ;   Parent Loop BB102_19 Depth=1
                                        ; =>  This Inner Loop Header: Depth=2
	s_cmp_lg_u32 s18, 1
	s_cselect_b32 vcc_lo, -1, 0
	s_cmp_lg_u32 s18, 0
	v_cndmask_b32_e32 v49, 0, v49, vcc_lo
	s_cselect_b32 s1, -1, 0
	s_add_u32 s18, s18, 1
	v_cndmask_b32_e64 v48, 0, v48, s1
	v_cmp_eq_u32_e64 s2, s18, v0
	s_addc_u32 s19, s19, 0
	s_delay_alu instid0(VALU_DEP_1) | instskip(NEXT) | instid1(SALU_CYCLE_1)
	s_or_b32 s33, s2, s33
	s_and_not1_b32 exec_lo, exec_lo, s33
	s_cbranch_execnz .LBB102_73
; %bb.74:                               ;   in Loop: Header=BB102_19 Depth=1
	s_or_b32 exec_lo, exec_lo, s33
	s_branch .LBB102_17
.LBB102_75:                             ;   in Loop: Header=BB102_19 Depth=1
	s_waitcnt lgkmcnt(5)
	v_add_f32_e32 v14, v14, v15
	s_waitcnt vmcnt(7)
	v_cvt_f32_f16_e32 v15, v23
	v_mov_b32_e32 v51, v54
	s_delay_alu instid0(VALU_DEP_2) | instskip(NEXT) | instid1(VALU_DEP_2)
	v_add_f32_e32 v23, v14, v15
	v_lshlrev_b64 v[14:15], 1, v[50:51]
	s_delay_alu instid0(VALU_DEP_2) | instskip(NEXT) | instid1(VALU_DEP_2)
	v_cvt_f16_f32_e32 v23, v23
	v_add_co_u32 v14, s1, s10, v14
	s_delay_alu instid0(VALU_DEP_1) | instskip(SKIP_3) | instid1(VALU_DEP_1)
	v_add_co_ci_u32_e64 v15, s1, s11, v15, s1
	global_store_b16 v[14:15], v23, off
	s_or_b32 exec_lo, exec_lo, s2
	v_cmp_ne_u32_e64 s1, 0, v49
	s_and_saveexec_b32 s19, s1
	s_cbranch_execz .LBB102_63
.LBB102_76:                             ;   in Loop: Header=BB102_19 Depth=1
	v_mov_b32_e32 v57, v54
	s_waitcnt lgkmcnt(6)
	v_add_f32_e32 v10, v10, v12
	s_waitcnt vmcnt(6)
	v_cvt_f32_f16_e32 v12, v22
	s_waitcnt lgkmcnt(5)
	v_lshlrev_b64 v[14:15], 1, v[56:57]
	s_delay_alu instid0(VALU_DEP_2) | instskip(NEXT) | instid1(VALU_DEP_2)
	v_add_f32_e32 v10, v10, v12
	v_add_co_u32 v14, s2, s10, v14
	s_delay_alu instid0(VALU_DEP_2) | instskip(NEXT) | instid1(VALU_DEP_4)
	v_cvt_f16_f32_e32 v10, v10
	v_add_co_ci_u32_e64 v15, s2, s11, v15, s2
	global_store_b16 v[14:15], v10, off
	s_or_b32 exec_lo, exec_lo, s19
	v_add_nc_u32_e32 v53, s7, v50
	s_and_saveexec_b32 s19, vcc_lo
	s_cbranch_execz .LBB102_64
.LBB102_77:                             ;   in Loop: Header=BB102_19 Depth=1
	s_waitcnt lgkmcnt(7)
	v_add_f32_e32 v7, v7, v9
	s_waitcnt vmcnt(5)
	v_cvt_f32_f16_e32 v9, v21
	s_delay_alu instid0(VALU_DEP_1) | instskip(SKIP_1) | instid1(VALU_DEP_2)
	v_add_f32_e32 v7, v7, v9
	v_lshlrev_b64 v[9:10], 1, v[53:54]
	v_cvt_f16_f32_e32 v7, v7
	s_delay_alu instid0(VALU_DEP_2) | instskip(NEXT) | instid1(VALU_DEP_1)
	v_add_co_u32 v9, s2, s10, v9
	v_add_co_ci_u32_e64 v10, s2, s11, v10, s2
	global_store_b16 v[9:10], v7, off
	s_or_b32 exec_lo, exec_lo, s19
	s_and_saveexec_b32 s19, s1
	s_cbranch_execz .LBB102_65
.LBB102_78:                             ;   in Loop: Header=BB102_19 Depth=1
	s_waitcnt lgkmcnt(3)
	v_dual_add_f32 v7, v11, v13 :: v_dual_mov_b32 v10, v54
	v_add_nc_u32_e32 v9, 1, v53
	s_waitcnt vmcnt(4)
	v_cvt_f32_f16_e32 v11, v20
	s_delay_alu instid0(VALU_DEP_2) | instskip(NEXT) | instid1(VALU_DEP_2)
	v_lshlrev_b64 v[9:10], 1, v[9:10]
	v_add_f32_e32 v7, v7, v11
	s_delay_alu instid0(VALU_DEP_1) | instskip(NEXT) | instid1(VALU_DEP_3)
	v_cvt_f16_f32_e32 v7, v7
	v_add_co_u32 v9, s2, s10, v9
	s_delay_alu instid0(VALU_DEP_1)
	v_add_co_ci_u32_e64 v10, s2, s11, v10, s2
	global_store_b16 v[9:10], v7, off
	s_or_b32 exec_lo, exec_lo, s19
	v_add_nc_u32_e32 v53, s7, v53
	s_and_saveexec_b32 s19, vcc_lo
	s_cbranch_execz .LBB102_66
.LBB102_79:                             ;   in Loop: Header=BB102_19 Depth=1
	s_waitcnt lgkmcnt(1)
	v_add_f32_e32 v6, v6, v8
	s_waitcnt vmcnt(3)
	v_cvt_f32_f16_e32 v7, v19
	s_delay_alu instid0(VALU_DEP_1) | instskip(SKIP_1) | instid1(VALU_DEP_2)
	v_add_f32_e32 v8, v6, v7
	v_lshlrev_b64 v[6:7], 1, v[53:54]
	v_cvt_f16_f32_e32 v8, v8
	s_delay_alu instid0(VALU_DEP_2) | instskip(NEXT) | instid1(VALU_DEP_1)
	v_add_co_u32 v6, s2, s10, v6
	v_add_co_ci_u32_e64 v7, s2, s11, v7, s2
	global_store_b16 v[6:7], v8, off
	s_or_b32 exec_lo, exec_lo, s19
	s_and_saveexec_b32 s19, s1
	s_cbranch_execz .LBB102_67
.LBB102_80:                             ;   in Loop: Header=BB102_19 Depth=1
	s_waitcnt lgkmcnt(2)
	v_dual_add_f32 v6, v4, v5 :: v_dual_mov_b32 v5, v54
	v_add_nc_u32_e32 v4, 1, v53
	s_waitcnt vmcnt(2)
	v_cvt_f32_f16_e32 v7, v18
	s_delay_alu instid0(VALU_DEP_2) | instskip(NEXT) | instid1(VALU_DEP_2)
	v_lshlrev_b64 v[4:5], 1, v[4:5]
	v_add_f32_e32 v6, v6, v7
	s_delay_alu instid0(VALU_DEP_1) | instskip(NEXT) | instid1(VALU_DEP_3)
	v_cvt_f16_f32_e32 v6, v6
	v_add_co_u32 v4, s2, s10, v4
	s_delay_alu instid0(VALU_DEP_1)
	v_add_co_ci_u32_e64 v5, s2, s11, v5, s2
	global_store_b16 v[4:5], v6, off
	s_or_b32 exec_lo, exec_lo, s19
	v_add_nc_u32_e32 v53, s7, v53
	s_and_saveexec_b32 s2, vcc_lo
	s_cbranch_execz .LBB102_68
.LBB102_81:                             ;   in Loop: Header=BB102_19 Depth=1
	s_waitcnt lgkmcnt(4)
	v_add_f32_e32 v2, v2, v3
	s_waitcnt vmcnt(1)
	v_cvt_f32_f16_e32 v3, v17
	s_delay_alu instid0(VALU_DEP_1) | instskip(SKIP_1) | instid1(VALU_DEP_2)
	v_add_f32_e32 v4, v2, v3
	v_lshlrev_b64 v[2:3], 1, v[53:54]
	v_cvt_f16_f32_e32 v4, v4
	s_delay_alu instid0(VALU_DEP_2) | instskip(NEXT) | instid1(VALU_DEP_3)
	v_add_co_u32 v2, vcc_lo, s10, v2
	v_add_co_ci_u32_e32 v3, vcc_lo, s11, v3, vcc_lo
	global_store_b16 v[2:3], v4, off
	s_or_b32 exec_lo, exec_lo, s2
	s_delay_alu instid0(SALU_CYCLE_1)
	s_and_b32 exec_lo, exec_lo, s1
	s_cbranch_execnz .LBB102_69
	s_branch .LBB102_70
.LBB102_82:
	s_nop 0
	s_sendmsg sendmsg(MSG_DEALLOC_VGPRS)
	s_endpgm
	.section	.rodata,"a",@progbits
	.p2align	6, 0x0
	.amdhsa_kernel _Z12wvSplitK_hf_I6__halfLi32ELi2ELi16ELi8ELi2ELi4EEviiiiiiPKT_S3_S3_PS1_ii
		.amdhsa_group_segment_fixed_size 65536
		.amdhsa_private_segment_fixed_size 0
		.amdhsa_kernarg_size 64
		.amdhsa_user_sgpr_count 15
		.amdhsa_user_sgpr_dispatch_ptr 0
		.amdhsa_user_sgpr_queue_ptr 0
		.amdhsa_user_sgpr_kernarg_segment_ptr 1
		.amdhsa_user_sgpr_dispatch_id 0
		.amdhsa_user_sgpr_private_segment_size 0
		.amdhsa_wavefront_size32 1
		.amdhsa_uses_dynamic_stack 0
		.amdhsa_enable_private_segment 0
		.amdhsa_system_sgpr_workgroup_id_x 1
		.amdhsa_system_sgpr_workgroup_id_y 0
		.amdhsa_system_sgpr_workgroup_id_z 0
		.amdhsa_system_sgpr_workgroup_info 0
		.amdhsa_system_vgpr_workitem_id 1
		.amdhsa_next_free_vgpr 80
		.amdhsa_next_free_sgpr 34
		.amdhsa_reserve_vcc 1
		.amdhsa_float_round_mode_32 0
		.amdhsa_float_round_mode_16_64 0
		.amdhsa_float_denorm_mode_32 3
		.amdhsa_float_denorm_mode_16_64 3
		.amdhsa_dx10_clamp 1
		.amdhsa_ieee_mode 1
		.amdhsa_fp16_overflow 0
		.amdhsa_workgroup_processor_mode 1
		.amdhsa_memory_ordered 1
		.amdhsa_forward_progress 0
		.amdhsa_shared_vgpr_count 0
		.amdhsa_exception_fp_ieee_invalid_op 0
		.amdhsa_exception_fp_denorm_src 0
		.amdhsa_exception_fp_ieee_div_zero 0
		.amdhsa_exception_fp_ieee_overflow 0
		.amdhsa_exception_fp_ieee_underflow 0
		.amdhsa_exception_fp_ieee_inexact 0
		.amdhsa_exception_int_div_zero 0
	.end_amdhsa_kernel
	.section	.text._Z12wvSplitK_hf_I6__halfLi32ELi2ELi16ELi8ELi2ELi4EEviiiiiiPKT_S3_S3_PS1_ii,"axG",@progbits,_Z12wvSplitK_hf_I6__halfLi32ELi2ELi16ELi8ELi2ELi4EEviiiiiiPKT_S3_S3_PS1_ii,comdat
.Lfunc_end102:
	.size	_Z12wvSplitK_hf_I6__halfLi32ELi2ELi16ELi8ELi2ELi4EEviiiiiiPKT_S3_S3_PS1_ii, .Lfunc_end102-_Z12wvSplitK_hf_I6__halfLi32ELi2ELi16ELi8ELi2ELi4EEviiiiiiPKT_S3_S3_PS1_ii
                                        ; -- End function
	.section	.AMDGPU.csdata,"",@progbits
; Kernel info:
; codeLenInByte = 5896
; NumSgprs: 36
; NumVgprs: 80
; ScratchSize: 0
; MemoryBound: 0
; FloatMode: 240
; IeeeMode: 1
; LDSByteSize: 65536 bytes/workgroup (compile time only)
; SGPRBlocks: 4
; VGPRBlocks: 9
; NumSGPRsForWavesPerEU: 36
; NumVGPRsForWavesPerEU: 80
; Occupancy: 8
; WaveLimiterHint : 0
; COMPUTE_PGM_RSRC2:SCRATCH_EN: 0
; COMPUTE_PGM_RSRC2:USER_SGPR: 15
; COMPUTE_PGM_RSRC2:TRAP_HANDLER: 0
; COMPUTE_PGM_RSRC2:TGID_X_EN: 1
; COMPUTE_PGM_RSRC2:TGID_Y_EN: 0
; COMPUTE_PGM_RSRC2:TGID_Z_EN: 0
; COMPUTE_PGM_RSRC2:TIDIG_COMP_CNT: 1
	.section	.text._Z16wvSplitK_hf_big_I6__halfLi32ELi2ELi16ELi8ELi2ELi4EEviiiiiiPKT_S3_S3_PS1_ii,"axG",@progbits,_Z16wvSplitK_hf_big_I6__halfLi32ELi2ELi16ELi8ELi2ELi4EEviiiiiiPKT_S3_S3_PS1_ii,comdat
	.protected	_Z16wvSplitK_hf_big_I6__halfLi32ELi2ELi16ELi8ELi2ELi4EEviiiiiiPKT_S3_S3_PS1_ii ; -- Begin function _Z16wvSplitK_hf_big_I6__halfLi32ELi2ELi16ELi8ELi2ELi4EEviiiiiiPKT_S3_S3_PS1_ii
	.globl	_Z16wvSplitK_hf_big_I6__halfLi32ELi2ELi16ELi8ELi2ELi4EEviiiiiiPKT_S3_S3_PS1_ii
	.p2align	8
	.type	_Z16wvSplitK_hf_big_I6__halfLi32ELi2ELi16ELi8ELi2ELi4EEviiiiiiPKT_S3_S3_PS1_ii,@function
_Z16wvSplitK_hf_big_I6__halfLi32ELi2ELi16ELi8ELi2ELi4EEviiiiiiPKT_S3_S3_PS1_ii: ; @_Z16wvSplitK_hf_big_I6__halfLi32ELi2ELi16ELi8ELi2ELi4EEviiiiiiPKT_S3_S3_PS1_ii
; %bb.0:
	s_load_b64 s[20:21], s[0:1], 0x38
	v_bfe_u32 v1, v0, 10, 10
	s_mov_b32 s2, exec_lo
	s_waitcnt lgkmcnt(0)
	s_delay_alu instid0(VALU_DEP_1)
	v_cmpx_gt_u32_e64 s20, v1
	s_cbranch_execz .LBB103_56
; %bb.1:
	s_load_b128 s[16:19], s[0:1], 0x0
	s_mul_i32 s15, s15, s20
	s_mov_b32 s4, 1
	v_add_lshl_u32 v50, s15, v1, 1
	s_mov_b32 s5, s4
	s_delay_alu instid0(SALU_CYCLE_1) | instskip(NEXT) | instid1(VALU_DEP_2)
	v_dual_mov_b32 v49, s5 :: v_dual_mov_b32 v48, s4
	v_add_nc_u32_e32 v2, 2, v50
	s_waitcnt lgkmcnt(0)
	v_cmp_gt_u32_e32 vcc_lo, s19, v50
	s_delay_alu instid0(VALU_DEP_2) | instskip(NEXT) | instid1(VALU_DEP_1)
	v_cmp_le_u32_e64 s2, s19, v2
	s_and_b32 s2, vcc_lo, s2
	s_delay_alu instid0(SALU_CYCLE_1)
	s_and_saveexec_b32 s6, s2
	s_cbranch_execz .LBB103_7
; %bb.2:
	v_dual_mov_b32 v49, s5 :: v_dual_mov_b32 v48, s4
	s_add_i32 s7, s19, -2
	s_mov_b32 s8, exec_lo
	v_cmpx_ne_u32_e64 s7, v50
	s_cbranch_execz .LBB103_6
; %bb.3:
	v_subrev_nc_u32_e32 v2, s7, v50
	s_mov_b32 s2, 1
	s_mov_b32 s9, 0
	s_mov_b64 s[4:5], 0
	s_mov_b32 s3, s2
	v_cmp_lt_u32_e32 vcc_lo, 1, v2
	v_cndmask_b32_e32 v2, 1, v2, vcc_lo
.LBB103_4:                              ; =>This Inner Loop Header: Depth=1
	s_cmp_lg_u32 s4, 1
	s_cselect_b32 s3, s3, 0
	s_cmp_lg_u32 s4, 0
	s_cselect_b32 s2, s2, 0
	s_add_u32 s4, s4, 1
	v_dual_mov_b32 v49, s3 :: v_dual_mov_b32 v48, s2
	v_cmp_eq_u32_e32 vcc_lo, s4, v2
	s_addc_u32 s5, s5, 0
	s_or_b32 s9, vcc_lo, s9
	s_delay_alu instid0(SALU_CYCLE_1)
	s_and_not1_b32 exec_lo, exec_lo, s9
	s_cbranch_execnz .LBB103_4
; %bb.5:
	s_or_b32 exec_lo, exec_lo, s9
	v_mov_b32_e32 v50, s7
.LBB103_6:
	s_or_b32 exec_lo, exec_lo, s8
.LBB103_7:
	s_delay_alu instid0(SALU_CYCLE_1)
	s_or_b32 exec_lo, exec_lo, s6
	s_lshl_b32 s2, s20, 1
	s_abs_i32 s6, s19
	s_abs_i32 s3, s2
	s_mov_b32 s22, 0
	v_cvt_f32_u32_e32 v2, s3
	s_sub_i32 s5, 0, s3
	s_delay_alu instid0(VALU_DEP_1) | instskip(SKIP_2) | instid1(VALU_DEP_1)
	v_rcp_iflag_f32_e32 v2, v2
	s_waitcnt_depctr 0xfff
	v_mul_f32_e32 v2, 0x4f7ffffe, v2
	v_cvt_u32_f32_e32 v2, v2
	s_delay_alu instid0(VALU_DEP_1) | instskip(NEXT) | instid1(VALU_DEP_1)
	v_readfirstlane_b32 s4, v2
	s_mul_i32 s5, s5, s4
	s_delay_alu instid0(SALU_CYCLE_1) | instskip(NEXT) | instid1(SALU_CYCLE_1)
	s_mul_hi_u32 s5, s4, s5
	s_add_i32 s4, s4, s5
	s_ashr_i32 s5, s19, 31
	s_mul_hi_u32 s4, s6, s4
	s_delay_alu instid0(SALU_CYCLE_1) | instskip(NEXT) | instid1(SALU_CYCLE_1)
	s_mul_i32 s4, s4, s3
	s_sub_i32 s4, s6, s4
	s_delay_alu instid0(SALU_CYCLE_1) | instskip(SKIP_2) | instid1(SALU_CYCLE_1)
	s_sub_i32 s6, s4, s3
	s_cmp_ge_u32 s4, s3
	s_cselect_b32 s4, s6, s4
	s_sub_i32 s6, s4, s3
	s_cmp_ge_u32 s4, s3
	s_cselect_b32 s3, s6, s4
	s_add_i32 s2, s2, s19
	s_xor_b32 s3, s3, s5
	s_delay_alu instid0(SALU_CYCLE_1) | instskip(NEXT) | instid1(SALU_CYCLE_1)
	s_sub_i32 s3, s3, s5
	s_sub_i32 s2, s2, s3
	s_cmp_eq_u32 s3, 0
	s_cselect_b32 s3, s19, s2
	s_delay_alu instid0(SALU_CYCLE_1)
	v_cmp_gt_u32_e32 vcc_lo, s3, v50
	s_and_b32 exec_lo, exec_lo, vcc_lo
	s_cbranch_execz .LBB103_56
; %bb.8:
	s_load_b256 s[4:11], s[0:1], 0x10
	s_min_u32 s23, s18, 0x2000
	s_cmp_lg_u32 s16, 0
	s_mul_i32 s2, s21, s20
	s_cselect_b32 s24, -1, 0
	s_cmp_lg_u32 s18, 0
	s_load_b64 s[12:13], s[0:1], 0x30
	s_cselect_b32 s21, -1, 0
	s_lshl_b32 s25, s20, 8
	s_add_i32 s26, s16, -8
	s_add_i32 s27, s19, -1
	s_lshl_b32 s28, s2, 1
	v_and_b32_e32 v0, 0x3ff, v0
	v_mbcnt_lo_u32_b32 v59, -1, 0
	s_delay_alu instid0(VALU_DEP_2)
	v_lshlrev_b32_e32 v60, 3, v0
	v_cmp_eq_u32_e64 s0, 31, v0
	v_lshlrev_b32_e32 v0, 4, v0
	s_waitcnt lgkmcnt(0)
	s_cmp_lg_u64 s[10:11], 0
	v_cvt_f32_u32_e32 v3, s4
	s_cselect_b32 s29, -1, 0
	s_abs_i32 s2, s5
	s_add_i32 s30, s19, -2
	v_cvt_f32_u32_e32 v2, s2
	v_rcp_iflag_f32_e32 v3, v3
	s_sub_i32 s14, 0, s2
	s_sub_i32 s15, 0, s4
	;; [unrolled: 1-line block ×3, first 2 shown]
	v_rcp_iflag_f32_e32 v2, v2
	v_lshl_add_u32 v61, v1, 9, v0
	v_lshl_add_u32 v53, v1, 8, v60
	v_mov_b32_e32 v52, 0
	s_mul_i32 s5, s23, 6
	s_delay_alu instid0(VALU_DEP_2) | instskip(SKIP_4) | instid1(VALU_DEP_2)
	v_add_nc_u32_e32 v63, s18, v53
	v_mad_u64_u32 v[54:55], null, s18, 3, v[53:54]
	s_waitcnt_depctr 0xfff
	v_mul_f32_e32 v2, 0x4f7ffffe, v2
	v_lshl_add_u32 v62, s18, 1, v53
	v_cvt_u32_f32_e32 v2, v2
	s_delay_alu instid0(VALU_DEP_1) | instskip(SKIP_1) | instid1(VALU_DEP_2)
	v_readfirstlane_b32 s1, v2
	v_mul_f32_e32 v2, 0x4f7ffffe, v3
	s_mul_i32 s14, s14, s1
	s_delay_alu instid0(VALU_DEP_1) | instskip(SKIP_1) | instid1(SALU_CYCLE_1)
	v_cvt_u32_f32_e32 v0, v2
	s_mul_hi_u32 s14, s1, s14
	s_add_i32 s1, s1, s14
	s_cmp_lt_u32 s2, 2
	s_delay_alu instid0(VALU_DEP_1) | instskip(SKIP_1) | instid1(SALU_CYCLE_1)
	v_mul_lo_u32 v1, s15, v0
	s_cselect_b32 s14, s31, 1
	s_sub_i32 s31, s14, s2
	s_cmp_ge_u32 s14, s2
	s_cselect_b32 s31, s31, s14
	s_lshr_b32 s14, s1, 31
	s_mul_hi_u32 s1, s1, 3
	s_mul_i32 s14, s14, s2
	s_mul_i32 s1, s1, s2
	s_sub_i32 s14, 2, s14
	v_mul_hi_u32 v1, v0, v1
	s_sub_i32 s15, s14, s2
	s_cmp_ge_u32 s14, s2
	s_mul_i32 s31, s31, s4
	s_cselect_b32 s14, s15, s14
	s_delay_alu instid0(SALU_CYCLE_1) | instskip(SKIP_1) | instid1(VALU_DEP_1)
	s_sub_i32 s15, s14, s2
	s_cmp_ge_u32 s14, s2
	v_add_nc_u32_e32 v64, v0, v1
	s_cselect_b32 s33, s15, s14
	s_sub_i32 s1, 3, s1
	s_mul_i32 s33, s33, s4
	s_sub_i32 s14, s1, s2
	s_cmp_ge_u32 s1, s2
	s_cselect_b32 s1, s14, s1
	s_delay_alu instid0(SALU_CYCLE_1)
	s_sub_i32 s14, s1, s2
	s_cmp_ge_u32 s1, s2
	s_cselect_b32 s37, s14, s1
	s_add_u32 s34, s12, 2
	s_addc_u32 s35, s13, 0
	s_lshl_b32 s20, s20, 9
	s_lshl_b32 s36, s23, 2
	s_mul_i32 s37, s37, s4
	s_lshl_b32 s38, s23, 1
	s_branch .LBB103_12
.LBB103_9:                              ;   in Loop: Header=BB103_12 Depth=1
	s_or_b32 exec_lo, exec_lo, s41
	v_mov_b32_e32 v50, s30
.LBB103_10:                             ;   in Loop: Header=BB103_12 Depth=1
	s_or_b32 exec_lo, exec_lo, s40
.LBB103_11:                             ;   in Loop: Header=BB103_12 Depth=1
	s_delay_alu instid0(SALU_CYCLE_1) | instskip(NEXT) | instid1(VALU_DEP_1)
	s_or_b32 exec_lo, exec_lo, s39
	v_cmp_le_u32_e32 vcc_lo, s3, v50
	s_or_b32 s22, vcc_lo, s22
	s_delay_alu instid0(SALU_CYCLE_1)
	s_and_not1_b32 exec_lo, exec_lo, s22
	s_cbranch_execz .LBB103_56
.LBB103_12:                             ; =>This Loop Header: Depth=1
                                        ;     Child Loop BB103_17 Depth 2
                                        ;       Child Loop BB103_22 Depth 3
                                        ;     Child Loop BB103_47 Depth 2
	v_mov_b32_e32 v72, v52
	v_mov_b32_e32 v71, v52
	;; [unrolled: 1-line block ×8, first 2 shown]
	s_and_not1_b32 vcc_lo, exec_lo, s24
	s_mov_b32 s14, 0
	s_cbranch_vccnz .LBB103_29
; %bb.13:                               ;   in Loop: Header=BB103_12 Depth=1
	s_waitcnt lgkmcnt(0)
	v_dual_mov_b32 v1, v52 :: v_dual_add_nc_u32 v0, 1, v50
	v_min_u32_e32 v2, s27, v50
	v_cmp_gt_u32_e64 s1, s19, v50
	v_dual_mov_b32 v68, 0 :: v_dual_mov_b32 v67, 0
	s_delay_alu instid0(VALU_DEP_4) | instskip(NEXT) | instid1(VALU_DEP_4)
	v_min_u32_e32 v0, s27, v0
	v_mul_lo_u32 v51, v2, s17
	v_dual_mov_b32 v66, 0 :: v_dual_mov_b32 v65, 0
	v_dual_mov_b32 v69, 0 :: v_dual_mov_b32 v70, 0
	s_delay_alu instid0(VALU_DEP_4) | instskip(SKIP_3) | instid1(VALU_DEP_3)
	v_mul_lo_u32 v0, v0, s17
	v_dual_mov_b32 v71, 0 :: v_dual_mov_b32 v72, 0
	v_lshlrev_b64 v[55:56], 1, v[51:52]
	s_mov_b32 s15, 0
	v_lshlrev_b64 v[57:58], 1, v[0:1]
	s_branch .LBB103_17
.LBB103_14:                             ;   in Loop: Header=BB103_17 Depth=2
	s_or_b32 exec_lo, exec_lo, s40
.LBB103_15:                             ;   in Loop: Header=BB103_17 Depth=2
	s_delay_alu instid0(SALU_CYCLE_1)
	s_or_b32 exec_lo, exec_lo, s39
	s_waitcnt vmcnt(3) lgkmcnt(3)
	;;#ASMSTART
	v_dot2_f32_f16 v72, v44, v28, v72
	;;#ASMEND
	s_waitcnt vmcnt(2)
	;;#ASMSTART
	v_dot2_f32_f16 v71, v44, v20, v71
	;;#ASMEND
	s_waitcnt lgkmcnt(2)
	;;#ASMSTART
	v_dot2_f32_f16 v70, v40, v28, v70
	;;#ASMEND
	;;#ASMSTART
	v_dot2_f32_f16 v69, v40, v20, v69
	;;#ASMEND
	s_waitcnt lgkmcnt(1)
	;;#ASMSTART
	v_dot2_f32_f16 v68, v36, v28, v68
	;;#ASMEND
	;; [unrolled: 7-line block ×3, first 2 shown]
	;;#ASMSTART
	v_dot2_f32_f16 v65, v32, v20, v65
	;;#ASMEND
	;;#ASMSTART
	v_dot2_f32_f16 v72, v45, v29, v72
	;;#ASMEND
	;; [unrolled: 3-line block ×25, first 2 shown]
	s_waitcnt vmcnt(1)
	;;#ASMSTART
	v_dot2_f32_f16 v72, v24, v4, v72
	;;#ASMEND
	s_waitcnt vmcnt(0)
	;;#ASMSTART
	v_dot2_f32_f16 v71, v24, v0, v71
	;;#ASMEND
	;;#ASMSTART
	v_dot2_f32_f16 v70, v16, v4, v70
	;;#ASMEND
	;; [unrolled: 3-line block ×31, first 2 shown]
.LBB103_16:                             ;   in Loop: Header=BB103_17 Depth=2
	s_or_b32 exec_lo, exec_lo, s2
	s_addk_i32 s15, 0x200
	s_delay_alu instid0(SALU_CYCLE_1)
	s_cmp_ge_u32 s15, s16
	s_cbranch_scc1 .LBB103_29
.LBB103_17:                             ;   Parent Loop BB103_12 Depth=1
                                        ; =>  This Loop Header: Depth=2
                                        ;       Child Loop BB103_22 Depth 3
	s_cmp_eq_u32 s15, 0
	s_cselect_b32 s39, -1, 0
	s_add_i32 s2, s14, s23
	s_delay_alu instid0(SALU_CYCLE_1) | instskip(SKIP_1) | instid1(SALU_CYCLE_1)
	s_cmp_eq_u32 s15, s2
	s_cselect_b32 s40, -1, 0
	s_or_b32 s40, s39, s40
	s_delay_alu instid0(SALU_CYCLE_1)
	s_and_not1_b32 vcc_lo, exec_lo, s40
	s_cbranch_vccz .LBB103_19
; %bb.18:                               ;   in Loop: Header=BB103_17 Depth=2
	s_and_saveexec_b32 s2, s1
	s_cbranch_execz .LBB103_16
	s_branch .LBB103_26
.LBB103_19:                             ;   in Loop: Header=BB103_17 Depth=2
	s_and_b32 s39, s39, exec_lo
	s_cselect_b32 s14, s14, s2
	s_and_not1_b32 vcc_lo, exec_lo, s21
	s_waitcnt vmcnt(0)
	s_waitcnt_vscnt null, 0x0
	s_barrier
	buffer_gl0_inv
	s_cbranch_vccnz .LBB103_25
; %bb.20:                               ;   in Loop: Header=BB103_17 Depth=2
	v_add_nc_u32_e32 v0, s14, v62
	v_dual_mov_b32 v4, v61 :: v_dual_add_nc_u32 v1, s14, v54
	v_add_nc_u32_e32 v2, s14, v63
	v_add_nc_u32_e32 v3, s14, v53
	s_mov_b32 s39, 0
	s_mov_b32 s40, 0
                                        ; implicit-def: $sgpr41
	s_branch .LBB103_22
.LBB103_21:                             ;   in Loop: Header=BB103_22 Depth=3
	s_or_b32 exec_lo, exec_lo, s2
	s_delay_alu instid0(SALU_CYCLE_1) | instskip(NEXT) | instid1(SALU_CYCLE_1)
	s_and_b32 s2, exec_lo, s41
	s_or_b32 s39, s2, s39
	s_delay_alu instid0(SALU_CYCLE_1)
	s_and_not1_b32 exec_lo, exec_lo, s39
	s_cbranch_execz .LBB103_24
.LBB103_22:                             ;   Parent Loop BB103_12 Depth=1
                                        ;     Parent Loop BB103_17 Depth=2
                                        ; =>    This Inner Loop Header: Depth=3
	s_delay_alu instid0(VALU_DEP_1) | instskip(SKIP_2) | instid1(VALU_DEP_2)
	v_add_nc_u32_e32 v51, s40, v3
	v_add_nc_u32_e32 v5, s40, v53
	s_or_b32 s41, s41, exec_lo
	v_cmp_gt_u32_e32 vcc_lo, s18, v51
	s_delay_alu instid0(VALU_DEP_2) | instskip(NEXT) | instid1(VALU_DEP_1)
	v_cmp_gt_u32_e64 s2, s23, v5
	s_and_b32 s42, s2, vcc_lo
	s_delay_alu instid0(SALU_CYCLE_1)
	s_and_saveexec_b32 s2, s42
	s_cbranch_execz .LBB103_21
; %bb.23:                               ;   in Loop: Header=BB103_22 Depth=3
	v_lshlrev_b64 v[5:6], 1, v[51:52]
	v_add_nc_u32_e32 v51, s40, v2
	v_add_nc_u32_e32 v21, s38, v4
	;; [unrolled: 1-line block ×3, first 2 shown]
	s_delay_alu instid0(VALU_DEP_3) | instskip(SKIP_3) | instid1(VALU_DEP_3)
	v_lshlrev_b64 v[7:8], 1, v[51:52]
	v_add_nc_u32_e32 v51, s40, v0
	v_add_co_u32 v5, vcc_lo, s8, v5
	v_add_co_ci_u32_e32 v6, vcc_lo, s9, v6, vcc_lo
	v_lshlrev_b64 v[13:14], 1, v[51:52]
	v_add_nc_u32_e32 v51, s40, v1
	v_add_co_u32 v9, vcc_lo, s8, v7
	v_add_co_ci_u32_e32 v10, vcc_lo, s9, v8, vcc_lo
	s_delay_alu instid0(VALU_DEP_3)
	v_lshlrev_b64 v[15:16], 1, v[51:52]
	v_add_co_u32 v13, vcc_lo, s8, v13
	v_add_co_ci_u32_e32 v14, vcc_lo, s9, v14, vcc_lo
	s_clause 0x1
	global_load_b128 v[5:8], v[5:6], off
	global_load_b128 v[9:12], v[9:10], off
	v_add_co_u32 v17, vcc_lo, s8, v15
	v_add_co_ci_u32_e32 v18, vcc_lo, s9, v16, vcc_lo
	s_clause 0x1
	global_load_b128 v[13:16], v[13:14], off
	global_load_b128 v[17:20], v[17:18], off
	s_add_i32 s40, s40, s25
	s_waitcnt vmcnt(3)
	ds_store_b128 v4, v[5:8]
	s_waitcnt vmcnt(2)
	ds_store_2addr_b64 v21, v[9:10], v[11:12] offset1:1
	s_cmp_ge_u32 s40, s23
	v_add_nc_u32_e32 v5, s5, v4
	s_cselect_b32 s42, -1, 0
	v_add_nc_u32_e32 v4, s20, v4
	s_and_not1_b32 s41, s41, exec_lo
	s_and_b32 s42, s42, exec_lo
	s_waitcnt vmcnt(1)
	ds_store_2addr_b32 v22, v13, v14 offset1:1
	ds_store_2addr_b32 v22, v15, v16 offset0:2 offset1:3
	s_or_b32 s41, s41, s42
	s_waitcnt vmcnt(0)
	ds_store_2addr_b64 v5, v[17:18], v[19:20] offset1:1
	s_branch .LBB103_21
.LBB103_24:                             ;   in Loop: Header=BB103_17 Depth=2
	s_or_b32 exec_lo, exec_lo, s39
.LBB103_25:                             ;   in Loop: Header=BB103_17 Depth=2
	s_waitcnt lgkmcnt(0)
	s_barrier
	buffer_gl0_inv
	s_and_saveexec_b32 s2, s1
	s_cbranch_execz .LBB103_16
.LBB103_26:                             ;   in Loop: Header=BB103_17 Depth=2
	v_dual_mov_b32 v44, 0 :: v_dual_add_nc_u32 v73, s15, v60
	v_dual_mov_b32 v46, 0 :: v_dual_mov_b32 v47, 0
	v_dual_mov_b32 v24, 0 :: v_dual_mov_b32 v25, 0
	s_delay_alu instid0(VALU_DEP_3) | instskip(SKIP_2) | instid1(VALU_DEP_3)
	v_min_u32_e32 v51, s26, v73
	v_dual_mov_b32 v45, 0 :: v_dual_add_nc_u32 v74, 0x100, v73
	v_dual_mov_b32 v26, 0 :: v_dual_mov_b32 v27, 0
	v_lshlrev_b64 v[0:1], 1, v[51:52]
	s_delay_alu instid0(VALU_DEP_3) | instskip(SKIP_2) | instid1(VALU_DEP_4)
	v_min_u32_e32 v51, s26, v74
	v_dual_mov_b32 v40, 0 :: v_dual_mov_b32 v41, 0
	v_dual_mov_b32 v42, 0 :: v_dual_mov_b32 v43, 0
	v_add_co_u32 v4, vcc_lo, s6, v0
	v_add_co_ci_u32_e32 v5, vcc_lo, s7, v1, vcc_lo
	v_lshlrev_b64 v[0:1], 1, v[51:52]
	s_delay_alu instid0(VALU_DEP_3) | instskip(NEXT) | instid1(VALU_DEP_3)
	v_add_co_u32 v2, vcc_lo, v4, v55
	v_add_co_ci_u32_e32 v3, vcc_lo, v5, v56, vcc_lo
	s_waitcnt vmcnt(0)
	v_dual_mov_b32 v16, 0 :: v_dual_mov_b32 v17, 0
	s_delay_alu instid0(VALU_DEP_4) | instskip(SKIP_3) | instid1(VALU_DEP_4)
	v_add_co_u32 v6, vcc_lo, s6, v0
	v_add_co_ci_u32_e32 v7, vcc_lo, s7, v1, vcc_lo
	v_add_co_u32 v0, vcc_lo, v4, v57
	v_add_co_ci_u32_e32 v1, vcc_lo, v5, v58, vcc_lo
	v_add_co_u32 v4, vcc_lo, v6, v55
	s_delay_alu instid0(VALU_DEP_4)
	v_add_co_ci_u32_e32 v5, vcc_lo, v7, v56, vcc_lo
	v_add_co_u32 v8, vcc_lo, v6, v57
	v_add_co_ci_u32_e32 v9, vcc_lo, v7, v58, vcc_lo
	s_clause 0x3
	global_load_b128 v[28:31], v[2:3], off slc dlc
	global_load_b128 v[20:23], v[0:1], off slc dlc
	;; [unrolled: 1-line block ×4, first 2 shown]
	v_cmp_gt_u32_e32 vcc_lo, s16, v73
	v_dual_mov_b32 v18, 0 :: v_dual_mov_b32 v19, 0
	v_dual_mov_b32 v36, 0 :: v_dual_mov_b32 v37, 0
	;; [unrolled: 1-line block ×9, first 2 shown]
	s_and_saveexec_b32 s39, vcc_lo
	s_cbranch_execz .LBB103_15
; %bb.27:                               ;   in Loop: Header=BB103_17 Depth=2
	v_subrev_nc_u32_e32 v8, s14, v73
	v_cmp_gt_u32_e32 vcc_lo, s16, v74
	v_dual_mov_b32 v9, 0 :: v_dual_mov_b32 v12, 0
	v_dual_mov_b32 v15, 0 :: v_dual_mov_b32 v18, 0
	s_delay_alu instid0(VALU_DEP_4) | instskip(SKIP_1) | instid1(VALU_DEP_2)
	v_dual_mov_b32 v11, 0 :: v_dual_lshlrev_b32 v76, 1, v8
	v_dual_mov_b32 v13, 0 :: v_dual_mov_b32 v16, 0
	v_dual_mov_b32 v10, 0 :: v_dual_add_nc_u32 v75, s38, v76
	v_dual_mov_b32 v19, 0 :: v_dual_mov_b32 v26, 0
	v_dual_mov_b32 v17, 0 :: v_dual_mov_b32 v24, 0
	s_delay_alu instid0(VALU_DEP_3) | instskip(SKIP_2) | instid1(VALU_DEP_3)
	v_dual_mov_b32 v8, 0 :: v_dual_add_nc_u32 v73, s38, v75
	v_mov_b32_e32 v27, 0
	v_dual_mov_b32 v25, 0 :: v_dual_mov_b32 v14, 0
	v_add_nc_u32_e32 v51, s38, v73
	ds_load_b128 v[44:47], v76
	ds_load_b128 v[40:43], v75
	;; [unrolled: 1-line block ×4, first 2 shown]
	s_and_saveexec_b32 s40, vcc_lo
	s_cbranch_execz .LBB103_14
; %bb.28:                               ;   in Loop: Header=BB103_17 Depth=2
	ds_load_b128 v[24:27], v76 offset:512
	ds_load_b128 v[16:19], v75 offset:512
	;; [unrolled: 1-line block ×4, first 2 shown]
	s_branch .LBB103_14
.LBB103_29:                             ;   in Loop: Header=BB103_12 Depth=1
	s_mov_b32 s1, exec_lo
	v_cmpx_le_u32_e64 s19, v50
	s_xor_b32 s1, exec_lo, s1
; %bb.30:                               ;   in Loop: Header=BB103_12 Depth=1
	v_add_nc_u32_e32 v50, s28, v50
                                        ; implicit-def: $vgpr72
                                        ; implicit-def: $vgpr71
                                        ; implicit-def: $vgpr70
                                        ; implicit-def: $vgpr69
                                        ; implicit-def: $vgpr65
                                        ; implicit-def: $vgpr66
                                        ; implicit-def: $vgpr67
                                        ; implicit-def: $vgpr68
; %bb.31:                               ;   in Loop: Header=BB103_12 Depth=1
	s_and_not1_saveexec_b32 s39, s1
	s_cbranch_execz .LBB103_11
; %bb.32:                               ;   in Loop: Header=BB103_12 Depth=1
	v_cvt_i32_f32_e32 v0, v72
	s_waitcnt lgkmcnt(0)
	v_cvt_i32_f32_e32 v1, v71
	v_cvt_i32_f32_e32 v2, v70
	v_xor_b32_e32 v3, 16, v59
	v_cvt_i32_f32_e32 v11, v65
	v_cvt_f32_i32_dpp v0, v0 row_shr:8 row_mask:0xf bank_mask:0xf bound_ctrl:1
	v_cvt_f32_i32_dpp v1, v1 row_shr:8 row_mask:0xf bank_mask:0xf bound_ctrl:1
	;; [unrolled: 1-line block ×3, first 2 shown]
	v_cmp_gt_i32_e32 vcc_lo, 32, v3
	v_cvt_i32_f32_e32 v4, v69
	s_delay_alu instid0(VALU_DEP_4) | instskip(NEXT) | instid1(VALU_DEP_4)
	v_dual_add_f32 v0, v72, v0 :: v_dual_add_f32 v1, v71, v1
	v_dual_add_f32 v2, v70, v2 :: v_dual_cndmask_b32 v3, v59, v3
	v_cvt_i32_f32_e32 v5, v68
	s_delay_alu instid0(VALU_DEP_3) | instskip(NEXT) | instid1(VALU_DEP_4)
	v_cvt_i32_f32_e32 v7, v0
	v_cvt_i32_f32_e32 v8, v1
	s_delay_alu instid0(VALU_DEP_4)
	v_cvt_i32_f32_e32 v9, v2
	v_cvt_i32_f32_e32 v10, v66
	v_cvt_f32_i32_dpp v11, v11 row_shr:8 row_mask:0xf bank_mask:0xf bound_ctrl:1
	v_cvt_f32_i32_dpp v7, v7 row_shr:4 row_mask:0xf bank_mask:0xf bound_ctrl:1
	;; [unrolled: 1-line block ×6, first 2 shown]
	s_delay_alu instid0(VALU_DEP_4)
	v_dual_add_f32 v0, v0, v7 :: v_dual_add_f32 v1, v1, v8
	v_cvt_f32_i32_dpp v10, v10 row_shr:8 row_mask:0xf bank_mask:0xf bound_ctrl:1
	v_cvt_i32_f32_e32 v6, v67
	s_waitcnt vmcnt(0)
	v_dual_add_f32 v3, v69, v4 :: v_dual_lshlrev_b32 v16, 2, v3
	v_cvt_i32_f32_e32 v8, v1
	v_cvt_i32_f32_e32 v7, v0
	v_cvt_f32_i32_dpp v6, v6 row_shr:8 row_mask:0xf bank_mask:0xf bound_ctrl:1
	v_add_f32_e32 v13, v66, v10
	v_cvt_i32_f32_e32 v17, v3
	v_cvt_f32_i32_dpp v8, v8 row_shr:2 row_mask:0xf bank_mask:0xf bound_ctrl:1
	v_add_f32_e32 v2, v2, v9
	v_cvt_f32_i32_dpp v7, v7 row_shr:2 row_mask:0xf bank_mask:0xf bound_ctrl:1
	v_dual_add_f32 v6, v67, v6 :: v_dual_add_f32 v11, v65, v11
	s_delay_alu instid0(VALU_DEP_4) | instskip(NEXT) | instid1(VALU_DEP_4)
	v_add_f32_e32 v1, v1, v8
	v_cvt_i32_f32_e32 v9, v2
	s_delay_alu instid0(VALU_DEP_4) | instskip(NEXT) | instid1(VALU_DEP_3)
	v_add_f32_e32 v0, v0, v7
	v_cvt_i32_f32_e32 v7, v1
	s_delay_alu instid0(VALU_DEP_3) | instskip(NEXT) | instid1(VALU_DEP_2)
	v_cvt_f32_i32_dpp v9, v9 row_shr:2 row_mask:0xf bank_mask:0xf bound_ctrl:1
	v_cvt_f32_i32_dpp v7, v7 row_shr:1 row_mask:0xf bank_mask:0xf bound_ctrl:1
	s_delay_alu instid0(VALU_DEP_2) | instskip(NEXT) | instid1(VALU_DEP_2)
	v_add_f32_e32 v2, v2, v9
	v_add_f32_e32 v10, v1, v7
	s_delay_alu instid0(VALU_DEP_2) | instskip(SKIP_1) | instid1(VALU_DEP_2)
	v_cvt_i32_f32_e32 v8, v2
	v_cvt_i32_f32_e32 v1, v6
	v_cvt_f32_i32_dpp v8, v8 row_shr:1 row_mask:0xf bank_mask:0xf bound_ctrl:1
	v_add_f32_e32 v4, v68, v5
	v_cvt_i32_f32_e32 v5, v0
	s_delay_alu instid0(VALU_DEP_4) | instskip(NEXT) | instid1(VALU_DEP_4)
	v_cvt_f32_i32_dpp v1, v1 row_shr:4 row_mask:0xf bank_mask:0xf bound_ctrl:1
	v_add_f32_e32 v7, v2, v8
	v_cvt_f32_i32_dpp v8, v17 row_shr:4 row_mask:0xf bank_mask:0xf bound_ctrl:1
	s_delay_alu instid0(VALU_DEP_4)
	v_cvt_f32_i32_dpp v5, v5 row_shr:1 row_mask:0xf bank_mask:0xf bound_ctrl:1
	v_cvt_i32_f32_e32 v2, v13
	v_add_f32_e32 v1, v6, v1
	ds_bpermute_b32 v12, v16, v10
	v_dual_add_f32 v3, v3, v8 :: v_dual_add_f32 v14, v0, v5
	v_cvt_i32_f32_e32 v0, v4
	v_cvt_i32_f32_e32 v5, v11
	v_cvt_f32_i32_dpp v2, v2 row_shr:4 row_mask:0xf bank_mask:0xf bound_ctrl:1
	v_cvt_i32_f32_e32 v8, v1
	ds_bpermute_b32 v15, v16, v14
	v_cvt_f32_i32_dpp v0, v0 row_shr:4 row_mask:0xf bank_mask:0xf bound_ctrl:1
	v_cvt_f32_i32_dpp v5, v5 row_shr:4 row_mask:0xf bank_mask:0xf bound_ctrl:1
	ds_bpermute_b32 v9, v16, v7
	v_cvt_f32_i32_dpp v8, v8 row_shr:2 row_mask:0xf bank_mask:0xf bound_ctrl:1
	v_add_f32_e32 v0, v4, v0
	v_add_f32_e32 v4, v11, v5
	;; [unrolled: 1-line block ×3, first 2 shown]
	v_cvt_i32_f32_e32 v5, v3
	v_add_f32_e32 v1, v1, v8
	s_delay_alu instid0(VALU_DEP_4) | instskip(NEXT) | instid1(VALU_DEP_3)
	v_cvt_i32_f32_e32 v13, v4
	v_cvt_f32_i32_dpp v5, v5 row_shr:2 row_mask:0xf bank_mask:0xf bound_ctrl:1
	s_delay_alu instid0(VALU_DEP_3) | instskip(NEXT) | instid1(VALU_DEP_3)
	v_cvt_i32_f32_e32 v8, v1
	v_cvt_f32_i32_dpp v13, v13 row_shr:2 row_mask:0xf bank_mask:0xf bound_ctrl:1
	s_delay_alu instid0(VALU_DEP_3) | instskip(SKIP_1) | instid1(VALU_DEP_4)
	v_add_f32_e32 v3, v3, v5
	v_cvt_i32_f32_e32 v6, v0
	v_cvt_f32_i32_dpp v8, v8 row_shr:1 row_mask:0xf bank_mask:0xf bound_ctrl:1
	s_delay_alu instid0(VALU_DEP_4) | instskip(SKIP_3) | instid1(VALU_DEP_4)
	v_add_f32_e32 v5, v4, v13
	v_cvt_i32_f32_e32 v11, v2
	v_cvt_i32_f32_e32 v4, v3
	v_cvt_f32_i32_dpp v6, v6 row_shr:2 row_mask:0xf bank_mask:0xf bound_ctrl:1
	v_cvt_i32_f32_e32 v13, v5
	s_delay_alu instid0(VALU_DEP_4) | instskip(NEXT) | instid1(VALU_DEP_4)
	v_cvt_f32_i32_dpp v11, v11 row_shr:2 row_mask:0xf bank_mask:0xf bound_ctrl:1
	v_cvt_f32_i32_dpp v4, v4 row_shr:1 row_mask:0xf bank_mask:0xf bound_ctrl:1
	s_delay_alu instid0(VALU_DEP_4) | instskip(NEXT) | instid1(VALU_DEP_4)
	v_add_f32_e32 v0, v0, v6
	v_cvt_f32_i32_dpp v13, v13 row_shr:1 row_mask:0xf bank_mask:0xf bound_ctrl:1
	s_delay_alu instid0(VALU_DEP_4) | instskip(NEXT) | instid1(VALU_DEP_1)
	v_add_f32_e32 v2, v2, v11
	v_cvt_i32_f32_e32 v11, v2
	s_delay_alu instid0(VALU_DEP_1) | instskip(SKIP_3) | instid1(VALU_DEP_4)
	v_cvt_f32_i32_dpp v17, v11 row_shr:1 row_mask:0xf bank_mask:0xf bound_ctrl:1
	v_add_f32_e32 v11, v3, v4
	v_cvt_i32_f32_e32 v6, v0
	v_add_f32_e32 v4, v1, v8
	v_add_f32_e32 v2, v2, v17
	s_delay_alu instid0(VALU_DEP_3)
	v_cvt_f32_i32_dpp v6, v6 row_shr:1 row_mask:0xf bank_mask:0xf bound_ctrl:1
	ds_bpermute_b32 v3, v16, v2
	v_add_f32_e32 v6, v0, v6
	v_add_f32_e32 v0, v5, v13
	ds_bpermute_b32 v13, v16, v11
	ds_bpermute_b32 v5, v16, v4
	;; [unrolled: 1-line block ×4, first 2 shown]
	s_and_saveexec_b32 s14, s0
	s_cbranch_execz .LBB103_44
; %bb.33:                               ;   in Loop: Header=BB103_12 Depth=1
	v_dual_mov_b32 v23, 0 :: v_dual_mov_b32 v22, 0
	v_dual_mov_b32 v21, 0 :: v_dual_mov_b32 v20, 0
	;; [unrolled: 1-line block ×4, first 2 shown]
	s_and_not1_b32 vcc_lo, exec_lo, s29
	s_cbranch_vccnz .LBB103_35
; %bb.34:                               ;   in Loop: Header=BB103_12 Depth=1
	v_add_nc_u32_e32 v16, 1, v50
	v_mul_hi_u32 v17, v50, v64
	s_delay_alu instid0(VALU_DEP_2) | instskip(NEXT) | instid1(VALU_DEP_2)
	v_mul_hi_u32 v18, v16, v64
	v_mul_lo_u32 v17, v17, s4
	s_delay_alu instid0(VALU_DEP_2) | instskip(NEXT) | instid1(VALU_DEP_2)
	v_mul_lo_u32 v18, v18, s4
	v_sub_nc_u32_e32 v17, v50, v17
	s_delay_alu instid0(VALU_DEP_2) | instskip(NEXT) | instid1(VALU_DEP_2)
	v_sub_nc_u32_e32 v16, v16, v18
	v_subrev_nc_u32_e32 v18, s4, v17
	v_cmp_le_u32_e32 vcc_lo, s4, v17
	s_delay_alu instid0(VALU_DEP_3) | instskip(NEXT) | instid1(VALU_DEP_3)
	v_subrev_nc_u32_e32 v19, s4, v16
	v_cndmask_b32_e32 v18, v17, v18, vcc_lo
	v_cmp_le_u32_e32 vcc_lo, s4, v16
	v_mov_b32_e32 v17, v52
	s_delay_alu instid0(VALU_DEP_4) | instskip(SKIP_3) | instid1(VALU_DEP_2)
	v_cndmask_b32_e32 v16, v16, v19, vcc_lo
	v_mov_b32_e32 v19, v52
	v_subrev_nc_u32_e32 v21, s4, v18
	v_cmp_le_u32_e32 vcc_lo, s4, v18
	v_cndmask_b32_e32 v51, v18, v21, vcc_lo
	v_subrev_nc_u32_e32 v24, s4, v16
	v_cmp_le_u32_e32 vcc_lo, s4, v16
	v_mov_b32_e32 v23, v52
	s_delay_alu instid0(VALU_DEP_4) | instskip(SKIP_4) | instid1(VALU_DEP_3)
	v_dual_mov_b32 v20, v52 :: v_dual_add_nc_u32 v21, s33, v51
	v_add_nc_u32_e32 v18, s31, v51
	v_cndmask_b32_e32 v16, v16, v24, vcc_lo
	v_lshlrev_b64 v[24:25], 1, v[51:52]
	v_dual_mov_b32 v22, v52 :: v_dual_add_nc_u32 v51, s37, v51
	v_lshlrev_b64 v[26:27], 1, v[16:17]
	v_lshlrev_b64 v[17:18], 1, v[18:19]
	s_delay_alu instid0(VALU_DEP_4)
	v_add_co_u32 v24, vcc_lo, s10, v24
	v_add_nc_u32_e32 v19, s31, v16
	v_add_co_ci_u32_e32 v25, vcc_lo, s11, v25, vcc_lo
	v_lshlrev_b64 v[28:29], 1, v[21:22]
	v_add_co_u32 v26, vcc_lo, s10, v26
	v_add_nc_u32_e32 v22, s33, v16
	v_add_co_ci_u32_e32 v27, vcc_lo, s11, v27, vcc_lo
	v_lshlrev_b64 v[30:31], 1, v[51:52]
	v_add_nc_u32_e32 v51, s37, v16
	v_lshlrev_b64 v[19:20], 1, v[19:20]
	v_add_co_u32 v16, vcc_lo, s10, v17
	v_add_co_ci_u32_e32 v17, vcc_lo, s11, v18, vcc_lo
	v_lshlrev_b64 v[21:22], 1, v[22:23]
	v_add_co_u32 v28, vcc_lo, s10, v28
	v_add_co_ci_u32_e32 v29, vcc_lo, s11, v29, vcc_lo
	v_add_co_u32 v18, vcc_lo, s10, v19
	v_add_co_ci_u32_e32 v19, vcc_lo, s11, v20, vcc_lo
	v_add_co_u32 v32, vcc_lo, s10, v21
	v_lshlrev_b64 v[20:21], 1, v[51:52]
	v_add_co_ci_u32_e32 v33, vcc_lo, s11, v22, vcc_lo
	v_add_co_u32 v30, vcc_lo, s10, v30
	v_add_co_ci_u32_e32 v31, vcc_lo, s11, v31, vcc_lo
	s_delay_alu instid0(VALU_DEP_4)
	v_add_co_u32 v34, vcc_lo, s10, v20
	v_add_co_ci_u32_e32 v35, vcc_lo, s11, v21, vcc_lo
	s_clause 0x7
	global_load_u16 v23, v[24:25], off
	global_load_u16 v22, v[26:27], off
	;; [unrolled: 1-line block ×8, first 2 shown]
.LBB103_35:                             ;   in Loop: Header=BB103_12 Depth=1
	v_cmp_ne_u32_e32 vcc_lo, 0, v48
	s_and_saveexec_b32 s2, vcc_lo
	s_cbranch_execnz .LBB103_49
; %bb.36:                               ;   in Loop: Header=BB103_12 Depth=1
	s_or_b32 exec_lo, exec_lo, s2
	v_cmp_ne_u32_e64 s1, 0, v49
	s_delay_alu instid0(VALU_DEP_1)
	s_and_saveexec_b32 s15, s1
	s_cbranch_execnz .LBB103_50
.LBB103_37:                             ;   in Loop: Header=BB103_12 Depth=1
	s_or_b32 exec_lo, exec_lo, s15
	v_add_nc_u32_e32 v51, s19, v50
	s_and_saveexec_b32 s15, vcc_lo
	s_cbranch_execnz .LBB103_51
.LBB103_38:                             ;   in Loop: Header=BB103_12 Depth=1
	s_or_b32 exec_lo, exec_lo, s15
	s_and_saveexec_b32 s15, s1
	s_cbranch_execnz .LBB103_52
.LBB103_39:                             ;   in Loop: Header=BB103_12 Depth=1
	s_or_b32 exec_lo, exec_lo, s15
	v_add_nc_u32_e32 v51, s19, v51
	s_and_saveexec_b32 s15, vcc_lo
	s_cbranch_execnz .LBB103_53
.LBB103_40:                             ;   in Loop: Header=BB103_12 Depth=1
	s_or_b32 exec_lo, exec_lo, s15
	s_and_saveexec_b32 s15, s1
	s_cbranch_execnz .LBB103_54
.LBB103_41:                             ;   in Loop: Header=BB103_12 Depth=1
	s_or_b32 exec_lo, exec_lo, s15
	v_add_nc_u32_e32 v51, s19, v51
	s_and_saveexec_b32 s2, vcc_lo
	s_cbranch_execnz .LBB103_55
.LBB103_42:                             ;   in Loop: Header=BB103_12 Depth=1
	s_or_b32 exec_lo, exec_lo, s2
	s_delay_alu instid0(SALU_CYCLE_1)
	s_and_b32 exec_lo, exec_lo, s1
	s_cbranch_execz .LBB103_44
.LBB103_43:                             ;   in Loop: Header=BB103_12 Depth=1
	s_waitcnt lgkmcnt(0)
	v_dual_add_f32 v0, v0, v1 :: v_dual_add_nc_u32 v51, 1, v51
	s_waitcnt vmcnt(0)
	v_cvt_f32_f16_e32 v1, v16
	s_delay_alu instid0(VALU_DEP_1) | instskip(NEXT) | instid1(VALU_DEP_3)
	v_add_f32_e32 v2, v0, v1
	v_lshlrev_b64 v[0:1], 1, v[51:52]
	s_delay_alu instid0(VALU_DEP_2) | instskip(NEXT) | instid1(VALU_DEP_2)
	v_cvt_f16_f32_e32 v2, v2
	v_add_co_u32 v0, vcc_lo, s12, v0
	s_delay_alu instid0(VALU_DEP_3)
	v_add_co_ci_u32_e32 v1, vcc_lo, s13, v1, vcc_lo
	global_store_b16 v[0:1], v2, off
.LBB103_44:                             ;   in Loop: Header=BB103_12 Depth=1
	s_or_b32 exec_lo, exec_lo, s14
	v_add_nc_u32_e32 v50, s28, v50
	s_delay_alu instid0(VALU_DEP_1) | instskip(SKIP_1) | instid1(VALU_DEP_2)
	v_add_nc_u32_e32 v0, 2, v50
	v_cmp_gt_u32_e32 vcc_lo, s19, v50
	v_cmp_le_u32_e64 s1, s19, v0
	s_delay_alu instid0(VALU_DEP_1) | instskip(NEXT) | instid1(SALU_CYCLE_1)
	s_and_b32 s1, vcc_lo, s1
	s_and_saveexec_b32 s40, s1
	s_cbranch_execz .LBB103_10
; %bb.45:                               ;   in Loop: Header=BB103_12 Depth=1
	s_mov_b32 s41, exec_lo
	v_cmpx_ne_u32_e64 s30, v50
	s_cbranch_execz .LBB103_9
; %bb.46:                               ;   in Loop: Header=BB103_12 Depth=1
	v_subrev_nc_u32_e32 v0, s30, v50
	s_mov_b32 s42, 0
	s_mov_b64 s[14:15], 0
	s_delay_alu instid0(VALU_DEP_1)
	v_cmp_lt_u32_e32 vcc_lo, 1, v0
	v_cndmask_b32_e32 v0, 1, v0, vcc_lo
.LBB103_47:                             ;   Parent Loop BB103_12 Depth=1
                                        ; =>  This Inner Loop Header: Depth=2
	s_cmp_lg_u32 s14, 1
	s_cselect_b32 vcc_lo, -1, 0
	s_cmp_lg_u32 s14, 0
	v_cndmask_b32_e32 v49, 0, v49, vcc_lo
	s_cselect_b32 s1, -1, 0
	s_add_u32 s14, s14, 1
	v_cndmask_b32_e64 v48, 0, v48, s1
	v_cmp_eq_u32_e64 s2, s14, v0
	s_addc_u32 s15, s15, 0
	s_delay_alu instid0(VALU_DEP_1) | instskip(NEXT) | instid1(SALU_CYCLE_1)
	s_or_b32 s42, s2, s42
	s_and_not1_b32 exec_lo, exec_lo, s42
	s_cbranch_execnz .LBB103_47
; %bb.48:                               ;   in Loop: Header=BB103_12 Depth=1
	s_or_b32 exec_lo, exec_lo, s42
	s_branch .LBB103_9
.LBB103_49:                             ;   in Loop: Header=BB103_12 Depth=1
	s_waitcnt lgkmcnt(6)
	v_dual_add_f32 v14, v14, v15 :: v_dual_mov_b32 v51, v52
	s_waitcnt vmcnt(7)
	v_cvt_f32_f16_e32 v15, v23
	s_delay_alu instid0(VALU_DEP_1) | instskip(NEXT) | instid1(VALU_DEP_3)
	v_add_f32_e32 v23, v14, v15
	v_lshlrev_b64 v[14:15], 1, v[50:51]
	s_delay_alu instid0(VALU_DEP_2) | instskip(NEXT) | instid1(VALU_DEP_2)
	v_cvt_f16_f32_e32 v23, v23
	v_add_co_u32 v14, s1, s12, v14
	s_delay_alu instid0(VALU_DEP_1) | instskip(SKIP_3) | instid1(VALU_DEP_1)
	v_add_co_ci_u32_e64 v15, s1, s13, v15, s1
	global_store_b16 v[14:15], v23, off
	s_or_b32 exec_lo, exec_lo, s2
	v_cmp_ne_u32_e64 s1, 0, v49
	s_and_saveexec_b32 s15, s1
	s_cbranch_execz .LBB103_37
.LBB103_50:                             ;   in Loop: Header=BB103_12 Depth=1
	s_waitcnt lgkmcnt(7)
	v_dual_add_f32 v10, v10, v12 :: v_dual_mov_b32 v51, v52
	s_waitcnt vmcnt(6)
	v_cvt_f32_f16_e32 v12, v22
	s_waitcnt lgkmcnt(6)
	s_delay_alu instid0(VALU_DEP_2) | instskip(NEXT) | instid1(VALU_DEP_2)
	v_lshlrev_b64 v[14:15], 1, v[50:51]
	v_add_f32_e32 v10, v10, v12
	s_delay_alu instid0(VALU_DEP_1) | instskip(NEXT) | instid1(VALU_DEP_3)
	v_cvt_f16_f32_e32 v10, v10
	v_add_co_u32 v14, s2, s34, v14
	s_delay_alu instid0(VALU_DEP_1)
	v_add_co_ci_u32_e64 v15, s2, s35, v15, s2
	global_store_b16 v[14:15], v10, off
	s_or_b32 exec_lo, exec_lo, s15
	v_add_nc_u32_e32 v51, s19, v50
	s_and_saveexec_b32 s15, vcc_lo
	s_cbranch_execz .LBB103_38
.LBB103_51:                             ;   in Loop: Header=BB103_12 Depth=1
	s_waitcnt lgkmcnt(5)
	v_add_f32_e32 v7, v7, v9
	s_waitcnt vmcnt(5)
	v_cvt_f32_f16_e32 v9, v21
	s_delay_alu instid0(VALU_DEP_1) | instskip(SKIP_1) | instid1(VALU_DEP_2)
	v_add_f32_e32 v7, v7, v9
	v_lshlrev_b64 v[9:10], 1, v[51:52]
	v_cvt_f16_f32_e32 v7, v7
	s_delay_alu instid0(VALU_DEP_2) | instskip(NEXT) | instid1(VALU_DEP_1)
	v_add_co_u32 v9, s2, s12, v9
	v_add_co_ci_u32_e64 v10, s2, s13, v10, s2
	global_store_b16 v[9:10], v7, off
	s_or_b32 exec_lo, exec_lo, s15
	s_and_saveexec_b32 s15, s1
	s_cbranch_execz .LBB103_39
.LBB103_52:                             ;   in Loop: Header=BB103_12 Depth=1
	s_waitcnt lgkmcnt(3)
	v_dual_add_f32 v7, v11, v13 :: v_dual_mov_b32 v10, v52
	v_add_nc_u32_e32 v9, 1, v51
	s_waitcnt vmcnt(4)
	v_cvt_f32_f16_e32 v11, v20
	s_delay_alu instid0(VALU_DEP_2) | instskip(NEXT) | instid1(VALU_DEP_2)
	v_lshlrev_b64 v[9:10], 1, v[9:10]
	v_add_f32_e32 v7, v7, v11
	s_delay_alu instid0(VALU_DEP_1) | instskip(NEXT) | instid1(VALU_DEP_3)
	v_cvt_f16_f32_e32 v7, v7
	v_add_co_u32 v9, s2, s12, v9
	s_delay_alu instid0(VALU_DEP_1)
	v_add_co_ci_u32_e64 v10, s2, s13, v10, s2
	global_store_b16 v[9:10], v7, off
	s_or_b32 exec_lo, exec_lo, s15
	v_add_nc_u32_e32 v51, s19, v51
	s_and_saveexec_b32 s15, vcc_lo
	s_cbranch_execz .LBB103_40
.LBB103_53:                             ;   in Loop: Header=BB103_12 Depth=1
	s_waitcnt lgkmcnt(1)
	v_add_f32_e32 v6, v6, v8
	s_waitcnt vmcnt(3)
	v_cvt_f32_f16_e32 v7, v19
	s_delay_alu instid0(VALU_DEP_1) | instskip(SKIP_1) | instid1(VALU_DEP_2)
	v_add_f32_e32 v8, v6, v7
	v_lshlrev_b64 v[6:7], 1, v[51:52]
	v_cvt_f16_f32_e32 v8, v8
	s_delay_alu instid0(VALU_DEP_2) | instskip(NEXT) | instid1(VALU_DEP_1)
	v_add_co_u32 v6, s2, s12, v6
	v_add_co_ci_u32_e64 v7, s2, s13, v7, s2
	global_store_b16 v[6:7], v8, off
	s_or_b32 exec_lo, exec_lo, s15
	s_and_saveexec_b32 s15, s1
	s_cbranch_execz .LBB103_41
.LBB103_54:                             ;   in Loop: Header=BB103_12 Depth=1
	s_waitcnt lgkmcnt(2)
	v_add_f32_e32 v6, v4, v5
	v_dual_mov_b32 v5, v52 :: v_dual_add_nc_u32 v4, 1, v51
	s_waitcnt vmcnt(2)
	v_cvt_f32_f16_e32 v7, v18
	s_delay_alu instid0(VALU_DEP_2) | instskip(NEXT) | instid1(VALU_DEP_2)
	v_lshlrev_b64 v[4:5], 1, v[4:5]
	v_add_f32_e32 v6, v6, v7
	s_delay_alu instid0(VALU_DEP_1) | instskip(NEXT) | instid1(VALU_DEP_3)
	v_cvt_f16_f32_e32 v6, v6
	v_add_co_u32 v4, s2, s12, v4
	s_delay_alu instid0(VALU_DEP_1)
	v_add_co_ci_u32_e64 v5, s2, s13, v5, s2
	global_store_b16 v[4:5], v6, off
	s_or_b32 exec_lo, exec_lo, s15
	v_add_nc_u32_e32 v51, s19, v51
	s_and_saveexec_b32 s2, vcc_lo
	s_cbranch_execz .LBB103_42
.LBB103_55:                             ;   in Loop: Header=BB103_12 Depth=1
	s_waitcnt lgkmcnt(4)
	v_add_f32_e32 v2, v2, v3
	s_waitcnt vmcnt(1)
	v_cvt_f32_f16_e32 v3, v17
	s_delay_alu instid0(VALU_DEP_1) | instskip(SKIP_1) | instid1(VALU_DEP_2)
	v_add_f32_e32 v4, v2, v3
	v_lshlrev_b64 v[2:3], 1, v[51:52]
	v_cvt_f16_f32_e32 v4, v4
	s_delay_alu instid0(VALU_DEP_2) | instskip(NEXT) | instid1(VALU_DEP_3)
	v_add_co_u32 v2, vcc_lo, s12, v2
	v_add_co_ci_u32_e32 v3, vcc_lo, s13, v3, vcc_lo
	global_store_b16 v[2:3], v4, off
	s_or_b32 exec_lo, exec_lo, s2
	s_delay_alu instid0(SALU_CYCLE_1)
	s_and_b32 exec_lo, exec_lo, s1
	s_cbranch_execnz .LBB103_43
	s_branch .LBB103_44
.LBB103_56:
	s_nop 0
	s_sendmsg sendmsg(MSG_DEALLOC_VGPRS)
	s_endpgm
	.section	.rodata,"a",@progbits
	.p2align	6, 0x0
	.amdhsa_kernel _Z16wvSplitK_hf_big_I6__halfLi32ELi2ELi16ELi8ELi2ELi4EEviiiiiiPKT_S3_S3_PS1_ii
		.amdhsa_group_segment_fixed_size 65536
		.amdhsa_private_segment_fixed_size 0
		.amdhsa_kernarg_size 64
		.amdhsa_user_sgpr_count 15
		.amdhsa_user_sgpr_dispatch_ptr 0
		.amdhsa_user_sgpr_queue_ptr 0
		.amdhsa_user_sgpr_kernarg_segment_ptr 1
		.amdhsa_user_sgpr_dispatch_id 0
		.amdhsa_user_sgpr_private_segment_size 0
		.amdhsa_wavefront_size32 1
		.amdhsa_uses_dynamic_stack 0
		.amdhsa_enable_private_segment 0
		.amdhsa_system_sgpr_workgroup_id_x 1
		.amdhsa_system_sgpr_workgroup_id_y 0
		.amdhsa_system_sgpr_workgroup_id_z 0
		.amdhsa_system_sgpr_workgroup_info 0
		.amdhsa_system_vgpr_workitem_id 1
		.amdhsa_next_free_vgpr 77
		.amdhsa_next_free_sgpr 43
		.amdhsa_reserve_vcc 1
		.amdhsa_float_round_mode_32 0
		.amdhsa_float_round_mode_16_64 0
		.amdhsa_float_denorm_mode_32 3
		.amdhsa_float_denorm_mode_16_64 3
		.amdhsa_dx10_clamp 1
		.amdhsa_ieee_mode 1
		.amdhsa_fp16_overflow 0
		.amdhsa_workgroup_processor_mode 1
		.amdhsa_memory_ordered 1
		.amdhsa_forward_progress 0
		.amdhsa_shared_vgpr_count 0
		.amdhsa_exception_fp_ieee_invalid_op 0
		.amdhsa_exception_fp_denorm_src 0
		.amdhsa_exception_fp_ieee_div_zero 0
		.amdhsa_exception_fp_ieee_overflow 0
		.amdhsa_exception_fp_ieee_underflow 0
		.amdhsa_exception_fp_ieee_inexact 0
		.amdhsa_exception_int_div_zero 0
	.end_amdhsa_kernel
	.section	.text._Z16wvSplitK_hf_big_I6__halfLi32ELi2ELi16ELi8ELi2ELi4EEviiiiiiPKT_S3_S3_PS1_ii,"axG",@progbits,_Z16wvSplitK_hf_big_I6__halfLi32ELi2ELi16ELi8ELi2ELi4EEviiiiiiPKT_S3_S3_PS1_ii,comdat
.Lfunc_end103:
	.size	_Z16wvSplitK_hf_big_I6__halfLi32ELi2ELi16ELi8ELi2ELi4EEviiiiiiPKT_S3_S3_PS1_ii, .Lfunc_end103-_Z16wvSplitK_hf_big_I6__halfLi32ELi2ELi16ELi8ELi2ELi4EEviiiiiiPKT_S3_S3_PS1_ii
                                        ; -- End function
	.section	.AMDGPU.csdata,"",@progbits
; Kernel info:
; codeLenInByte = 5400
; NumSgprs: 45
; NumVgprs: 77
; ScratchSize: 0
; MemoryBound: 0
; FloatMode: 240
; IeeeMode: 1
; LDSByteSize: 65536 bytes/workgroup (compile time only)
; SGPRBlocks: 5
; VGPRBlocks: 9
; NumSGPRsForWavesPerEU: 45
; NumVGPRsForWavesPerEU: 77
; Occupancy: 8
; WaveLimiterHint : 0
; COMPUTE_PGM_RSRC2:SCRATCH_EN: 0
; COMPUTE_PGM_RSRC2:USER_SGPR: 15
; COMPUTE_PGM_RSRC2:TRAP_HANDLER: 0
; COMPUTE_PGM_RSRC2:TGID_X_EN: 1
; COMPUTE_PGM_RSRC2:TGID_Y_EN: 0
; COMPUTE_PGM_RSRC2:TGID_Z_EN: 0
; COMPUTE_PGM_RSRC2:TIDIG_COMP_CNT: 1
	.section	.text._Z16wvSplitK_hf_sml_I6__halfLi32ELi3ELi16ELi8ELi2ELi4EEviiiiiiPKT_S3_S3_PS1_ii,"axG",@progbits,_Z16wvSplitK_hf_sml_I6__halfLi32ELi3ELi16ELi8ELi2ELi4EEviiiiiiPKT_S3_S3_PS1_ii,comdat
	.protected	_Z16wvSplitK_hf_sml_I6__halfLi32ELi3ELi16ELi8ELi2ELi4EEviiiiiiPKT_S3_S3_PS1_ii ; -- Begin function _Z16wvSplitK_hf_sml_I6__halfLi32ELi3ELi16ELi8ELi2ELi4EEviiiiiiPKT_S3_S3_PS1_ii
	.globl	_Z16wvSplitK_hf_sml_I6__halfLi32ELi3ELi16ELi8ELi2ELi4EEviiiiiiPKT_S3_S3_PS1_ii
	.p2align	8
	.type	_Z16wvSplitK_hf_sml_I6__halfLi32ELi3ELi16ELi8ELi2ELi4EEviiiiiiPKT_S3_S3_PS1_ii,@function
_Z16wvSplitK_hf_sml_I6__halfLi32ELi3ELi16ELi8ELi2ELi4EEviiiiiiPKT_S3_S3_PS1_ii: ; @_Z16wvSplitK_hf_sml_I6__halfLi32ELi3ELi16ELi8ELi2ELi4EEviiiiiiPKT_S3_S3_PS1_ii
; %bb.0:
	s_load_b128 s[4:7], s[0:1], 0x0
	v_and_b32_e32 v1, 0x3ff, v0
	v_bfe_u32 v0, v0, 10, 10
	s_mov_b32 s8, exec_lo
	s_delay_alu instid0(VALU_DEP_2) | instskip(NEXT) | instid1(VALU_DEP_1)
	v_lshlrev_b32_e32 v68, 3, v1
	v_lshl_add_u32 v3, v0, 8, v68
	s_waitcnt lgkmcnt(0)
	s_lshl_b32 s14, s6, 2
	s_delay_alu instid0(SALU_CYCLE_1)
	s_min_u32 s9, s14, 0x8000
	s_delay_alu instid0(VALU_DEP_1) | instid1(SALU_CYCLE_1)
	v_cmpx_gt_u32_e64 s9, v3
	s_cbranch_execz .LBB104_9
; %bb.1:
	s_load_b64 s[2:3], s[0:1], 0x20
	v_lshlrev_b32_e32 v2, 1, v3
	v_add_nc_u32_e32 v8, 0x1000, v3
	s_mov_b32 s10, exec_lo
	s_waitcnt lgkmcnt(0)
	global_load_b128 v[4:7], v2, s[2:3]
	s_waitcnt vmcnt(0)
	ds_store_b128 v2, v[4:7]
	v_cmpx_gt_u32_e64 s9, v8
	s_xor_b32 s10, exec_lo, s10
	s_cbranch_execz .LBB104_9
; %bb.2:
	v_add_co_u32 v4, s2, s2, v2
	s_delay_alu instid0(VALU_DEP_1) | instskip(SKIP_1) | instid1(VALU_DEP_3)
	v_add_co_ci_u32_e64 v5, null, s3, 0, s2
	v_add_nc_u32_e32 v10, 0x2000, v3
	v_add_co_u32 v6, vcc_lo, 0x2000, v4
	s_delay_alu instid0(VALU_DEP_3)
	v_add_co_ci_u32_e32 v7, vcc_lo, 0, v5, vcc_lo
	s_mov_b32 s2, exec_lo
	global_load_b128 v[6:9], v[6:7], off
	s_waitcnt vmcnt(0)
	ds_store_b128 v2, v[6:9] offset:8192
	v_cmpx_gt_u32_e64 s9, v10
	s_xor_b32 s2, exec_lo, s2
	s_cbranch_execz .LBB104_9
; %bb.3:
	v_add_co_u32 v6, vcc_lo, 0x4000, v4
	v_add_co_ci_u32_e32 v7, vcc_lo, 0, v5, vcc_lo
	v_add_nc_u32_e32 v10, 0x3000, v3
	s_mov_b32 s2, exec_lo
	global_load_b128 v[6:9], v[6:7], off
	s_waitcnt vmcnt(0)
	ds_store_b128 v2, v[6:9] offset:16384
	v_cmpx_gt_u32_e64 s9, v10
	s_xor_b32 s2, exec_lo, s2
	s_cbranch_execz .LBB104_9
; %bb.4:
	v_add_co_u32 v6, vcc_lo, 0x6000, v4
	v_add_co_ci_u32_e32 v7, vcc_lo, 0, v5, vcc_lo
	v_add_nc_u32_e32 v10, 0x4000, v3
	;; [unrolled: 11-line block ×5, first 2 shown]
	s_mov_b32 s2, exec_lo
	global_load_b128 v[6:9], v[6:7], off
	s_waitcnt vmcnt(0)
	ds_store_b128 v2, v[6:9] offset:49152
	v_cmpx_gt_u32_e64 s9, v3
	s_xor_b32 s2, exec_lo, s2
	s_cbranch_execz .LBB104_9
; %bb.8:
	v_add_co_u32 v3, vcc_lo, 0xe000, v4
	v_add_co_ci_u32_e32 v4, vcc_lo, 0, v5, vcc_lo
	global_load_b128 v[3:6], v[3:4], off
	s_waitcnt vmcnt(0)
	ds_store_b128 v2, v[3:6] offset:57344
.LBB104_9:
	s_or_b32 exec_lo, exec_lo, s8
	s_load_b64 s[16:17], s[0:1], 0x38
	s_waitcnt lgkmcnt(0)
	s_barrier
	buffer_gl0_inv
	s_mov_b32 s2, exec_lo
	v_cmpx_gt_u32_e64 s16, v0
	s_cbranch_execz .LBB104_26
; %bb.10:
	s_load_b64 s[2:3], s[0:1], 0x10
	v_mad_u64_u32 v[2:3], null, s15, s16, v[0:1]
	s_delay_alu instid0(VALU_DEP_1) | instskip(NEXT) | instid1(VALU_DEP_1)
	v_lshl_add_u32 v48, v2, 1, v2
	v_cmp_gt_u32_e32 vcc_lo, s7, v48
	s_and_b32 exec_lo, exec_lo, vcc_lo
	s_cbranch_execz .LBB104_26
; %bb.11:
	s_clause 0x1
	s_load_b128 s[8:11], s[0:1], 0x28
	s_load_b64 s[12:13], s[0:1], 0x18
	s_cmp_lg_u32 s4, 0
	s_waitcnt lgkmcnt(0)
	v_cvt_f32_u32_e32 v2, s2
	s_cselect_b32 s1, -1, 0
	s_add_i32 s15, s4, -8
	s_add_i32 s18, s7, -1
	s_mul_i32 s17, s16, s17
	v_rcp_iflag_f32_e32 v2, v2
	v_cmp_eq_u32_e64 s0, 31, v1
	v_mbcnt_lo_u32_b32 v70, -1, 0
	s_mul_i32 s17, s17, 3
	v_lshlrev_b32_e32 v69, 4, v1
	s_cmp_lg_u64 s[8:9], 0
	s_cselect_b32 s19, -1, 0
	s_abs_i32 s20, s3
	s_sub_i32 s22, 0, s2
	v_cvt_f32_u32_e32 v0, s20
	s_sub_i32 s21, 0, s20
	s_sub_i32 s23, 1, s20
	s_mov_b32 s3, 0
	s_delay_alu instid0(VALU_DEP_1) | instskip(SKIP_2) | instid1(VALU_DEP_1)
	v_rcp_iflag_f32_e32 v0, v0
	s_waitcnt_depctr 0xfff
	v_mul_f32_e32 v0, 0x4f7ffffe, v0
	v_cvt_u32_f32_e32 v0, v0
	s_delay_alu instid0(VALU_DEP_1) | instskip(SKIP_1) | instid1(VALU_DEP_2)
	v_readfirstlane_b32 s16, v0
	v_mul_f32_e32 v0, 0x4f7ffffe, v2
	s_mul_i32 s21, s21, s16
	s_delay_alu instid0(VALU_DEP_1) | instskip(SKIP_1) | instid1(SALU_CYCLE_1)
	v_cvt_u32_f32_e32 v0, v0
	s_mul_hi_u32 s21, s16, s21
	s_add_i32 s21, s16, s21
	s_cmp_lt_u32 s20, 2
	s_delay_alu instid0(VALU_DEP_1)
	v_mul_lo_u32 v2, s22, v0
	s_cselect_b32 s23, s23, 1
	s_mul_i32 s16, s6, 6
	s_sub_i32 s24, s23, s20
	s_cmp_ge_u32 s23, s20
	s_cselect_b32 s22, s24, s23
	s_lshr_b32 s23, s21, 31
	s_mul_hi_u32 s21, s21, 3
	s_mul_i32 s23, s23, s20
	s_mul_i32 s21, s21, s20
	s_sub_i32 s23, 2, s23
	v_mul_hi_u32 v1, v0, v2
	s_sub_i32 s24, s23, s20
	s_cmp_ge_u32 s23, s20
	v_mov_b32_e32 v50, 0
	s_cselect_b32 s23, s24, s23
	s_delay_alu instid0(SALU_CYCLE_1) | instskip(SKIP_1) | instid1(VALU_DEP_2)
	s_sub_i32 s24, s23, s20
	s_cmp_ge_u32 s23, s20
	v_add_nc_u32_e32 v71, v0, v1
	s_cselect_b32 s23, s24, s23
	s_sub_i32 s21, 3, s21
	s_delay_alu instid0(SALU_CYCLE_1) | instskip(SKIP_2) | instid1(SALU_CYCLE_1)
	s_sub_i32 s24, s21, s20
	s_cmp_ge_u32 s21, s20
	s_cselect_b32 s21, s24, s21
	s_sub_i32 s24, s21, s20
	s_cmp_ge_u32 s21, s20
	s_mul_i32 s20, s22, s2
	s_cselect_b32 s22, s24, s21
	s_mul_i32 s21, s23, s2
	s_mul_i32 s22, s22, s2
	s_lshl_b32 s6, s6, 1
	s_branch .LBB104_14
.LBB104_12:                             ;   in Loop: Header=BB104_14 Depth=1
	s_waitcnt lgkmcnt(8)
	v_dual_add_f32 v0, v0, v2 :: v_dual_add_f32 v9, v9, v12
	v_add_f32_e32 v2, v1, v3
	s_waitcnt vmcnt(11)
	v_cvt_f32_f16_e32 v1, v35
	s_waitcnt lgkmcnt(6)
	v_add_f32_e32 v6, v4, v6
	s_waitcnt lgkmcnt(2)
	v_add_f32_e32 v12, v21, v23
	s_waitcnt vmcnt(10)
	v_cvt_f32_f16_e32 v4, v34
	v_add_f32_e32 v8, v8, v11
	v_add_f32_e32 v3, v0, v1
	v_lshlrev_b64 v[0:1], 1, v[48:49]
	v_dual_add_f32 v10, v10, v13 :: v_dual_add_nc_u32 v49, s7, v48
	v_add_f32_e32 v7, v5, v7
	v_add_f32_e32 v11, v20, v22
	v_cvt_f16_f32_e32 v5, v3
	v_add_f32_e32 v4, v2, v4
	v_lshlrev_b64 v[2:3], 1, v[53:54]
	v_add_co_u32 v0, vcc_lo, s10, v0
	v_add_co_ci_u32_e32 v1, vcc_lo, s11, v1, vcc_lo
	s_delay_alu instid0(VALU_DEP_4) | instskip(NEXT) | instid1(VALU_DEP_4)
	v_cvt_f16_f32_e32 v4, v4
	v_add_co_u32 v2, vcc_lo, s10, v2
	v_add_co_ci_u32_e32 v3, vcc_lo, s11, v3, vcc_lo
	v_add_f32_e32 v13, v17, v19
	s_waitcnt vmcnt(9)
	v_cvt_f32_f16_e32 v17, v33
	s_clause 0x1
	global_store_b16 v[0:1], v5, off
	global_store_b16 v[2:3], v4, off
	s_waitcnt vmcnt(8)
	v_cvt_f32_f16_e32 v2, v32
	v_lshlrev_b64 v[0:1], 1, v[51:52]
	v_add_f32_e32 v8, v8, v17
	s_waitcnt lgkmcnt(1)
	v_dual_add_f32 v16, v16, v18 :: v_dual_mov_b32 v3, v50
	s_waitcnt lgkmcnt(0)
	v_dual_add_f32 v5, v9, v2 :: v_dual_add_f32 v14, v14, v15
	v_add_co_u32 v0, vcc_lo, s10, v0
	v_add_co_ci_u32_e32 v1, vcc_lo, s11, v1, vcc_lo
	s_delay_alu instid0(VALU_DEP_3)
	v_cvt_f16_f32_e32 v9, v5
	v_mov_b32_e32 v5, v50
	v_cvt_f16_f32_e32 v4, v8
	s_waitcnt vmcnt(7)
	v_cvt_f32_f16_e32 v8, v31
	global_store_b16 v[0:1], v4, off
	v_add_f32_e32 v8, v10, v8
	s_waitcnt vmcnt(6)
	v_cvt_f32_f16_e32 v10, v30
	v_lshlrev_b64 v[0:1], 1, v[49:50]
	v_add_nc_u32_e32 v4, 2, v49
	v_cvt_f16_f32_e32 v8, v8
	s_delay_alu instid0(VALU_DEP_4)
	v_add_f32_e32 v6, v6, v10
	s_waitcnt vmcnt(5)
	v_cvt_f32_f16_e32 v10, v29
	v_add_nc_u32_e32 v2, 1, v49
	v_add_co_u32 v0, vcc_lo, s10, v0
	v_lshlrev_b64 v[4:5], 1, v[4:5]
	s_delay_alu instid0(VALU_DEP_4) | instskip(NEXT) | instid1(VALU_DEP_4)
	v_add_f32_e32 v7, v7, v10
	v_lshlrev_b64 v[2:3], 1, v[2:3]
	v_add_co_ci_u32_e32 v1, vcc_lo, s11, v1, vcc_lo
	s_waitcnt vmcnt(4)
	v_cvt_f32_f16_e32 v10, v28
	v_cvt_f16_f32_e32 v6, v6
	v_add_nc_u32_e32 v49, s7, v49
	v_add_co_u32 v2, vcc_lo, s10, v2
	v_add_co_ci_u32_e32 v3, vcc_lo, s11, v3, vcc_lo
	v_add_co_u32 v4, vcc_lo, s10, v4
	v_add_co_ci_u32_e32 v5, vcc_lo, s11, v5, vcc_lo
	s_clause 0x2
	global_store_b16 v[0:1], v9, off
	global_store_b16 v[2:3], v8, off
	;; [unrolled: 1-line block ×3, first 2 shown]
	v_add_f32_e32 v4, v11, v10
	s_waitcnt vmcnt(3)
	v_cvt_f32_f16_e32 v5, v27
	v_cvt_f16_f32_e32 v15, v7
	v_dual_mov_b32 v3, v50 :: v_dual_add_nc_u32 v2, 1, v49
	s_waitcnt vmcnt(2)
	v_cvt_f32_f16_e32 v7, v26
	v_lshlrev_b64 v[0:1], 1, v[49:50]
	v_dual_add_f32 v6, v12, v5 :: v_dual_mov_b32 v5, v50
	v_cvt_f16_f32_e32 v17, v4
	v_add_nc_u32_e32 v4, 2, v49
	v_dual_add_f32 v8, v13, v7 :: v_dual_add_nc_u32 v49, s7, v49
	v_mov_b32_e32 v7, v50
	v_lshlrev_b64 v[2:3], 1, v[2:3]
	s_waitcnt vmcnt(1)
	v_cvt_f32_f16_e32 v10, v25
	v_add_co_u32 v0, vcc_lo, s10, v0
	v_lshlrev_b64 v[4:5], 1, v[4:5]
	v_cvt_f16_f32_e32 v12, v6
	v_add_nc_u32_e32 v6, 1, v49
	v_add_co_ci_u32_e32 v1, vcc_lo, s11, v1, vcc_lo
	v_add_co_u32 v2, vcc_lo, s10, v2
	v_cvt_f16_f32_e32 v13, v8
	v_lshlrev_b64 v[8:9], 1, v[49:50]
	v_add_f32_e32 v10, v16, v10
	s_waitcnt vmcnt(0)
	v_cvt_f32_f16_e32 v11, v24
	v_add_nc_u32_e32 v49, 2, v49
	v_add_co_ci_u32_e32 v3, vcc_lo, s11, v3, vcc_lo
	v_add_co_u32 v4, vcc_lo, s10, v4
	v_lshlrev_b64 v[6:7], 1, v[6:7]
	v_add_co_ci_u32_e32 v5, vcc_lo, s11, v5, vcc_lo
	v_add_co_u32 v8, vcc_lo, s10, v8
	v_cvt_f16_f32_e32 v16, v10
	v_add_f32_e32 v14, v14, v11
	v_lshlrev_b64 v[10:11], 1, v[49:50]
	v_add_co_ci_u32_e32 v9, vcc_lo, s11, v9, vcc_lo
	v_add_co_u32 v6, vcc_lo, s10, v6
	v_add_co_ci_u32_e32 v7, vcc_lo, s11, v7, vcc_lo
	s_delay_alu instid0(VALU_DEP_4)
	v_add_co_u32 v10, vcc_lo, s10, v10
	v_cvt_f16_f32_e32 v14, v14
	v_add_co_ci_u32_e32 v11, vcc_lo, s11, v11, vcc_lo
	s_clause 0x5
	global_store_b16 v[0:1], v15, off
	global_store_b16 v[2:3], v17, off
	;; [unrolled: 1-line block ×6, first 2 shown]
.LBB104_13:                             ;   in Loop: Header=BB104_14 Depth=1
	s_or_b32 exec_lo, exec_lo, s23
	v_add_nc_u32_e32 v48, s17, v48
	s_delay_alu instid0(VALU_DEP_1) | instskip(SKIP_1) | instid1(SALU_CYCLE_1)
	v_cmp_le_u32_e32 vcc_lo, s7, v48
	s_or_b32 s3, vcc_lo, s3
	s_and_not1_b32 exec_lo, exec_lo, s3
	s_cbranch_execz .LBB104_26
.LBB104_14:                             ; =>This Loop Header: Depth=1
                                        ;     Child Loop BB104_18 Depth 2
	v_dual_mov_b32 v82, v50 :: v_dual_add_nc_u32 v53, 1, v48
	v_dual_mov_b32 v80, v50 :: v_dual_add_nc_u32 v51, 2, v48
	v_mov_b32_e32 v81, v50
	v_mov_b32_e32 v79, v50
	;; [unrolled: 1-line block ×10, first 2 shown]
	s_and_not1_b32 vcc_lo, exec_lo, s1
	s_cbranch_vccnz .LBB104_21
; %bb.15:                               ;   in Loop: Header=BB104_14 Depth=1
	v_min_u32_e32 v0, s18, v48
	v_min_u32_e32 v1, s18, v53
	s_waitcnt lgkmcnt(11)
	v_min_u32_e32 v2, s18, v51
	s_waitcnt lgkmcnt(10)
	v_dual_mov_b32 v3, v50 :: v_dual_mov_b32 v72, 0
	v_mul_lo_u32 v49, v0, s5
	v_mul_lo_u32 v0, v1, s5
	v_mul_lo_u32 v2, v2, s5
	v_dual_mov_b32 v1, v50 :: v_dual_mov_b32 v76, 0
	v_dual_mov_b32 v83, v69 :: v_dual_mov_b32 v74, 0
	;; [unrolled: 1-line block ×3, first 2 shown]
	v_lshlrev_b64 v[54:55], 1, v[49:50]
	s_delay_alu instid0(VALU_DEP_4)
	v_lshlrev_b64 v[56:57], 1, v[0:1]
	v_lshlrev_b64 v[58:59], 1, v[2:3]
	v_dual_mov_b32 v73, 0 :: v_dual_mov_b32 v78, 0
	v_dual_mov_b32 v77, 0 :: v_dual_mov_b32 v80, 0
	;; [unrolled: 1-line block ×3, first 2 shown]
	v_mov_b32_e32 v81, 0
	s_mov_b32 s23, 0
	s_branch .LBB104_18
.LBB104_16:                             ;   in Loop: Header=BB104_18 Depth=2
	s_or_b32 exec_lo, exec_lo, s25
.LBB104_17:                             ;   in Loop: Header=BB104_18 Depth=2
	s_delay_alu instid0(SALU_CYCLE_1)
	s_or_b32 exec_lo, exec_lo, s24
	s_waitcnt vmcnt(5) lgkmcnt(4)
	;;#ASMSTART
	v_dot2_f32_f16 v82, v44, v32, v82
	;;#ASMEND
	s_waitcnt vmcnt(4)
	;;#ASMSTART
	v_dot2_f32_f16 v81, v44, v28, v81
	;;#ASMEND
	s_waitcnt vmcnt(3)
	;;#ASMSTART
	v_dot2_f32_f16 v80, v44, v24, v80
	;;#ASMEND
	s_waitcnt lgkmcnt(3)
	;;#ASMSTART
	v_dot2_f32_f16 v79, v40, v32, v79
	;;#ASMEND
	;;#ASMSTART
	v_dot2_f32_f16 v78, v40, v28, v78
	;;#ASMEND
	;;#ASMSTART
	v_dot2_f32_f16 v77, v40, v24, v77
	;;#ASMEND
	s_waitcnt lgkmcnt(2)
	;;#ASMSTART
	v_dot2_f32_f16 v76, v66, v32, v76
	;;#ASMEND
	;;#ASMSTART
	v_dot2_f32_f16 v72, v66, v28, v72
	;;#ASMEND
	;; [unrolled: 10-line block ×3, first 2 shown]
	;;#ASMSTART
	v_dot2_f32_f16 v52, v36, v24, v52
	;;#ASMEND
	;;#ASMSTART
	v_dot2_f32_f16 v82, v45, v33, v82
	;;#ASMEND
	;; [unrolled: 3-line block ×25, first 2 shown]
	v_add_nc_u32_e32 v83, 0x400, v83
	;;#ASMSTART
	v_dot2_f32_f16 v82, v47, v35, v82
	;;#ASMEND
	;;#ASMSTART
	v_dot2_f32_f16 v81, v47, v31, v81
	;;#ASMEND
	;; [unrolled: 3-line block ×12, first 2 shown]
	s_addk_i32 s23, 0x200
	s_waitcnt vmcnt(2)
	;;#ASMSTART
	v_dot2_f32_f16 v82, v20, v8, v82
	;;#ASMEND
	s_waitcnt vmcnt(1)
	;;#ASMSTART
	v_dot2_f32_f16 v81, v20, v4, v81
	;;#ASMEND
	;; [unrolled: 4-line block ×3, first 2 shown]
	;;#ASMSTART
	v_dot2_f32_f16 v79, v16, v8, v79
	;;#ASMEND
	;;#ASMSTART
	v_dot2_f32_f16 v78, v16, v4, v78
	;;#ASMEND
	;; [unrolled: 3-line block ×21, first 2 shown]
	s_cmp_ge_u32 s23, s4
	;;#ASMSTART
	v_dot2_f32_f16 v82, v22, v10, v82
	;;#ASMEND
	;;#ASMSTART
	v_dot2_f32_f16 v81, v22, v6, v81
	;;#ASMEND
	;; [unrolled: 3-line block ×24, first 2 shown]
	s_cbranch_scc1 .LBB104_21
.LBB104_18:                             ;   Parent Loop BB104_14 Depth=1
                                        ; =>  This Inner Loop Header: Depth=2
	v_dual_mov_b32 v45, 0 :: v_dual_add_nc_u32 v16, s23, v68
	v_dual_mov_b32 v44, 0 :: v_dual_mov_b32 v21, 0
	s_waitcnt lgkmcnt(2)
	v_dual_mov_b32 v46, 0 :: v_dual_mov_b32 v23, 0
	s_delay_alu instid0(VALU_DEP_3) | instskip(SKIP_2) | instid1(VALU_DEP_3)
	v_min_u32_e32 v49, s15, v16
	v_dual_mov_b32 v47, 0 :: v_dual_add_nc_u32 v84, 0x100, v16
	v_dual_mov_b32 v20, 0 :: v_dual_mov_b32 v41, 0
	v_lshlrev_b64 v[0:1], 1, v[49:50]
	s_delay_alu instid0(VALU_DEP_3) | instskip(SKIP_2) | instid1(VALU_DEP_4)
	v_min_u32_e32 v49, s15, v84
	v_dual_mov_b32 v22, 0 :: v_dual_mov_b32 v43, 0
	v_dual_mov_b32 v40, 0 :: v_dual_mov_b32 v17, 0
	v_add_co_u32 v6, vcc_lo, s12, v0
	v_add_co_ci_u32_e32 v7, vcc_lo, s13, v1, vcc_lo
	v_lshlrev_b64 v[0:1], 1, v[49:50]
	s_delay_alu instid0(VALU_DEP_3) | instskip(NEXT) | instid1(VALU_DEP_3)
	v_add_co_u32 v2, vcc_lo, v6, v54
	v_add_co_ci_u32_e32 v3, vcc_lo, v7, v55, vcc_lo
	v_add_co_u32 v4, vcc_lo, v6, v56
	v_add_co_ci_u32_e32 v5, vcc_lo, v7, v57, vcc_lo
	;; [unrolled: 2-line block ×4, first 2 shown]
	s_delay_alu instid0(VALU_DEP_4) | instskip(NEXT) | instid1(VALU_DEP_4)
	v_add_co_u32 v6, vcc_lo, v8, v54
	v_add_co_ci_u32_e32 v7, vcc_lo, v9, v55, vcc_lo
	v_add_co_u32 v12, vcc_lo, v8, v56
	v_add_co_ci_u32_e32 v13, vcc_lo, v9, v57, vcc_lo
	v_add_co_u32 v14, vcc_lo, v8, v58
	s_waitcnt lgkmcnt(0)
	v_add_co_ci_u32_e32 v15, vcc_lo, v9, v59, vcc_lo
	s_clause 0x5
	global_load_b128 v[32:35], v[2:3], off slc dlc
	global_load_b128 v[28:31], v[4:5], off slc dlc
	;; [unrolled: 1-line block ×6, first 2 shown]
	v_cmp_gt_u32_e32 vcc_lo, s4, v16
	v_dual_mov_b32 v42, 0 :: v_dual_mov_b32 v19, 0
	v_dual_mov_b32 v16, 0 :: v_dual_mov_b32 v67, 0
	;; [unrolled: 1-line block ×9, first 2 shown]
	v_mov_b32_e32 v12, 0
	v_mov_b32_e32 v14, 0
	s_and_saveexec_b32 s24, vcc_lo
	s_cbranch_execz .LBB104_17
; %bb.19:                               ;   in Loop: Header=BB104_18 Depth=2
	v_dual_mov_b32 v15, 0 :: v_dual_add_nc_u32 v86, s6, v83
	v_dual_mov_b32 v14, 0 :: v_dual_add_nc_u32 v49, s14, v83
	;; [unrolled: 1-line block ×3, first 2 shown]
	ds_load_b128 v[44:47], v83
	ds_load_b128 v[40:43], v86
	ds_load_2addr_b32 v[66:67], v49 offset1:1
	ds_load_2addr_b32 v[64:65], v49 offset0:2 offset1:3
	ds_load_b128 v[36:39], v85
	v_dual_mov_b32 v13, 0 :: v_dual_mov_b32 v60, 0
	v_dual_mov_b32 v61, 0 :: v_dual_mov_b32 v62, 0
	;; [unrolled: 1-line block ×6, first 2 shown]
	v_mov_b32_e32 v21, 0
	s_mov_b32 s25, exec_lo
	v_cmpx_gt_u32_e64 s4, v84
	s_cbranch_execz .LBB104_16
; %bb.20:                               ;   in Loop: Header=BB104_18 Depth=2
	ds_load_b128 v[20:23], v83 offset:512
	ds_load_b128 v[16:19], v86 offset:512
	ds_load_2addr_b32 v[62:63], v49 offset0:128 offset1:129
	ds_load_2addr_b32 v[60:61], v49 offset0:130 offset1:131
	ds_load_b128 v[12:15], v85 offset:512
	s_branch .LBB104_16
.LBB104_21:                             ;   in Loop: Header=BB104_14 Depth=1
	; sched_barrier mask(0x00000000)
	v_cvt_i32_f32_e32 v0, v82
	v_cvt_i32_f32_e32 v1, v81
	s_waitcnt lgkmcnt(11)
	v_xor_b32_e32 v2, 16, v70
	s_waitcnt lgkmcnt(10)
	v_cvt_i32_f32_e32 v3, v80
	v_cvt_i32_f32_e32 v4, v79
	v_cvt_f32_i32_dpp v0, v0 row_shr:8 row_mask:0xf bank_mask:0xf bound_ctrl:1
	v_cvt_f32_i32_dpp v1, v1 row_shr:8 row_mask:0xf bank_mask:0xf bound_ctrl:1
	v_cmp_gt_i32_e32 vcc_lo, 32, v2
	v_cvt_i32_f32_e32 v5, v78
	s_waitcnt lgkmcnt(5)
	v_cvt_i32_f32_e32 v7, v76
	v_dual_add_f32 v0, v82, v0 :: v_dual_add_f32 v1, v81, v1
	v_cvt_f32_i32_dpp v3, v3 row_shr:8 row_mask:0xf bank_mask:0xf bound_ctrl:1
	v_cvt_f32_i32_dpp v4, v4 row_shr:8 row_mask:0xf bank_mask:0xf bound_ctrl:1
	;; [unrolled: 1-line block ×3, first 2 shown]
	s_delay_alu instid0(VALU_DEP_4)
	v_cvt_i32_f32_e32 v8, v0
	v_cvt_i32_f32_e32 v9, v1
	v_cvt_f32_i32_dpp v7, v7 row_shr:8 row_mask:0xf bank_mask:0xf bound_ctrl:1
	v_cvt_i32_f32_e32 v6, v77
	v_cvt_i32_f32_e32 v17, v74
	v_cvt_f32_i32_dpp v8, v8 row_shr:4 row_mask:0xf bank_mask:0xf bound_ctrl:1
	v_cvt_f32_i32_dpp v9, v9 row_shr:4 row_mask:0xf bank_mask:0xf bound_ctrl:1
	v_cndmask_b32_e32 v2, v70, v2, vcc_lo
	v_cvt_f32_i32_dpp v6, v6 row_shr:8 row_mask:0xf bank_mask:0xf bound_ctrl:1
	s_waitcnt lgkmcnt(4)
	v_cvt_i32_f32_e32 v19, v52
	v_dual_add_f32 v0, v0, v8 :: v_dual_add_f32 v1, v1, v9
	s_waitcnt lgkmcnt(0)
	v_dual_add_f32 v2, v80, v3 :: v_dual_lshlrev_b32 v15, 2, v2
	v_dual_add_f32 v3, v79, v4 :: v_dual_add_f32 v4, v78, v5
	v_add_f32_e32 v7, v76, v7
	v_cvt_i32_f32_e32 v5, v0
	v_cvt_i32_f32_e32 v8, v1
	;; [unrolled: 1-line block ×5, first 2 shown]
	v_cvt_f32_i32_dpp v5, v5 row_shr:2 row_mask:0xf bank_mask:0xf bound_ctrl:1
	v_cvt_f32_i32_dpp v8, v8 row_shr:2 row_mask:0xf bank_mask:0xf bound_ctrl:1
	;; [unrolled: 1-line block ×5, first 2 shown]
	s_delay_alu instid0(VALU_DEP_4)
	v_dual_add_f32 v0, v0, v5 :: v_dual_add_f32 v1, v1, v8
	v_cvt_i32_f32_e32 v5, v7
	v_cvt_f32_i32_dpp v8, v9 row_shr:4 row_mask:0xf bank_mask:0xf bound_ctrl:1
	v_cvt_f32_i32_dpp v9, v10 row_shr:4 row_mask:0xf bank_mask:0xf bound_ctrl:1
	v_add_f32_e32 v6, v77, v6
	v_cvt_i32_f32_e32 v13, v1
	v_cvt_f32_i32_dpp v5, v5 row_shr:4 row_mask:0xf bank_mask:0xf bound_ctrl:1
	v_cvt_i32_f32_e32 v10, v0
	v_dual_add_f32 v9, v3, v9 :: v_dual_add_f32 v4, v4, v11
	s_delay_alu instid0(VALU_DEP_4) | instskip(NEXT) | instid1(VALU_DEP_4)
	v_cvt_f32_i32_dpp v13, v13 row_shr:1 row_mask:0xf bank_mask:0xf bound_ctrl:1
	v_add_f32_e32 v5, v7, v5
	v_cvt_i32_f32_e32 v12, v6
	v_cvt_f32_i32_dpp v10, v10 row_shr:1 row_mask:0xf bank_mask:0xf bound_ctrl:1
	s_delay_alu instid0(VALU_DEP_4) | instskip(NEXT) | instid1(VALU_DEP_4)
	v_dual_add_f32 v8, v2, v8 :: v_dual_add_f32 v1, v1, v13
	v_cvt_i32_f32_e32 v13, v5
	s_delay_alu instid0(VALU_DEP_4) | instskip(SKIP_1) | instid1(VALU_DEP_4)
	v_cvt_f32_i32_dpp v12, v12 row_shr:4 row_mask:0xf bank_mask:0xf bound_ctrl:1
	v_cvt_i32_f32_e32 v11, v4
	v_cvt_i32_f32_e32 v7, v8
	;; [unrolled: 1-line block ×3, first 2 shown]
	v_cvt_f32_i32_dpp v13, v13 row_shr:2 row_mask:0xf bank_mask:0xf bound_ctrl:1
	v_add_f32_e32 v0, v0, v10
	v_cvt_i32_f32_e32 v10, v9
	v_cvt_f32_i32_dpp v7, v7 row_shr:2 row_mask:0xf bank_mask:0xf bound_ctrl:1
	v_add_f32_e32 v6, v6, v12
	v_cvt_f32_i32_dpp v11, v11 row_shr:2 row_mask:0xf bank_mask:0xf bound_ctrl:1
	v_cvt_i32_f32_e32 v16, v75
	v_cvt_f32_i32_dpp v10, v10 row_shr:2 row_mask:0xf bank_mask:0xf bound_ctrl:1
	v_add_f32_e32 v7, v8, v7
	v_cvt_i32_f32_e32 v12, v6
	v_add_f32_e32 v4, v4, v11
	v_cvt_f32_i32_dpp v14, v14 row_shr:8 row_mask:0xf bank_mask:0xf bound_ctrl:1
	v_add_f32_e32 v9, v9, v10
	v_cvt_f32_i32_dpp v16, v16 row_shr:8 row_mask:0xf bank_mask:0xf bound_ctrl:1
	v_cvt_f32_i32_dpp v12, v12 row_shr:2 row_mask:0xf bank_mask:0xf bound_ctrl:1
	v_cvt_i32_f32_e32 v11, v4
	v_cvt_i32_f32_e32 v18, v73
	v_cvt_i32_f32_e32 v10, v9
	v_add_f32_e32 v5, v5, v13
	v_cvt_i32_f32_e32 v8, v7
	v_cvt_f32_i32_dpp v11, v11 row_shr:1 row_mask:0xf bank_mask:0xf bound_ctrl:1
	v_add_f32_e32 v17, v74, v17
	v_cvt_f32_i32_dpp v10, v10 row_shr:1 row_mask:0xf bank_mask:0xf bound_ctrl:1
	v_add_f32_e32 v6, v6, v12
	v_cvt_f32_i32_dpp v18, v18 row_shr:8 row_mask:0xf bank_mask:0xf bound_ctrl:1
	v_cvt_i32_f32_e32 v13, v5
	v_cvt_i32_f32_e32 v22, v17
	v_add_f32_e32 v9, v9, v10
	v_cvt_i32_f32_e32 v12, v6
	v_add_f32_e32 v10, v4, v11
	v_cvt_f32_i32_dpp v8, v8 row_shr:1 row_mask:0xf bank_mask:0xf bound_ctrl:1
	v_add_f32_e32 v19, v52, v19
	v_cvt_f32_i32_dpp v22, v22 row_shr:4 row_mask:0xf bank_mask:0xf bound_ctrl:1
	v_cvt_f32_i32_dpp v12, v12 row_shr:1 row_mask:0xf bank_mask:0xf bound_ctrl:1
	v_add_f32_e32 v16, v75, v16
	v_cvt_f32_i32_dpp v13, v13 row_shr:1 row_mask:0xf bank_mask:0xf bound_ctrl:1
	v_cvt_i32_f32_e32 v24, v19
	s_delay_alu instid0(VALU_DEP_4) | instskip(NEXT) | instid1(VALU_DEP_4)
	v_dual_add_f32 v17, v17, v22 :: v_dual_add_f32 v4, v6, v12
	v_cvt_i32_f32_e32 v21, v16
	s_delay_alu instid0(VALU_DEP_4) | instskip(NEXT) | instid1(VALU_DEP_4)
	v_dual_add_f32 v8, v7, v8 :: v_dual_add_f32 v5, v5, v13
	v_cvt_f32_i32_dpp v24, v24 row_shr:4 row_mask:0xf bank_mask:0xf bound_ctrl:1
	v_add_f32_e32 v14, v72, v14
	v_cvt_i32_f32_e32 v22, v17
	v_cvt_f32_i32_dpp v21, v21 row_shr:4 row_mask:0xf bank_mask:0xf bound_ctrl:1
	ds_bpermute_b32 v2, v15, v0
	v_add_f32_e32 v19, v19, v24
	v_cvt_i32_f32_e32 v20, v14
	v_cvt_f32_i32_dpp v22, v22 row_shr:2 row_mask:0xf bank_mask:0xf bound_ctrl:1
	ds_bpermute_b32 v3, v15, v1
	ds_bpermute_b32 v11, v15, v8
	v_cvt_i32_f32_e32 v24, v19
	v_cvt_f32_i32_dpp v20, v20 row_shr:4 row_mask:0xf bank_mask:0xf bound_ctrl:1
	ds_bpermute_b32 v12, v15, v9
	ds_bpermute_b32 v13, v15, v10
	v_add_f32_e32 v17, v17, v22
	v_cvt_f32_i32_dpp v24, v24 row_shr:2 row_mask:0xf bank_mask:0xf bound_ctrl:1
	v_add_f32_e32 v14, v14, v20
	v_add_f32_e32 v18, v73, v18
	ds_bpermute_b32 v6, v15, v4
	v_cvt_i32_f32_e32 v22, v17
	v_add_f32_e32 v19, v19, v24
	v_cvt_i32_f32_e32 v20, v14
	v_cvt_i32_f32_e32 v23, v18
	ds_bpermute_b32 v7, v15, v5
	v_cvt_f32_i32_dpp v22, v22 row_shr:1 row_mask:0xf bank_mask:0xf bound_ctrl:1
	v_add_f32_e32 v16, v16, v21
	v_cvt_f32_i32_dpp v20, v20 row_shr:2 row_mask:0xf bank_mask:0xf bound_ctrl:1
	v_cvt_f32_i32_dpp v23, v23 row_shr:4 row_mask:0xf bank_mask:0xf bound_ctrl:1
	v_cvt_i32_f32_e32 v24, v19
	v_add_f32_e32 v17, v17, v22
	v_cvt_i32_f32_e32 v21, v16
	v_add_f32_e32 v14, v14, v20
	s_delay_alu instid0(VALU_DEP_4) | instskip(NEXT) | instid1(VALU_DEP_3)
	v_cvt_f32_i32_dpp v24, v24 row_shr:1 row_mask:0xf bank_mask:0xf bound_ctrl:1
	v_cvt_f32_i32_dpp v21, v21 row_shr:2 row_mask:0xf bank_mask:0xf bound_ctrl:1
	s_delay_alu instid0(VALU_DEP_3) | instskip(NEXT) | instid1(VALU_DEP_2)
	v_cvt_i32_f32_e32 v20, v14
	v_add_f32_e32 v16, v16, v21
	s_delay_alu instid0(VALU_DEP_2) | instskip(NEXT) | instid1(VALU_DEP_2)
	v_cvt_f32_i32_dpp v20, v20 row_shr:1 row_mask:0xf bank_mask:0xf bound_ctrl:1
	v_cvt_i32_f32_e32 v21, v16
	s_delay_alu instid0(VALU_DEP_2)
	v_add_f32_e32 v20, v14, v20
	v_add_f32_e32 v14, v19, v24
	ds_bpermute_b32 v19, v15, v17
	v_cvt_f32_i32_dpp v21, v21 row_shr:1 row_mask:0xf bank_mask:0xf bound_ctrl:1
	v_add_f32_e32 v18, v18, v23
	ds_bpermute_b32 v22, v15, v20
	v_add_f32_e32 v21, v16, v21
	v_cvt_i32_f32_e32 v23, v18
	s_delay_alu instid0(VALU_DEP_1) | instskip(NEXT) | instid1(VALU_DEP_1)
	v_cvt_f32_i32_dpp v23, v23 row_shr:2 row_mask:0xf bank_mask:0xf bound_ctrl:1
	v_add_f32_e32 v18, v18, v23
	s_delay_alu instid0(VALU_DEP_1) | instskip(NEXT) | instid1(VALU_DEP_1)
	v_cvt_i32_f32_e32 v23, v18
	v_cvt_f32_i32_dpp v23, v23 row_shr:1 row_mask:0xf bank_mask:0xf bound_ctrl:1
	s_delay_alu instid0(VALU_DEP_1)
	v_add_f32_e32 v16, v18, v23
	ds_bpermute_b32 v23, v15, v21
	ds_bpermute_b32 v18, v15, v16
	;; [unrolled: 1-line block ×3, first 2 shown]
	s_and_saveexec_b32 s23, s0
	s_cbranch_execz .LBB104_13
; %bb.22:                               ;   in Loop: Header=BB104_14 Depth=1
	s_and_b32 vcc_lo, exec_lo, s19
	s_cbranch_vccz .LBB104_24
; %bb.23:                               ;   in Loop: Header=BB104_14 Depth=1
	v_mul_hi_u32 v24, v48, v71
	v_mul_hi_u32 v25, v53, v71
	v_mul_hi_u32 v26, v51, v71
	v_mov_b32_e32 v43, v50
	v_mov_b32_e32 v41, v50
	;; [unrolled: 1-line block ×3, first 2 shown]
	v_mul_lo_u32 v24, v24, s2
	v_mul_lo_u32 v25, v25, s2
	;; [unrolled: 1-line block ×3, first 2 shown]
	s_delay_alu instid0(VALU_DEP_3) | instskip(NEXT) | instid1(VALU_DEP_3)
	v_sub_nc_u32_e32 v24, v48, v24
	v_sub_nc_u32_e32 v27, v53, v25
	s_delay_alu instid0(VALU_DEP_3) | instskip(NEXT) | instid1(VALU_DEP_3)
	v_sub_nc_u32_e32 v26, v51, v26
	v_subrev_nc_u32_e32 v28, s2, v24
	v_cmp_le_u32_e32 vcc_lo, s2, v24
	v_mov_b32_e32 v25, v50
	v_subrev_nc_u32_e32 v29, s2, v27
	v_subrev_nc_u32_e32 v30, s2, v26
	v_cndmask_b32_e32 v24, v24, v28, vcc_lo
	v_cmp_le_u32_e32 vcc_lo, s2, v27
	s_delay_alu instid0(VALU_DEP_4) | instskip(SKIP_1) | instid1(VALU_DEP_2)
	v_dual_cndmask_b32 v28, v27, v29 :: v_dual_mov_b32 v27, v50
	v_cmp_le_u32_e32 vcc_lo, s2, v26
	v_subrev_nc_u32_e32 v31, s2, v28
	v_cndmask_b32_e32 v26, v26, v30, vcc_lo
	v_subrev_nc_u32_e32 v30, s2, v24
	v_cmp_le_u32_e32 vcc_lo, s2, v24
	s_delay_alu instid0(VALU_DEP_3) | instskip(NEXT) | instid1(VALU_DEP_3)
	v_subrev_nc_u32_e32 v32, s2, v26
	v_cndmask_b32_e32 v49, v24, v30, vcc_lo
	v_cmp_le_u32_e32 vcc_lo, s2, v28
	v_dual_mov_b32 v29, v50 :: v_dual_cndmask_b32 v24, v28, v31
	v_cmp_le_u32_e32 vcc_lo, s2, v26
	s_delay_alu instid0(VALU_DEP_2) | instskip(SKIP_4) | instid1(VALU_DEP_4)
	v_lshlrev_b64 v[34:35], 1, v[24:25]
	v_cndmask_b32_e32 v26, v26, v32, vcc_lo
	v_lshlrev_b64 v[32:33], 1, v[49:50]
	v_dual_mov_b32 v31, v50 :: v_dual_add_nc_u32 v28, s20, v49
	v_add_nc_u32_e32 v30, s20, v24
	v_lshlrev_b64 v[36:37], 1, v[26:27]
	v_add_nc_u32_e32 v40, s21, v49
	v_add_co_u32 v32, vcc_lo, s8, v32
	v_add_co_ci_u32_e32 v33, vcc_lo, s9, v33, vcc_lo
	v_add_co_u32 v38, vcc_lo, s8, v34
	v_lshlrev_b64 v[27:28], 1, v[28:29]
	v_add_co_ci_u32_e32 v39, vcc_lo, s9, v35, vcc_lo
	v_dual_mov_b32 v35, v50 :: v_dual_add_nc_u32 v34, s20, v26
	v_add_co_u32 v36, vcc_lo, s8, v36
	v_lshlrev_b64 v[29:30], 1, v[30:31]
	v_add_co_ci_u32_e32 v37, vcc_lo, s9, v37, vcc_lo
	v_add_co_u32 v27, vcc_lo, s8, v27
	v_lshlrev_b64 v[34:35], 1, v[34:35]
	v_add_co_ci_u32_e32 v28, vcc_lo, s9, v28, vcc_lo
	v_add_co_u32 v29, vcc_lo, s8, v29
	v_add_nc_u32_e32 v42, s21, v24
	v_add_co_ci_u32_e32 v30, vcc_lo, s9, v30, vcc_lo
	v_lshlrev_b64 v[40:41], 1, v[40:41]
	v_add_co_u32 v44, vcc_lo, s8, v34
	v_add_co_ci_u32_e32 v45, vcc_lo, s9, v35, vcc_lo
	v_lshlrev_b64 v[34:35], 1, v[42:43]
	v_add_nc_u32_e32 v42, s21, v26
	v_add_co_u32 v40, vcc_lo, s8, v40
	v_add_nc_u32_e32 v49, s22, v49
	v_add_co_ci_u32_e32 v41, vcc_lo, s9, v41, vcc_lo
	s_delay_alu instid0(VALU_DEP_4)
	v_lshlrev_b64 v[42:43], 1, v[42:43]
	v_add_co_u32 v46, vcc_lo, s8, v34
	v_add_co_ci_u32_e32 v47, vcc_lo, s9, v35, vcc_lo
	v_lshlrev_b64 v[34:35], 1, v[49:50]
	v_add_nc_u32_e32 v49, s22, v24
	v_add_co_u32 v24, vcc_lo, s8, v42
	v_add_co_ci_u32_e32 v25, vcc_lo, s9, v43, vcc_lo
	s_delay_alu instid0(VALU_DEP_3) | instskip(SKIP_3) | instid1(VALU_DEP_3)
	v_lshlrev_b64 v[42:43], 1, v[49:50]
	v_add_nc_u32_e32 v49, s22, v26
	v_add_co_u32 v54, vcc_lo, s8, v34
	v_add_co_ci_u32_e32 v55, vcc_lo, s9, v35, vcc_lo
	v_lshlrev_b64 v[34:35], 1, v[49:50]
	v_add_co_u32 v42, vcc_lo, s8, v42
	v_add_co_ci_u32_e32 v43, vcc_lo, s9, v43, vcc_lo
	v_mov_b32_e32 v49, v50
	s_delay_alu instid0(VALU_DEP_4)
	v_add_co_u32 v56, vcc_lo, s8, v34
	v_add_co_ci_u32_e32 v57, vcc_lo, s9, v35, vcc_lo
	s_clause 0xb
	global_load_u16 v35, v[32:33], off
	global_load_u16 v34, v[38:39], off
	;; [unrolled: 1-line block ×12, first 2 shown]
	v_mov_b32_e32 v54, v50
	s_cbranch_execnz .LBB104_12
	s_branch .LBB104_25
.LBB104_24:                             ;   in Loop: Header=BB104_14 Depth=1
                                        ; implicit-def: $vgpr24
                                        ; implicit-def: $vgpr25
                                        ; implicit-def: $vgpr26
                                        ; implicit-def: $vgpr27
                                        ; implicit-def: $vgpr28
                                        ; implicit-def: $vgpr29
                                        ; implicit-def: $vgpr30
                                        ; implicit-def: $vgpr31
                                        ; implicit-def: $vgpr32
                                        ; implicit-def: $vgpr33
                                        ; implicit-def: $vgpr34
                                        ; implicit-def: $vgpr35
.LBB104_25:                             ;   in Loop: Header=BB104_14 Depth=1
	s_waitcnt vmcnt(10)
	v_dual_mov_b32 v49, v50 :: v_dual_mov_b32 v34, 0
	v_dual_mov_b32 v54, v50 :: v_dual_mov_b32 v35, 0
	s_waitcnt vmcnt(9)
	v_dual_mov_b32 v52, v50 :: v_dual_mov_b32 v33, 0
	s_waitcnt vmcnt(7)
	;; [unrolled: 2-line block ×6, first 2 shown]
	v_mov_b32_e32 v24, 0
	s_branch .LBB104_12
.LBB104_26:
	s_nop 0
	s_sendmsg sendmsg(MSG_DEALLOC_VGPRS)
	s_endpgm
	.section	.rodata,"a",@progbits
	.p2align	6, 0x0
	.amdhsa_kernel _Z16wvSplitK_hf_sml_I6__halfLi32ELi3ELi16ELi8ELi2ELi4EEviiiiiiPKT_S3_S3_PS1_ii
		.amdhsa_group_segment_fixed_size 65536
		.amdhsa_private_segment_fixed_size 0
		.amdhsa_kernarg_size 64
		.amdhsa_user_sgpr_count 15
		.amdhsa_user_sgpr_dispatch_ptr 0
		.amdhsa_user_sgpr_queue_ptr 0
		.amdhsa_user_sgpr_kernarg_segment_ptr 1
		.amdhsa_user_sgpr_dispatch_id 0
		.amdhsa_user_sgpr_private_segment_size 0
		.amdhsa_wavefront_size32 1
		.amdhsa_uses_dynamic_stack 0
		.amdhsa_enable_private_segment 0
		.amdhsa_system_sgpr_workgroup_id_x 1
		.amdhsa_system_sgpr_workgroup_id_y 0
		.amdhsa_system_sgpr_workgroup_id_z 0
		.amdhsa_system_sgpr_workgroup_info 0
		.amdhsa_system_vgpr_workitem_id 1
		.amdhsa_next_free_vgpr 87
		.amdhsa_next_free_sgpr 26
		.amdhsa_reserve_vcc 1
		.amdhsa_float_round_mode_32 0
		.amdhsa_float_round_mode_16_64 0
		.amdhsa_float_denorm_mode_32 3
		.amdhsa_float_denorm_mode_16_64 3
		.amdhsa_dx10_clamp 1
		.amdhsa_ieee_mode 1
		.amdhsa_fp16_overflow 0
		.amdhsa_workgroup_processor_mode 1
		.amdhsa_memory_ordered 1
		.amdhsa_forward_progress 0
		.amdhsa_shared_vgpr_count 0
		.amdhsa_exception_fp_ieee_invalid_op 0
		.amdhsa_exception_fp_denorm_src 0
		.amdhsa_exception_fp_ieee_div_zero 0
		.amdhsa_exception_fp_ieee_overflow 0
		.amdhsa_exception_fp_ieee_underflow 0
		.amdhsa_exception_fp_ieee_inexact 0
		.amdhsa_exception_int_div_zero 0
	.end_amdhsa_kernel
	.section	.text._Z16wvSplitK_hf_sml_I6__halfLi32ELi3ELi16ELi8ELi2ELi4EEviiiiiiPKT_S3_S3_PS1_ii,"axG",@progbits,_Z16wvSplitK_hf_sml_I6__halfLi32ELi3ELi16ELi8ELi2ELi4EEviiiiiiPKT_S3_S3_PS1_ii,comdat
.Lfunc_end104:
	.size	_Z16wvSplitK_hf_sml_I6__halfLi32ELi3ELi16ELi8ELi2ELi4EEviiiiiiPKT_S3_S3_PS1_ii, .Lfunc_end104-_Z16wvSplitK_hf_sml_I6__halfLi32ELi3ELi16ELi8ELi2ELi4EEviiiiiiPKT_S3_S3_PS1_ii
                                        ; -- End function
	.section	.AMDGPU.csdata,"",@progbits
; Kernel info:
; codeLenInByte = 6084
; NumSgprs: 28
; NumVgprs: 87
; ScratchSize: 0
; MemoryBound: 0
; FloatMode: 240
; IeeeMode: 1
; LDSByteSize: 65536 bytes/workgroup (compile time only)
; SGPRBlocks: 3
; VGPRBlocks: 10
; NumSGPRsForWavesPerEU: 28
; NumVGPRsForWavesPerEU: 87
; Occupancy: 8
; WaveLimiterHint : 0
; COMPUTE_PGM_RSRC2:SCRATCH_EN: 0
; COMPUTE_PGM_RSRC2:USER_SGPR: 15
; COMPUTE_PGM_RSRC2:TRAP_HANDLER: 0
; COMPUTE_PGM_RSRC2:TGID_X_EN: 1
; COMPUTE_PGM_RSRC2:TGID_Y_EN: 0
; COMPUTE_PGM_RSRC2:TGID_Z_EN: 0
; COMPUTE_PGM_RSRC2:TIDIG_COMP_CNT: 1
	.section	.text._Z12wvSplitK_hf_I6__halfLi32ELi3ELi16ELi8ELi2ELi4EEviiiiiiPKT_S3_S3_PS1_ii,"axG",@progbits,_Z12wvSplitK_hf_I6__halfLi32ELi3ELi16ELi8ELi2ELi4EEviiiiiiPKT_S3_S3_PS1_ii,comdat
	.protected	_Z12wvSplitK_hf_I6__halfLi32ELi3ELi16ELi8ELi2ELi4EEviiiiiiPKT_S3_S3_PS1_ii ; -- Begin function _Z12wvSplitK_hf_I6__halfLi32ELi3ELi16ELi8ELi2ELi4EEviiiiiiPKT_S3_S3_PS1_ii
	.globl	_Z12wvSplitK_hf_I6__halfLi32ELi3ELi16ELi8ELi2ELi4EEviiiiiiPKT_S3_S3_PS1_ii
	.p2align	8
	.type	_Z12wvSplitK_hf_I6__halfLi32ELi3ELi16ELi8ELi2ELi4EEviiiiiiPKT_S3_S3_PS1_ii,@function
_Z12wvSplitK_hf_I6__halfLi32ELi3ELi16ELi8ELi2ELi4EEviiiiiiPKT_S3_S3_PS1_ii: ; @_Z12wvSplitK_hf_I6__halfLi32ELi3ELi16ELi8ELi2ELi4EEviiiiiiPKT_S3_S3_PS1_ii
; %bb.0:
	s_clause 0x1
	s_load_b64 s[18:19], s[0:1], 0x38
	s_load_b128 s[4:7], s[0:1], 0x0
	v_bfe_u32 v1, v0, 10, 10
	s_mov_b32 s8, 1
	s_delay_alu instid0(SALU_CYCLE_1) | instskip(SKIP_1) | instid1(SALU_CYCLE_1)
	s_mov_b32 s9, s8
	s_mov_b32 s10, s8
	v_mov_b32_e32 v58, s10
	v_dual_mov_b32 v56, s8 :: v_dual_mov_b32 v57, s9
	s_waitcnt lgkmcnt(0)
	v_mad_u64_u32 v[2:3], null, s15, s18, v[1:2]
	s_clause 0x1
	s_load_b64 s[12:13], s[0:1], 0x20
	s_load_b64 s[14:15], s[0:1], 0x10
	s_delay_alu instid0(VALU_DEP_1) | instskip(NEXT) | instid1(VALU_DEP_1)
	v_lshl_add_u32 v60, v2, 1, v2
	v_add_nc_u32_e32 v2, 3, v60
	v_cmp_gt_u32_e32 vcc_lo, s7, v60
	s_delay_alu instid0(VALU_DEP_2) | instskip(NEXT) | instid1(VALU_DEP_1)
	v_cmp_le_u32_e64 s2, s7, v2
	s_and_b32 s2, vcc_lo, s2
	s_delay_alu instid0(SALU_CYCLE_1)
	s_and_saveexec_b32 s11, s2
	s_cbranch_execz .LBB105_6
; %bb.1:
	v_dual_mov_b32 v58, s10 :: v_dual_mov_b32 v57, s9
	v_mov_b32_e32 v56, s8
	s_add_i32 s16, s7, -3
	s_mov_b32 s17, exec_lo
	v_cmpx_ne_u32_e64 s16, v60
	s_cbranch_execz .LBB105_5
; %bb.2:
	v_subrev_nc_u32_e32 v2, s16, v60
	s_mov_b32 s20, 0
	s_mov_b64 s[2:3], 0
	s_mov_b32 s9, s8
	s_mov_b32 s10, s8
	v_cmp_lt_u32_e32 vcc_lo, 1, v2
	v_cndmask_b32_e32 v2, 1, v2, vcc_lo
.LBB105_3:                              ; =>This Inner Loop Header: Depth=1
	s_cmp_lg_u32 s2, 2
	s_cselect_b32 s10, s10, 0
	s_cmp_lg_u32 s2, 1
	s_cselect_b32 s9, s9, 0
	;; [unrolled: 2-line block ×3, first 2 shown]
	s_add_u32 s2, s2, 1
	v_dual_mov_b32 v58, s10 :: v_dual_mov_b32 v57, s9
	v_cmp_eq_u32_e32 vcc_lo, s2, v2
	v_mov_b32_e32 v56, s8
	s_addc_u32 s3, s3, 0
	s_or_b32 s20, vcc_lo, s20
	s_delay_alu instid0(SALU_CYCLE_1)
	s_and_not1_b32 exec_lo, exec_lo, s20
	s_cbranch_execnz .LBB105_3
; %bb.4:
	s_or_b32 exec_lo, exec_lo, s20
	v_mov_b32_e32 v60, s16
.LBB105_5:
	s_or_b32 exec_lo, exec_lo, s17
.LBB105_6:
	s_delay_alu instid0(SALU_CYCLE_1) | instskip(SKIP_4) | instid1(VALU_DEP_1)
	s_or_b32 exec_lo, exec_lo, s11
	v_and_b32_e32 v0, 0x3ff, v0
	s_lshl_b32 s20, s6, 2
	s_mov_b32 s2, exec_lo
	s_min_u32 s3, s20, 0x8000
	v_lshlrev_b32_e32 v59, 3, v0
	s_delay_alu instid0(VALU_DEP_1) | instskip(NEXT) | instid1(VALU_DEP_1)
	v_lshl_add_u32 v3, v1, 8, v59
	v_cmpx_gt_u32_e64 s3, v3
	s_cbranch_execz .LBB105_15
; %bb.7:
	v_lshlrev_b32_e32 v2, 1, v3
	v_add_nc_u32_e32 v8, 0x1000, v3
	s_mov_b32 s8, exec_lo
	s_waitcnt lgkmcnt(0)
	global_load_b128 v[4:7], v2, s[12:13]
	s_waitcnt vmcnt(0)
	ds_store_b128 v2, v[4:7]
	v_cmpx_gt_u32_e64 s3, v8
	s_xor_b32 s8, exec_lo, s8
	s_cbranch_execz .LBB105_15
; %bb.8:
	v_add_co_u32 v4, s8, s12, v2
	s_delay_alu instid0(VALU_DEP_1) | instskip(SKIP_1) | instid1(VALU_DEP_3)
	v_add_co_ci_u32_e64 v5, null, s13, 0, s8
	v_add_nc_u32_e32 v10, 0x2000, v3
	v_add_co_u32 v6, vcc_lo, 0x2000, v4
	s_delay_alu instid0(VALU_DEP_3)
	v_add_co_ci_u32_e32 v7, vcc_lo, 0, v5, vcc_lo
	s_mov_b32 s8, exec_lo
	global_load_b128 v[6:9], v[6:7], off
	s_waitcnt vmcnt(0)
	ds_store_b128 v2, v[6:9] offset:8192
	v_cmpx_gt_u32_e64 s3, v10
	s_xor_b32 s8, exec_lo, s8
	s_cbranch_execz .LBB105_15
; %bb.9:
	v_add_co_u32 v6, vcc_lo, 0x4000, v4
	v_add_co_ci_u32_e32 v7, vcc_lo, 0, v5, vcc_lo
	v_add_nc_u32_e32 v10, 0x3000, v3
	s_mov_b32 s8, exec_lo
	global_load_b128 v[6:9], v[6:7], off
	s_waitcnt vmcnt(0)
	ds_store_b128 v2, v[6:9] offset:16384
	v_cmpx_gt_u32_e64 s3, v10
	s_xor_b32 s8, exec_lo, s8
	s_cbranch_execz .LBB105_15
; %bb.10:
	v_add_co_u32 v6, vcc_lo, 0x6000, v4
	v_add_co_ci_u32_e32 v7, vcc_lo, 0, v5, vcc_lo
	v_add_nc_u32_e32 v10, 0x4000, v3
	;; [unrolled: 11-line block ×5, first 2 shown]
	global_load_b128 v[6:9], v[6:7], off
	v_cmp_gt_u32_e32 vcc_lo, s3, v3
	s_waitcnt vmcnt(0)
	ds_store_b128 v2, v[6:9] offset:49152
	s_and_saveexec_b32 s3, vcc_lo
	s_delay_alu instid0(SALU_CYCLE_1)
	s_xor_b32 s3, exec_lo, s3
	s_cbranch_execz .LBB105_15
; %bb.14:
	v_add_co_u32 v3, vcc_lo, 0xe000, v4
	v_add_co_ci_u32_e32 v4, vcc_lo, 0, v5, vcc_lo
	global_load_b128 v[3:6], v[3:4], off
	s_waitcnt vmcnt(0)
	ds_store_b128 v2, v[3:6] offset:57344
.LBB105_15:
	s_or_b32 exec_lo, exec_lo, s2
	v_cmp_gt_u32_e32 vcc_lo, s18, v1
	v_cmp_gt_u32_e64 s2, s7, v60
	s_waitcnt lgkmcnt(0)
	s_barrier
	buffer_gl0_inv
	s_and_b32 s2, vcc_lo, s2
	s_delay_alu instid0(SALU_CYCLE_1)
	s_and_saveexec_b32 s3, s2
	s_cbranch_execz .LBB105_90
; %bb.16:
	s_clause 0x1
	s_load_b128 s[8:11], s[0:1], 0x28
	s_load_b64 s[16:17], s[0:1], 0x18
	s_cmp_lg_u32 s4, 0
	v_cvt_f32_u32_e32 v2, s14
	s_cselect_b32 s21, -1, 0
	s_add_i32 s22, s4, -8
	s_add_i32 s23, s7, -1
	s_mul_i32 s26, s18, s19
	v_cmp_eq_u32_e64 s0, 31, v0
	v_lshlrev_b32_e32 v78, 4, v0
	v_mad_u64_u32 v[63:64], null, s6, 3, v[59:60]
	v_mbcnt_lo_u32_b32 v82, -1, 0
	s_mul_i32 s26, s26, 3
	v_dual_mov_b32 v62, 0 :: v_dual_add_nc_u32 v79, s6, v59
	s_waitcnt lgkmcnt(0)
	s_cmp_lg_u64 s[8:9], 0
	s_cselect_b32 s24, -1, 0
	s_abs_i32 s1, s15
	s_add_i32 s25, s7, -3
	v_cvt_f32_u32_e32 v1, s1
	s_sub_i32 s3, 0, s1
	s_sub_i32 s18, 0, s14
	;; [unrolled: 1-line block ×3, first 2 shown]
	s_mov_b32 s15, 0
	v_rcp_iflag_f32_e32 v1, v1
	s_waitcnt_depctr 0xfff
	v_mul_f32_e32 v1, 0x4f7ffffe, v1
	s_delay_alu instid0(VALU_DEP_1) | instskip(NEXT) | instid1(VALU_DEP_1)
	v_cvt_u32_f32_e32 v1, v1
	v_readfirstlane_b32 s2, v1
	v_rcp_iflag_f32_e32 v1, v2
	s_delay_alu instid0(VALU_DEP_1) | instskip(NEXT) | instid1(SALU_CYCLE_1)
	s_mul_i32 s3, s3, s2
	s_mul_hi_u32 s3, s2, s3
	s_delay_alu instid0(SALU_CYCLE_1) | instskip(SKIP_4) | instid1(SALU_CYCLE_1)
	s_add_i32 s2, s2, s3
	s_cmp_lt_u32 s1, 2
	s_waitcnt_depctr 0xfff
	v_mul_f32_e32 v0, 0x4f7ffffe, v1
	s_cselect_b32 s3, s19, 1
	s_sub_i32 s19, s3, s1
	s_cmp_ge_u32 s3, s1
	s_delay_alu instid0(VALU_DEP_1)
	v_cvt_u32_f32_e32 v0, v0
	s_cselect_b32 s28, s19, s3
	s_lshr_b32 s3, s2, 31
	s_mul_hi_u32 s2, s2, 3
	s_mul_i32 s3, s3, s1
	v_mul_lo_u32 v1, s18, v0
	s_sub_i32 s3, 2, s3
	s_mul_i32 s2, s2, s1
	s_sub_i32 s19, s3, s1
	s_cmp_ge_u32 s3, s1
	s_mul_i32 s28, s28, s14
	s_cselect_b32 s3, s19, s3
	s_delay_alu instid0(SALU_CYCLE_1)
	s_sub_i32 s18, s3, s1
	s_cmp_ge_u32 s3, s1
	v_mul_hi_u32 v1, v0, v1
	s_cselect_b32 s29, s18, s3
	s_sub_i32 s2, 3, s2
	s_mul_i32 s29, s29, s14
	s_sub_i32 s3, s2, s1
	s_cmp_ge_u32 s2, s1
	s_cselect_b32 s2, s3, s2
	s_delay_alu instid0(VALU_DEP_1)
	v_add_nc_u32_e32 v80, v0, v1
	s_sub_i32 s3, s2, s1
	s_cmp_ge_u32 s2, s1
	s_cselect_b32 s30, s3, s2
	s_lshl_b32 s27, s6, 1
	s_mul_i32 s30, s30, s14
	v_add_nc_u32_e32 v81, s27, v59
	s_mul_i32 s6, s6, 6
	s_branch .LBB105_19
.LBB105_17:                             ;   in Loop: Header=BB105_19 Depth=1
	s_or_b32 exec_lo, exec_lo, s33
	v_mov_b32_e32 v60, s25
.LBB105_18:                             ;   in Loop: Header=BB105_19 Depth=1
	s_or_b32 exec_lo, exec_lo, s31
	s_delay_alu instid0(VALU_DEP_1) | instskip(SKIP_1) | instid1(SALU_CYCLE_1)
	v_cmp_le_u32_e32 vcc_lo, s7, v60
	s_or_b32 s15, vcc_lo, s15
	s_and_not1_b32 exec_lo, exec_lo, s15
	s_cbranch_execz .LBB105_90
.LBB105_19:                             ; =>This Loop Header: Depth=1
                                        ;     Child Loop BB105_24 Depth 2
                                        ;     Child Loop BB105_77 Depth 2
	v_dual_mov_b32 v94, v62 :: v_dual_add_nc_u32 v65, 1, v60
	v_dual_mov_b32 v93, v62 :: v_dual_add_nc_u32 v64, 2, v60
	v_mov_b32_e32 v92, v62
	v_mov_b32_e32 v91, v62
	;; [unrolled: 1-line block ×10, first 2 shown]
	s_and_not1_b32 vcc_lo, exec_lo, s21
	s_cbranch_vccnz .LBB105_58
; %bb.20:                               ;   in Loop: Header=BB105_19 Depth=1
	v_min_u32_e32 v0, s23, v60
	v_min_u32_e32 v1, s23, v65
	s_waitcnt lgkmcnt(5)
	v_min_u32_e32 v2, s23, v64
	s_waitcnt lgkmcnt(0)
	v_dual_mov_b32 v3, v62 :: v_dual_mov_b32 v84, 0
	v_mul_lo_u32 v61, v0, s5
	v_mul_lo_u32 v0, v1, s5
	;; [unrolled: 1-line block ×3, first 2 shown]
	v_dual_mov_b32 v1, v62 :: v_dual_mov_b32 v88, 0
	v_dual_mov_b32 v95, v78 :: v_dual_mov_b32 v86, 0
	;; [unrolled: 1-line block ×3, first 2 shown]
	v_lshlrev_b64 v[66:67], 1, v[61:62]
	s_delay_alu instid0(VALU_DEP_4)
	v_lshlrev_b64 v[68:69], 1, v[0:1]
	v_lshlrev_b64 v[70:71], 1, v[2:3]
	v_dual_mov_b32 v85, 0 :: v_dual_mov_b32 v92, 0
	v_dual_mov_b32 v83, 0 :: v_dual_mov_b32 v94, 0
	v_mov_b32_e32 v89, 0
	v_mov_b32_e32 v91, 0
	;; [unrolled: 1-line block ×3, first 2 shown]
	s_mov_b32 s1, 0
	s_branch .LBB105_24
.LBB105_21:                             ;   in Loop: Header=BB105_24 Depth=2
	s_or_b32 exec_lo, exec_lo, s18
.LBB105_22:                             ;   in Loop: Header=BB105_24 Depth=2
	s_delay_alu instid0(SALU_CYCLE_1)
	s_or_b32 exec_lo, exec_lo, s3
.LBB105_23:                             ;   in Loop: Header=BB105_24 Depth=2
	s_delay_alu instid0(SALU_CYCLE_1)
	s_or_b32 exec_lo, exec_lo, s2
	s_waitcnt vmcnt(0) lgkmcnt(0)
	;;#ASMSTART
	v_dot2_f32_f16 v94, v36, v20, v94
	;;#ASMEND
	;;#ASMSTART
	v_dot2_f32_f16 v93, v36, v16, v93
	;;#ASMEND
	;; [unrolled: 3-line block ×36, first 2 shown]
	v_add_nc_u32_e32 v95, 0x400, v95
	;;#ASMSTART
	v_dot2_f32_f16 v94, v39, v23, v94
	;;#ASMEND
	;;#ASMSTART
	v_dot2_f32_f16 v93, v39, v19, v93
	;;#ASMEND
	;; [unrolled: 3-line block ×12, first 2 shown]
	s_addk_i32 s1, 0x200
	;;#ASMSTART
	v_dot2_f32_f16 v94, v52, v8, v94
	;;#ASMEND
	;;#ASMSTART
	v_dot2_f32_f16 v93, v52, v4, v93
	;;#ASMEND
	;; [unrolled: 3-line block ×24, first 2 shown]
	s_cmp_ge_u32 s1, s4
	;;#ASMSTART
	v_dot2_f32_f16 v94, v54, v10, v94
	;;#ASMEND
	;;#ASMSTART
	v_dot2_f32_f16 v93, v54, v6, v93
	;;#ASMEND
	;; [unrolled: 3-line block ×24, first 2 shown]
	s_cbranch_scc1 .LBB105_58
.LBB105_24:                             ;   Parent Loop BB105_19 Depth=1
                                        ; =>  This Inner Loop Header: Depth=2
	v_dual_mov_b32 v42, 0 :: v_dual_add_nc_u32 v73, s1, v59
	v_dual_mov_b32 v41, 0 :: v_dual_mov_b32 v40, 0
	v_dual_mov_b32 v47, 0 :: v_dual_mov_b32 v46, 0
	s_delay_alu instid0(VALU_DEP_3) | instskip(SKIP_2) | instid1(VALU_DEP_3)
	v_min_u32_e32 v61, s22, v73
	v_dual_mov_b32 v43, 0 :: v_dual_add_nc_u32 v72, 0x100, v73
	v_dual_mov_b32 v45, 0 :: v_dual_mov_b32 v44, 0
	v_lshlrev_b64 v[0:1], 1, v[61:62]
	s_delay_alu instid0(VALU_DEP_3)
	v_min_u32_e32 v61, s22, v72
	s_waitcnt vmcnt(6)
	v_dual_mov_b32 v31, 0 :: v_dual_mov_b32 v30, 0
	s_waitcnt vmcnt(4)
	v_dual_mov_b32 v29, 0 :: v_dual_mov_b32 v28, 0
	v_add_co_u32 v6, vcc_lo, s16, v0
	v_add_co_ci_u32_e32 v7, vcc_lo, s17, v1, vcc_lo
	v_lshlrev_b64 v[0:1], 1, v[61:62]
	s_delay_alu instid0(VALU_DEP_3) | instskip(NEXT) | instid1(VALU_DEP_3)
	v_add_co_u32 v2, vcc_lo, v6, v66
	v_add_co_ci_u32_e32 v3, vcc_lo, v7, v67, vcc_lo
	v_add_co_u32 v4, vcc_lo, v6, v68
	v_add_co_ci_u32_e32 v5, vcc_lo, v7, v69, vcc_lo
	;; [unrolled: 2-line block ×4, first 2 shown]
	s_delay_alu instid0(VALU_DEP_4) | instskip(NEXT) | instid1(VALU_DEP_4)
	v_add_co_u32 v6, vcc_lo, v8, v66
	v_add_co_ci_u32_e32 v7, vcc_lo, v9, v67, vcc_lo
	s_waitcnt vmcnt(0)
	v_add_co_u32 v24, vcc_lo, v8, v68
	v_add_co_ci_u32_e32 v25, vcc_lo, v9, v69, vcc_lo
	v_add_co_u32 v26, vcc_lo, v8, v70
	v_add_co_ci_u32_e32 v27, vcc_lo, v9, v71, vcc_lo
	s_clause 0x5
	global_load_b128 v[20:23], v[2:3], off slc dlc
	global_load_b128 v[16:19], v[4:5], off slc dlc
	;; [unrolled: 1-line block ×6, first 2 shown]
	v_cmp_gt_u32_e32 vcc_lo, s4, v73
	v_dual_mov_b32 v27, 0 :: v_dual_mov_b32 v26, 0
	v_dual_mov_b32 v25, 0 :: v_dual_mov_b32 v24, 0
	;; [unrolled: 1-line block ×10, first 2 shown]
	s_and_saveexec_b32 s2, vcc_lo
	s_cbranch_execz .LBB105_23
; %bb.25:                               ;   in Loop: Header=BB105_24 Depth=2
	s_mov_b32 s3, exec_lo
                                        ; implicit-def: $vgpr39
	v_cmpx_lt_u32_e32 0x7fff, v73
	s_xor_b32 s3, exec_lo, s3
	s_cbranch_execz .LBB105_27
; %bb.26:                               ;   in Loop: Header=BB105_24 Depth=2
	v_mov_b32_e32 v74, v62
	s_delay_alu instid0(VALU_DEP_1) | instskip(NEXT) | instid1(VALU_DEP_1)
	v_lshlrev_b64 v[24:25], 1, v[73:74]
	v_add_co_u32 v24, vcc_lo, s12, v24
	s_delay_alu instid0(VALU_DEP_2)
	v_add_co_ci_u32_e32 v25, vcc_lo, s13, v25, vcc_lo
	global_load_b128 v[36:39], v[24:25], off
.LBB105_27:                             ;   in Loop: Header=BB105_24 Depth=2
	s_and_not1_saveexec_b32 s3, s3
	s_cbranch_execz .LBB105_29
; %bb.28:                               ;   in Loop: Header=BB105_24 Depth=2
	s_waitcnt vmcnt(0)
	ds_load_b128 v[36:39], v95
.LBB105_29:                             ;   in Loop: Header=BB105_24 Depth=2
	s_or_b32 exec_lo, exec_lo, s3
	v_add_nc_u32_e32 v61, s1, v79
	s_mov_b32 s3, exec_lo
                                        ; implicit-def: $vgpr35
	s_delay_alu instid0(VALU_DEP_1)
	v_cmpx_lt_u32_e32 0x7fff, v61
	s_xor_b32 s3, exec_lo, s3
	s_cbranch_execz .LBB105_31
; %bb.30:                               ;   in Loop: Header=BB105_24 Depth=2
	v_lshlrev_b64 v[24:25], 1, v[61:62]
	s_delay_alu instid0(VALU_DEP_1) | instskip(NEXT) | instid1(VALU_DEP_2)
	v_add_co_u32 v24, vcc_lo, s12, v24
	v_add_co_ci_u32_e32 v25, vcc_lo, s13, v25, vcc_lo
	global_load_b128 v[32:35], v[24:25], off
.LBB105_31:                             ;   in Loop: Header=BB105_24 Depth=2
	s_and_not1_saveexec_b32 s3, s3
	s_cbranch_execz .LBB105_33
; %bb.32:                               ;   in Loop: Header=BB105_24 Depth=2
	v_add_nc_u32_e32 v24, s27, v95
	s_waitcnt vmcnt(0)
	ds_load_b128 v[32:35], v24
.LBB105_33:                             ;   in Loop: Header=BB105_24 Depth=2
	s_or_b32 exec_lo, exec_lo, s3
	v_add_nc_u32_e32 v76, s1, v81
	s_mov_b32 s3, exec_lo
                                        ; implicit-def: $vgpr31
	s_delay_alu instid0(VALU_DEP_1)
	v_cmpx_lt_u32_e32 0x7fff, v76
	s_xor_b32 s3, exec_lo, s3
	s_cbranch_execz .LBB105_35
; %bb.34:                               ;   in Loop: Header=BB105_24 Depth=2
	v_mov_b32_e32 v77, v62
	s_delay_alu instid0(VALU_DEP_1) | instskip(NEXT) | instid1(VALU_DEP_1)
	v_lshlrev_b64 v[24:25], 1, v[76:77]
	v_add_co_u32 v24, vcc_lo, s12, v24
	s_delay_alu instid0(VALU_DEP_2)
	v_add_co_ci_u32_e32 v25, vcc_lo, s13, v25, vcc_lo
	global_load_b128 v[28:31], v[24:25], off
.LBB105_35:                             ;   in Loop: Header=BB105_24 Depth=2
	s_and_not1_saveexec_b32 s3, s3
	s_cbranch_execz .LBB105_37
; %bb.36:                               ;   in Loop: Header=BB105_24 Depth=2
	v_add_nc_u32_e32 v24, s20, v95
	s_waitcnt vmcnt(0)
	ds_load_2addr_b32 v[28:29], v24 offset1:1
	ds_load_2addr_b32 v[30:31], v24 offset0:2 offset1:3
.LBB105_37:                             ;   in Loop: Header=BB105_24 Depth=2
	s_or_b32 exec_lo, exec_lo, s3
	v_add_nc_u32_e32 v74, s1, v63
	s_mov_b32 s3, exec_lo
                                        ; implicit-def: $vgpr27
	s_delay_alu instid0(VALU_DEP_1)
	v_cmpx_lt_u32_e32 0x7fff, v74
	s_xor_b32 s3, exec_lo, s3
	s_cbranch_execz .LBB105_39
; %bb.38:                               ;   in Loop: Header=BB105_24 Depth=2
	v_mov_b32_e32 v75, v62
	s_delay_alu instid0(VALU_DEP_1) | instskip(NEXT) | instid1(VALU_DEP_1)
	v_lshlrev_b64 v[24:25], 1, v[74:75]
	v_add_co_u32 v24, vcc_lo, s12, v24
	s_delay_alu instid0(VALU_DEP_2)
	v_add_co_ci_u32_e32 v25, vcc_lo, s13, v25, vcc_lo
	global_load_b128 v[24:27], v[24:25], off
.LBB105_39:                             ;   in Loop: Header=BB105_24 Depth=2
	s_and_not1_saveexec_b32 s3, s3
	s_cbranch_execz .LBB105_41
; %bb.40:                               ;   in Loop: Header=BB105_24 Depth=2
	s_waitcnt vmcnt(0)
	v_add_nc_u32_e32 v24, s6, v95
	ds_load_b128 v[24:27], v24
.LBB105_41:                             ;   in Loop: Header=BB105_24 Depth=2
	s_or_b32 exec_lo, exec_lo, s3
	v_dual_mov_b32 v43, 0 :: v_dual_mov_b32 v42, 0
	v_dual_mov_b32 v41, 0 :: v_dual_mov_b32 v40, 0
	;; [unrolled: 1-line block ×8, first 2 shown]
	s_mov_b32 s3, exec_lo
	v_cmpx_gt_u32_e64 s4, v72
	s_cbranch_execz .LBB105_22
; %bb.42:                               ;   in Loop: Header=BB105_24 Depth=2
	s_mov_b32 s18, exec_lo
                                        ; implicit-def: $vgpr55
	v_cmpx_lt_u32_e32 0x7fff, v72
	s_xor_b32 s18, exec_lo, s18
	s_cbranch_execz .LBB105_44
; %bb.43:                               ;   in Loop: Header=BB105_24 Depth=2
	v_mov_b32_e32 v73, v62
	s_delay_alu instid0(VALU_DEP_1) | instskip(NEXT) | instid1(VALU_DEP_1)
	v_lshlrev_b64 v[40:41], 1, v[72:73]
	v_add_co_u32 v40, vcc_lo, s12, v40
	s_delay_alu instid0(VALU_DEP_2)
	v_add_co_ci_u32_e32 v41, vcc_lo, s13, v41, vcc_lo
	global_load_b128 v[52:55], v[40:41], off
.LBB105_44:                             ;   in Loop: Header=BB105_24 Depth=2
	s_and_not1_saveexec_b32 s18, s18
	s_cbranch_execz .LBB105_46
; %bb.45:                               ;   in Loop: Header=BB105_24 Depth=2
	s_waitcnt vmcnt(0)
	ds_load_b128 v[52:55], v95 offset:512
.LBB105_46:                             ;   in Loop: Header=BB105_24 Depth=2
	s_or_b32 exec_lo, exec_lo, s18
	v_add_nc_u32_e32 v61, 0x100, v61
	s_mov_b32 s18, exec_lo
                                        ; implicit-def: $vgpr51
	s_delay_alu instid0(VALU_DEP_1)
	v_cmpx_lt_u32_e32 0x7fff, v61
	s_xor_b32 s18, exec_lo, s18
	s_cbranch_execz .LBB105_48
; %bb.47:                               ;   in Loop: Header=BB105_24 Depth=2
	v_lshlrev_b64 v[40:41], 1, v[61:62]
	s_delay_alu instid0(VALU_DEP_1) | instskip(NEXT) | instid1(VALU_DEP_2)
	v_add_co_u32 v40, vcc_lo, s12, v40
	v_add_co_ci_u32_e32 v41, vcc_lo, s13, v41, vcc_lo
	global_load_b128 v[48:51], v[40:41], off
.LBB105_48:                             ;   in Loop: Header=BB105_24 Depth=2
	s_and_not1_saveexec_b32 s18, s18
	s_cbranch_execz .LBB105_50
; %bb.49:                               ;   in Loop: Header=BB105_24 Depth=2
	v_add_nc_u32_e32 v40, s27, v95
	s_waitcnt vmcnt(0)
	ds_load_b128 v[48:51], v40 offset:512
.LBB105_50:                             ;   in Loop: Header=BB105_24 Depth=2
	s_or_b32 exec_lo, exec_lo, s18
	v_add_nc_u32_e32 v61, 0x100, v76
	s_mov_b32 s18, exec_lo
                                        ; implicit-def: $vgpr47
	s_delay_alu instid0(VALU_DEP_1)
	v_cmpx_lt_u32_e32 0x7fff, v61
	s_xor_b32 s18, exec_lo, s18
	s_cbranch_execz .LBB105_52
; %bb.51:                               ;   in Loop: Header=BB105_24 Depth=2
	v_lshlrev_b64 v[40:41], 1, v[61:62]
	s_delay_alu instid0(VALU_DEP_1) | instskip(NEXT) | instid1(VALU_DEP_2)
	v_add_co_u32 v40, vcc_lo, s12, v40
	v_add_co_ci_u32_e32 v41, vcc_lo, s13, v41, vcc_lo
	global_load_b128 v[44:47], v[40:41], off
.LBB105_52:                             ;   in Loop: Header=BB105_24 Depth=2
	s_and_not1_saveexec_b32 s18, s18
	s_cbranch_execz .LBB105_54
; %bb.53:                               ;   in Loop: Header=BB105_24 Depth=2
	v_add_nc_u32_e32 v40, s20, v95
	s_waitcnt vmcnt(0)
	ds_load_2addr_b32 v[44:45], v40 offset0:128 offset1:129
	ds_load_2addr_b32 v[46:47], v40 offset0:130 offset1:131
.LBB105_54:                             ;   in Loop: Header=BB105_24 Depth=2
	s_or_b32 exec_lo, exec_lo, s18
	v_add_nc_u32_e32 v61, 0x100, v74
	s_mov_b32 s18, exec_lo
                                        ; implicit-def: $vgpr43
	s_delay_alu instid0(VALU_DEP_1)
	v_cmpx_lt_u32_e32 0x7fff, v61
	s_xor_b32 s18, exec_lo, s18
	s_cbranch_execz .LBB105_56
; %bb.55:                               ;   in Loop: Header=BB105_24 Depth=2
	v_lshlrev_b64 v[40:41], 1, v[61:62]
	s_delay_alu instid0(VALU_DEP_1) | instskip(NEXT) | instid1(VALU_DEP_2)
	v_add_co_u32 v40, vcc_lo, s12, v40
	v_add_co_ci_u32_e32 v41, vcc_lo, s13, v41, vcc_lo
	global_load_b128 v[40:43], v[40:41], off
.LBB105_56:                             ;   in Loop: Header=BB105_24 Depth=2
	s_and_not1_saveexec_b32 s18, s18
	s_cbranch_execz .LBB105_21
; %bb.57:                               ;   in Loop: Header=BB105_24 Depth=2
	s_waitcnt vmcnt(0)
	v_add_nc_u32_e32 v40, s6, v95
	ds_load_b128 v[40:43], v40 offset:512
	s_branch .LBB105_21
.LBB105_58:                             ;   in Loop: Header=BB105_19 Depth=1
	v_cvt_i32_f32_e32 v0, v94
	v_cvt_i32_f32_e32 v1, v93
	s_waitcnt lgkmcnt(5)
	v_xor_b32_e32 v2, 16, v82
	s_waitcnt lgkmcnt(0)
	v_cvt_i32_f32_e32 v3, v92
	v_cvt_i32_f32_e32 v4, v91
	v_cvt_f32_i32_dpp v0, v0 row_shr:8 row_mask:0xf bank_mask:0xf bound_ctrl:1
	v_cvt_f32_i32_dpp v1, v1 row_shr:8 row_mask:0xf bank_mask:0xf bound_ctrl:1
	v_cmp_gt_i32_e32 vcc_lo, 32, v2
	v_cvt_f32_i32_dpp v3, v3 row_shr:8 row_mask:0xf bank_mask:0xf bound_ctrl:1
	v_cvt_f32_i32_dpp v4, v4 row_shr:8 row_mask:0xf bank_mask:0xf bound_ctrl:1
	s_delay_alu instid0(VALU_DEP_4) | instskip(SKIP_3) | instid1(VALU_DEP_4)
	v_dual_add_f32 v0, v94, v0 :: v_dual_add_f32 v1, v93, v1
	v_cvt_i32_f32_e32 v5, v90
	v_cvt_i32_f32_e32 v7, v88
	;; [unrolled: 1-line block ×5, first 2 shown]
	v_cvt_f32_i32_dpp v5, v5 row_shr:8 row_mask:0xf bank_mask:0xf bound_ctrl:1
	v_cvt_f32_i32_dpp v7, v7 row_shr:8 row_mask:0xf bank_mask:0xf bound_ctrl:1
	;; [unrolled: 1-line block ×5, first 2 shown]
	s_delay_alu instid0(VALU_DEP_4) | instskip(SKIP_1) | instid1(VALU_DEP_1)
	v_dual_cndmask_b32 v2, v82, v2 :: v_dual_add_f32 v7, v88, v7
	s_waitcnt vmcnt(0)
	v_dual_add_f32 v1, v1, v9 :: v_dual_lshlrev_b32 v24, 2, v2
	v_dual_add_f32 v2, v92, v3 :: v_dual_add_f32 v3, v91, v4
	v_add_f32_e32 v0, v0, v8
	s_delay_alu instid0(VALU_DEP_3) | instskip(SKIP_1) | instid1(VALU_DEP_4)
	v_cvt_i32_f32_e32 v8, v1
	v_add_f32_e32 v4, v90, v5
	v_cvt_i32_f32_e32 v10, v3
	s_delay_alu instid0(VALU_DEP_3) | instskip(NEXT) | instid1(VALU_DEP_3)
	v_cvt_f32_i32_dpp v8, v8 row_shr:2 row_mask:0xf bank_mask:0xf bound_ctrl:1
	v_cvt_i32_f32_e32 v11, v4
	s_delay_alu instid0(VALU_DEP_2) | instskip(SKIP_1) | instid1(VALU_DEP_3)
	v_add_f32_e32 v1, v1, v8
	v_cvt_i32_f32_e32 v9, v2
	v_cvt_f32_i32_dpp v11, v11 row_shr:4 row_mask:0xf bank_mask:0xf bound_ctrl:1
	s_delay_alu instid0(VALU_DEP_3) | instskip(NEXT) | instid1(VALU_DEP_3)
	v_cvt_i32_f32_e32 v13, v1
	v_cvt_f32_i32_dpp v8, v9 row_shr:4 row_mask:0xf bank_mask:0xf bound_ctrl:1
	v_cvt_f32_i32_dpp v9, v10 row_shr:4 row_mask:0xf bank_mask:0xf bound_ctrl:1
	s_delay_alu instid0(VALU_DEP_3) | instskip(NEXT) | instid1(VALU_DEP_2)
	v_cvt_f32_i32_dpp v13, v13 row_shr:1 row_mask:0xf bank_mask:0xf bound_ctrl:1
	v_add_f32_e32 v3, v3, v9
	v_cvt_i32_f32_e32 v5, v0
	s_delay_alu instid0(VALU_DEP_3) | instskip(NEXT) | instid1(VALU_DEP_2)
	v_add_f32_e32 v16, v1, v13
	v_cvt_f32_i32_dpp v5, v5 row_shr:2 row_mask:0xf bank_mask:0xf bound_ctrl:1
	s_delay_alu instid0(VALU_DEP_1) | instskip(SKIP_1) | instid1(VALU_DEP_2)
	v_add_f32_e32 v0, v0, v5
	v_cvt_i32_f32_e32 v5, v7
	v_cvt_i32_f32_e32 v10, v0
	s_delay_alu instid0(VALU_DEP_2) | instskip(SKIP_1) | instid1(VALU_DEP_3)
	v_cvt_f32_i32_dpp v5, v5 row_shr:4 row_mask:0xf bank_mask:0xf bound_ctrl:1
	v_add_f32_e32 v6, v89, v6
	v_cvt_f32_i32_dpp v10, v10 row_shr:1 row_mask:0xf bank_mask:0xf bound_ctrl:1
	s_delay_alu instid0(VALU_DEP_3) | instskip(NEXT) | instid1(VALU_DEP_3)
	v_add_f32_e32 v1, v7, v5
	v_cvt_i32_f32_e32 v12, v6
	s_delay_alu instid0(VALU_DEP_3) | instskip(NEXT) | instid1(VALU_DEP_3)
	v_add_f32_e32 v22, v0, v10
	v_cvt_i32_f32_e32 v9, v1
	s_delay_alu instid0(VALU_DEP_3) | instskip(NEXT) | instid1(VALU_DEP_2)
	v_cvt_f32_i32_dpp v12, v12 row_shr:4 row_mask:0xf bank_mask:0xf bound_ctrl:1
	v_cvt_f32_i32_dpp v9, v9 row_shr:2 row_mask:0xf bank_mask:0xf bound_ctrl:1
	v_add_f32_e32 v2, v2, v8
	s_delay_alu instid0(VALU_DEP_3) | instskip(SKIP_1) | instid1(VALU_DEP_4)
	v_add_f32_e32 v0, v6, v12
	v_cvt_i32_f32_e32 v6, v3
	v_add_f32_e32 v1, v1, v9
	s_delay_alu instid0(VALU_DEP_4) | instskip(NEXT) | instid1(VALU_DEP_4)
	v_cvt_i32_f32_e32 v5, v2
	v_cvt_i32_f32_e32 v8, v0
	s_delay_alu instid0(VALU_DEP_4) | instskip(NEXT) | instid1(VALU_DEP_4)
	v_cvt_f32_i32_dpp v6, v6 row_shr:2 row_mask:0xf bank_mask:0xf bound_ctrl:1
	v_cvt_i32_f32_e32 v9, v1
	s_delay_alu instid0(VALU_DEP_4) | instskip(NEXT) | instid1(VALU_DEP_4)
	v_cvt_f32_i32_dpp v5, v5 row_shr:2 row_mask:0xf bank_mask:0xf bound_ctrl:1
	v_cvt_f32_i32_dpp v8, v8 row_shr:2 row_mask:0xf bank_mask:0xf bound_ctrl:1
	s_delay_alu instid0(VALU_DEP_4) | instskip(NEXT) | instid1(VALU_DEP_4)
	v_add_f32_e32 v3, v3, v6
	v_cvt_f32_i32_dpp v10, v9 row_shr:1 row_mask:0xf bank_mask:0xf bound_ctrl:1
	s_delay_alu instid0(VALU_DEP_4) | instskip(NEXT) | instid1(VALU_DEP_3)
	v_add_f32_e32 v2, v2, v5
	v_cvt_i32_f32_e32 v6, v3
	s_delay_alu instid0(VALU_DEP_2) | instskip(NEXT) | instid1(VALU_DEP_2)
	v_cvt_i32_f32_e32 v5, v2
	v_cvt_f32_i32_dpp v6, v6 row_shr:1 row_mask:0xf bank_mask:0xf bound_ctrl:1
	s_delay_alu instid0(VALU_DEP_2) | instskip(NEXT) | instid1(VALU_DEP_1)
	v_cvt_f32_i32_dpp v5, v5 row_shr:1 row_mask:0xf bank_mask:0xf bound_ctrl:1
	v_add_f32_e32 v18, v2, v5
	v_cvt_i32_f32_e32 v5, v86
	s_delay_alu instid0(VALU_DEP_1) | instskip(NEXT) | instid1(VALU_DEP_1)
	v_cvt_f32_i32_dpp v5, v5 row_shr:8 row_mask:0xf bank_mask:0xf bound_ctrl:1
	v_dual_add_f32 v4, v4, v11 :: v_dual_add_f32 v5, v86, v5
	s_delay_alu instid0(VALU_DEP_1) | instskip(NEXT) | instid1(VALU_DEP_2)
	v_cvt_i32_f32_e32 v7, v4
	v_cvt_i32_f32_e32 v15, v5
	s_delay_alu instid0(VALU_DEP_2) | instskip(NEXT) | instid1(VALU_DEP_2)
	v_cvt_f32_i32_dpp v7, v7 row_shr:2 row_mask:0xf bank_mask:0xf bound_ctrl:1
	v_cvt_f32_i32_dpp v15, v15 row_shr:4 row_mask:0xf bank_mask:0xf bound_ctrl:1
	s_delay_alu instid0(VALU_DEP_2) | instskip(NEXT) | instid1(VALU_DEP_2)
	v_add_f32_e32 v4, v4, v7
	v_add_f32_e32 v5, v5, v15
	s_delay_alu instid0(VALU_DEP_2) | instskip(SKIP_3) | instid1(VALU_DEP_2)
	v_cvt_i32_f32_e32 v7, v4
	ds_bpermute_b32 v20, v24, v18
	v_cvt_i32_f32_e32 v15, v5
	v_cvt_f32_i32_dpp v7, v7 row_shr:1 row_mask:0xf bank_mask:0xf bound_ctrl:1
	v_cvt_f32_i32_dpp v15, v15 row_shr:2 row_mask:0xf bank_mask:0xf bound_ctrl:1
	v_add_f32_e32 v12, v3, v6
	v_cvt_i32_f32_e32 v3, v87
	s_delay_alu instid0(VALU_DEP_4)
	v_add_f32_e32 v9, v4, v7
	v_cvt_i32_f32_e32 v7, v85
	v_add_f32_e32 v5, v5, v15
	ds_bpermute_b32 v17, v24, v16
	v_cvt_f32_i32_dpp v3, v3 row_shr:8 row_mask:0xf bank_mask:0xf bound_ctrl:1
	ds_bpermute_b32 v14, v24, v12
	v_cvt_f32_i32_dpp v7, v7 row_shr:8 row_mask:0xf bank_mask:0xf bound_ctrl:1
	v_cvt_i32_f32_e32 v15, v5
	ds_bpermute_b32 v11, v24, v9
	v_add_f32_e32 v3, v87, v3
	ds_bpermute_b32 v23, v24, v22
	v_add_f32_e32 v7, v85, v7
	v_cvt_f32_i32_dpp v15, v15 row_shr:1 row_mask:0xf bank_mask:0xf bound_ctrl:1
	v_cvt_i32_f32_e32 v13, v3
	s_delay_alu instid0(VALU_DEP_3) | instskip(NEXT) | instid1(VALU_DEP_2)
	v_cvt_i32_f32_e32 v19, v7
	v_cvt_f32_i32_dpp v13, v13 row_shr:4 row_mask:0xf bank_mask:0xf bound_ctrl:1
	v_add_f32_e32 v0, v0, v8
	s_delay_alu instid0(VALU_DEP_3) | instskip(NEXT) | instid1(VALU_DEP_3)
	v_cvt_f32_i32_dpp v19, v19 row_shr:4 row_mask:0xf bank_mask:0xf bound_ctrl:1
	v_add_f32_e32 v3, v3, v13
	s_delay_alu instid0(VALU_DEP_3) | instskip(NEXT) | instid1(VALU_DEP_3)
	v_cvt_i32_f32_e32 v8, v0
	v_add_f32_e32 v7, v7, v19
	s_delay_alu instid0(VALU_DEP_3) | instskip(NEXT) | instid1(VALU_DEP_3)
	v_cvt_i32_f32_e32 v13, v3
	v_cvt_f32_i32_dpp v8, v8 row_shr:1 row_mask:0xf bank_mask:0xf bound_ctrl:1
	s_delay_alu instid0(VALU_DEP_3) | instskip(NEXT) | instid1(VALU_DEP_3)
	v_cvt_i32_f32_e32 v19, v7
	v_cvt_f32_i32_dpp v13, v13 row_shr:2 row_mask:0xf bank_mask:0xf bound_ctrl:1
	s_delay_alu instid0(VALU_DEP_3)
	v_add_f32_e32 v4, v0, v8
	v_add_f32_e32 v0, v1, v10
	v_cvt_i32_f32_e32 v1, v84
	v_cvt_i32_f32_e32 v8, v83
	v_add_f32_e32 v3, v3, v13
	v_cvt_f32_i32_dpp v19, v19 row_shr:2 row_mask:0xf bank_mask:0xf bound_ctrl:1
	ds_bpermute_b32 v6, v24, v4
	v_cvt_f32_i32_dpp v1, v1 row_shr:8 row_mask:0xf bank_mask:0xf bound_ctrl:1
	v_cvt_f32_i32_dpp v8, v8 row_shr:8 row_mask:0xf bank_mask:0xf bound_ctrl:1
	v_cvt_i32_f32_e32 v13, v3
	ds_bpermute_b32 v2, v24, v0
	v_add_f32_e32 v7, v7, v19
	v_add_f32_e32 v1, v84, v1
	v_cvt_f32_i32_dpp v13, v13 row_shr:1 row_mask:0xf bank_mask:0xf bound_ctrl:1
	s_delay_alu instid0(VALU_DEP_3) | instskip(NEXT) | instid1(VALU_DEP_3)
	v_cvt_i32_f32_e32 v19, v7
	v_cvt_i32_f32_e32 v10, v1
	s_delay_alu instid0(VALU_DEP_3) | instskip(NEXT) | instid1(VALU_DEP_3)
	v_add_f32_e32 v13, v3, v13
	v_cvt_f32_i32_dpp v25, v19 row_shr:1 row_mask:0xf bank_mask:0xf bound_ctrl:1
	s_delay_alu instid0(VALU_DEP_3) | instskip(NEXT) | instid1(VALU_DEP_1)
	v_cvt_f32_i32_dpp v10, v10 row_shr:4 row_mask:0xf bank_mask:0xf bound_ctrl:1
	v_add_f32_e32 v1, v1, v10
	s_delay_alu instid0(VALU_DEP_1) | instskip(NEXT) | instid1(VALU_DEP_1)
	v_cvt_i32_f32_e32 v10, v1
	v_cvt_f32_i32_dpp v10, v10 row_shr:2 row_mask:0xf bank_mask:0xf bound_ctrl:1
	s_delay_alu instid0(VALU_DEP_1) | instskip(NEXT) | instid1(VALU_DEP_1)
	v_dual_add_f32 v8, v83, v8 :: v_dual_add_f32 v1, v1, v10
	v_cvt_i32_f32_e32 v21, v8
	s_delay_alu instid0(VALU_DEP_1) | instskip(NEXT) | instid1(VALU_DEP_1)
	v_cvt_f32_i32_dpp v21, v21 row_shr:4 row_mask:0xf bank_mask:0xf bound_ctrl:1
	v_add_f32_e32 v8, v8, v21
	s_delay_alu instid0(VALU_DEP_1) | instskip(NEXT) | instid1(VALU_DEP_1)
	v_cvt_i32_f32_e32 v21, v8
	v_cvt_f32_i32_dpp v21, v21 row_shr:2 row_mask:0xf bank_mask:0xf bound_ctrl:1
	s_delay_alu instid0(VALU_DEP_1) | instskip(SKIP_1) | instid1(VALU_DEP_1)
	v_add_f32_e32 v10, v8, v21
	v_cvt_i32_f32_e32 v8, v1
	v_cvt_f32_i32_dpp v8, v8 row_shr:1 row_mask:0xf bank_mask:0xf bound_ctrl:1
	s_delay_alu instid0(VALU_DEP_1) | instskip(NEXT) | instid1(VALU_DEP_4)
	v_add_f32_e32 v19, v1, v8
	v_cvt_i32_f32_e32 v21, v10
	v_dual_add_f32 v8, v5, v15 :: v_dual_add_f32 v5, v7, v25
	ds_bpermute_b32 v15, v24, v13
	v_cvt_f32_i32_dpp v21, v21 row_shr:1 row_mask:0xf bank_mask:0xf bound_ctrl:1
	ds_bpermute_b32 v7, v24, v5
	v_add_f32_e32 v1, v10, v21
	ds_bpermute_b32 v21, v24, v19
	ds_bpermute_b32 v10, v24, v8
	;; [unrolled: 1-line block ×3, first 2 shown]
	s_and_saveexec_b32 s18, s0
	s_cbranch_execz .LBB105_74
; %bb.59:                               ;   in Loop: Header=BB105_19 Depth=1
	v_dual_mov_b32 v35, 0 :: v_dual_mov_b32 v34, 0
	v_dual_mov_b32 v33, 0 :: v_dual_mov_b32 v32, 0
	;; [unrolled: 1-line block ×6, first 2 shown]
	s_and_not1_b32 vcc_lo, exec_lo, s24
	s_cbranch_vccnz .LBB105_61
; %bb.60:                               ;   in Loop: Header=BB105_19 Depth=1
	v_mul_hi_u32 v24, v60, v80
	v_mul_hi_u32 v25, v65, v80
	;; [unrolled: 1-line block ×3, first 2 shown]
	v_mov_b32_e32 v43, v62
	v_mov_b32_e32 v41, v62
	v_mul_lo_u32 v24, v24, s14
	v_mul_lo_u32 v25, v25, s14
	;; [unrolled: 1-line block ×3, first 2 shown]
	s_delay_alu instid0(VALU_DEP_3) | instskip(NEXT) | instid1(VALU_DEP_3)
	v_sub_nc_u32_e32 v24, v60, v24
	v_sub_nc_u32_e32 v27, v65, v25
	s_delay_alu instid0(VALU_DEP_3) | instskip(NEXT) | instid1(VALU_DEP_3)
	v_sub_nc_u32_e32 v26, v64, v26
	v_subrev_nc_u32_e32 v28, s14, v24
	v_cmp_le_u32_e32 vcc_lo, s14, v24
	v_mov_b32_e32 v25, v62
	v_subrev_nc_u32_e32 v29, s14, v27
	v_subrev_nc_u32_e32 v30, s14, v26
	v_cndmask_b32_e32 v24, v24, v28, vcc_lo
	v_cmp_le_u32_e32 vcc_lo, s14, v27
	s_delay_alu instid0(VALU_DEP_4) | instskip(SKIP_1) | instid1(VALU_DEP_2)
	v_dual_cndmask_b32 v28, v27, v29 :: v_dual_mov_b32 v27, v62
	v_cmp_le_u32_e32 vcc_lo, s14, v26
	v_subrev_nc_u32_e32 v31, s14, v28
	v_cndmask_b32_e32 v26, v26, v30, vcc_lo
	v_subrev_nc_u32_e32 v30, s14, v24
	v_cmp_le_u32_e32 vcc_lo, s14, v24
	s_delay_alu instid0(VALU_DEP_3) | instskip(NEXT) | instid1(VALU_DEP_3)
	v_subrev_nc_u32_e32 v32, s14, v26
	v_cndmask_b32_e32 v61, v24, v30, vcc_lo
	v_cmp_le_u32_e32 vcc_lo, s14, v28
	v_dual_mov_b32 v29, v62 :: v_dual_cndmask_b32 v24, v28, v31
	v_cmp_le_u32_e32 vcc_lo, s14, v26
	s_delay_alu instid0(VALU_DEP_2) | instskip(SKIP_4) | instid1(VALU_DEP_4)
	v_lshlrev_b64 v[34:35], 1, v[24:25]
	v_cndmask_b32_e32 v26, v26, v32, vcc_lo
	v_lshlrev_b64 v[32:33], 1, v[61:62]
	v_dual_mov_b32 v31, v62 :: v_dual_add_nc_u32 v28, s28, v61
	v_add_nc_u32_e32 v30, s28, v24
	v_lshlrev_b64 v[36:37], 1, v[26:27]
	v_add_nc_u32_e32 v40, s29, v61
	v_add_co_u32 v32, vcc_lo, s8, v32
	v_add_co_ci_u32_e32 v33, vcc_lo, s9, v33, vcc_lo
	v_add_co_u32 v38, vcc_lo, s8, v34
	v_lshlrev_b64 v[27:28], 1, v[28:29]
	v_add_co_ci_u32_e32 v39, vcc_lo, s9, v35, vcc_lo
	v_dual_mov_b32 v35, v62 :: v_dual_add_nc_u32 v34, s28, v26
	v_add_co_u32 v36, vcc_lo, s8, v36
	v_lshlrev_b64 v[29:30], 1, v[30:31]
	v_add_co_ci_u32_e32 v37, vcc_lo, s9, v37, vcc_lo
	v_add_co_u32 v27, vcc_lo, s8, v27
	v_lshlrev_b64 v[34:35], 1, v[34:35]
	v_add_co_ci_u32_e32 v28, vcc_lo, s9, v28, vcc_lo
	v_add_co_u32 v29, vcc_lo, s8, v29
	v_add_nc_u32_e32 v42, s29, v24
	v_add_co_ci_u32_e32 v30, vcc_lo, s9, v30, vcc_lo
	v_lshlrev_b64 v[40:41], 1, v[40:41]
	v_add_co_u32 v44, vcc_lo, s8, v34
	v_add_co_ci_u32_e32 v45, vcc_lo, s9, v35, vcc_lo
	v_lshlrev_b64 v[34:35], 1, v[42:43]
	v_add_nc_u32_e32 v42, s29, v26
	v_add_co_u32 v40, vcc_lo, s8, v40
	v_add_nc_u32_e32 v61, s30, v61
	v_add_co_ci_u32_e32 v41, vcc_lo, s9, v41, vcc_lo
	s_delay_alu instid0(VALU_DEP_4)
	v_lshlrev_b64 v[42:43], 1, v[42:43]
	v_add_co_u32 v46, vcc_lo, s8, v34
	v_add_co_ci_u32_e32 v47, vcc_lo, s9, v35, vcc_lo
	v_lshlrev_b64 v[34:35], 1, v[61:62]
	v_add_nc_u32_e32 v61, s30, v24
	v_add_co_u32 v24, vcc_lo, s8, v42
	v_add_co_ci_u32_e32 v25, vcc_lo, s9, v43, vcc_lo
	s_delay_alu instid0(VALU_DEP_3) | instskip(SKIP_3) | instid1(VALU_DEP_3)
	v_lshlrev_b64 v[42:43], 1, v[61:62]
	v_add_nc_u32_e32 v61, s30, v26
	v_add_co_u32 v48, vcc_lo, s8, v34
	v_add_co_ci_u32_e32 v49, vcc_lo, s9, v35, vcc_lo
	v_lshlrev_b64 v[34:35], 1, v[61:62]
	v_add_co_u32 v42, vcc_lo, s8, v42
	v_add_co_ci_u32_e32 v43, vcc_lo, s9, v43, vcc_lo
	s_delay_alu instid0(VALU_DEP_3) | instskip(NEXT) | instid1(VALU_DEP_4)
	v_add_co_u32 v50, vcc_lo, s8, v34
	v_add_co_ci_u32_e32 v51, vcc_lo, s9, v35, vcc_lo
	s_clause 0xb
	global_load_u16 v35, v[32:33], off
	global_load_u16 v34, v[38:39], off
	;; [unrolled: 1-line block ×12, first 2 shown]
.LBB105_61:                             ;   in Loop: Header=BB105_19 Depth=1
	v_cmp_ne_u32_e32 vcc_lo, 0, v56
	s_and_saveexec_b32 s2, vcc_lo
	s_cbranch_execnz .LBB105_79
; %bb.62:                               ;   in Loop: Header=BB105_19 Depth=1
	s_or_b32 exec_lo, exec_lo, s2
	v_cmp_ne_u32_e64 s1, 0, v57
	s_delay_alu instid0(VALU_DEP_1)
	s_and_saveexec_b32 s3, s1
	s_cbranch_execnz .LBB105_80
.LBB105_63:                             ;   in Loop: Header=BB105_19 Depth=1
	s_or_b32 exec_lo, exec_lo, s3
	v_cmp_ne_u32_e64 s2, 0, v58
	s_delay_alu instid0(VALU_DEP_1)
	s_and_saveexec_b32 s19, s2
	s_cbranch_execnz .LBB105_81
.LBB105_64:                             ;   in Loop: Header=BB105_19 Depth=1
	s_or_b32 exec_lo, exec_lo, s19
	v_add_nc_u32_e32 v61, s7, v60
	s_and_saveexec_b32 s19, vcc_lo
	s_cbranch_execnz .LBB105_82
.LBB105_65:                             ;   in Loop: Header=BB105_19 Depth=1
	s_or_b32 exec_lo, exec_lo, s19
	s_and_saveexec_b32 s19, s1
	s_cbranch_execnz .LBB105_83
.LBB105_66:                             ;   in Loop: Header=BB105_19 Depth=1
	s_or_b32 exec_lo, exec_lo, s19
	s_and_saveexec_b32 s19, s2
	s_cbranch_execnz .LBB105_84
.LBB105_67:                             ;   in Loop: Header=BB105_19 Depth=1
	s_or_b32 exec_lo, exec_lo, s19
	v_add_nc_u32_e32 v61, s7, v61
	s_and_saveexec_b32 s19, vcc_lo
	s_cbranch_execnz .LBB105_85
.LBB105_68:                             ;   in Loop: Header=BB105_19 Depth=1
	s_or_b32 exec_lo, exec_lo, s19
	s_and_saveexec_b32 s19, s1
	s_cbranch_execnz .LBB105_86
.LBB105_69:                             ;   in Loop: Header=BB105_19 Depth=1
	s_or_b32 exec_lo, exec_lo, s19
	s_and_saveexec_b32 s19, s2
	s_cbranch_execnz .LBB105_87
.LBB105_70:                             ;   in Loop: Header=BB105_19 Depth=1
	s_or_b32 exec_lo, exec_lo, s19
	v_add_nc_u32_e32 v61, s7, v61
	s_and_saveexec_b32 s3, vcc_lo
	s_cbranch_execnz .LBB105_88
.LBB105_71:                             ;   in Loop: Header=BB105_19 Depth=1
	s_or_b32 exec_lo, exec_lo, s3
	s_and_saveexec_b32 s3, s1
	s_cbranch_execnz .LBB105_89
.LBB105_72:                             ;   in Loop: Header=BB105_19 Depth=1
	s_or_b32 exec_lo, exec_lo, s3
	s_delay_alu instid0(SALU_CYCLE_1)
	s_and_b32 exec_lo, exec_lo, s2
	s_cbranch_execz .LBB105_74
.LBB105_73:                             ;   in Loop: Header=BB105_19 Depth=1
	s_waitcnt lgkmcnt(0)
	v_dual_add_f32 v0, v1, v3 :: v_dual_add_nc_u32 v61, 2, v61
	s_waitcnt vmcnt(0)
	v_cvt_f32_f16_e32 v1, v24
	s_delay_alu instid0(VALU_DEP_1) | instskip(NEXT) | instid1(VALU_DEP_3)
	v_add_f32_e32 v2, v0, v1
	v_lshlrev_b64 v[0:1], 1, v[61:62]
	s_delay_alu instid0(VALU_DEP_2) | instskip(NEXT) | instid1(VALU_DEP_2)
	v_cvt_f16_f32_e32 v2, v2
	v_add_co_u32 v0, vcc_lo, s10, v0
	s_delay_alu instid0(VALU_DEP_3)
	v_add_co_ci_u32_e32 v1, vcc_lo, s11, v1, vcc_lo
	global_store_b16 v[0:1], v2, off
.LBB105_74:                             ;   in Loop: Header=BB105_19 Depth=1
	s_or_b32 exec_lo, exec_lo, s18
	v_add_nc_u32_e32 v60, s26, v60
	s_delay_alu instid0(VALU_DEP_1) | instskip(SKIP_1) | instid1(VALU_DEP_2)
	v_add_nc_u32_e32 v0, 3, v60
	v_cmp_gt_u32_e32 vcc_lo, s7, v60
	v_cmp_le_u32_e64 s1, s7, v0
	s_delay_alu instid0(VALU_DEP_1) | instskip(NEXT) | instid1(SALU_CYCLE_1)
	s_and_b32 s1, vcc_lo, s1
	s_and_saveexec_b32 s31, s1
	s_cbranch_execz .LBB105_18
; %bb.75:                               ;   in Loop: Header=BB105_19 Depth=1
	s_mov_b32 s33, exec_lo
	v_cmpx_ne_u32_e64 s25, v60
	s_cbranch_execz .LBB105_17
; %bb.76:                               ;   in Loop: Header=BB105_19 Depth=1
	v_subrev_nc_u32_e32 v0, s25, v60
	s_mov_b32 s34, 0
	s_mov_b64 s[18:19], 0
	s_delay_alu instid0(VALU_DEP_1)
	v_cmp_lt_u32_e32 vcc_lo, 1, v0
	v_cndmask_b32_e32 v0, 1, v0, vcc_lo
	.p2align	6
.LBB105_77:                             ;   Parent Loop BB105_19 Depth=1
                                        ; =>  This Inner Loop Header: Depth=2
	s_cmp_lg_u32 s18, 2
	s_cselect_b32 vcc_lo, -1, 0
	s_cmp_lg_u32 s18, 1
	v_cndmask_b32_e32 v58, 0, v58, vcc_lo
	s_cselect_b32 s1, -1, 0
	s_cmp_lg_u32 s18, 0
	v_cndmask_b32_e64 v57, 0, v57, s1
	s_cselect_b32 s2, -1, 0
	s_add_u32 s18, s18, 1
	v_cndmask_b32_e64 v56, 0, v56, s2
	v_cmp_eq_u32_e64 s3, s18, v0
	s_addc_u32 s19, s19, 0
	s_delay_alu instid0(VALU_DEP_1) | instskip(NEXT) | instid1(SALU_CYCLE_1)
	s_or_b32 s34, s3, s34
	s_and_not1_b32 exec_lo, exec_lo, s34
	s_cbranch_execnz .LBB105_77
; %bb.78:                               ;   in Loop: Header=BB105_19 Depth=1
	s_or_b32 exec_lo, exec_lo, s34
	s_branch .LBB105_17
.LBB105_79:                             ;   in Loop: Header=BB105_19 Depth=1
	s_waitcnt lgkmcnt(7)
	v_add_f32_e32 v22, v22, v23
	s_waitcnt vmcnt(11)
	v_cvt_f32_f16_e32 v23, v35
	v_mov_b32_e32 v61, v62
	s_delay_alu instid0(VALU_DEP_2) | instskip(NEXT) | instid1(VALU_DEP_2)
	v_add_f32_e32 v35, v22, v23
	v_lshlrev_b64 v[22:23], 1, v[60:61]
	s_delay_alu instid0(VALU_DEP_2) | instskip(NEXT) | instid1(VALU_DEP_2)
	v_cvt_f16_f32_e32 v35, v35
	v_add_co_u32 v22, s1, s10, v22
	s_delay_alu instid0(VALU_DEP_1) | instskip(SKIP_3) | instid1(VALU_DEP_1)
	v_add_co_ci_u32_e64 v23, s1, s11, v23, s1
	global_store_b16 v[22:23], v35, off
	s_or_b32 exec_lo, exec_lo, s2
	v_cmp_ne_u32_e64 s1, 0, v57
	s_and_saveexec_b32 s3, s1
	s_cbranch_execz .LBB105_63
.LBB105_80:                             ;   in Loop: Header=BB105_19 Depth=1
	s_waitcnt lgkmcnt(10)
	v_add_f32_e32 v16, v16, v17
	s_waitcnt vmcnt(10)
	v_cvt_f32_f16_e32 v17, v34
	v_mov_b32_e32 v66, v62
	s_delay_alu instid0(VALU_DEP_2) | instskip(NEXT) | instid1(VALU_DEP_2)
	v_add_f32_e32 v22, v16, v17
	v_lshlrev_b64 v[16:17], 1, v[65:66]
	s_delay_alu instid0(VALU_DEP_2) | instskip(NEXT) | instid1(VALU_DEP_2)
	v_cvt_f16_f32_e32 v22, v22
	v_add_co_u32 v16, s2, s10, v16
	s_delay_alu instid0(VALU_DEP_1) | instskip(SKIP_3) | instid1(VALU_DEP_1)
	v_add_co_ci_u32_e64 v17, s2, s11, v17, s2
	global_store_b16 v[16:17], v22, off
	s_or_b32 exec_lo, exec_lo, s3
	v_cmp_ne_u32_e64 s2, 0, v58
	s_and_saveexec_b32 s19, s2
	s_cbranch_execz .LBB105_64
.LBB105_81:                             ;   in Loop: Header=BB105_19 Depth=1
	s_waitcnt lgkmcnt(11)
	v_add_f32_e32 v16, v18, v20
	s_waitcnt vmcnt(9) lgkmcnt(10)
	v_cvt_f32_f16_e32 v17, v33
	s_delay_alu instid0(VALU_DEP_1) | instskip(NEXT) | instid1(VALU_DEP_1)
	v_dual_mov_b32 v65, v62 :: v_dual_add_f32 v18, v16, v17
	v_lshlrev_b64 v[16:17], 1, v[64:65]
	s_delay_alu instid0(VALU_DEP_2) | instskip(NEXT) | instid1(VALU_DEP_2)
	v_cvt_f16_f32_e32 v18, v18
	v_add_co_u32 v16, s3, s10, v16
	s_delay_alu instid0(VALU_DEP_1)
	v_add_co_ci_u32_e64 v17, s3, s11, v17, s3
	global_store_b16 v[16:17], v18, off
	s_or_b32 exec_lo, exec_lo, s19
	v_add_nc_u32_e32 v61, s7, v60
	s_and_saveexec_b32 s19, vcc_lo
	s_cbranch_execz .LBB105_65
.LBB105_82:                             ;   in Loop: Header=BB105_19 Depth=1
	s_waitcnt lgkmcnt(9)
	v_add_f32_e32 v12, v12, v14
	s_waitcnt vmcnt(8)
	v_cvt_f32_f16_e32 v14, v32
	v_lshlrev_b64 v[16:17], 1, v[61:62]
	s_delay_alu instid0(VALU_DEP_2) | instskip(NEXT) | instid1(VALU_DEP_2)
	v_add_f32_e32 v12, v12, v14
	v_add_co_u32 v16, s3, s10, v16
	s_delay_alu instid0(VALU_DEP_1) | instskip(NEXT) | instid1(VALU_DEP_3)
	v_add_co_ci_u32_e64 v17, s3, s11, v17, s3
	v_cvt_f16_f32_e32 v12, v12
	global_store_b16 v[16:17], v12, off
	s_or_b32 exec_lo, exec_lo, s19
	s_and_saveexec_b32 s19, s1
	s_cbranch_execz .LBB105_66
.LBB105_83:                             ;   in Loop: Header=BB105_19 Depth=1
	s_waitcnt lgkmcnt(8)
	v_dual_add_f32 v9, v9, v11 :: v_dual_mov_b32 v12, v62
	v_add_nc_u32_e32 v11, 1, v61
	s_waitcnt vmcnt(7)
	v_cvt_f32_f16_e32 v14, v31
	s_delay_alu instid0(VALU_DEP_2) | instskip(NEXT) | instid1(VALU_DEP_2)
	v_lshlrev_b64 v[11:12], 1, v[11:12]
	v_add_f32_e32 v9, v9, v14
	s_delay_alu instid0(VALU_DEP_1) | instskip(NEXT) | instid1(VALU_DEP_3)
	v_cvt_f16_f32_e32 v9, v9
	v_add_co_u32 v11, s3, s10, v11
	s_delay_alu instid0(VALU_DEP_1)
	v_add_co_ci_u32_e64 v12, s3, s11, v12, s3
	global_store_b16 v[11:12], v9, off
	s_or_b32 exec_lo, exec_lo, s19
	s_and_saveexec_b32 s19, s2
	s_cbranch_execz .LBB105_67
.LBB105_84:                             ;   in Loop: Header=BB105_19 Depth=1
	s_waitcnt lgkmcnt(6)
	v_dual_add_f32 v4, v4, v6 :: v_dual_add_nc_u32 v11, 2, v61
	v_mov_b32_e32 v12, v62
	s_waitcnt vmcnt(6)
	v_cvt_f32_f16_e32 v6, v30
	s_delay_alu instid0(VALU_DEP_2) | instskip(NEXT) | instid1(VALU_DEP_2)
	v_lshlrev_b64 v[11:12], 1, v[11:12]
	v_add_f32_e32 v4, v4, v6
	s_delay_alu instid0(VALU_DEP_1) | instskip(NEXT) | instid1(VALU_DEP_3)
	v_cvt_f16_f32_e32 v4, v4
	v_add_co_u32 v11, s3, s10, v11
	s_delay_alu instid0(VALU_DEP_1)
	v_add_co_ci_u32_e64 v12, s3, s11, v12, s3
	global_store_b16 v[11:12], v4, off
	s_or_b32 exec_lo, exec_lo, s19
	v_add_nc_u32_e32 v61, s7, v61
	s_and_saveexec_b32 s19, vcc_lo
	s_cbranch_execz .LBB105_68
.LBB105_85:                             ;   in Loop: Header=BB105_19 Depth=1
	s_waitcnt lgkmcnt(5)
	v_add_f32_e32 v0, v0, v2
	s_waitcnt vmcnt(5)
	v_cvt_f32_f16_e32 v2, v29
	v_lshlrev_b64 v[11:12], 1, v[61:62]
	s_delay_alu instid0(VALU_DEP_2) | instskip(NEXT) | instid1(VALU_DEP_2)
	v_add_f32_e32 v0, v0, v2
	v_add_co_u32 v11, s3, s10, v11
	s_delay_alu instid0(VALU_DEP_1) | instskip(NEXT) | instid1(VALU_DEP_3)
	v_add_co_ci_u32_e64 v12, s3, s11, v12, s3
	v_cvt_f16_f32_e32 v0, v0
	global_store_b16 v[11:12], v0, off
	s_or_b32 exec_lo, exec_lo, s19
	s_and_saveexec_b32 s19, s1
	s_cbranch_execz .LBB105_69
.LBB105_86:                             ;   in Loop: Header=BB105_19 Depth=1
	s_waitcnt lgkmcnt(8)
	v_dual_mov_b32 v12, v62 :: v_dual_add_nc_u32 v11, 1, v61
	s_waitcnt lgkmcnt(2)
	v_add_f32_e32 v0, v19, v21
	s_waitcnt vmcnt(4)
	v_cvt_f32_f16_e32 v2, v28
	v_lshlrev_b64 v[11:12], 1, v[11:12]
	s_delay_alu instid0(VALU_DEP_2) | instskip(NEXT) | instid1(VALU_DEP_2)
	v_add_f32_e32 v0, v0, v2
	v_add_co_u32 v11, s3, s10, v11
	s_delay_alu instid0(VALU_DEP_2) | instskip(NEXT) | instid1(VALU_DEP_4)
	v_cvt_f16_f32_e32 v0, v0
	v_add_co_ci_u32_e64 v12, s3, s11, v12, s3
	global_store_b16 v[11:12], v0, off
	s_or_b32 exec_lo, exec_lo, s19
	s_and_saveexec_b32 s19, s2
	s_cbranch_execz .LBB105_70
.LBB105_87:                             ;   in Loop: Header=BB105_19 Depth=1
	s_waitcnt lgkmcnt(4)
	v_dual_add_f32 v0, v13, v15 :: v_dual_add_nc_u32 v11, 2, v61
	v_mov_b32_e32 v12, v62
	s_waitcnt vmcnt(3)
	v_cvt_f32_f16_e32 v2, v27
	s_delay_alu instid0(VALU_DEP_2) | instskip(NEXT) | instid1(VALU_DEP_2)
	v_lshlrev_b64 v[11:12], 1, v[11:12]
	v_add_f32_e32 v0, v0, v2
	s_delay_alu instid0(VALU_DEP_1) | instskip(NEXT) | instid1(VALU_DEP_3)
	v_cvt_f16_f32_e32 v0, v0
	v_add_co_u32 v11, s3, s10, v11
	s_delay_alu instid0(VALU_DEP_1)
	v_add_co_ci_u32_e64 v12, s3, s11, v12, s3
	global_store_b16 v[11:12], v0, off
	s_or_b32 exec_lo, exec_lo, s19
	v_add_nc_u32_e32 v61, s7, v61
	s_and_saveexec_b32 s3, vcc_lo
	s_cbranch_execz .LBB105_71
.LBB105_88:                             ;   in Loop: Header=BB105_19 Depth=1
	s_waitcnt lgkmcnt(1)
	v_add_f32_e32 v0, v8, v10
	s_waitcnt vmcnt(2)
	v_cvt_f32_f16_e32 v2, v26
	v_lshlrev_b64 v[8:9], 1, v[61:62]
	s_delay_alu instid0(VALU_DEP_2) | instskip(NEXT) | instid1(VALU_DEP_2)
	v_add_f32_e32 v0, v0, v2
	v_add_co_u32 v8, vcc_lo, s10, v8
	s_delay_alu instid0(VALU_DEP_3) | instskip(NEXT) | instid1(VALU_DEP_3)
	v_add_co_ci_u32_e32 v9, vcc_lo, s11, v9, vcc_lo
	v_cvt_f16_f32_e32 v0, v0
	global_store_b16 v[8:9], v0, off
	s_or_b32 exec_lo, exec_lo, s3
	s_and_saveexec_b32 s3, s1
	s_cbranch_execz .LBB105_72
.LBB105_89:                             ;   in Loop: Header=BB105_19 Depth=1
	s_waitcnt lgkmcnt(3)
	v_dual_add_f32 v0, v5, v7 :: v_dual_mov_b32 v5, v62
	v_add_nc_u32_e32 v4, 1, v61
	s_waitcnt vmcnt(1)
	v_cvt_f32_f16_e32 v2, v25
	s_delay_alu instid0(VALU_DEP_2) | instskip(NEXT) | instid1(VALU_DEP_2)
	v_lshlrev_b64 v[4:5], 1, v[4:5]
	v_add_f32_e32 v0, v0, v2
	s_delay_alu instid0(VALU_DEP_1) | instskip(NEXT) | instid1(VALU_DEP_3)
	v_cvt_f16_f32_e32 v0, v0
	v_add_co_u32 v4, vcc_lo, s10, v4
	s_delay_alu instid0(VALU_DEP_4) | instskip(SKIP_2) | instid1(SALU_CYCLE_1)
	v_add_co_ci_u32_e32 v5, vcc_lo, s11, v5, vcc_lo
	global_store_b16 v[4:5], v0, off
	s_or_b32 exec_lo, exec_lo, s3
	s_and_b32 exec_lo, exec_lo, s2
	s_cbranch_execnz .LBB105_73
	s_branch .LBB105_74
.LBB105_90:
	s_nop 0
	s_sendmsg sendmsg(MSG_DEALLOC_VGPRS)
	s_endpgm
	.section	.rodata,"a",@progbits
	.p2align	6, 0x0
	.amdhsa_kernel _Z12wvSplitK_hf_I6__halfLi32ELi3ELi16ELi8ELi2ELi4EEviiiiiiPKT_S3_S3_PS1_ii
		.amdhsa_group_segment_fixed_size 65536
		.amdhsa_private_segment_fixed_size 0
		.amdhsa_kernarg_size 64
		.amdhsa_user_sgpr_count 15
		.amdhsa_user_sgpr_dispatch_ptr 0
		.amdhsa_user_sgpr_queue_ptr 0
		.amdhsa_user_sgpr_kernarg_segment_ptr 1
		.amdhsa_user_sgpr_dispatch_id 0
		.amdhsa_user_sgpr_private_segment_size 0
		.amdhsa_wavefront_size32 1
		.amdhsa_uses_dynamic_stack 0
		.amdhsa_enable_private_segment 0
		.amdhsa_system_sgpr_workgroup_id_x 1
		.amdhsa_system_sgpr_workgroup_id_y 0
		.amdhsa_system_sgpr_workgroup_id_z 0
		.amdhsa_system_sgpr_workgroup_info 0
		.amdhsa_system_vgpr_workitem_id 1
		.amdhsa_next_free_vgpr 96
		.amdhsa_next_free_sgpr 35
		.amdhsa_reserve_vcc 1
		.amdhsa_float_round_mode_32 0
		.amdhsa_float_round_mode_16_64 0
		.amdhsa_float_denorm_mode_32 3
		.amdhsa_float_denorm_mode_16_64 3
		.amdhsa_dx10_clamp 1
		.amdhsa_ieee_mode 1
		.amdhsa_fp16_overflow 0
		.amdhsa_workgroup_processor_mode 1
		.amdhsa_memory_ordered 1
		.amdhsa_forward_progress 0
		.amdhsa_shared_vgpr_count 0
		.amdhsa_exception_fp_ieee_invalid_op 0
		.amdhsa_exception_fp_denorm_src 0
		.amdhsa_exception_fp_ieee_div_zero 0
		.amdhsa_exception_fp_ieee_overflow 0
		.amdhsa_exception_fp_ieee_underflow 0
		.amdhsa_exception_fp_ieee_inexact 0
		.amdhsa_exception_int_div_zero 0
	.end_amdhsa_kernel
	.section	.text._Z12wvSplitK_hf_I6__halfLi32ELi3ELi16ELi8ELi2ELi4EEviiiiiiPKT_S3_S3_PS1_ii,"axG",@progbits,_Z12wvSplitK_hf_I6__halfLi32ELi3ELi16ELi8ELi2ELi4EEviiiiiiPKT_S3_S3_PS1_ii,comdat
.Lfunc_end105:
	.size	_Z12wvSplitK_hf_I6__halfLi32ELi3ELi16ELi8ELi2ELi4EEviiiiiiPKT_S3_S3_PS1_ii, .Lfunc_end105-_Z12wvSplitK_hf_I6__halfLi32ELi3ELi16ELi8ELi2ELi4EEviiiiiiPKT_S3_S3_PS1_ii
                                        ; -- End function
	.section	.AMDGPU.csdata,"",@progbits
; Kernel info:
; codeLenInByte = 7664
; NumSgprs: 37
; NumVgprs: 96
; ScratchSize: 0
; MemoryBound: 0
; FloatMode: 240
; IeeeMode: 1
; LDSByteSize: 65536 bytes/workgroup (compile time only)
; SGPRBlocks: 4
; VGPRBlocks: 11
; NumSGPRsForWavesPerEU: 37
; NumVGPRsForWavesPerEU: 96
; Occupancy: 8
; WaveLimiterHint : 0
; COMPUTE_PGM_RSRC2:SCRATCH_EN: 0
; COMPUTE_PGM_RSRC2:USER_SGPR: 15
; COMPUTE_PGM_RSRC2:TRAP_HANDLER: 0
; COMPUTE_PGM_RSRC2:TGID_X_EN: 1
; COMPUTE_PGM_RSRC2:TGID_Y_EN: 0
; COMPUTE_PGM_RSRC2:TGID_Z_EN: 0
; COMPUTE_PGM_RSRC2:TIDIG_COMP_CNT: 1
	.section	.text._Z16wvSplitK_hf_big_I6__halfLi32ELi3ELi16ELi8ELi2ELi4EEviiiiiiPKT_S3_S3_PS1_ii,"axG",@progbits,_Z16wvSplitK_hf_big_I6__halfLi32ELi3ELi16ELi8ELi2ELi4EEviiiiiiPKT_S3_S3_PS1_ii,comdat
	.protected	_Z16wvSplitK_hf_big_I6__halfLi32ELi3ELi16ELi8ELi2ELi4EEviiiiiiPKT_S3_S3_PS1_ii ; -- Begin function _Z16wvSplitK_hf_big_I6__halfLi32ELi3ELi16ELi8ELi2ELi4EEviiiiiiPKT_S3_S3_PS1_ii
	.globl	_Z16wvSplitK_hf_big_I6__halfLi32ELi3ELi16ELi8ELi2ELi4EEviiiiiiPKT_S3_S3_PS1_ii
	.p2align	8
	.type	_Z16wvSplitK_hf_big_I6__halfLi32ELi3ELi16ELi8ELi2ELi4EEviiiiiiPKT_S3_S3_PS1_ii,@function
_Z16wvSplitK_hf_big_I6__halfLi32ELi3ELi16ELi8ELi2ELi4EEviiiiiiPKT_S3_S3_PS1_ii: ; @_Z16wvSplitK_hf_big_I6__halfLi32ELi3ELi16ELi8ELi2ELi4EEviiiiiiPKT_S3_S3_PS1_ii
; %bb.0:
	s_load_b64 s[20:21], s[0:1], 0x38
	v_bfe_u32 v1, v0, 10, 10
	s_mov_b32 s2, exec_lo
	s_waitcnt lgkmcnt(0)
	s_delay_alu instid0(VALU_DEP_1)
	v_cmpx_gt_u32_e64 s20, v1
	s_cbranch_execz .LBB106_64
; %bb.1:
	s_load_b128 s[16:19], s[0:1], 0x0
	v_mad_u64_u32 v[2:3], null, s15, s20, v[1:2]
	s_mov_b32 s4, 1
	s_delay_alu instid0(SALU_CYCLE_1) | instskip(SKIP_1) | instid1(SALU_CYCLE_1)
	s_mov_b32 s5, s4
	s_mov_b32 s6, s4
	v_mov_b32_e32 v58, s6
	s_delay_alu instid0(VALU_DEP_2) | instskip(SKIP_1) | instid1(VALU_DEP_2)
	v_lshl_add_u32 v59, v2, 1, v2
	v_dual_mov_b32 v56, s4 :: v_dual_mov_b32 v57, s5
	v_add_nc_u32_e32 v2, 3, v59
	s_waitcnt lgkmcnt(0)
	v_cmp_gt_u32_e32 vcc_lo, s19, v59
	s_delay_alu instid0(VALU_DEP_2) | instskip(NEXT) | instid1(VALU_DEP_1)
	v_cmp_le_u32_e64 s2, s19, v2
	s_and_b32 s2, vcc_lo, s2
	s_delay_alu instid0(SALU_CYCLE_1)
	s_and_saveexec_b32 s7, s2
	s_cbranch_execz .LBB106_7
; %bb.2:
	v_dual_mov_b32 v58, s6 :: v_dual_mov_b32 v57, s5
	v_mov_b32_e32 v56, s4
	s_add_i32 s8, s19, -3
	s_mov_b32 s9, exec_lo
	v_cmpx_ne_u32_e64 s8, v59
	s_cbranch_execz .LBB106_6
; %bb.3:
	v_subrev_nc_u32_e32 v2, s8, v59
	s_mov_b32 s10, 0
	s_mov_b64 s[2:3], 0
	s_mov_b32 s5, s4
	s_mov_b32 s6, s4
	v_cmp_lt_u32_e32 vcc_lo, 1, v2
	v_cndmask_b32_e32 v2, 1, v2, vcc_lo
.LBB106_4:                              ; =>This Inner Loop Header: Depth=1
	s_cmp_lg_u32 s2, 2
	s_cselect_b32 s6, s6, 0
	s_cmp_lg_u32 s2, 1
	s_cselect_b32 s5, s5, 0
	;; [unrolled: 2-line block ×3, first 2 shown]
	s_add_u32 s2, s2, 1
	v_dual_mov_b32 v58, s6 :: v_dual_mov_b32 v57, s5
	v_cmp_eq_u32_e32 vcc_lo, s2, v2
	v_mov_b32_e32 v56, s4
	s_addc_u32 s3, s3, 0
	s_or_b32 s10, vcc_lo, s10
	s_delay_alu instid0(SALU_CYCLE_1)
	s_and_not1_b32 exec_lo, exec_lo, s10
	s_cbranch_execnz .LBB106_4
; %bb.5:
	s_or_b32 exec_lo, exec_lo, s10
	v_mov_b32_e32 v59, s8
.LBB106_6:
	s_or_b32 exec_lo, exec_lo, s9
.LBB106_7:
	s_delay_alu instid0(SALU_CYCLE_1)
	s_or_b32 exec_lo, exec_lo, s7
	s_mul_i32 s2, s20, 3
	s_abs_i32 s6, s19
	s_abs_i32 s3, s2
	s_mov_b32 s23, 0
	v_cvt_f32_u32_e32 v2, s3
	s_sub_i32 s5, 0, s3
	s_delay_alu instid0(VALU_DEP_1) | instskip(SKIP_2) | instid1(VALU_DEP_1)
	v_rcp_iflag_f32_e32 v2, v2
	s_waitcnt_depctr 0xfff
	v_mul_f32_e32 v2, 0x4f7ffffe, v2
	v_cvt_u32_f32_e32 v2, v2
	s_delay_alu instid0(VALU_DEP_1) | instskip(NEXT) | instid1(VALU_DEP_1)
	v_readfirstlane_b32 s4, v2
	s_mul_i32 s5, s5, s4
	s_delay_alu instid0(SALU_CYCLE_1) | instskip(NEXT) | instid1(SALU_CYCLE_1)
	s_mul_hi_u32 s5, s4, s5
	s_add_i32 s4, s4, s5
	s_ashr_i32 s5, s19, 31
	s_mul_hi_u32 s4, s6, s4
	s_delay_alu instid0(SALU_CYCLE_1) | instskip(NEXT) | instid1(SALU_CYCLE_1)
	s_mul_i32 s4, s4, s3
	s_sub_i32 s4, s6, s4
	s_delay_alu instid0(SALU_CYCLE_1) | instskip(SKIP_2) | instid1(SALU_CYCLE_1)
	s_sub_i32 s6, s4, s3
	s_cmp_ge_u32 s4, s3
	s_cselect_b32 s4, s6, s4
	s_sub_i32 s6, s4, s3
	s_cmp_ge_u32 s4, s3
	s_cselect_b32 s3, s6, s4
	s_add_i32 s4, s2, s19
	s_xor_b32 s3, s3, s5
	s_delay_alu instid0(SALU_CYCLE_1) | instskip(NEXT) | instid1(SALU_CYCLE_1)
	s_sub_i32 s3, s3, s5
	s_sub_i32 s4, s4, s3
	s_cmp_eq_u32 s3, 0
	s_cselect_b32 s22, s19, s4
	s_delay_alu instid0(SALU_CYCLE_1)
	v_cmp_gt_u32_e32 vcc_lo, s22, v59
	s_and_b32 exec_lo, exec_lo, vcc_lo
	s_cbranch_execz .LBB106_64
; %bb.8:
	s_load_b256 s[4:11], s[0:1], 0x10
	s_min_u32 s24, s18, 0x2000
	s_cmp_lg_u32 s16, 0
	v_dual_mov_b32 v61, 0 :: v_dual_and_b32 v0, 0x3ff, v0
	s_cselect_b32 s25, -1, 0
	s_cmp_lg_u32 s18, 0
	s_load_b64 s[12:13], s[0:1], 0x30
	s_cselect_b32 s26, -1, 0
	s_lshl_b32 s27, s20, 8
	s_add_i32 s28, s16, -8
	s_add_i32 s29, s19, -1
	v_cmp_eq_u32_e64 s0, 31, v0
	v_mbcnt_lo_u32_b32 v70, -1, 0
	v_lshlrev_b32_e32 v71, 3, v0
	v_lshlrev_b32_e32 v0, 4, v0
	s_delay_alu instid0(VALU_DEP_2)
	v_lshl_add_u32 v62, v1, 8, v71
	s_waitcnt lgkmcnt(0)
	s_cmp_lg_u64 s[10:11], 0
	v_cvt_f32_u32_e32 v3, s4
	s_cselect_b32 s30, -1, 0
	s_abs_i32 s3, s5
	s_mul_i32 s5, s2, s21
	v_cvt_f32_u32_e32 v2, s3
	v_rcp_iflag_f32_e32 v3, v3
	s_sub_i32 s2, 0, s3
	s_add_i32 s31, s19, -3
	s_sub_i32 s14, 0, s4
	v_rcp_iflag_f32_e32 v2, v2
	s_sub_i32 s15, 1, s3
	v_lshl_add_u32 v72, v1, 9, v0
	s_mul_i32 s21, s24, 6
	v_mad_u64_u32 v[63:64], null, s18, 3, v[62:63]
	v_lshl_add_u32 v73, s18, 1, v62
	v_add_nc_u32_e32 v74, s18, v62
	s_waitcnt_depctr 0xfff
	v_mul_f32_e32 v2, 0x4f7ffffe, v2
	s_delay_alu instid0(VALU_DEP_1) | instskip(NEXT) | instid1(VALU_DEP_1)
	v_cvt_u32_f32_e32 v2, v2
	v_readfirstlane_b32 s1, v2
	v_mul_f32_e32 v2, 0x4f7ffffe, v3
	s_delay_alu instid0(VALU_DEP_2) | instskip(NEXT) | instid1(VALU_DEP_1)
	s_mul_i32 s2, s2, s1
	v_cvt_u32_f32_e32 v0, v2
	s_mul_hi_u32 s2, s1, s2
	s_delay_alu instid0(SALU_CYCLE_1) | instskip(SKIP_1) | instid1(VALU_DEP_1)
	s_add_i32 s1, s1, s2
	s_cmp_lt_u32 s3, 2
	v_mul_lo_u32 v1, s14, v0
	s_cselect_b32 s2, s15, 1
	s_delay_alu instid0(SALU_CYCLE_1)
	s_sub_i32 s15, s2, s3
	s_cmp_ge_u32 s2, s3
	s_cselect_b32 s33, s15, s2
	s_lshr_b32 s2, s1, 31
	s_mul_hi_u32 s1, s1, 3
	s_mul_i32 s2, s2, s3
	s_mul_i32 s1, s1, s3
	s_sub_i32 s2, 2, s2
	v_mul_hi_u32 v1, v0, v1
	s_sub_i32 s14, s2, s3
	s_cmp_ge_u32 s2, s3
	s_mul_i32 s33, s33, s4
	s_cselect_b32 s2, s14, s2
	s_delay_alu instid0(SALU_CYCLE_1) | instskip(SKIP_1) | instid1(VALU_DEP_1)
	s_sub_i32 s14, s2, s3
	s_cmp_ge_u32 s2, s3
	v_add_nc_u32_e32 v75, v0, v1
	s_cselect_b32 s34, s14, s2
	s_sub_i32 s1, 3, s1
	s_mul_i32 s34, s34, s4
	s_sub_i32 s2, s1, s3
	s_cmp_ge_u32 s1, s3
	s_cselect_b32 s1, s2, s1
	s_delay_alu instid0(SALU_CYCLE_1)
	s_sub_i32 s2, s1, s3
	s_cmp_ge_u32 s1, s3
	s_cselect_b32 s38, s2, s1
	s_add_u32 s35, s12, 2
	s_addc_u32 s36, s13, 0
	s_lshl_b32 s20, s20, 9
	s_lshl_b32 s37, s24, 2
	s_mul_i32 s38, s38, s4
	s_lshl_b32 s39, s24, 1
	s_branch .LBB106_12
.LBB106_9:                              ;   in Loop: Header=BB106_12 Depth=1
	s_or_b32 exec_lo, exec_lo, s42
	v_mov_b32_e32 v59, s31
.LBB106_10:                             ;   in Loop: Header=BB106_12 Depth=1
	s_or_b32 exec_lo, exec_lo, s41
.LBB106_11:                             ;   in Loop: Header=BB106_12 Depth=1
	s_delay_alu instid0(SALU_CYCLE_1) | instskip(NEXT) | instid1(VALU_DEP_1)
	s_or_b32 exec_lo, exec_lo, s40
	v_cmp_le_u32_e32 vcc_lo, s22, v59
	s_or_b32 s23, vcc_lo, s23
	s_delay_alu instid0(SALU_CYCLE_1)
	s_and_not1_b32 exec_lo, exec_lo, s23
	s_cbranch_execz .LBB106_64
.LBB106_12:                             ; =>This Loop Header: Depth=1
                                        ;     Child Loop BB106_17 Depth 2
                                        ;       Child Loop BB106_22 Depth 3
                                        ;     Child Loop BB106_51 Depth 2
	v_mov_b32_e32 v87, v61
	v_mov_b32_e32 v86, v61
	;; [unrolled: 1-line block ×12, first 2 shown]
	s_and_not1_b32 vcc_lo, exec_lo, s25
	s_mov_b32 s3, 0
	s_cbranch_vccnz .LBB106_29
; %bb.13:                               ;   in Loop: Header=BB106_12 Depth=1
	v_add_nc_u32_e32 v0, 1, v59
	v_dual_mov_b32 v80, 0 :: v_dual_add_nc_u32 v1, 2, v59
	v_min_u32_e32 v2, s29, v59
	v_dual_mov_b32 v3, v61 :: v_dual_mov_b32 v78, 0
	s_waitcnt lgkmcnt(5)
	s_delay_alu instid0(VALU_DEP_3)
	v_min_u32_e32 v4, s29, v1
	v_mov_b32_e32 v1, v61
	v_min_u32_e32 v0, s29, v0
	v_mul_lo_u32 v60, v2, s17
	v_cmp_gt_u32_e64 s1, s19, v59
	v_mul_lo_u32 v2, v4, s17
	v_dual_mov_b32 v81, 0 :: v_dual_mov_b32 v76, 0
	v_mul_lo_u32 v0, v0, s17
	v_dual_mov_b32 v79, 0 :: v_dual_mov_b32 v82, 0
	v_lshlrev_b64 v[64:65], 1, v[60:61]
	v_dual_mov_b32 v77, 0 :: v_dual_mov_b32 v84, 0
	v_lshlrev_b64 v[68:69], 1, v[2:3]
	;; [unrolled: 2-line block ×3, first 2 shown]
	v_mov_b32_e32 v85, 0
	v_mov_b32_e32 v87, 0
	s_mov_b32 s14, 0
	s_branch .LBB106_17
.LBB106_14:                             ;   in Loop: Header=BB106_17 Depth=2
	s_or_b32 exec_lo, exec_lo, s40
.LBB106_15:                             ;   in Loop: Header=BB106_17 Depth=2
	s_delay_alu instid0(SALU_CYCLE_1)
	s_or_b32 exec_lo, exec_lo, s15
	s_waitcnt vmcnt(5) lgkmcnt(3)
	;;#ASMSTART
	v_dot2_f32_f16 v87, v52, v36, v87
	;;#ASMEND
	s_waitcnt vmcnt(4)
	;;#ASMSTART
	v_dot2_f32_f16 v86, v52, v32, v86
	;;#ASMEND
	s_waitcnt vmcnt(3)
	;;#ASMSTART
	v_dot2_f32_f16 v85, v52, v28, v85
	;;#ASMEND
	s_waitcnt lgkmcnt(2)
	;;#ASMSTART
	v_dot2_f32_f16 v84, v48, v36, v84
	;;#ASMEND
	;;#ASMSTART
	v_dot2_f32_f16 v83, v48, v32, v83
	;;#ASMEND
	;;#ASMSTART
	v_dot2_f32_f16 v82, v48, v28, v82
	;;#ASMEND
	s_waitcnt lgkmcnt(1)
	;;#ASMSTART
	v_dot2_f32_f16 v81, v44, v36, v81
	;;#ASMEND
	;;#ASMSTART
	v_dot2_f32_f16 v80, v44, v32, v80
	;;#ASMEND
	;; [unrolled: 10-line block ×3, first 2 shown]
	;;#ASMSTART
	v_dot2_f32_f16 v77, v40, v28, v77
	;;#ASMEND
	;;#ASMSTART
	v_dot2_f32_f16 v87, v53, v37, v87
	;;#ASMEND
	;; [unrolled: 3-line block ×37, first 2 shown]
	s_waitcnt vmcnt(2)
	;;#ASMSTART
	v_dot2_f32_f16 v87, v24, v8, v87
	;;#ASMEND
	s_waitcnt vmcnt(1)
	;;#ASMSTART
	v_dot2_f32_f16 v86, v24, v4, v86
	;;#ASMEND
	;; [unrolled: 4-line block ×3, first 2 shown]
	;;#ASMSTART
	v_dot2_f32_f16 v84, v20, v8, v84
	;;#ASMEND
	;;#ASMSTART
	v_dot2_f32_f16 v83, v20, v4, v83
	;;#ASMEND
	;; [unrolled: 3-line block ×45, first 2 shown]
.LBB106_16:                             ;   in Loop: Header=BB106_17 Depth=2
	s_or_b32 exec_lo, exec_lo, s2
	s_addk_i32 s14, 0x200
	s_delay_alu instid0(SALU_CYCLE_1)
	s_cmp_ge_u32 s14, s16
	s_cbranch_scc1 .LBB106_29
.LBB106_17:                             ;   Parent Loop BB106_12 Depth=1
                                        ; =>  This Loop Header: Depth=2
                                        ;       Child Loop BB106_22 Depth 3
	s_cmp_eq_u32 s14, 0
	s_cselect_b32 s15, -1, 0
	s_add_i32 s2, s3, s24
	s_delay_alu instid0(SALU_CYCLE_1) | instskip(SKIP_1) | instid1(SALU_CYCLE_1)
	s_cmp_eq_u32 s14, s2
	s_cselect_b32 s40, -1, 0
	s_or_b32 s40, s15, s40
	s_delay_alu instid0(SALU_CYCLE_1)
	s_and_not1_b32 vcc_lo, exec_lo, s40
	s_cbranch_vccz .LBB106_19
; %bb.18:                               ;   in Loop: Header=BB106_17 Depth=2
	s_and_saveexec_b32 s2, s1
	s_cbranch_execz .LBB106_16
	s_branch .LBB106_26
.LBB106_19:                             ;   in Loop: Header=BB106_17 Depth=2
	s_and_b32 s15, s15, exec_lo
	s_cselect_b32 s3, s3, s2
	s_and_not1_b32 vcc_lo, exec_lo, s26
	s_waitcnt vmcnt(0) lgkmcnt(0)
	s_waitcnt_vscnt null, 0x0
	s_barrier
	buffer_gl0_inv
	s_cbranch_vccnz .LBB106_25
; %bb.20:                               ;   in Loop: Header=BB106_17 Depth=2
	v_add_nc_u32_e32 v0, s3, v73
	v_dual_mov_b32 v4, v72 :: v_dual_add_nc_u32 v1, s3, v63
	v_add_nc_u32_e32 v2, s3, v74
	v_add_nc_u32_e32 v3, s3, v62
	s_mov_b32 s15, 0
	s_mov_b32 s40, 0
                                        ; implicit-def: $sgpr41
	s_branch .LBB106_22
.LBB106_21:                             ;   in Loop: Header=BB106_22 Depth=3
	s_or_b32 exec_lo, exec_lo, s2
	s_delay_alu instid0(SALU_CYCLE_1) | instskip(NEXT) | instid1(SALU_CYCLE_1)
	s_and_b32 s2, exec_lo, s41
	s_or_b32 s15, s2, s15
	s_delay_alu instid0(SALU_CYCLE_1)
	s_and_not1_b32 exec_lo, exec_lo, s15
	s_cbranch_execz .LBB106_24
.LBB106_22:                             ;   Parent Loop BB106_12 Depth=1
                                        ;     Parent Loop BB106_17 Depth=2
                                        ; =>    This Inner Loop Header: Depth=3
	s_delay_alu instid0(VALU_DEP_1) | instskip(SKIP_2) | instid1(VALU_DEP_2)
	v_add_nc_u32_e32 v60, s40, v3
	v_add_nc_u32_e32 v5, s40, v62
	s_or_b32 s41, s41, exec_lo
	v_cmp_gt_u32_e32 vcc_lo, s18, v60
	s_delay_alu instid0(VALU_DEP_2) | instskip(NEXT) | instid1(VALU_DEP_1)
	v_cmp_gt_u32_e64 s2, s24, v5
	s_and_b32 s42, s2, vcc_lo
	s_delay_alu instid0(SALU_CYCLE_1)
	s_and_saveexec_b32 s2, s42
	s_cbranch_execz .LBB106_21
; %bb.23:                               ;   in Loop: Header=BB106_22 Depth=3
	v_lshlrev_b64 v[5:6], 1, v[60:61]
	v_add_nc_u32_e32 v60, s40, v2
	v_add_nc_u32_e32 v21, s39, v4
	;; [unrolled: 1-line block ×3, first 2 shown]
	s_delay_alu instid0(VALU_DEP_3) | instskip(SKIP_3) | instid1(VALU_DEP_3)
	v_lshlrev_b64 v[7:8], 1, v[60:61]
	v_add_nc_u32_e32 v60, s40, v0
	v_add_co_u32 v5, vcc_lo, s8, v5
	v_add_co_ci_u32_e32 v6, vcc_lo, s9, v6, vcc_lo
	v_lshlrev_b64 v[13:14], 1, v[60:61]
	v_add_nc_u32_e32 v60, s40, v1
	v_add_co_u32 v9, vcc_lo, s8, v7
	v_add_co_ci_u32_e32 v10, vcc_lo, s9, v8, vcc_lo
	s_delay_alu instid0(VALU_DEP_3)
	v_lshlrev_b64 v[15:16], 1, v[60:61]
	v_add_co_u32 v13, vcc_lo, s8, v13
	v_add_co_ci_u32_e32 v14, vcc_lo, s9, v14, vcc_lo
	s_clause 0x1
	global_load_b128 v[5:8], v[5:6], off
	global_load_b128 v[9:12], v[9:10], off
	v_add_co_u32 v17, vcc_lo, s8, v15
	v_add_co_ci_u32_e32 v18, vcc_lo, s9, v16, vcc_lo
	s_clause 0x1
	global_load_b128 v[13:16], v[13:14], off
	global_load_b128 v[17:20], v[17:18], off
	s_add_i32 s40, s40, s27
	s_waitcnt vmcnt(3)
	ds_store_b128 v4, v[5:8]
	s_waitcnt vmcnt(2)
	ds_store_2addr_b64 v21, v[9:10], v[11:12] offset1:1
	s_cmp_ge_u32 s40, s24
	v_add_nc_u32_e32 v5, s21, v4
	s_cselect_b32 s42, -1, 0
	v_add_nc_u32_e32 v4, s20, v4
	s_and_not1_b32 s41, s41, exec_lo
	s_and_b32 s42, s42, exec_lo
	s_waitcnt vmcnt(1)
	ds_store_2addr_b32 v22, v13, v14 offset1:1
	ds_store_2addr_b32 v22, v15, v16 offset0:2 offset1:3
	s_or_b32 s41, s41, s42
	s_waitcnt vmcnt(0)
	ds_store_2addr_b64 v5, v[17:18], v[19:20] offset1:1
	s_branch .LBB106_21
.LBB106_24:                             ;   in Loop: Header=BB106_17 Depth=2
	s_or_b32 exec_lo, exec_lo, s15
.LBB106_25:                             ;   in Loop: Header=BB106_17 Depth=2
	s_waitcnt lgkmcnt(0)
	s_barrier
	buffer_gl0_inv
	s_and_saveexec_b32 s2, s1
	s_cbranch_execz .LBB106_16
.LBB106_26:                             ;   in Loop: Header=BB106_17 Depth=2
	v_dual_mov_b32 v53, 0 :: v_dual_add_nc_u32 v88, s14, v71
	v_dual_mov_b32 v54, 0 :: v_dual_mov_b32 v55, 0
	s_waitcnt vmcnt(0)
	v_dual_mov_b32 v24, 0 :: v_dual_mov_b32 v25, 0
	s_delay_alu instid0(VALU_DEP_3) | instskip(SKIP_2) | instid1(VALU_DEP_3)
	v_min_u32_e32 v60, s28, v88
	v_dual_mov_b32 v52, 0 :: v_dual_add_nc_u32 v89, 0x100, v88
	v_dual_mov_b32 v26, 0 :: v_dual_mov_b32 v27, 0
	v_lshlrev_b64 v[0:1], 1, v[60:61]
	s_delay_alu instid0(VALU_DEP_3) | instskip(SKIP_2) | instid1(VALU_DEP_4)
	v_min_u32_e32 v60, s28, v89
	v_dual_mov_b32 v48, 0 :: v_dual_mov_b32 v49, 0
	v_dual_mov_b32 v50, 0 :: v_dual_mov_b32 v51, 0
	v_add_co_u32 v6, vcc_lo, s6, v0
	v_add_co_ci_u32_e32 v7, vcc_lo, s7, v1, vcc_lo
	v_lshlrev_b64 v[0:1], 1, v[60:61]
	s_delay_alu instid0(VALU_DEP_3) | instskip(NEXT) | instid1(VALU_DEP_3)
	v_add_co_u32 v2, vcc_lo, v6, v64
	v_add_co_ci_u32_e32 v3, vcc_lo, v7, v65, vcc_lo
	v_add_co_u32 v4, vcc_lo, v6, v66
	s_waitcnt lgkmcnt(2)
	v_add_co_ci_u32_e32 v5, vcc_lo, v7, v67, vcc_lo
	v_add_co_u32 v8, vcc_lo, s6, v0
	s_waitcnt lgkmcnt(0)
	v_add_co_ci_u32_e32 v9, vcc_lo, s7, v1, vcc_lo
	v_add_co_u32 v0, vcc_lo, v6, v68
	v_add_co_ci_u32_e32 v1, vcc_lo, v7, v69, vcc_lo
	v_add_co_u32 v6, vcc_lo, v8, v64
	s_delay_alu instid0(VALU_DEP_4)
	v_add_co_ci_u32_e32 v7, vcc_lo, v9, v65, vcc_lo
	v_add_co_u32 v12, vcc_lo, v8, v66
	v_add_co_ci_u32_e32 v13, vcc_lo, v9, v67, vcc_lo
	v_add_co_u32 v14, vcc_lo, v8, v68
	v_add_co_ci_u32_e32 v15, vcc_lo, v9, v69, vcc_lo
	s_clause 0x5
	global_load_b128 v[36:39], v[2:3], off slc dlc
	global_load_b128 v[32:35], v[4:5], off slc dlc
	;; [unrolled: 1-line block ×6, first 2 shown]
	v_cmp_gt_u32_e32 vcc_lo, s16, v88
	v_dual_mov_b32 v20, 0 :: v_dual_mov_b32 v21, 0
	v_dual_mov_b32 v22, 0 :: v_dual_mov_b32 v23, 0
	;; [unrolled: 1-line block ×10, first 2 shown]
	s_and_saveexec_b32 s15, vcc_lo
	s_cbranch_execz .LBB106_15
; %bb.27:                               ;   in Loop: Header=BB106_17 Depth=2
	v_subrev_nc_u32_e32 v12, s3, v88
	v_cmp_gt_u32_e32 vcc_lo, s16, v89
	v_dual_mov_b32 v18, 0 :: v_dual_mov_b32 v23, 0
	v_dual_mov_b32 v16, 0 :: v_dual_mov_b32 v21, 0
	s_delay_alu instid0(VALU_DEP_4) | instskip(SKIP_1) | instid1(VALU_DEP_2)
	v_dual_mov_b32 v14, 0 :: v_dual_lshlrev_b32 v91, 1, v12
	v_dual_mov_b32 v12, 0 :: v_dual_mov_b32 v17, 0
	v_dual_mov_b32 v15, 0 :: v_dual_add_nc_u32 v90, s39, v91
	v_dual_mov_b32 v22, 0 :: v_dual_mov_b32 v27, 0
	v_dual_mov_b32 v20, 0 :: v_dual_mov_b32 v25, 0
	s_delay_alu instid0(VALU_DEP_3) | instskip(SKIP_2) | instid1(VALU_DEP_3)
	v_dual_mov_b32 v13, 0 :: v_dual_add_nc_u32 v88, s39, v90
	v_mov_b32_e32 v26, 0
	v_dual_mov_b32 v24, 0 :: v_dual_mov_b32 v19, 0
	v_add_nc_u32_e32 v60, s39, v88
	ds_load_b128 v[52:55], v91
	ds_load_b128 v[48:51], v90
	;; [unrolled: 1-line block ×4, first 2 shown]
	s_and_saveexec_b32 s40, vcc_lo
	s_cbranch_execz .LBB106_14
; %bb.28:                               ;   in Loop: Header=BB106_17 Depth=2
	ds_load_b128 v[24:27], v91 offset:512
	ds_load_b128 v[20:23], v90 offset:512
	;; [unrolled: 1-line block ×4, first 2 shown]
	s_branch .LBB106_14
.LBB106_29:                             ;   in Loop: Header=BB106_12 Depth=1
	s_mov_b32 s1, exec_lo
	v_cmpx_le_u32_e64 s19, v59
	s_xor_b32 s1, exec_lo, s1
; %bb.30:                               ;   in Loop: Header=BB106_12 Depth=1
	v_add_nc_u32_e32 v59, s5, v59
                                        ; implicit-def: $vgpr87
                                        ; implicit-def: $vgpr86
                                        ; implicit-def: $vgpr85
                                        ; implicit-def: $vgpr84
                                        ; implicit-def: $vgpr83
                                        ; implicit-def: $vgpr82
                                        ; implicit-def: $vgpr77
                                        ; implicit-def: $vgpr76
                                        ; implicit-def: $vgpr78
                                        ; implicit-def: $vgpr79
                                        ; implicit-def: $vgpr80
                                        ; implicit-def: $vgpr81
; %bb.31:                               ;   in Loop: Header=BB106_12 Depth=1
	s_and_not1_saveexec_b32 s40, s1
	s_cbranch_execz .LBB106_11
; %bb.32:                               ;   in Loop: Header=BB106_12 Depth=1
	v_cvt_i32_f32_e32 v0, v87
	v_cvt_i32_f32_e32 v1, v86
	v_xor_b32_e32 v2, 16, v70
	v_cvt_i32_f32_e32 v3, v85
	s_waitcnt lgkmcnt(5)
	v_cvt_i32_f32_e32 v4, v84
	v_cvt_f32_i32_dpp v0, v0 row_shr:8 row_mask:0xf bank_mask:0xf bound_ctrl:1
	v_cvt_f32_i32_dpp v1, v1 row_shr:8 row_mask:0xf bank_mask:0xf bound_ctrl:1
	v_cmp_gt_i32_e32 vcc_lo, 32, v2
	s_waitcnt lgkmcnt(2)
	v_cvt_i32_f32_e32 v5, v83
	v_cvt_f32_i32_dpp v3, v3 row_shr:8 row_mask:0xf bank_mask:0xf bound_ctrl:1
	v_dual_add_f32 v0, v87, v0 :: v_dual_add_f32 v1, v86, v1
	v_cvt_f32_i32_dpp v4, v4 row_shr:8 row_mask:0xf bank_mask:0xf bound_ctrl:1
	v_cvt_i32_f32_e32 v6, v82
	v_cvt_i32_f32_e32 v7, v81
	s_delay_alu instid0(VALU_DEP_4)
	v_cvt_i32_f32_e32 v8, v0
	s_waitcnt lgkmcnt(0)
	v_cvt_i32_f32_e32 v9, v1
	v_cvt_f32_i32_dpp v5, v5 row_shr:8 row_mask:0xf bank_mask:0xf bound_ctrl:1
	v_cvt_f32_i32_dpp v6, v6 row_shr:8 row_mask:0xf bank_mask:0xf bound_ctrl:1
	;; [unrolled: 1-line block ×5, first 2 shown]
	s_delay_alu instid0(VALU_DEP_3) | instskip(NEXT) | instid1(VALU_DEP_2)
	v_dual_cndmask_b32 v2, v70, v2 :: v_dual_add_f32 v7, v81, v7
	v_dual_add_f32 v0, v0, v8 :: v_dual_add_f32 v1, v1, v9
	s_waitcnt vmcnt(0)
	s_delay_alu instid0(VALU_DEP_2) | instskip(SKIP_1) | instid1(VALU_DEP_3)
	v_dual_add_f32 v2, v85, v3 :: v_dual_lshlrev_b32 v25, 2, v2
	v_dual_add_f32 v3, v84, v4 :: v_dual_add_f32 v4, v83, v5
	v_cvt_i32_f32_e32 v8, v1
	v_cvt_i32_f32_e32 v5, v0
	s_delay_alu instid0(VALU_DEP_4) | instskip(NEXT) | instid1(VALU_DEP_4)
	v_cvt_i32_f32_e32 v9, v2
	v_cvt_i32_f32_e32 v10, v3
	;; [unrolled: 1-line block ×3, first 2 shown]
	v_cvt_f32_i32_dpp v8, v8 row_shr:2 row_mask:0xf bank_mask:0xf bound_ctrl:1
	v_add_f32_e32 v6, v82, v6
	v_cvt_f32_i32_dpp v5, v5 row_shr:2 row_mask:0xf bank_mask:0xf bound_ctrl:1
	s_delay_alu instid0(VALU_DEP_4) | instskip(NEXT) | instid1(VALU_DEP_4)
	v_cvt_f32_i32_dpp v11, v11 row_shr:4 row_mask:0xf bank_mask:0xf bound_ctrl:1
	v_add_f32_e32 v1, v1, v8
	v_cvt_f32_i32_dpp v8, v9 row_shr:4 row_mask:0xf bank_mask:0xf bound_ctrl:1
	v_cvt_f32_i32_dpp v9, v10 row_shr:4 row_mask:0xf bank_mask:0xf bound_ctrl:1
	v_cvt_i32_f32_e32 v12, v6
	s_delay_alu instid0(VALU_DEP_4) | instskip(NEXT) | instid1(VALU_DEP_3)
	v_cvt_i32_f32_e32 v13, v1
	v_dual_add_f32 v2, v2, v8 :: v_dual_add_f32 v3, v3, v9
	v_add_f32_e32 v0, v0, v5
	v_cvt_i32_f32_e32 v5, v7
	v_cvt_f32_i32_dpp v12, v12 row_shr:4 row_mask:0xf bank_mask:0xf bound_ctrl:1
	v_cvt_f32_i32_dpp v13, v13 row_shr:1 row_mask:0xf bank_mask:0xf bound_ctrl:1
	v_add_f32_e32 v4, v4, v11
	s_delay_alu instid0(VALU_DEP_4) | instskip(NEXT) | instid1(VALU_DEP_3)
	v_cvt_f32_i32_dpp v5, v5 row_shr:4 row_mask:0xf bank_mask:0xf bound_ctrl:1
	v_add_f32_e32 v1, v1, v13
	s_delay_alu instid0(VALU_DEP_3) | instskip(NEXT) | instid1(VALU_DEP_3)
	v_cvt_i32_f32_e32 v8, v4
	v_add_f32_e32 v5, v7, v5
	v_cvt_i32_f32_e32 v7, v3
	ds_bpermute_b32 v18, v25, v1
	v_cvt_f32_i32_dpp v8, v8 row_shr:2 row_mask:0xf bank_mask:0xf bound_ctrl:1
	v_cvt_f32_i32_dpp v7, v7 row_shr:2 row_mask:0xf bank_mask:0xf bound_ctrl:1
	s_delay_alu instid0(VALU_DEP_1) | instskip(SKIP_1) | instid1(VALU_DEP_2)
	v_add_f32_e32 v3, v3, v7
	v_cvt_i32_f32_e32 v10, v0
	v_cvt_i32_f32_e32 v7, v3
	s_delay_alu instid0(VALU_DEP_2) | instskip(NEXT) | instid1(VALU_DEP_2)
	v_cvt_f32_i32_dpp v10, v10 row_shr:1 row_mask:0xf bank_mask:0xf bound_ctrl:1
	v_cvt_f32_i32_dpp v7, v7 row_shr:1 row_mask:0xf bank_mask:0xf bound_ctrl:1
	s_delay_alu instid0(VALU_DEP_2) | instskip(SKIP_4) | instid1(VALU_DEP_2)
	v_dual_add_f32 v23, v0, v10 :: v_dual_add_f32 v0, v6, v12
	v_cvt_i32_f32_e32 v6, v2
	ds_bpermute_b32 v24, v25, v23
	v_cvt_i32_f32_e32 v9, v0
	v_cvt_f32_i32_dpp v6, v6 row_shr:2 row_mask:0xf bank_mask:0xf bound_ctrl:1
	v_cvt_f32_i32_dpp v9, v9 row_shr:2 row_mask:0xf bank_mask:0xf bound_ctrl:1
	s_delay_alu instid0(VALU_DEP_2) | instskip(SKIP_1) | instid1(VALU_DEP_2)
	v_add_f32_e32 v2, v2, v6
	v_cvt_i32_f32_e32 v10, v5
	v_cvt_i32_f32_e32 v6, v2
	s_delay_alu instid0(VALU_DEP_2) | instskip(SKIP_1) | instid1(VALU_DEP_3)
	v_cvt_f32_i32_dpp v10, v10 row_shr:2 row_mask:0xf bank_mask:0xf bound_ctrl:1
	v_add_f32_e32 v4, v4, v8
	v_cvt_f32_i32_dpp v6, v6 row_shr:1 row_mask:0xf bank_mask:0xf bound_ctrl:1
	s_delay_alu instid0(VALU_DEP_3) | instskip(NEXT) | instid1(VALU_DEP_3)
	v_dual_add_f32 v5, v5, v10 :: v_dual_add_f32 v0, v0, v9
	v_cvt_i32_f32_e32 v8, v4
	s_delay_alu instid0(VALU_DEP_3) | instskip(NEXT) | instid1(VALU_DEP_3)
	v_add_f32_e32 v19, v2, v6
	v_cvt_i32_f32_e32 v10, v5
	s_delay_alu instid0(VALU_DEP_4) | instskip(NEXT) | instid1(VALU_DEP_4)
	v_cvt_i32_f32_e32 v9, v0
	v_cvt_f32_i32_dpp v8, v8 row_shr:1 row_mask:0xf bank_mask:0xf bound_ctrl:1
	v_add_f32_e32 v14, v3, v7
	v_cvt_i32_f32_e32 v3, v79
	v_cvt_f32_i32_dpp v10, v10 row_shr:1 row_mask:0xf bank_mask:0xf bound_ctrl:1
	v_cvt_f32_i32_dpp v9, v9 row_shr:1 row_mask:0xf bank_mask:0xf bound_ctrl:1
	v_add_f32_e32 v11, v4, v8
	v_cvt_i32_f32_e32 v7, v76
	v_cvt_f32_i32_dpp v3, v3 row_shr:8 row_mask:0xf bank_mask:0xf bound_ctrl:1
	v_add_f32_e32 v2, v5, v10
	v_add_f32_e32 v6, v0, v9
	v_cvt_i32_f32_e32 v0, v80
	v_cvt_i32_f32_e32 v9, v77
	v_add_f32_e32 v3, v79, v3
	v_cvt_i32_f32_e32 v5, v78
	v_cvt_f32_i32_dpp v7, v7 row_shr:8 row_mask:0xf bank_mask:0xf bound_ctrl:1
	v_cvt_f32_i32_dpp v0, v0 row_shr:8 row_mask:0xf bank_mask:0xf bound_ctrl:1
	v_cvt_f32_i32_dpp v9, v9 row_shr:8 row_mask:0xf bank_mask:0xf bound_ctrl:1
	v_cvt_i32_f32_e32 v12, v3
	v_cvt_f32_i32_dpp v5, v5 row_shr:8 row_mask:0xf bank_mask:0xf bound_ctrl:1
	ds_bpermute_b32 v21, v25, v19
	v_dual_add_f32 v0, v80, v0 :: v_dual_add_f32 v9, v77, v9
	v_cvt_f32_i32_dpp v12, v12 row_shr:4 row_mask:0xf bank_mask:0xf bound_ctrl:1
	v_add_f32_e32 v5, v78, v5
	ds_bpermute_b32 v16, v25, v14
	v_cvt_i32_f32_e32 v10, v0
	v_cvt_i32_f32_e32 v20, v9
	v_add_f32_e32 v3, v3, v12
	v_cvt_i32_f32_e32 v15, v5
	ds_bpermute_b32 v13, v25, v11
	v_cvt_f32_i32_dpp v10, v10 row_shr:4 row_mask:0xf bank_mask:0xf bound_ctrl:1
	v_cvt_f32_i32_dpp v20, v20 row_shr:4 row_mask:0xf bank_mask:0xf bound_ctrl:1
	v_cvt_i32_f32_e32 v12, v3
	v_cvt_f32_i32_dpp v15, v15 row_shr:4 row_mask:0xf bank_mask:0xf bound_ctrl:1
	ds_bpermute_b32 v8, v25, v6
	v_add_f32_e32 v0, v0, v10
	ds_bpermute_b32 v4, v25, v2
	v_cvt_f32_i32_dpp v12, v12 row_shr:2 row_mask:0xf bank_mask:0xf bound_ctrl:1
	v_cvt_i32_f32_e32 v10, v0
	s_delay_alu instid0(VALU_DEP_2) | instskip(NEXT) | instid1(VALU_DEP_2)
	v_add_f32_e32 v3, v3, v12
	v_cvt_f32_i32_dpp v10, v10 row_shr:2 row_mask:0xf bank_mask:0xf bound_ctrl:1
	v_add_f32_e32 v5, v5, v15
	s_delay_alu instid0(VALU_DEP_3) | instskip(NEXT) | instid1(VALU_DEP_3)
	v_cvt_i32_f32_e32 v12, v3
	v_add_f32_e32 v0, v0, v10
	s_delay_alu instid0(VALU_DEP_3) | instskip(NEXT) | instid1(VALU_DEP_3)
	v_cvt_i32_f32_e32 v15, v5
	v_cvt_f32_i32_dpp v12, v12 row_shr:1 row_mask:0xf bank_mask:0xf bound_ctrl:1
	s_delay_alu instid0(VALU_DEP_3) | instskip(NEXT) | instid1(VALU_DEP_3)
	v_cvt_i32_f32_e32 v10, v0
	v_cvt_f32_i32_dpp v15, v15 row_shr:2 row_mask:0xf bank_mask:0xf bound_ctrl:1
	s_delay_alu instid0(VALU_DEP_2) | instskip(SKIP_1) | instid1(VALU_DEP_3)
	v_cvt_f32_i32_dpp v10, v10 row_shr:1 row_mask:0xf bank_mask:0xf bound_ctrl:1
	v_add_f32_e32 v9, v9, v20
	v_add_f32_e32 v5, v5, v15
	s_delay_alu instid0(VALU_DEP_2) | instskip(NEXT) | instid1(VALU_DEP_2)
	v_cvt_i32_f32_e32 v20, v9
	v_cvt_i32_f32_e32 v15, v5
	s_delay_alu instid0(VALU_DEP_2) | instskip(NEXT) | instid1(VALU_DEP_2)
	v_cvt_f32_i32_dpp v20, v20 row_shr:2 row_mask:0xf bank_mask:0xf bound_ctrl:1
	v_cvt_f32_i32_dpp v22, v15 row_shr:1 row_mask:0xf bank_mask:0xf bound_ctrl:1
	v_add_f32_e32 v7, v76, v7
	v_add_f32_e32 v15, v3, v12
	s_delay_alu instid0(VALU_DEP_4) | instskip(NEXT) | instid1(VALU_DEP_1)
	v_add_f32_e32 v9, v9, v20
	v_cvt_i32_f32_e32 v20, v9
	s_delay_alu instid0(VALU_DEP_1) | instskip(SKIP_3) | instid1(VALU_DEP_4)
	v_cvt_f32_i32_dpp v26, v20 row_shr:1 row_mask:0xf bank_mask:0xf bound_ctrl:1
	v_add_f32_e32 v20, v0, v10
	v_add_f32_e32 v10, v5, v22
	v_cvt_i32_f32_e32 v17, v7
	v_add_f32_e32 v3, v9, v26
	ds_bpermute_b32 v22, v25, v20
	ds_bpermute_b32 v12, v25, v10
	v_cvt_f32_i32_dpp v17, v17 row_shr:4 row_mask:0xf bank_mask:0xf bound_ctrl:1
	ds_bpermute_b32 v5, v25, v3
	v_add_f32_e32 v7, v7, v17
	s_delay_alu instid0(VALU_DEP_1) | instskip(NEXT) | instid1(VALU_DEP_1)
	v_cvt_i32_f32_e32 v17, v7
	v_cvt_f32_i32_dpp v17, v17 row_shr:2 row_mask:0xf bank_mask:0xf bound_ctrl:1
	s_delay_alu instid0(VALU_DEP_1) | instskip(NEXT) | instid1(VALU_DEP_1)
	v_add_f32_e32 v7, v7, v17
	v_cvt_i32_f32_e32 v17, v7
	s_delay_alu instid0(VALU_DEP_1) | instskip(NEXT) | instid1(VALU_DEP_1)
	v_cvt_f32_i32_dpp v17, v17 row_shr:1 row_mask:0xf bank_mask:0xf bound_ctrl:1
	v_add_f32_e32 v7, v7, v17
	ds_bpermute_b32 v17, v25, v15
	ds_bpermute_b32 v9, v25, v7
	s_and_saveexec_b32 s14, s0
	s_cbranch_execz .LBB106_48
; %bb.33:                               ;   in Loop: Header=BB106_12 Depth=1
	v_dual_mov_b32 v36, 0 :: v_dual_mov_b32 v35, 0
	v_dual_mov_b32 v33, 0 :: v_dual_add_nc_u32 v0, 2, v59
	v_dual_mov_b32 v34, 0 :: v_dual_mov_b32 v31, 0
	v_dual_mov_b32 v32, 0 :: v_dual_mov_b32 v29, 0
	;; [unrolled: 1-line block ×4, first 2 shown]
	v_mov_b32_e32 v26, 0
	s_and_not1_b32 vcc_lo, exec_lo, s30
	s_cbranch_vccnz .LBB106_35
; %bb.34:                               ;   in Loop: Header=BB106_12 Depth=1
	v_mul_hi_u32 v26, v59, v75
	v_add_nc_u32_e32 v25, 1, v59
	v_mul_hi_u32 v27, v0, v75
	s_delay_alu instid0(VALU_DEP_3) | instskip(NEXT) | instid1(VALU_DEP_2)
	v_mul_lo_u32 v26, v26, s4
	v_mul_lo_u32 v27, v27, s4
	s_delay_alu instid0(VALU_DEP_2) | instskip(SKIP_2) | instid1(VALU_DEP_4)
	v_sub_nc_u32_e32 v29, v59, v26
	v_mov_b32_e32 v26, v61
	v_mul_hi_u32 v28, v25, v75
	v_sub_nc_u32_e32 v27, v0, v27
	s_delay_alu instid0(VALU_DEP_4) | instskip(SKIP_1) | instid1(VALU_DEP_3)
	v_subrev_nc_u32_e32 v31, s4, v29
	v_cmp_le_u32_e32 vcc_lo, s4, v29
	v_subrev_nc_u32_e32 v32, s4, v27
	v_mul_lo_u32 v28, v28, s4
	s_delay_alu instid0(VALU_DEP_4) | instskip(SKIP_1) | instid1(VALU_DEP_4)
	v_cndmask_b32_e32 v29, v29, v31, vcc_lo
	v_cmp_le_u32_e32 vcc_lo, s4, v27
	v_cndmask_b32_e32 v27, v27, v32, vcc_lo
	s_delay_alu instid0(VALU_DEP_4) | instskip(SKIP_2) | instid1(VALU_DEP_4)
	v_sub_nc_u32_e32 v25, v25, v28
	v_mov_b32_e32 v28, v61
	v_subrev_nc_u32_e32 v32, s4, v29
	v_subrev_nc_u32_e32 v34, s4, v27
	s_delay_alu instid0(VALU_DEP_4) | instskip(SKIP_1) | instid1(VALU_DEP_2)
	v_subrev_nc_u32_e32 v33, s4, v25
	v_cmp_le_u32_e32 vcc_lo, s4, v25
	v_cndmask_b32_e32 v25, v25, v33, vcc_lo
	v_cmp_le_u32_e32 vcc_lo, s4, v29
	v_cndmask_b32_e32 v60, v29, v32, vcc_lo
	v_cmp_le_u32_e32 vcc_lo, s4, v27
	v_mov_b32_e32 v30, v61
	s_delay_alu instid0(VALU_DEP_3) | instskip(SKIP_2) | instid1(VALU_DEP_2)
	v_dual_mov_b32 v31, v61 :: v_dual_add_nc_u32 v42, s34, v60
	v_cndmask_b32_e32 v27, v27, v34, vcc_lo
	v_add_nc_u32_e32 v29, s33, v60
	v_dual_mov_b32 v43, v61 :: v_dual_add_nc_u32 v32, s33, v27
	v_subrev_nc_u32_e32 v35, s4, v25
	v_cmp_le_u32_e32 vcc_lo, s4, v25
	v_lshlrev_b64 v[36:37], 1, v[27:28]
	v_lshlrev_b64 v[28:29], 1, v[29:30]
	s_delay_alu instid0(VALU_DEP_4) | instskip(SKIP_3) | instid1(VALU_DEP_4)
	v_cndmask_b32_e32 v25, v25, v35, vcc_lo
	v_lshlrev_b64 v[34:35], 1, v[60:61]
	v_dual_mov_b32 v33, v61 :: v_dual_add_nc_u32 v60, s38, v60
	v_mov_b32_e32 v45, v61
	v_lshlrev_b64 v[38:39], 1, v[25:26]
	v_add_nc_u32_e32 v30, s33, v25
	v_add_co_u32 v34, vcc_lo, s10, v34
	v_add_co_ci_u32_e32 v35, vcc_lo, s11, v35, vcc_lo
	v_add_co_u32 v40, vcc_lo, s10, v36
	v_add_co_ci_u32_e32 v41, vcc_lo, s11, v37, vcc_lo
	v_lshlrev_b64 v[30:31], 1, v[30:31]
	v_add_co_u32 v37, vcc_lo, s10, v38
	v_add_co_ci_u32_e32 v38, vcc_lo, s11, v39, vcc_lo
	v_add_co_u32 v28, vcc_lo, s10, v28
	v_add_nc_u32_e32 v44, s34, v25
	v_lshlrev_b64 v[32:33], 1, v[32:33]
	v_add_co_ci_u32_e32 v29, vcc_lo, s11, v29, vcc_lo
	v_add_co_u32 v30, vcc_lo, s10, v30
	v_add_co_ci_u32_e32 v31, vcc_lo, s11, v31, vcc_lo
	s_delay_alu instid0(VALU_DEP_4) | instskip(SKIP_4) | instid1(VALU_DEP_1)
	v_add_co_u32 v46, vcc_lo, s10, v32
	v_add_co_ci_u32_e32 v47, vcc_lo, s11, v33, vcc_lo
	v_lshlrev_b64 v[32:33], 1, v[44:45]
	v_add_nc_u32_e32 v44, s34, v27
	v_lshlrev_b64 v[42:43], 1, v[42:43]
	v_add_co_u32 v42, vcc_lo, s10, v42
	s_delay_alu instid0(VALU_DEP_2)
	v_add_co_ci_u32_e32 v43, vcc_lo, s11, v43, vcc_lo
	v_add_co_u32 v48, vcc_lo, s10, v32
	v_add_co_ci_u32_e32 v49, vcc_lo, s11, v33, vcc_lo
	v_lshlrev_b64 v[32:33], 1, v[60:61]
	v_add_nc_u32_e32 v60, s38, v25
	v_lshlrev_b64 v[44:45], 1, v[44:45]
	s_delay_alu instid0(VALU_DEP_1) | instskip(NEXT) | instid1(VALU_DEP_2)
	v_add_co_u32 v25, vcc_lo, s10, v44
	v_add_co_ci_u32_e32 v26, vcc_lo, s11, v45, vcc_lo
	s_delay_alu instid0(VALU_DEP_4) | instskip(SKIP_3) | instid1(VALU_DEP_3)
	v_lshlrev_b64 v[44:45], 1, v[60:61]
	v_add_nc_u32_e32 v60, s38, v27
	v_add_co_u32 v50, vcc_lo, s10, v32
	v_add_co_ci_u32_e32 v51, vcc_lo, s11, v33, vcc_lo
	v_lshlrev_b64 v[32:33], 1, v[60:61]
	v_add_co_u32 v44, vcc_lo, s10, v44
	v_add_co_ci_u32_e32 v45, vcc_lo, s11, v45, vcc_lo
	s_delay_alu instid0(VALU_DEP_3) | instskip(NEXT) | instid1(VALU_DEP_4)
	v_add_co_u32 v52, vcc_lo, s10, v32
	v_add_co_ci_u32_e32 v53, vcc_lo, s11, v33, vcc_lo
	s_clause 0xb
	global_load_u16 v36, v[34:35], off
	global_load_u16 v35, v[37:38], off
	;; [unrolled: 1-line block ×12, first 2 shown]
.LBB106_35:                             ;   in Loop: Header=BB106_12 Depth=1
	v_cmp_ne_u32_e32 vcc_lo, 0, v56
	s_and_saveexec_b32 s2, vcc_lo
	s_cbranch_execnz .LBB106_53
; %bb.36:                               ;   in Loop: Header=BB106_12 Depth=1
	s_or_b32 exec_lo, exec_lo, s2
	v_cmp_ne_u32_e64 s1, 0, v57
	s_delay_alu instid0(VALU_DEP_1)
	s_and_saveexec_b32 s3, s1
	s_cbranch_execnz .LBB106_54
.LBB106_37:                             ;   in Loop: Header=BB106_12 Depth=1
	s_or_b32 exec_lo, exec_lo, s3
	v_cmp_ne_u32_e64 s2, 0, v58
	s_delay_alu instid0(VALU_DEP_1)
	s_and_saveexec_b32 s15, s2
	s_cbranch_execnz .LBB106_55
.LBB106_38:                             ;   in Loop: Header=BB106_12 Depth=1
	s_or_b32 exec_lo, exec_lo, s15
	v_add_nc_u32_e32 v60, s19, v59
	s_and_saveexec_b32 s15, vcc_lo
	s_cbranch_execnz .LBB106_56
.LBB106_39:                             ;   in Loop: Header=BB106_12 Depth=1
	s_or_b32 exec_lo, exec_lo, s15
	s_and_saveexec_b32 s15, s1
	s_cbranch_execnz .LBB106_57
.LBB106_40:                             ;   in Loop: Header=BB106_12 Depth=1
	s_or_b32 exec_lo, exec_lo, s15
	s_and_saveexec_b32 s15, s2
	s_cbranch_execnz .LBB106_58
.LBB106_41:                             ;   in Loop: Header=BB106_12 Depth=1
	s_or_b32 exec_lo, exec_lo, s15
	v_add_nc_u32_e32 v60, s19, v60
	s_and_saveexec_b32 s15, vcc_lo
	s_cbranch_execnz .LBB106_59
.LBB106_42:                             ;   in Loop: Header=BB106_12 Depth=1
	s_or_b32 exec_lo, exec_lo, s15
	s_and_saveexec_b32 s15, s1
	s_cbranch_execnz .LBB106_60
.LBB106_43:                             ;   in Loop: Header=BB106_12 Depth=1
	s_or_b32 exec_lo, exec_lo, s15
	s_and_saveexec_b32 s15, s2
	s_cbranch_execnz .LBB106_61
.LBB106_44:                             ;   in Loop: Header=BB106_12 Depth=1
	s_or_b32 exec_lo, exec_lo, s15
	v_add_nc_u32_e32 v60, s19, v60
	s_and_saveexec_b32 s3, vcc_lo
	s_cbranch_execnz .LBB106_62
.LBB106_45:                             ;   in Loop: Header=BB106_12 Depth=1
	s_or_b32 exec_lo, exec_lo, s3
	s_and_saveexec_b32 s3, s1
	s_cbranch_execnz .LBB106_63
.LBB106_46:                             ;   in Loop: Header=BB106_12 Depth=1
	s_or_b32 exec_lo, exec_lo, s3
	s_delay_alu instid0(SALU_CYCLE_1)
	s_and_b32 exec_lo, exec_lo, s2
	s_cbranch_execz .LBB106_48
.LBB106_47:                             ;   in Loop: Header=BB106_12 Depth=1
	s_waitcnt lgkmcnt(2)
	v_add_f32_e32 v0, v3, v5
	s_waitcnt vmcnt(0)
	v_cvt_f32_f16_e32 v1, v25
	v_add_nc_u32_e32 v60, 2, v60
	s_delay_alu instid0(VALU_DEP_2) | instskip(NEXT) | instid1(VALU_DEP_2)
	v_add_f32_e32 v2, v0, v1
	v_lshlrev_b64 v[0:1], 1, v[60:61]
	s_delay_alu instid0(VALU_DEP_2) | instskip(NEXT) | instid1(VALU_DEP_2)
	v_cvt_f16_f32_e32 v2, v2
	v_add_co_u32 v0, vcc_lo, s12, v0
	s_delay_alu instid0(VALU_DEP_3)
	v_add_co_ci_u32_e32 v1, vcc_lo, s13, v1, vcc_lo
	global_store_b16 v[0:1], v2, off
.LBB106_48:                             ;   in Loop: Header=BB106_12 Depth=1
	s_or_b32 exec_lo, exec_lo, s14
	v_add_nc_u32_e32 v59, s5, v59
	s_delay_alu instid0(VALU_DEP_1) | instskip(SKIP_1) | instid1(VALU_DEP_2)
	v_add_nc_u32_e32 v0, 3, v59
	v_cmp_gt_u32_e32 vcc_lo, s19, v59
	v_cmp_le_u32_e64 s1, s19, v0
	s_delay_alu instid0(VALU_DEP_1) | instskip(NEXT) | instid1(SALU_CYCLE_1)
	s_and_b32 s1, vcc_lo, s1
	s_and_saveexec_b32 s41, s1
	s_cbranch_execz .LBB106_10
; %bb.49:                               ;   in Loop: Header=BB106_12 Depth=1
	s_mov_b32 s42, exec_lo
	v_cmpx_ne_u32_e64 s31, v59
	s_cbranch_execz .LBB106_9
; %bb.50:                               ;   in Loop: Header=BB106_12 Depth=1
	v_subrev_nc_u32_e32 v0, s31, v59
	s_mov_b32 s43, 0
	s_mov_b64 s[14:15], 0
	s_delay_alu instid0(VALU_DEP_1)
	v_cmp_lt_u32_e32 vcc_lo, 1, v0
	v_cndmask_b32_e32 v0, 1, v0, vcc_lo
	.p2align	6
.LBB106_51:                             ;   Parent Loop BB106_12 Depth=1
                                        ; =>  This Inner Loop Header: Depth=2
	s_cmp_lg_u32 s14, 2
	s_cselect_b32 vcc_lo, -1, 0
	s_cmp_lg_u32 s14, 1
	v_cndmask_b32_e32 v58, 0, v58, vcc_lo
	s_cselect_b32 s1, -1, 0
	s_cmp_lg_u32 s14, 0
	v_cndmask_b32_e64 v57, 0, v57, s1
	s_cselect_b32 s2, -1, 0
	s_add_u32 s14, s14, 1
	v_cndmask_b32_e64 v56, 0, v56, s2
	v_cmp_eq_u32_e64 s3, s14, v0
	s_addc_u32 s15, s15, 0
	s_delay_alu instid0(VALU_DEP_1) | instskip(NEXT) | instid1(SALU_CYCLE_1)
	s_or_b32 s43, s3, s43
	s_and_not1_b32 exec_lo, exec_lo, s43
	s_cbranch_execnz .LBB106_51
; %bb.52:                               ;   in Loop: Header=BB106_12 Depth=1
	s_or_b32 exec_lo, exec_lo, s43
	s_branch .LBB106_9
.LBB106_53:                             ;   in Loop: Header=BB106_12 Depth=1
	s_waitcnt lgkmcnt(10)
	v_dual_add_f32 v23, v23, v24 :: v_dual_mov_b32 v60, v61
	s_waitcnt vmcnt(11)
	v_cvt_f32_f16_e32 v24, v36
	s_delay_alu instid0(VALU_DEP_1) | instskip(NEXT) | instid1(VALU_DEP_3)
	v_add_f32_e32 v36, v23, v24
	v_lshlrev_b64 v[23:24], 1, v[59:60]
	s_delay_alu instid0(VALU_DEP_2) | instskip(NEXT) | instid1(VALU_DEP_2)
	v_cvt_f16_f32_e32 v36, v36
	v_add_co_u32 v23, s1, s12, v23
	s_delay_alu instid0(VALU_DEP_1) | instskip(SKIP_3) | instid1(VALU_DEP_1)
	v_add_co_ci_u32_e64 v24, s1, s13, v24, s1
	global_store_b16 v[23:24], v36, off
	s_or_b32 exec_lo, exec_lo, s2
	v_cmp_ne_u32_e64 s1, 0, v57
	s_and_saveexec_b32 s3, s1
	s_cbranch_execz .LBB106_37
.LBB106_54:                             ;   in Loop: Header=BB106_12 Depth=1
	v_mov_b32_e32 v60, v61
	s_waitcnt lgkmcnt(11)
	v_add_f32_e32 v1, v1, v18
	s_waitcnt vmcnt(10)
	v_cvt_f32_f16_e32 v18, v35
	s_waitcnt lgkmcnt(10)
	v_lshlrev_b64 v[23:24], 1, v[59:60]
	s_delay_alu instid0(VALU_DEP_2) | instskip(NEXT) | instid1(VALU_DEP_2)
	v_add_f32_e32 v1, v1, v18
	v_add_co_u32 v23, s2, s35, v23
	s_delay_alu instid0(VALU_DEP_2) | instskip(NEXT) | instid1(VALU_DEP_4)
	v_cvt_f16_f32_e32 v1, v1
	v_add_co_ci_u32_e64 v24, s2, s36, v24, s2
	global_store_b16 v[23:24], v1, off
	s_or_b32 exec_lo, exec_lo, s3
	v_cmp_ne_u32_e64 s2, 0, v58
	s_delay_alu instid0(VALU_DEP_1)
	s_and_saveexec_b32 s15, s2
	s_cbranch_execz .LBB106_38
.LBB106_55:                             ;   in Loop: Header=BB106_12 Depth=1
	s_waitcnt lgkmcnt(9)
	v_dual_add_f32 v18, v19, v21 :: v_dual_mov_b32 v1, v61
	s_waitcnt vmcnt(9)
	v_cvt_f32_f16_e32 v19, v34
	s_delay_alu instid0(VALU_DEP_2) | instskip(NEXT) | instid1(VALU_DEP_2)
	v_lshlrev_b64 v[0:1], 1, v[0:1]
	v_add_f32_e32 v18, v18, v19
	s_delay_alu instid0(VALU_DEP_1) | instskip(NEXT) | instid1(VALU_DEP_3)
	v_cvt_f16_f32_e32 v18, v18
	v_add_co_u32 v0, s3, s12, v0
	s_delay_alu instid0(VALU_DEP_1)
	v_add_co_ci_u32_e64 v1, s3, s13, v1, s3
	global_store_b16 v[0:1], v18, off
	s_or_b32 exec_lo, exec_lo, s15
	v_add_nc_u32_e32 v60, s19, v59
	s_and_saveexec_b32 s15, vcc_lo
	s_cbranch_execz .LBB106_39
.LBB106_56:                             ;   in Loop: Header=BB106_12 Depth=1
	s_waitcnt lgkmcnt(8)
	v_add_f32_e32 v0, v14, v16
	s_waitcnt vmcnt(8)
	v_cvt_f32_f16_e32 v1, v33
	s_delay_alu instid0(VALU_DEP_1) | instskip(SKIP_1) | instid1(VALU_DEP_2)
	v_add_f32_e32 v14, v0, v1
	v_lshlrev_b64 v[0:1], 1, v[60:61]
	v_cvt_f16_f32_e32 v14, v14
	s_delay_alu instid0(VALU_DEP_2) | instskip(NEXT) | instid1(VALU_DEP_1)
	v_add_co_u32 v0, s3, s12, v0
	v_add_co_ci_u32_e64 v1, s3, s13, v1, s3
	global_store_b16 v[0:1], v14, off
	s_or_b32 exec_lo, exec_lo, s15
	s_and_saveexec_b32 s15, s1
	s_cbranch_execz .LBB106_40
.LBB106_57:                             ;   in Loop: Header=BB106_12 Depth=1
	s_waitcnt lgkmcnt(7)
	v_dual_add_f32 v11, v11, v13 :: v_dual_add_nc_u32 v0, 1, v60
	v_mov_b32_e32 v1, v61
	s_waitcnt vmcnt(7)
	v_cvt_f32_f16_e32 v13, v32
	s_delay_alu instid0(VALU_DEP_2) | instskip(NEXT) | instid1(VALU_DEP_2)
	v_lshlrev_b64 v[0:1], 1, v[0:1]
	v_add_f32_e32 v11, v11, v13
	s_delay_alu instid0(VALU_DEP_1) | instskip(NEXT) | instid1(VALU_DEP_3)
	v_cvt_f16_f32_e32 v11, v11
	v_add_co_u32 v0, s3, s12, v0
	s_delay_alu instid0(VALU_DEP_1)
	v_add_co_ci_u32_e64 v1, s3, s13, v1, s3
	global_store_b16 v[0:1], v11, off
	s_or_b32 exec_lo, exec_lo, s15
	s_and_saveexec_b32 s15, s2
	s_cbranch_execz .LBB106_41
.LBB106_58:                             ;   in Loop: Header=BB106_12 Depth=1
	s_waitcnt lgkmcnt(6)
	v_dual_add_f32 v6, v6, v8 :: v_dual_mov_b32 v1, v61
	v_add_nc_u32_e32 v0, 2, v60
	s_waitcnt vmcnt(6)
	v_cvt_f32_f16_e32 v8, v31
	s_delay_alu instid0(VALU_DEP_2) | instskip(NEXT) | instid1(VALU_DEP_2)
	v_lshlrev_b64 v[0:1], 1, v[0:1]
	v_add_f32_e32 v6, v6, v8
	s_delay_alu instid0(VALU_DEP_1) | instskip(NEXT) | instid1(VALU_DEP_3)
	v_cvt_f16_f32_e32 v6, v6
	v_add_co_u32 v0, s3, s12, v0
	s_delay_alu instid0(VALU_DEP_1)
	v_add_co_ci_u32_e64 v1, s3, s13, v1, s3
	global_store_b16 v[0:1], v6, off
	s_or_b32 exec_lo, exec_lo, s15
	v_add_nc_u32_e32 v60, s19, v60
	s_and_saveexec_b32 s15, vcc_lo
	s_cbranch_execz .LBB106_42
.LBB106_59:                             ;   in Loop: Header=BB106_12 Depth=1
	s_waitcnt lgkmcnt(5)
	v_add_f32_e32 v0, v2, v4
	s_waitcnt vmcnt(5)
	v_cvt_f32_f16_e32 v1, v30
	s_delay_alu instid0(VALU_DEP_1) | instskip(SKIP_1) | instid1(VALU_DEP_2)
	v_add_f32_e32 v2, v0, v1
	v_lshlrev_b64 v[0:1], 1, v[60:61]
	v_cvt_f16_f32_e32 v2, v2
	s_delay_alu instid0(VALU_DEP_2) | instskip(NEXT) | instid1(VALU_DEP_1)
	v_add_co_u32 v0, s3, s12, v0
	v_add_co_ci_u32_e64 v1, s3, s13, v1, s3
	global_store_b16 v[0:1], v2, off
	s_or_b32 exec_lo, exec_lo, s15
	s_and_saveexec_b32 s15, s1
	s_cbranch_execz .LBB106_43
.LBB106_60:                             ;   in Loop: Header=BB106_12 Depth=1
	s_waitcnt lgkmcnt(4)
	v_dual_add_f32 v2, v20, v22 :: v_dual_mov_b32 v1, v61
	v_add_nc_u32_e32 v0, 1, v60
	s_waitcnt vmcnt(4)
	v_cvt_f32_f16_e32 v4, v29
	s_delay_alu instid0(VALU_DEP_2) | instskip(NEXT) | instid1(VALU_DEP_2)
	v_lshlrev_b64 v[0:1], 1, v[0:1]
	v_add_f32_e32 v2, v2, v4
	s_delay_alu instid0(VALU_DEP_1) | instskip(NEXT) | instid1(VALU_DEP_3)
	v_cvt_f16_f32_e32 v2, v2
	v_add_co_u32 v0, s3, s12, v0
	s_delay_alu instid0(VALU_DEP_1)
	v_add_co_ci_u32_e64 v1, s3, s13, v1, s3
	global_store_b16 v[0:1], v2, off
	s_or_b32 exec_lo, exec_lo, s15
	s_and_saveexec_b32 s15, s2
	s_cbranch_execz .LBB106_44
.LBB106_61:                             ;   in Loop: Header=BB106_12 Depth=1
	s_waitcnt lgkmcnt(1)
	v_dual_add_f32 v2, v15, v17 :: v_dual_mov_b32 v1, v61
	v_add_nc_u32_e32 v0, 2, v60
	s_waitcnt vmcnt(3)
	v_cvt_f32_f16_e32 v4, v28
	s_delay_alu instid0(VALU_DEP_2) | instskip(NEXT) | instid1(VALU_DEP_2)
	v_lshlrev_b64 v[0:1], 1, v[0:1]
	v_add_f32_e32 v2, v2, v4
	s_delay_alu instid0(VALU_DEP_1) | instskip(NEXT) | instid1(VALU_DEP_3)
	v_cvt_f16_f32_e32 v2, v2
	v_add_co_u32 v0, s3, s12, v0
	s_delay_alu instid0(VALU_DEP_1)
	v_add_co_ci_u32_e64 v1, s3, s13, v1, s3
	global_store_b16 v[0:1], v2, off
	s_or_b32 exec_lo, exec_lo, s15
	v_add_nc_u32_e32 v60, s19, v60
	s_and_saveexec_b32 s3, vcc_lo
	s_cbranch_execz .LBB106_45
.LBB106_62:                             ;   in Loop: Header=BB106_12 Depth=1
	s_waitcnt lgkmcnt(3)
	v_add_f32_e32 v0, v10, v12
	s_waitcnt vmcnt(2)
	v_cvt_f32_f16_e32 v1, v27
	s_delay_alu instid0(VALU_DEP_1) | instskip(SKIP_1) | instid1(VALU_DEP_2)
	v_add_f32_e32 v2, v0, v1
	v_lshlrev_b64 v[0:1], 1, v[60:61]
	v_cvt_f16_f32_e32 v2, v2
	s_delay_alu instid0(VALU_DEP_2) | instskip(NEXT) | instid1(VALU_DEP_3)
	v_add_co_u32 v0, vcc_lo, s12, v0
	v_add_co_ci_u32_e32 v1, vcc_lo, s13, v1, vcc_lo
	global_store_b16 v[0:1], v2, off
	s_or_b32 exec_lo, exec_lo, s3
	s_and_saveexec_b32 s3, s1
	s_cbranch_execz .LBB106_46
.LBB106_63:                             ;   in Loop: Header=BB106_12 Depth=1
	s_waitcnt lgkmcnt(0)
	v_dual_add_f32 v2, v7, v9 :: v_dual_mov_b32 v1, v61
	v_add_nc_u32_e32 v0, 1, v60
	s_waitcnt vmcnt(1)
	v_cvt_f32_f16_e32 v4, v26
	s_delay_alu instid0(VALU_DEP_2) | instskip(NEXT) | instid1(VALU_DEP_2)
	v_lshlrev_b64 v[0:1], 1, v[0:1]
	v_add_f32_e32 v2, v2, v4
	s_delay_alu instid0(VALU_DEP_1) | instskip(NEXT) | instid1(VALU_DEP_3)
	v_cvt_f16_f32_e32 v2, v2
	v_add_co_u32 v0, vcc_lo, s12, v0
	s_delay_alu instid0(VALU_DEP_4) | instskip(SKIP_2) | instid1(SALU_CYCLE_1)
	v_add_co_ci_u32_e32 v1, vcc_lo, s13, v1, vcc_lo
	global_store_b16 v[0:1], v2, off
	s_or_b32 exec_lo, exec_lo, s3
	s_and_b32 exec_lo, exec_lo, s2
	s_cbranch_execnz .LBB106_47
	s_branch .LBB106_48
.LBB106_64:
	s_nop 0
	s_sendmsg sendmsg(MSG_DEALLOC_VGPRS)
	s_endpgm
	.section	.rodata,"a",@progbits
	.p2align	6, 0x0
	.amdhsa_kernel _Z16wvSplitK_hf_big_I6__halfLi32ELi3ELi16ELi8ELi2ELi4EEviiiiiiPKT_S3_S3_PS1_ii
		.amdhsa_group_segment_fixed_size 65536
		.amdhsa_private_segment_fixed_size 0
		.amdhsa_kernarg_size 64
		.amdhsa_user_sgpr_count 15
		.amdhsa_user_sgpr_dispatch_ptr 0
		.amdhsa_user_sgpr_queue_ptr 0
		.amdhsa_user_sgpr_kernarg_segment_ptr 1
		.amdhsa_user_sgpr_dispatch_id 0
		.amdhsa_user_sgpr_private_segment_size 0
		.amdhsa_wavefront_size32 1
		.amdhsa_uses_dynamic_stack 0
		.amdhsa_enable_private_segment 0
		.amdhsa_system_sgpr_workgroup_id_x 1
		.amdhsa_system_sgpr_workgroup_id_y 0
		.amdhsa_system_sgpr_workgroup_id_z 0
		.amdhsa_system_sgpr_workgroup_info 0
		.amdhsa_system_vgpr_workitem_id 1
		.amdhsa_next_free_vgpr 92
		.amdhsa_next_free_sgpr 44
		.amdhsa_reserve_vcc 1
		.amdhsa_float_round_mode_32 0
		.amdhsa_float_round_mode_16_64 0
		.amdhsa_float_denorm_mode_32 3
		.amdhsa_float_denorm_mode_16_64 3
		.amdhsa_dx10_clamp 1
		.amdhsa_ieee_mode 1
		.amdhsa_fp16_overflow 0
		.amdhsa_workgroup_processor_mode 1
		.amdhsa_memory_ordered 1
		.amdhsa_forward_progress 0
		.amdhsa_shared_vgpr_count 0
		.amdhsa_exception_fp_ieee_invalid_op 0
		.amdhsa_exception_fp_denorm_src 0
		.amdhsa_exception_fp_ieee_div_zero 0
		.amdhsa_exception_fp_ieee_overflow 0
		.amdhsa_exception_fp_ieee_underflow 0
		.amdhsa_exception_fp_ieee_inexact 0
		.amdhsa_exception_int_div_zero 0
	.end_amdhsa_kernel
	.section	.text._Z16wvSplitK_hf_big_I6__halfLi32ELi3ELi16ELi8ELi2ELi4EEviiiiiiPKT_S3_S3_PS1_ii,"axG",@progbits,_Z16wvSplitK_hf_big_I6__halfLi32ELi3ELi16ELi8ELi2ELi4EEviiiiiiPKT_S3_S3_PS1_ii,comdat
.Lfunc_end106:
	.size	_Z16wvSplitK_hf_big_I6__halfLi32ELi3ELi16ELi8ELi2ELi4EEviiiiiiPKT_S3_S3_PS1_ii, .Lfunc_end106-_Z16wvSplitK_hf_big_I6__halfLi32ELi3ELi16ELi8ELi2ELi4EEviiiiiiPKT_S3_S3_PS1_ii
                                        ; -- End function
	.section	.AMDGPU.csdata,"",@progbits
; Kernel info:
; codeLenInByte = 7144
; NumSgprs: 46
; NumVgprs: 92
; ScratchSize: 0
; MemoryBound: 0
; FloatMode: 240
; IeeeMode: 1
; LDSByteSize: 65536 bytes/workgroup (compile time only)
; SGPRBlocks: 5
; VGPRBlocks: 11
; NumSGPRsForWavesPerEU: 46
; NumVGPRsForWavesPerEU: 92
; Occupancy: 8
; WaveLimiterHint : 0
; COMPUTE_PGM_RSRC2:SCRATCH_EN: 0
; COMPUTE_PGM_RSRC2:USER_SGPR: 15
; COMPUTE_PGM_RSRC2:TRAP_HANDLER: 0
; COMPUTE_PGM_RSRC2:TGID_X_EN: 1
; COMPUTE_PGM_RSRC2:TGID_Y_EN: 0
; COMPUTE_PGM_RSRC2:TGID_Z_EN: 0
; COMPUTE_PGM_RSRC2:TIDIG_COMP_CNT: 1
	.section	.text._Z16wvSplitK_hf_sml_I6__halfLi32ELi4ELi16ELi8ELi1ELi4EEviiiiiiPKT_S3_S3_PS1_ii,"axG",@progbits,_Z16wvSplitK_hf_sml_I6__halfLi32ELi4ELi16ELi8ELi1ELi4EEviiiiiiPKT_S3_S3_PS1_ii,comdat
	.protected	_Z16wvSplitK_hf_sml_I6__halfLi32ELi4ELi16ELi8ELi1ELi4EEviiiiiiPKT_S3_S3_PS1_ii ; -- Begin function _Z16wvSplitK_hf_sml_I6__halfLi32ELi4ELi16ELi8ELi1ELi4EEviiiiiiPKT_S3_S3_PS1_ii
	.globl	_Z16wvSplitK_hf_sml_I6__halfLi32ELi4ELi16ELi8ELi1ELi4EEviiiiiiPKT_S3_S3_PS1_ii
	.p2align	8
	.type	_Z16wvSplitK_hf_sml_I6__halfLi32ELi4ELi16ELi8ELi1ELi4EEviiiiiiPKT_S3_S3_PS1_ii,@function
_Z16wvSplitK_hf_sml_I6__halfLi32ELi4ELi16ELi8ELi1ELi4EEviiiiiiPKT_S3_S3_PS1_ii: ; @_Z16wvSplitK_hf_sml_I6__halfLi32ELi4ELi16ELi8ELi1ELi4EEviiiiiiPKT_S3_S3_PS1_ii
; %bb.0:
	s_load_b128 s[4:7], s[0:1], 0x0
	v_and_b32_e32 v1, 0x3ff, v0
	v_bfe_u32 v0, v0, 10, 10
	s_mov_b32 s8, exec_lo
	s_delay_alu instid0(VALU_DEP_2) | instskip(NEXT) | instid1(VALU_DEP_1)
	v_lshlrev_b32_e32 v43, 3, v1
	v_lshl_add_u32 v3, v0, 8, v43
	s_waitcnt lgkmcnt(0)
	s_lshl_b32 s14, s6, 2
	s_delay_alu instid0(SALU_CYCLE_1)
	s_min_u32 s9, s14, 0x8000
	s_delay_alu instid0(VALU_DEP_1) | instid1(SALU_CYCLE_1)
	v_cmpx_gt_u32_e64 s9, v3
	s_cbranch_execz .LBB107_9
; %bb.1:
	s_load_b64 s[2:3], s[0:1], 0x20
	v_lshlrev_b32_e32 v2, 1, v3
	v_add_nc_u32_e32 v8, 0x1000, v3
	s_mov_b32 s10, exec_lo
	s_waitcnt lgkmcnt(0)
	global_load_b128 v[4:7], v2, s[2:3]
	s_waitcnt vmcnt(0)
	ds_store_b128 v2, v[4:7]
	v_cmpx_gt_u32_e64 s9, v8
	s_xor_b32 s10, exec_lo, s10
	s_cbranch_execz .LBB107_9
; %bb.2:
	v_add_co_u32 v4, s2, s2, v2
	s_delay_alu instid0(VALU_DEP_1) | instskip(SKIP_1) | instid1(VALU_DEP_3)
	v_add_co_ci_u32_e64 v5, null, s3, 0, s2
	v_add_nc_u32_e32 v10, 0x2000, v3
	v_add_co_u32 v6, vcc_lo, 0x2000, v4
	s_delay_alu instid0(VALU_DEP_3)
	v_add_co_ci_u32_e32 v7, vcc_lo, 0, v5, vcc_lo
	s_mov_b32 s2, exec_lo
	global_load_b128 v[6:9], v[6:7], off
	s_waitcnt vmcnt(0)
	ds_store_b128 v2, v[6:9] offset:8192
	v_cmpx_gt_u32_e64 s9, v10
	s_xor_b32 s2, exec_lo, s2
	s_cbranch_execz .LBB107_9
; %bb.3:
	v_add_co_u32 v6, vcc_lo, 0x4000, v4
	v_add_co_ci_u32_e32 v7, vcc_lo, 0, v5, vcc_lo
	v_add_nc_u32_e32 v10, 0x3000, v3
	s_mov_b32 s2, exec_lo
	global_load_b128 v[6:9], v[6:7], off
	s_waitcnt vmcnt(0)
	ds_store_b128 v2, v[6:9] offset:16384
	v_cmpx_gt_u32_e64 s9, v10
	s_xor_b32 s2, exec_lo, s2
	s_cbranch_execz .LBB107_9
; %bb.4:
	v_add_co_u32 v6, vcc_lo, 0x6000, v4
	v_add_co_ci_u32_e32 v7, vcc_lo, 0, v5, vcc_lo
	v_add_nc_u32_e32 v10, 0x4000, v3
	;; [unrolled: 11-line block ×5, first 2 shown]
	s_mov_b32 s2, exec_lo
	global_load_b128 v[6:9], v[6:7], off
	s_waitcnt vmcnt(0)
	ds_store_b128 v2, v[6:9] offset:49152
	v_cmpx_gt_u32_e64 s9, v3
	s_xor_b32 s2, exec_lo, s2
	s_cbranch_execz .LBB107_9
; %bb.8:
	v_add_co_u32 v3, vcc_lo, 0xe000, v4
	v_add_co_ci_u32_e32 v4, vcc_lo, 0, v5, vcc_lo
	global_load_b128 v[3:6], v[3:4], off
	s_waitcnt vmcnt(0)
	ds_store_b128 v2, v[3:6] offset:57344
.LBB107_9:
	s_or_b32 exec_lo, exec_lo, s8
	s_load_b64 s[16:17], s[0:1], 0x38
	s_waitcnt lgkmcnt(0)
	s_barrier
	buffer_gl0_inv
	s_mov_b32 s2, exec_lo
	v_cmpx_gt_u32_e64 s16, v0
	s_cbranch_execz .LBB107_24
; %bb.10:
	s_load_b64 s[2:3], s[0:1], 0x10
	s_mul_i32 s15, s15, s16
	s_delay_alu instid0(SALU_CYCLE_1) | instskip(NEXT) | instid1(VALU_DEP_1)
	v_add_lshl_u32 v28, s15, v0, 2
	v_cmp_gt_u32_e32 vcc_lo, s7, v28
	s_and_b32 exec_lo, exec_lo, vcc_lo
	s_cbranch_execz .LBB107_24
; %bb.11:
	s_clause 0x1
	s_load_b128 s[8:11], s[0:1], 0x28
	s_load_b64 s[12:13], s[0:1], 0x18
	s_cmp_lg_u32 s4, 0
	s_waitcnt lgkmcnt(0)
	v_cvt_f32_u32_e32 v2, s2
	s_cselect_b32 s1, -1, 0
	s_add_i32 s15, s4, -8
	s_add_i32 s18, s7, -1
	s_mul_i32 s16, s16, s17
	v_rcp_iflag_f32_e32 v2, v2
	v_cmp_eq_u32_e64 s0, 31, v1
	v_lshlrev_b32_e32 v44, 4, v1
	v_mbcnt_lo_u32_b32 v45, -1, 0
	s_delay_alu instid0(VALU_DEP_1)
	v_xor_b32_e32 v46, 16, v45
	s_cmp_lg_u64 s[8:9], 0
	s_cselect_b32 s19, -1, 0
	s_abs_i32 s20, s3
	s_lshl_b32 s16, s16, 2
	v_cvt_f32_u32_e32 v0, s20
	s_sub_i32 s21, 0, s20
	s_sub_i32 s22, 0, s2
	;; [unrolled: 1-line block ×3, first 2 shown]
	s_mov_b32 s3, 0
	v_rcp_iflag_f32_e32 v0, v0
	s_waitcnt_depctr 0xfff
	v_mul_f32_e32 v0, 0x4f7ffffe, v0
	s_delay_alu instid0(VALU_DEP_1) | instskip(NEXT) | instid1(VALU_DEP_1)
	v_cvt_u32_f32_e32 v0, v0
	v_readfirstlane_b32 s17, v0
	v_mul_f32_e32 v0, 0x4f7ffffe, v2
	s_delay_alu instid0(VALU_DEP_2) | instskip(NEXT) | instid1(VALU_DEP_1)
	s_mul_i32 s21, s21, s17
	v_cvt_u32_f32_e32 v0, v0
	s_mul_hi_u32 s21, s17, s21
	s_delay_alu instid0(SALU_CYCLE_1) | instskip(SKIP_1) | instid1(VALU_DEP_1)
	s_add_i32 s21, s17, s21
	s_cmp_lt_u32 s20, 2
	v_mul_lo_u32 v2, s22, v0
	s_cselect_b32 s17, s23, 1
	s_delay_alu instid0(SALU_CYCLE_1)
	s_sub_i32 s23, s17, s20
	s_cmp_ge_u32 s17, s20
	s_cselect_b32 s22, s23, s17
	s_lshr_b32 s23, s21, 31
	s_mul_hi_u32 s21, s21, 3
	s_mul_i32 s23, s23, s20
	s_mul_i32 s21, s21, s20
	s_sub_i32 s23, 2, s23
	v_mul_hi_u32 v1, v0, v2
	s_sub_i32 s24, s23, s20
	s_cmp_ge_u32 s23, s20
	v_mov_b32_e32 v30, 0
	s_cselect_b32 s23, s24, s23
	s_mul_i32 s17, s6, 6
	s_sub_i32 s24, s23, s20
	s_cmp_ge_u32 s23, s20
	v_add_nc_u32_e32 v47, v0, v1
	s_cselect_b32 s23, s24, s23
	s_sub_i32 s21, 3, s21
	s_delay_alu instid0(SALU_CYCLE_1) | instskip(SKIP_2) | instid1(SALU_CYCLE_1)
	s_sub_i32 s24, s21, s20
	s_cmp_ge_u32 s21, s20
	s_cselect_b32 s21, s24, s21
	s_sub_i32 s24, s21, s20
	s_cmp_ge_u32 s21, s20
	s_mul_i32 s20, s22, s2
	s_cselect_b32 s22, s24, s21
	s_mul_i32 s21, s23, s2
	s_mul_i32 s22, s22, s2
	s_lshl_b32 s6, s6, 1
	s_branch .LBB107_14
.LBB107_12:                             ;   in Loop: Header=BB107_14 Depth=1
	s_waitcnt lgkmcnt(14)
	v_dual_add_f32 v0, v0, v1 :: v_dual_add_f32 v1, v2, v7
	s_waitcnt vmcnt(15)
	v_cvt_f32_f16_e32 v7, v55
	s_waitcnt lgkmcnt(12)
	v_dual_add_f32 v2, v3, v8 :: v_dual_add_f32 v3, v4, v9
	s_waitcnt lgkmcnt(10)
	v_dual_add_f32 v4, v5, v10 :: v_dual_add_f32 v5, v6, v11
	;; [unrolled: 2-line block ×3, first 2 shown]
	v_dual_add_f32 v8, v13, v18 :: v_dual_add_f32 v11, v16, v21
	v_add_f32_e32 v10, v15, v20
	s_waitcnt vmcnt(14)
	v_cvt_f32_f16_e32 v15, v54
	s_waitcnt vmcnt(13)
	v_cvt_f32_f16_e32 v16, v53
	;; [unrolled: 2-line block ×3, first 2 shown]
	v_add_f32_e32 v0, v0, v7
	s_waitcnt lgkmcnt(4)
	v_dual_add_f32 v12, v27, v33 :: v_dual_add_f32 v7, v1, v15
	s_delay_alu instid0(VALU_DEP_3) | instskip(NEXT) | instid1(VALU_DEP_3)
	v_dual_add_f32 v2, v2, v16 :: v_dual_add_f32 v3, v3, v17
	v_cvt_f16_f32_e32 v15, v0
	v_lshlrev_b64 v[0:1], 1, v[28:29]
	s_delay_alu instid0(VALU_DEP_4) | instskip(NEXT) | instid1(VALU_DEP_4)
	v_cvt_f16_f32_e32 v7, v7
	v_cvt_f16_f32_e32 v2, v2
	;; [unrolled: 1-line block ×3, first 2 shown]
	s_waitcnt vmcnt(11)
	v_cvt_f32_f16_e32 v16, v50
	v_add_nc_u32_e32 v29, s7, v28
	v_add_co_u32 v0, vcc_lo, s10, v0
	v_add_co_ci_u32_e32 v1, vcc_lo, s11, v1, vcc_lo
	v_pack_b32_f16 v3, v2, v3
	v_pack_b32_f16 v2, v15, v7
	s_waitcnt vmcnt(10)
	v_cvt_f32_f16_e32 v7, v42
	v_add_f32_e32 v4, v4, v16
	s_waitcnt vmcnt(9)
	v_cvt_f32_f16_e32 v17, v40
	s_waitcnt vmcnt(8)
	v_cvt_f32_f16_e32 v20, v38
	global_store_b64 v[0:1], v[2:3], off
	v_dual_mov_b32 v3, v30 :: v_dual_add_nc_u32 v2, 1, v29
	v_add_f32_e32 v7, v5, v7
	v_mov_b32_e32 v5, v30
	v_lshlrev_b64 v[0:1], 1, v[29:30]
	v_cvt_f16_f32_e32 v16, v4
	v_add_nc_u32_e32 v4, 2, v29
	v_lshlrev_b64 v[2:3], 1, v[2:3]
	v_cvt_f16_f32_e32 v19, v7
	v_mov_b32_e32 v7, v30
	v_dual_add_f32 v17, v6, v17 :: v_dual_add_f32 v8, v8, v20
	s_waitcnt vmcnt(7)
	v_cvt_f32_f16_e32 v20, v51
	v_add_nc_u32_e32 v6, 3, v29
	v_add_co_u32 v0, vcc_lo, s10, v0
	v_lshlrev_b64 v[4:5], 1, v[4:5]
	s_delay_alu instid0(VALU_DEP_4)
	v_add_f32_e32 v9, v9, v20
	v_add_co_ci_u32_e32 v1, vcc_lo, s11, v1, vcc_lo
	v_add_co_u32 v2, vcc_lo, s10, v2
	v_lshlrev_b64 v[6:7], 1, v[6:7]
	v_add_co_ci_u32_e32 v3, vcc_lo, s11, v3, vcc_lo
	s_waitcnt vmcnt(6)
	v_cvt_f32_f16_e32 v21, v49
	v_add_co_u32 v4, vcc_lo, s10, v4
	v_add_co_ci_u32_e32 v5, vcc_lo, s11, v5, vcc_lo
	s_waitcnt vmcnt(5)
	v_cvt_f32_f16_e32 v20, v48
	v_add_co_u32 v6, vcc_lo, s10, v6
	v_cvt_f16_f32_e32 v17, v17
	v_add_f32_e32 v10, v10, v21
	v_cvt_f16_f32_e32 v8, v8
	v_add_co_ci_u32_e32 v7, vcc_lo, s11, v7, vcc_lo
	v_add_nc_u32_e32 v29, s7, v29
	s_clause 0x3
	global_store_b16 v[0:1], v16, off
	global_store_b16 v[2:3], v19, off
	;; [unrolled: 1-line block ×4, first 2 shown]
	v_add_f32_e32 v6, v11, v20
	s_waitcnt vmcnt(4)
	v_cvt_f32_f16_e32 v7, v41
	v_cvt_f16_f32_e32 v4, v9
	v_cvt_f16_f32_e32 v5, v10
	v_dual_mov_b32 v3, v30 :: v_dual_add_nc_u32 v2, 2, v29
	s_waitcnt lgkmcnt(2)
	v_dual_add_f32 v13, v31, v34 :: v_dual_add_f32 v14, v26, v32
	v_cvt_f16_f32_e32 v17, v6
	v_add_f32_e32 v6, v12, v7
	s_waitcnt vmcnt(3)
	v_cvt_f32_f16_e32 v7, v39
	v_lshlrev_b64 v[0:1], 1, v[29:30]
	v_pack_b32_f16 v16, v4, v5
	v_dual_mov_b32 v5, v30 :: v_dual_add_nc_u32 v4, 3, v29
	v_mov_b32_e32 v9, v30
	v_add_nc_u32_e32 v29, s7, v29
	s_waitcnt vmcnt(2)
	v_cvt_f32_f16_e32 v8, v37
	v_lshlrev_b64 v[2:3], 1, v[2:3]
	v_cvt_f16_f32_e32 v19, v6
	v_add_f32_e32 v6, v13, v7
	v_add_co_u32 v0, vcc_lo, s10, v0
	v_lshlrev_b64 v[4:5], 1, v[4:5]
	v_add_f32_e32 v12, v14, v8
	v_dual_mov_b32 v11, v30 :: v_dual_add_nc_u32 v8, 1, v29
	s_waitcnt lgkmcnt(0)
	v_dual_add_f32 v18, v24, v25 :: v_dual_add_f32 v15, v22, v23
	v_add_co_ci_u32_e32 v1, vcc_lo, s11, v1, vcc_lo
	s_waitcnt vmcnt(1)
	v_cvt_f32_f16_e32 v13, v36
	v_add_co_u32 v2, vcc_lo, s10, v2
	v_cvt_f16_f32_e32 v20, v6
	v_lshlrev_b64 v[6:7], 1, v[29:30]
	v_add_nc_u32_e32 v10, 2, v29
	v_add_co_ci_u32_e32 v3, vcc_lo, s11, v3, vcc_lo
	v_add_co_u32 v4, vcc_lo, s10, v4
	v_lshlrev_b64 v[8:9], 1, v[8:9]
	v_add_nc_u32_e32 v29, 3, v29
	v_cvt_f16_f32_e32 v14, v12
	v_add_f32_e32 v12, v18, v13
	s_waitcnt vmcnt(0)
	v_cvt_f32_f16_e32 v13, v35
	v_add_co_ci_u32_e32 v5, vcc_lo, s11, v5, vcc_lo
	v_add_co_u32 v6, vcc_lo, s10, v6
	v_lshlrev_b64 v[10:11], 1, v[10:11]
	v_add_co_ci_u32_e32 v7, vcc_lo, s11, v7, vcc_lo
	v_add_co_u32 v8, vcc_lo, s10, v8
	v_cvt_f16_f32_e32 v18, v12
	v_add_f32_e32 v15, v15, v13
	v_lshlrev_b64 v[12:13], 1, v[29:30]
	v_add_co_ci_u32_e32 v9, vcc_lo, s11, v9, vcc_lo
	v_add_co_u32 v10, vcc_lo, s10, v10
	v_add_co_ci_u32_e32 v11, vcc_lo, s11, v11, vcc_lo
	s_delay_alu instid0(VALU_DEP_4)
	v_add_co_u32 v12, vcc_lo, s10, v12
	v_cvt_f16_f32_e32 v15, v15
	v_add_co_ci_u32_e32 v13, vcc_lo, s11, v13, vcc_lo
	s_clause 0x6
	global_store_b32 v[0:1], v16, off
	global_store_b16 v[2:3], v17, off
	global_store_b16 v[4:5], v19, off
	;; [unrolled: 1-line block ×6, first 2 shown]
.LBB107_13:                             ;   in Loop: Header=BB107_14 Depth=1
	s_or_b32 exec_lo, exec_lo, s23
	v_add_nc_u32_e32 v28, s16, v28
	s_delay_alu instid0(VALU_DEP_1) | instskip(SKIP_1) | instid1(SALU_CYCLE_1)
	v_cmp_le_u32_e32 vcc_lo, s7, v28
	s_or_b32 s3, vcc_lo, s3
	s_and_not1_b32 exec_lo, exec_lo, s3
	s_cbranch_execz .LBB107_24
.LBB107_14:                             ; =>This Loop Header: Depth=1
                                        ;     Child Loop BB107_17 Depth 2
	v_mov_b32_e32 v63, v30
	v_mov_b32_e32 v62, v30
	;; [unrolled: 1-line block ×16, first 2 shown]
	s_and_not1_b32 vcc_lo, exec_lo, s1
	s_cbranch_vccnz .LBB107_19
; %bb.15:                               ;   in Loop: Header=BB107_14 Depth=1
	v_or_b32_e32 v0, 1, v28
	s_waitcnt lgkmcnt(15)
	v_or_b32_e32 v1, 2, v28
	v_or_b32_e32 v2, 3, v28
	v_min_u32_e32 v3, s18, v28
	v_dual_mov_b32 v5, v30 :: v_dual_mov_b32 v56, 0
	v_min_u32_e32 v0, s18, v0
	v_min_u32_e32 v1, s18, v1
	;; [unrolled: 1-line block ×3, first 2 shown]
	v_mul_lo_u32 v29, v3, s5
	v_dual_mov_b32 v3, v30 :: v_dual_mov_b32 v64, v44
	v_mul_lo_u32 v0, v0, s5
	v_mul_lo_u32 v2, v1, s5
	;; [unrolled: 1-line block ×3, first 2 shown]
	v_dual_mov_b32 v1, v30 :: v_dual_mov_b32 v58, 0
	s_waitcnt lgkmcnt(2)
	v_lshlrev_b64 v[31:32], 1, v[29:30]
	v_dual_mov_b32 v59, 0 :: v_dual_mov_b32 v54, 0
	s_delay_alu instid0(VALU_DEP_3)
	v_lshlrev_b64 v[33:34], 1, v[0:1]
	v_lshlrev_b64 v[35:36], 1, v[2:3]
	;; [unrolled: 1-line block ×3, first 2 shown]
	v_dual_mov_b32 v57, 0 :: v_dual_mov_b32 v52, 0
	v_dual_mov_b32 v55, 0 :: v_dual_mov_b32 v50, 0
	;; [unrolled: 1-line block ×5, first 2 shown]
	v_mov_b32_e32 v61, 0
	v_mov_b32_e32 v63, 0
	s_mov_b32 s23, 0
	s_branch .LBB107_17
.LBB107_16:                             ;   in Loop: Header=BB107_17 Depth=2
	s_or_b32 exec_lo, exec_lo, s24
	v_add_nc_u32_e32 v64, 0x200, v64
	s_addk_i32 s23, 0x100
	s_waitcnt vmcnt(3) lgkmcnt(4)
	;;#ASMSTART
	v_dot2_f32_f16 v63, v24, v12, v63
	;;#ASMEND
	s_waitcnt vmcnt(2)
	;;#ASMSTART
	v_dot2_f32_f16 v62, v24, v8, v62
	;;#ASMEND
	s_waitcnt vmcnt(1)
	;;#ASMSTART
	v_dot2_f32_f16 v61, v24, v4, v61
	;;#ASMEND
	s_waitcnt vmcnt(0)
	;;#ASMSTART
	v_dot2_f32_f16 v60, v24, v0, v60
	;;#ASMEND
	s_waitcnt lgkmcnt(3)
	;;#ASMSTART
	v_dot2_f32_f16 v58, v20, v12, v58
	;;#ASMEND
	;;#ASMSTART
	v_dot2_f32_f16 v59, v20, v8, v59
	;;#ASMEND
	;;#ASMSTART
	v_dot2_f32_f16 v57, v20, v4, v57
	;;#ASMEND
	;;#ASMSTART
	v_dot2_f32_f16 v56, v20, v0, v56
	;;#ASMEND
	s_waitcnt lgkmcnt(2)
	;;#ASMSTART
	v_dot2_f32_f16 v55, v41, v12, v55
	;;#ASMEND
	;;#ASMSTART
	v_dot2_f32_f16 v54, v41, v8, v54
	;;#ASMEND
	;;#ASMSTART
	v_dot2_f32_f16 v53, v41, v4, v53
	;;#ASMEND
	;; [unrolled: 13-line block ×3, first 2 shown]
	;;#ASMSTART
	v_dot2_f32_f16 v48, v16, v0, v48
	;;#ASMEND
	;;#ASMSTART
	v_dot2_f32_f16 v63, v25, v13, v63
	;;#ASMEND
	;; [unrolled: 3-line block ×17, first 2 shown]
	s_cmp_ge_u32 s23, s4
	;;#ASMSTART
	v_dot2_f32_f16 v63, v26, v14, v63
	;;#ASMEND
	;;#ASMSTART
	v_dot2_f32_f16 v62, v26, v10, v62
	;;#ASMEND
	;; [unrolled: 3-line block ×32, first 2 shown]
	s_cbranch_scc1 .LBB107_19
.LBB107_17:                             ;   Parent Loop BB107_14 Depth=1
                                        ; =>  This Inner Loop Header: Depth=2
	s_waitcnt lgkmcnt(1)
	v_dual_mov_b32 v25, 0 :: v_dual_add_nc_u32 v18, s23, v43
	v_dual_mov_b32 v24, 0 :: v_dual_mov_b32 v27, 0
	v_dual_mov_b32 v26, 0 :: v_dual_mov_b32 v21, 0
	s_delay_alu instid0(VALU_DEP_3) | instskip(SKIP_3) | instid1(VALU_DEP_3)
	v_min_u32_e32 v29, s15, v18
	s_waitcnt lgkmcnt(0)
	v_dual_mov_b32 v20, 0 :: v_dual_mov_b32 v23, 0
	v_dual_mov_b32 v22, 0 :: v_dual_mov_b32 v41, 0
	v_lshlrev_b64 v[0:1], 1, v[29:30]
	v_dual_mov_b32 v42, 0 :: v_dual_mov_b32 v39, 0
	v_dual_mov_b32 v40, 0 :: v_dual_mov_b32 v19, 0
	s_delay_alu instid0(VALU_DEP_3) | instskip(NEXT) | instid1(VALU_DEP_4)
	v_add_co_u32 v6, vcc_lo, s12, v0
	v_add_co_ci_u32_e32 v7, vcc_lo, s13, v1, vcc_lo
	s_delay_alu instid0(VALU_DEP_2) | instskip(NEXT) | instid1(VALU_DEP_2)
	v_add_co_u32 v0, vcc_lo, v6, v31
	v_add_co_ci_u32_e32 v1, vcc_lo, v7, v32, vcc_lo
	v_add_co_u32 v2, vcc_lo, v6, v33
	v_add_co_ci_u32_e32 v3, vcc_lo, v7, v34, vcc_lo
	;; [unrolled: 2-line block ×4, first 2 shown]
	s_clause 0x3
	global_load_b128 v[12:15], v[0:1], off slc dlc
	global_load_b128 v[8:11], v[2:3], off slc dlc
	;; [unrolled: 1-line block ×4, first 2 shown]
	v_mov_b32_e32 v17, 0
	v_cmp_gt_u32_e32 vcc_lo, s4, v18
	v_mov_b32_e32 v16, 0
	v_mov_b32_e32 v18, 0
	s_and_saveexec_b32 s24, vcc_lo
	s_cbranch_execz .LBB107_16
; %bb.18:                               ;   in Loop: Header=BB107_17 Depth=2
	v_add_nc_u32_e32 v16, s6, v64
	v_add_nc_u32_e32 v17, s14, v64
	;; [unrolled: 1-line block ×3, first 2 shown]
	ds_load_b128 v[24:27], v64
	ds_load_b128 v[20:23], v16
	ds_load_2addr_b32 v[41:42], v17 offset1:1
	ds_load_2addr_b32 v[39:40], v17 offset0:2 offset1:3
	ds_load_b128 v[16:19], v18
	s_branch .LBB107_16
.LBB107_19:                             ;   in Loop: Header=BB107_14 Depth=1
	; sched_barrier mask(0x00000000)
	v_cvt_i32_f32_e32 v0, v63
	v_cmp_gt_i32_e32 vcc_lo, 32, v46
	v_cvt_i32_f32_e32 v2, v62
	v_cvt_i32_f32_e32 v3, v61
	;; [unrolled: 1-line block ×3, first 2 shown]
	v_cvt_f32_i32_dpp v0, v0 row_shr:8 row_mask:0xf bank_mask:0xf bound_ctrl:1
	s_waitcnt lgkmcnt(15)
	v_cndmask_b32_e32 v1, v45, v46, vcc_lo
	v_cvt_i32_f32_e32 v5, v58
	v_cvt_i32_f32_e32 v6, v59
	;; [unrolled: 1-line block ×3, first 2 shown]
	s_waitcnt lgkmcnt(0)
	v_dual_add_f32 v0, v63, v0 :: v_dual_lshlrev_b32 v23, 2, v1
	v_cvt_f32_i32_dpp v1, v2 row_shr:8 row_mask:0xf bank_mask:0xf bound_ctrl:1
	v_cvt_f32_i32_dpp v2, v3 row_shr:8 row_mask:0xf bank_mask:0xf bound_ctrl:1
	v_cvt_f32_i32_dpp v3, v4 row_shr:8 row_mask:0xf bank_mask:0xf bound_ctrl:1
	v_cvt_f32_i32_dpp v4, v5 row_shr:8 row_mask:0xf bank_mask:0xf bound_ctrl:1
	v_cvt_i32_f32_e32 v5, v0
	v_cvt_f32_i32_dpp v6, v6 row_shr:8 row_mask:0xf bank_mask:0xf bound_ctrl:1
	v_dual_add_f32 v2, v61, v2 :: v_dual_add_f32 v1, v62, v1
	s_delay_alu instid0(VALU_DEP_4) | instskip(NEXT) | instid1(VALU_DEP_4)
	v_dual_add_f32 v3, v60, v3 :: v_dual_add_f32 v4, v58, v4
	v_cvt_f32_i32_dpp v5, v5 row_shr:4 row_mask:0xf bank_mask:0xf bound_ctrl:1
	s_delay_alu instid0(VALU_DEP_4) | instskip(NEXT) | instid1(VALU_DEP_4)
	v_add_f32_e32 v6, v59, v6
	v_cvt_i32_f32_e32 v7, v1
	v_cvt_i32_f32_e32 v8, v2
	;; [unrolled: 1-line block ×5, first 2 shown]
	v_cvt_f32_i32_dpp v7, v7 row_shr:4 row_mask:0xf bank_mask:0xf bound_ctrl:1
	v_add_f32_e32 v0, v0, v5
	v_cvt_i32_f32_e32 v5, v3
	v_cvt_f32_i32_dpp v8, v8 row_shr:4 row_mask:0xf bank_mask:0xf bound_ctrl:1
	v_cvt_f32_i32_dpp v9, v9 row_shr:4 row_mask:0xf bank_mask:0xf bound_ctrl:1
	v_add_f32_e32 v1, v1, v7
	v_cvt_i32_f32_e32 v11, v0
	v_cvt_f32_i32_dpp v5, v5 row_shr:4 row_mask:0xf bank_mask:0xf bound_ctrl:1
	v_cvt_f32_i32_dpp v10, v10 row_shr:4 row_mask:0xf bank_mask:0xf bound_ctrl:1
	v_add_f32_e32 v2, v2, v8
	v_add_f32_e32 v4, v4, v9
	v_cvt_f32_i32_dpp v11, v11 row_shr:2 row_mask:0xf bank_mask:0xf bound_ctrl:1
	v_add_f32_e32 v3, v3, v5
	v_add_f32_e32 v5, v6, v10
	v_cvt_i32_f32_e32 v6, v1
	v_cvt_i32_f32_e32 v7, v2
	v_add_f32_e32 v0, v0, v11
	v_cvt_i32_f32_e32 v8, v3
	v_cvt_i32_f32_e32 v10, v4
	v_cvt_f32_i32_dpp v6, v6 row_shr:2 row_mask:0xf bank_mask:0xf bound_ctrl:1
	v_cvt_f32_i32_dpp v7, v7 row_shr:2 row_mask:0xf bank_mask:0xf bound_ctrl:1
	v_cvt_i32_f32_e32 v9, v0
	v_cvt_f32_i32_dpp v8, v8 row_shr:2 row_mask:0xf bank_mask:0xf bound_ctrl:1
	v_cvt_f32_i32_dpp v10, v10 row_shr:2 row_mask:0xf bank_mask:0xf bound_ctrl:1
	s_delay_alu instid0(VALU_DEP_4) | instskip(NEXT) | instid1(VALU_DEP_4)
	v_dual_add_f32 v6, v1, v6 :: v_dual_add_f32 v7, v2, v7
	v_cvt_f32_i32_dpp v9, v9 row_shr:1 row_mask:0xf bank_mask:0xf bound_ctrl:1
	s_delay_alu instid0(VALU_DEP_4)
	v_add_f32_e32 v8, v3, v8
	v_cvt_i32_f32_e32 v11, v5
	v_cvt_f32_i32_dpp v13, v13 row_shr:8 row_mask:0xf bank_mask:0xf bound_ctrl:1
	v_cvt_i32_f32_e32 v3, v7
	v_cvt_f32_i32_dpp v15, v15 row_shr:8 row_mask:0xf bank_mask:0xf bound_ctrl:1
	;; [unrolled: 2-line block ×3, first 2 shown]
	v_add_f32_e32 v13, v56, v13
	v_cvt_f32_i32_dpp v3, v3 row_shr:1 row_mask:0xf bank_mask:0xf bound_ctrl:1
	v_add_f32_e32 v0, v0, v9
	v_add_f32_e32 v9, v4, v10
	v_cvt_i32_f32_e32 v4, v8
	v_add_f32_e32 v10, v5, v11
	v_add_f32_e32 v15, v54, v15
	v_cvt_i32_f32_e32 v2, v6
	v_cvt_i32_f32_e32 v12, v57
	v_cvt_f32_i32_dpp v4, v4 row_shr:1 row_mask:0xf bank_mask:0xf bound_ctrl:1
	v_cvt_i32_f32_e32 v11, v10
	v_cvt_f32_i32_dpp v14, v14 row_shr:8 row_mask:0xf bank_mask:0xf bound_ctrl:1
	v_cvt_i32_f32_e32 v18, v13
	v_cvt_i32_f32_e32 v20, v15
	v_add_f32_e32 v4, v8, v4
	v_cvt_i32_f32_e32 v27, v48
	v_cvt_f32_i32_dpp v2, v2 row_shr:1 row_mask:0xf bank_mask:0xf bound_ctrl:1
	v_cvt_f32_i32_dpp v11, v11 row_shr:1 row_mask:0xf bank_mask:0xf bound_ctrl:1
	;; [unrolled: 1-line block ×5, first 2 shown]
	v_cvt_i32_f32_e32 v24, v51
	v_cvt_i32_f32_e32 v25, v50
	v_cvt_f32_i32_dpp v27, v27 row_shr:8 row_mask:0xf bank_mask:0xf bound_ctrl:1
	v_add_f32_e32 v14, v55, v14
	v_dual_add_f32 v2, v6, v2 :: v_dual_add_f32 v15, v15, v20
	v_dual_add_f32 v6, v10, v11 :: v_dual_add_f32 v13, v13, v18
	v_cvt_i32_f32_e32 v16, v53
	v_cvt_f32_i32_dpp v24, v24 row_shr:8 row_mask:0xf bank_mask:0xf bound_ctrl:1
	v_cvt_f32_i32_dpp v25, v25 row_shr:8 row_mask:0xf bank_mask:0xf bound_ctrl:1
	v_dual_add_f32 v12, v57, v12 :: v_dual_add_f32 v27, v48, v27
	v_cvt_i32_f32_e32 v19, v14
	v_cvt_f32_i32_dpp v16, v16 row_shr:8 row_mask:0xf bank_mask:0xf bound_ctrl:1
	s_delay_alu instid0(VALU_DEP_4) | instskip(NEXT) | instid1(VALU_DEP_4)
	v_add_f32_e32 v25, v50, v25
	v_cvt_i32_f32_e32 v17, v12
	v_cvt_i32_f32_e32 v18, v13
	v_cvt_f32_i32_dpp v19, v19 row_shr:4 row_mask:0xf bank_mask:0xf bound_ctrl:1
	v_cvt_i32_f32_e32 v20, v15
	v_add_f32_e32 v24, v51, v24
	v_cvt_i32_f32_e32 v34, v27
	v_cvt_f32_i32_dpp v17, v17 row_shr:4 row_mask:0xf bank_mask:0xf bound_ctrl:1
	v_cvt_f32_i32_dpp v18, v18 row_shr:2 row_mask:0xf bank_mask:0xf bound_ctrl:1
	;; [unrolled: 1-line block ×3, first 2 shown]
	v_add_f32_e32 v14, v14, v19
	v_cvt_i32_f32_e32 v31, v24
	v_cvt_f32_i32_dpp v34, v34 row_shr:4 row_mask:0xf bank_mask:0xf bound_ctrl:1
	v_add_f32_e32 v16, v53, v16
	v_dual_add_f32 v12, v12, v17 :: v_dual_add_f32 v13, v13, v18
	v_add_f32_e32 v15, v15, v20
	v_cvt_i32_f32_e32 v19, v14
	v_cvt_i32_f32_e32 v32, v25
	v_cvt_f32_i32_dpp v31, v31 row_shr:4 row_mask:0xf bank_mask:0xf bound_ctrl:1
	v_add_f32_e32 v27, v27, v34
	v_cvt_i32_f32_e32 v21, v16
	v_cvt_f32_i32_dpp v19, v19 row_shr:2 row_mask:0xf bank_mask:0xf bound_ctrl:1
	v_cvt_i32_f32_e32 v18, v13
	v_cvt_f32_i32_dpp v32, v32 row_shr:4 row_mask:0xf bank_mask:0xf bound_ctrl:1
	v_add_f32_e32 v24, v24, v31
	v_cvt_f32_i32_dpp v21, v21 row_shr:4 row_mask:0xf bank_mask:0xf bound_ctrl:1
	v_add_f32_e32 v14, v14, v19
	;; [unrolled: 2-line block ×3, first 2 shown]
	v_cvt_i32_f32_e32 v31, v24
	v_add_f32_e32 v16, v16, v21
	v_cvt_i32_f32_e32 v34, v27
	v_add_f32_e32 v13, v13, v18
	v_cvt_i32_f32_e32 v32, v25
	v_cvt_f32_i32_dpp v31, v31 row_shr:2 row_mask:0xf bank_mask:0xf bound_ctrl:1
	v_cvt_i32_f32_e32 v21, v16
	v_cvt_i32_f32_e32 v26, v49
	v_cvt_f32_i32_dpp v34, v34 row_shr:2 row_mask:0xf bank_mask:0xf bound_ctrl:1
	v_cvt_f32_i32_dpp v32, v32 row_shr:2 row_mask:0xf bank_mask:0xf bound_ctrl:1
	v_add_f32_e32 v24, v24, v31
	v_cvt_f32_i32_dpp v21, v21 row_shr:2 row_mask:0xf bank_mask:0xf bound_ctrl:1
	v_cvt_f32_i32_dpp v26, v26 row_shr:8 row_mask:0xf bank_mask:0xf bound_ctrl:1
	v_cvt_i32_f32_e32 v22, v52
	v_dual_add_f32 v25, v25, v32 :: v_dual_add_f32 v32, v27, v34
	s_delay_alu instid0(VALU_DEP_4) | instskip(SKIP_1) | instid1(VALU_DEP_4)
	v_add_f32_e32 v16, v16, v21
	v_cvt_i32_f32_e32 v27, v24
	v_cvt_f32_i32_dpp v22, v22 row_shr:8 row_mask:0xf bank_mask:0xf bound_ctrl:1
	s_delay_alu instid0(VALU_DEP_4)
	v_cvt_i32_f32_e32 v31, v25
	v_cvt_i32_f32_e32 v17, v12
	;; [unrolled: 1-line block ×3, first 2 shown]
	v_cvt_f32_i32_dpp v35, v27 row_shr:1 row_mask:0xf bank_mask:0xf bound_ctrl:1
	v_add_f32_e32 v26, v49, v26
	v_cvt_f32_i32_dpp v36, v31 row_shr:1 row_mask:0xf bank_mask:0xf bound_ctrl:1
	v_cvt_f32_i32_dpp v17, v17 row_shr:2 row_mask:0xf bank_mask:0xf bound_ctrl:1
	v_cvt_f32_i32_dpp v20, v20 row_shr:1 row_mask:0xf bank_mask:0xf bound_ctrl:1
	v_add_f32_e32 v31, v24, v35
	v_cvt_i32_f32_e32 v33, v26
	v_cvt_i32_f32_e32 v5, v9
	s_delay_alu instid0(VALU_DEP_4) | instskip(SKIP_1) | instid1(VALU_DEP_4)
	v_dual_add_f32 v12, v12, v17 :: v_dual_add_f32 v15, v15, v20
	v_cvt_i32_f32_e32 v19, v14
	v_cvt_f32_i32_dpp v33, v33 row_shr:4 row_mask:0xf bank_mask:0xf bound_ctrl:1
	v_cvt_i32_f32_e32 v21, v16
	s_delay_alu instid0(VALU_DEP_4)
	v_cvt_i32_f32_e32 v17, v12
	v_cvt_i32_f32_e32 v34, v32
	v_cvt_f32_i32_dpp v5, v5 row_shr:1 row_mask:0xf bank_mask:0xf bound_ctrl:1
	v_add_f32_e32 v26, v26, v33
	v_cvt_f32_i32_dpp v19, v19 row_shr:1 row_mask:0xf bank_mask:0xf bound_ctrl:1
	v_cvt_f32_i32_dpp v17, v17 row_shr:1 row_mask:0xf bank_mask:0xf bound_ctrl:1
	;; [unrolled: 1-line block ×4, first 2 shown]
	v_cvt_i32_f32_e32 v33, v26
	v_add_f32_e32 v3, v7, v3
	v_dual_add_f32 v5, v9, v5 :: v_dual_add_f32 v14, v14, v19
	v_add_f32_e32 v16, v16, v21
	s_delay_alu instid0(VALU_DEP_4)
	v_cvt_f32_i32_dpp v33, v33 row_shr:2 row_mask:0xf bank_mask:0xf bound_ctrl:1
	v_add_f32_e32 v22, v52, v22
	ds_bpermute_b32 v1, v23, v0
	ds_bpermute_b32 v7, v23, v2
	;; [unrolled: 1-line block ×4, first 2 shown]
	v_cvt_i32_f32_e32 v29, v22
	ds_bpermute_b32 v10, v23, v5
	ds_bpermute_b32 v11, v23, v6
	;; [unrolled: 1-line block ×4, first 2 shown]
	v_cvt_f32_i32_dpp v29, v29 row_shr:4 row_mask:0xf bank_mask:0xf bound_ctrl:1
	ds_bpermute_b32 v20, v23, v15
	ds_bpermute_b32 v21, v23, v16
	v_add_f32_e32 v22, v22, v29
	s_delay_alu instid0(VALU_DEP_1) | instskip(NEXT) | instid1(VALU_DEP_1)
	v_cvt_i32_f32_e32 v29, v22
	v_cvt_f32_i32_dpp v29, v29 row_shr:2 row_mask:0xf bank_mask:0xf bound_ctrl:1
	s_delay_alu instid0(VALU_DEP_1) | instskip(SKIP_1) | instid1(VALU_DEP_2)
	v_add_f32_e32 v22, v22, v29
	v_add_f32_e32 v29, v26, v33
	v_cvt_i32_f32_e32 v26, v22
	s_delay_alu instid0(VALU_DEP_2) | instskip(NEXT) | instid1(VALU_DEP_2)
	v_cvt_i32_f32_e32 v33, v29
	v_cvt_f32_i32_dpp v26, v26 row_shr:1 row_mask:0xf bank_mask:0xf bound_ctrl:1
	s_delay_alu instid0(VALU_DEP_2) | instskip(NEXT) | instid1(VALU_DEP_2)
	v_cvt_f32_i32_dpp v33, v33 row_shr:1 row_mask:0xf bank_mask:0xf bound_ctrl:1
	v_dual_add_f32 v12, v12, v17 :: v_dual_add_f32 v27, v22, v26
	v_add_f32_e32 v26, v25, v36
	s_delay_alu instid0(VALU_DEP_3)
	v_add_f32_e32 v24, v29, v33
	v_add_f32_e32 v22, v32, v34
	ds_bpermute_b32 v17, v23, v12
	ds_bpermute_b32 v33, v23, v27
	;; [unrolled: 1-line block ×6, first 2 shown]
	s_and_saveexec_b32 s23, s0
	s_cbranch_execz .LBB107_13
; %bb.20:                               ;   in Loop: Header=BB107_14 Depth=1
	s_and_b32 vcc_lo, exec_lo, s19
	s_cbranch_vccz .LBB107_22
; %bb.21:                               ;   in Loop: Header=BB107_14 Depth=1
	v_mul_hi_u32 v29, v28, v47
	v_or_b32_e32 v35, 1, v28
	v_or_b32_e32 v37, 2, v28
	;; [unrolled: 1-line block ×3, first 2 shown]
	v_mov_b32_e32 v69, v30
	s_delay_alu instid0(VALU_DEP_4) | instskip(NEXT) | instid1(VALU_DEP_4)
	v_mul_hi_u32 v36, v35, v47
	v_mul_hi_u32 v38, v37, v47
	v_mul_lo_u32 v29, v29, s2
	v_mul_hi_u32 v40, v39, v47
	s_delay_alu instid0(VALU_DEP_4) | instskip(NEXT) | instid1(VALU_DEP_4)
	v_mul_lo_u32 v41, v36, s2
	v_mul_lo_u32 v42, v38, s2
	s_delay_alu instid0(VALU_DEP_4) | instskip(NEXT) | instid1(VALU_DEP_4)
	v_sub_nc_u32_e32 v29, v28, v29
	v_mul_lo_u32 v40, v40, s2
	s_delay_alu instid0(VALU_DEP_2)
	v_subrev_nc_u32_e32 v48, s2, v29
	v_sub_nc_u32_e32 v35, v35, v41
	v_cmp_le_u32_e32 vcc_lo, s2, v29
	v_mov_b32_e32 v36, v30
	v_sub_nc_u32_e32 v37, v37, v42
	v_sub_nc_u32_e32 v39, v39, v40
	v_subrev_nc_u32_e32 v41, s2, v35
	v_cndmask_b32_e32 v29, v29, v48, vcc_lo
	v_cmp_le_u32_e32 vcc_lo, s2, v35
	v_mov_b32_e32 v38, v30
	v_subrev_nc_u32_e32 v42, s2, v37
	v_subrev_nc_u32_e32 v48, s2, v39
	;; [unrolled: 1-line block ×3, first 2 shown]
	v_cndmask_b32_e32 v35, v35, v41, vcc_lo
	v_cmp_le_u32_e32 vcc_lo, s2, v37
	v_mov_b32_e32 v40, v30
	s_delay_alu instid0(VALU_DEP_3) | instskip(SKIP_2) | instid1(VALU_DEP_2)
	v_subrev_nc_u32_e32 v41, s2, v35
	v_cndmask_b32_e32 v37, v37, v42, vcc_lo
	v_cmp_le_u32_e32 vcc_lo, s2, v39
	v_subrev_nc_u32_e32 v42, s2, v37
	v_cndmask_b32_e32 v39, v39, v48, vcc_lo
	v_cmp_le_u32_e32 vcc_lo, s2, v29
	v_cndmask_b32_e32 v29, v29, v49, vcc_lo
	v_cmp_le_u32_e32 vcc_lo, s2, v35
	;; [unrolled: 2-line block ×3, first 2 shown]
	s_delay_alu instid0(VALU_DEP_2) | instskip(SKIP_4) | instid1(VALU_DEP_4)
	v_dual_mov_b32 v55, v30 :: v_dual_add_nc_u32 v56, s20, v35
	v_dual_cndmask_b32 v37, v37, v42 :: v_dual_add_nc_u32 v54, s20, v29
	v_subrev_nc_u32_e32 v48, s2, v39
	v_cmp_le_u32_e32 vcc_lo, s2, v39
	v_lshlrev_b64 v[41:42], 1, v[29:30]
	v_lshlrev_b64 v[50:51], 1, v[37:38]
	v_mov_b32_e32 v57, v30
	v_lshlrev_b64 v[54:55], 1, v[54:55]
	v_cndmask_b32_e32 v39, v39, v48, vcc_lo
	v_lshlrev_b64 v[48:49], 1, v[35:36]
	v_add_co_u32 v41, vcc_lo, s8, v41
	v_add_co_ci_u32_e32 v42, vcc_lo, s9, v42, vcc_lo
	s_delay_alu instid0(VALU_DEP_4) | instskip(NEXT) | instid1(VALU_DEP_4)
	v_lshlrev_b64 v[52:53], 1, v[39:40]
	v_add_co_u32 v48, vcc_lo, s8, v48
	v_add_co_ci_u32_e32 v49, vcc_lo, s9, v49, vcc_lo
	v_add_co_u32 v50, vcc_lo, s8, v50
	v_add_co_ci_u32_e32 v51, vcc_lo, s9, v51, vcc_lo
	;; [unrolled: 2-line block ×3, first 2 shown]
	v_lshlrev_b64 v[52:53], 1, v[56:57]
	v_add_nc_u32_e32 v56, s20, v37
	v_add_co_u32 v60, vcc_lo, s8, v54
	v_add_co_ci_u32_e32 v61, vcc_lo, s9, v55, vcc_lo
	s_delay_alu instid0(VALU_DEP_3) | instskip(SKIP_3) | instid1(VALU_DEP_3)
	v_lshlrev_b64 v[54:55], 1, v[56:57]
	v_add_nc_u32_e32 v56, s20, v39
	v_add_co_u32 v62, vcc_lo, s8, v52
	v_add_co_ci_u32_e32 v63, vcc_lo, s9, v53, vcc_lo
	v_lshlrev_b64 v[52:53], 1, v[56:57]
	v_add_co_u32 v56, vcc_lo, s8, v54
	v_add_co_ci_u32_e32 v57, vcc_lo, s9, v55, vcc_lo
	v_dual_mov_b32 v55, v30 :: v_dual_add_nc_u32 v54, s21, v29
	v_add_nc_u32_e32 v68, s21, v35
	v_add_co_u32 v64, vcc_lo, s8, v52
	v_add_co_ci_u32_e32 v65, vcc_lo, s9, v53, vcc_lo
	s_delay_alu instid0(VALU_DEP_4)
	v_lshlrev_b64 v[66:67], 1, v[54:55]
	s_clause 0x7
	global_load_u16 v55, v[41:42], off
	global_load_u16 v54, v[48:49], off
	;; [unrolled: 1-line block ×8, first 2 shown]
	v_add_nc_u32_e32 v60, s21, v39
	v_dual_mov_b32 v57, v30 :: v_dual_add_nc_u32 v56, s21, v37
	v_lshlrev_b64 v[48:49], 1, v[68:69]
	v_mov_b32_e32 v61, v30
	v_add_co_u32 v58, vcc_lo, s8, v66
	s_delay_alu instid0(VALU_DEP_4)
	v_lshlrev_b64 v[56:57], 1, v[56:57]
	v_add_nc_u32_e32 v29, s22, v29
	v_add_co_ci_u32_e32 v59, vcc_lo, s9, v67, vcc_lo
	v_add_co_u32 v48, vcc_lo, s8, v48
	v_lshlrev_b64 v[60:61], 1, v[60:61]
	v_add_co_ci_u32_e32 v49, vcc_lo, s9, v49, vcc_lo
	v_add_co_u32 v56, vcc_lo, s8, v56
	v_lshlrev_b64 v[62:63], 1, v[29:30]
	v_add_nc_u32_e32 v29, s22, v35
	v_add_co_ci_u32_e32 v57, vcc_lo, s9, v57, vcc_lo
	v_add_co_u32 v35, vcc_lo, s8, v60
	v_add_co_ci_u32_e32 v36, vcc_lo, s9, v61, vcc_lo
	s_delay_alu instid0(VALU_DEP_4) | instskip(SKIP_3) | instid1(VALU_DEP_3)
	v_lshlrev_b64 v[60:61], 1, v[29:30]
	v_add_nc_u32_e32 v29, s22, v37
	v_add_co_u32 v62, vcc_lo, s8, v62
	v_add_co_ci_u32_e32 v63, vcc_lo, s9, v63, vcc_lo
	v_lshlrev_b64 v[64:65], 1, v[29:30]
	v_add_nc_u32_e32 v29, s22, v39
	v_add_co_u32 v60, vcc_lo, s8, v60
	v_add_co_ci_u32_e32 v61, vcc_lo, s9, v61, vcc_lo
	s_delay_alu instid0(VALU_DEP_3) | instskip(SKIP_3) | instid1(VALU_DEP_4)
	v_lshlrev_b64 v[66:67], 1, v[29:30]
	v_add_co_u32 v64, vcc_lo, s8, v64
	v_add_co_ci_u32_e32 v65, vcc_lo, s9, v65, vcc_lo
	v_mov_b32_e32 v29, v30
	v_add_co_u32 v66, vcc_lo, s8, v66
	v_add_co_ci_u32_e32 v67, vcc_lo, s9, v67, vcc_lo
	s_clause 0x7
	global_load_u16 v51, v[58:59], off
	global_load_u16 v49, v[48:49], off
	;; [unrolled: 1-line block ×8, first 2 shown]
	s_cbranch_execnz .LBB107_12
	s_branch .LBB107_23
.LBB107_22:                             ;   in Loop: Header=BB107_14 Depth=1
                                        ; implicit-def: $vgpr35
                                        ; implicit-def: $vgpr36
                                        ; implicit-def: $vgpr37
                                        ; implicit-def: $vgpr39
                                        ; implicit-def: $vgpr41
                                        ; implicit-def: $vgpr48
                                        ; implicit-def: $vgpr49
                                        ; implicit-def: $vgpr51
                                        ; implicit-def: $vgpr38
                                        ; implicit-def: $vgpr40
                                        ; implicit-def: $vgpr42
                                        ; implicit-def: $vgpr50
                                        ; implicit-def: $vgpr52
                                        ; implicit-def: $vgpr53
                                        ; implicit-def: $vgpr54
                                        ; implicit-def: $vgpr55
.LBB107_23:                             ;   in Loop: Header=BB107_14 Depth=1
	s_waitcnt vmcnt(14)
	v_dual_mov_b32 v29, v30 :: v_dual_mov_b32 v54, 0
	s_waitcnt vmcnt(12)
	v_dual_mov_b32 v55, 0 :: v_dual_mov_b32 v52, 0
	;; [unrolled: 2-line block ×8, first 2 shown]
	s_waitcnt vmcnt(0)
	v_mov_b32_e32 v35, 0
	s_branch .LBB107_12
.LBB107_24:
	s_nop 0
	s_sendmsg sendmsg(MSG_DEALLOC_VGPRS)
	s_endpgm
	.section	.rodata,"a",@progbits
	.p2align	6, 0x0
	.amdhsa_kernel _Z16wvSplitK_hf_sml_I6__halfLi32ELi4ELi16ELi8ELi1ELi4EEviiiiiiPKT_S3_S3_PS1_ii
		.amdhsa_group_segment_fixed_size 65536
		.amdhsa_private_segment_fixed_size 0
		.amdhsa_kernarg_size 64
		.amdhsa_user_sgpr_count 15
		.amdhsa_user_sgpr_dispatch_ptr 0
		.amdhsa_user_sgpr_queue_ptr 0
		.amdhsa_user_sgpr_kernarg_segment_ptr 1
		.amdhsa_user_sgpr_dispatch_id 0
		.amdhsa_user_sgpr_private_segment_size 0
		.amdhsa_wavefront_size32 1
		.amdhsa_uses_dynamic_stack 0
		.amdhsa_enable_private_segment 0
		.amdhsa_system_sgpr_workgroup_id_x 1
		.amdhsa_system_sgpr_workgroup_id_y 0
		.amdhsa_system_sgpr_workgroup_id_z 0
		.amdhsa_system_sgpr_workgroup_info 0
		.amdhsa_system_vgpr_workitem_id 1
		.amdhsa_next_free_vgpr 70
		.amdhsa_next_free_sgpr 25
		.amdhsa_reserve_vcc 1
		.amdhsa_float_round_mode_32 0
		.amdhsa_float_round_mode_16_64 0
		.amdhsa_float_denorm_mode_32 3
		.amdhsa_float_denorm_mode_16_64 3
		.amdhsa_dx10_clamp 1
		.amdhsa_ieee_mode 1
		.amdhsa_fp16_overflow 0
		.amdhsa_workgroup_processor_mode 1
		.amdhsa_memory_ordered 1
		.amdhsa_forward_progress 0
		.amdhsa_shared_vgpr_count 0
		.amdhsa_exception_fp_ieee_invalid_op 0
		.amdhsa_exception_fp_denorm_src 0
		.amdhsa_exception_fp_ieee_div_zero 0
		.amdhsa_exception_fp_ieee_overflow 0
		.amdhsa_exception_fp_ieee_underflow 0
		.amdhsa_exception_fp_ieee_inexact 0
		.amdhsa_exception_int_div_zero 0
	.end_amdhsa_kernel
	.section	.text._Z16wvSplitK_hf_sml_I6__halfLi32ELi4ELi16ELi8ELi1ELi4EEviiiiiiPKT_S3_S3_PS1_ii,"axG",@progbits,_Z16wvSplitK_hf_sml_I6__halfLi32ELi4ELi16ELi8ELi1ELi4EEviiiiiiPKT_S3_S3_PS1_ii,comdat
.Lfunc_end107:
	.size	_Z16wvSplitK_hf_sml_I6__halfLi32ELi4ELi16ELi8ELi1ELi4EEviiiiiiPKT_S3_S3_PS1_ii, .Lfunc_end107-_Z16wvSplitK_hf_sml_I6__halfLi32ELi4ELi16ELi8ELi1ELi4EEviiiiiiPKT_S3_S3_PS1_ii
                                        ; -- End function
	.section	.AMDGPU.csdata,"",@progbits
; Kernel info:
; codeLenInByte = 5840
; NumSgprs: 27
; NumVgprs: 70
; ScratchSize: 0
; MemoryBound: 0
; FloatMode: 240
; IeeeMode: 1
; LDSByteSize: 65536 bytes/workgroup (compile time only)
; SGPRBlocks: 3
; VGPRBlocks: 8
; NumSGPRsForWavesPerEU: 27
; NumVGPRsForWavesPerEU: 70
; Occupancy: 8
; WaveLimiterHint : 0
; COMPUTE_PGM_RSRC2:SCRATCH_EN: 0
; COMPUTE_PGM_RSRC2:USER_SGPR: 15
; COMPUTE_PGM_RSRC2:TRAP_HANDLER: 0
; COMPUTE_PGM_RSRC2:TGID_X_EN: 1
; COMPUTE_PGM_RSRC2:TGID_Y_EN: 0
; COMPUTE_PGM_RSRC2:TGID_Z_EN: 0
; COMPUTE_PGM_RSRC2:TIDIG_COMP_CNT: 1
	.section	.text._Z12wvSplitK_hf_I6__halfLi32ELi4ELi16ELi8ELi1ELi4EEviiiiiiPKT_S3_S3_PS1_ii,"axG",@progbits,_Z12wvSplitK_hf_I6__halfLi32ELi4ELi16ELi8ELi1ELi4EEviiiiiiPKT_S3_S3_PS1_ii,comdat
	.protected	_Z12wvSplitK_hf_I6__halfLi32ELi4ELi16ELi8ELi1ELi4EEviiiiiiPKT_S3_S3_PS1_ii ; -- Begin function _Z12wvSplitK_hf_I6__halfLi32ELi4ELi16ELi8ELi1ELi4EEviiiiiiPKT_S3_S3_PS1_ii
	.globl	_Z12wvSplitK_hf_I6__halfLi32ELi4ELi16ELi8ELi1ELi4EEviiiiiiPKT_S3_S3_PS1_ii
	.p2align	8
	.type	_Z12wvSplitK_hf_I6__halfLi32ELi4ELi16ELi8ELi1ELi4EEviiiiiiPKT_S3_S3_PS1_ii,@function
_Z12wvSplitK_hf_I6__halfLi32ELi4ELi16ELi8ELi1ELi4EEviiiiiiPKT_S3_S3_PS1_ii: ; @_Z12wvSplitK_hf_I6__halfLi32ELi4ELi16ELi8ELi1ELi4EEviiiiiiPKT_S3_S3_PS1_ii
; %bb.0:
	s_clause 0x1
	s_load_b64 s[20:21], s[0:1], 0x38
	s_load_b128 s[8:11], s[0:1], 0x0
	v_bfe_u32 v5, v0, 10, 10
	s_clause 0x1
	s_load_b64 s[16:17], s[0:1], 0x20
	s_load_b64 s[18:19], s[0:1], 0x10
	s_mov_b32 s4, 1
	s_delay_alu instid0(SALU_CYCLE_1) | instskip(SKIP_4) | instid1(SALU_CYCLE_1)
	s_mov_b32 s5, s4
	s_mov_b32 s6, s4
	;; [unrolled: 1-line block ×3, first 2 shown]
	s_waitcnt lgkmcnt(0)
	s_mul_i32 s15, s15, s20
	v_add_lshl_u32 v37, s15, v5, 2
	s_delay_alu instid0(VALU_DEP_1) | instskip(SKIP_1) | instid1(VALU_DEP_2)
	v_add_nc_u32_e32 v1, 4, v37
	v_cmp_gt_u32_e32 vcc_lo, s11, v37
	v_cmp_le_u32_e64 s2, s11, v1
	v_dual_mov_b32 v1, s4 :: v_dual_mov_b32 v4, s7
	v_dual_mov_b32 v2, s5 :: v_dual_mov_b32 v3, s6
	s_delay_alu instid0(VALU_DEP_3) | instskip(NEXT) | instid1(SALU_CYCLE_1)
	s_and_b32 s2, vcc_lo, s2
	s_and_saveexec_b32 s12, s2
	s_cbranch_execz .LBB108_6
; %bb.1:
	v_dual_mov_b32 v1, s4 :: v_dual_mov_b32 v2, s5
	v_dual_mov_b32 v3, s6 :: v_dual_mov_b32 v4, s7
	s_add_i32 s13, s11, -4
	s_mov_b32 s14, exec_lo
	v_cmpx_ne_u32_e64 s13, v37
	s_cbranch_execz .LBB108_5
; %bb.2:
	v_subrev_nc_u32_e32 v1, s13, v37
	s_mov_b32 s15, 0
	s_mov_b64 s[2:3], 0
	s_mov_b32 s5, s4
	s_mov_b32 s6, s4
	v_cmp_lt_u32_e32 vcc_lo, 1, v1
	s_mov_b32 s7, s4
	v_cndmask_b32_e32 v6, 1, v1, vcc_lo
	.p2align	6
.LBB108_3:                              ; =>This Inner Loop Header: Depth=1
	s_cmp_lg_u32 s2, 3
	s_cselect_b32 s7, s7, 0
	s_cmp_lg_u32 s2, 2
	s_cselect_b32 s6, s6, 0
	;; [unrolled: 2-line block ×4, first 2 shown]
	s_add_u32 s2, s2, 1
	v_dual_mov_b32 v1, s4 :: v_dual_mov_b32 v2, s5
	v_cmp_eq_u32_e32 vcc_lo, s2, v6
	v_dual_mov_b32 v3, s6 :: v_dual_mov_b32 v4, s7
	s_addc_u32 s3, s3, 0
	s_or_b32 s15, vcc_lo, s15
	s_delay_alu instid0(SALU_CYCLE_1)
	s_and_not1_b32 exec_lo, exec_lo, s15
	s_cbranch_execnz .LBB108_3
; %bb.4:
	s_or_b32 exec_lo, exec_lo, s15
	v_mov_b32_e32 v37, s13
.LBB108_5:
	s_or_b32 exec_lo, exec_lo, s14
.LBB108_6:
	s_delay_alu instid0(SALU_CYCLE_1) | instskip(SKIP_4) | instid1(VALU_DEP_1)
	s_or_b32 exec_lo, exec_lo, s12
	v_and_b32_e32 v6, 0x3ff, v0
	s_lshl_b32 s22, s10, 2
	s_mov_b32 s2, exec_lo
	s_min_u32 s3, s22, 0x8000
	v_lshlrev_b32_e32 v0, 3, v6
	s_delay_alu instid0(VALU_DEP_1) | instskip(NEXT) | instid1(VALU_DEP_1)
	v_lshl_add_u32 v8, v5, 8, v0
	v_cmpx_gt_u32_e64 s3, v8
	s_cbranch_execz .LBB108_15
; %bb.7:
	v_lshlrev_b32_e32 v7, 1, v8
	v_add_nc_u32_e32 v13, 0x1000, v8
	s_mov_b32 s4, exec_lo
	global_load_b128 v[9:12], v7, s[16:17]
	s_waitcnt vmcnt(0)
	ds_store_b128 v7, v[9:12]
	v_cmpx_gt_u32_e64 s3, v13
	s_xor_b32 s4, exec_lo, s4
	s_cbranch_execz .LBB108_15
; %bb.8:
	v_add_co_u32 v9, s4, s16, v7
	s_delay_alu instid0(VALU_DEP_1) | instskip(SKIP_1) | instid1(VALU_DEP_3)
	v_add_co_ci_u32_e64 v10, null, s17, 0, s4
	v_add_nc_u32_e32 v15, 0x2000, v8
	v_add_co_u32 v11, vcc_lo, 0x2000, v9
	s_delay_alu instid0(VALU_DEP_3)
	v_add_co_ci_u32_e32 v12, vcc_lo, 0, v10, vcc_lo
	s_mov_b32 s4, exec_lo
	global_load_b128 v[11:14], v[11:12], off
	s_waitcnt vmcnt(0)
	ds_store_b128 v7, v[11:14] offset:8192
	v_cmpx_gt_u32_e64 s3, v15
	s_xor_b32 s4, exec_lo, s4
	s_cbranch_execz .LBB108_15
; %bb.9:
	v_add_co_u32 v11, vcc_lo, 0x4000, v9
	v_add_co_ci_u32_e32 v12, vcc_lo, 0, v10, vcc_lo
	v_add_nc_u32_e32 v15, 0x3000, v8
	s_mov_b32 s4, exec_lo
	global_load_b128 v[11:14], v[11:12], off
	s_waitcnt vmcnt(0)
	ds_store_b128 v7, v[11:14] offset:16384
	v_cmpx_gt_u32_e64 s3, v15
	s_xor_b32 s4, exec_lo, s4
	s_cbranch_execz .LBB108_15
; %bb.10:
	v_add_co_u32 v11, vcc_lo, 0x6000, v9
	v_add_co_ci_u32_e32 v12, vcc_lo, 0, v10, vcc_lo
	v_add_nc_u32_e32 v15, 0x4000, v8
	;; [unrolled: 11-line block ×5, first 2 shown]
	global_load_b128 v[11:14], v[11:12], off
	v_cmp_gt_u32_e32 vcc_lo, s3, v8
	s_waitcnt vmcnt(0)
	ds_store_b128 v7, v[11:14] offset:49152
	s_and_saveexec_b32 s3, vcc_lo
	s_delay_alu instid0(SALU_CYCLE_1)
	s_xor_b32 s3, exec_lo, s3
	s_cbranch_execz .LBB108_15
; %bb.14:
	v_add_co_u32 v8, vcc_lo, 0xe000, v9
	v_add_co_ci_u32_e32 v9, vcc_lo, 0, v10, vcc_lo
	global_load_b128 v[8:11], v[8:9], off
	s_waitcnt vmcnt(0)
	ds_store_b128 v7, v[8:11] offset:57344
.LBB108_15:
	s_or_b32 exec_lo, exec_lo, s2
	v_cmp_gt_u32_e32 vcc_lo, s20, v5
	v_cmp_gt_u32_e64 s2, s11, v37
	s_waitcnt lgkmcnt(0)
	s_barrier
	buffer_gl0_inv
	s_and_b32 s2, vcc_lo, s2
	s_delay_alu instid0(SALU_CYCLE_1)
	s_and_saveexec_b32 s3, s2
	s_cbranch_execz .LBB108_80
; %bb.16:
	s_clause 0x1
	s_load_b128 s[12:15], s[0:1], 0x28
	s_load_b64 s[6:7], s[0:1], 0x18
	s_cmp_lg_u32 s8, 0
	v_cvt_f32_u32_e32 v7, s18
	s_cselect_b32 s23, -1, 0
	s_add_i32 s24, s8, -8
	s_add_i32 s25, s11, -1
	s_mul_i32 s0, s20, s21
	v_mad_u64_u32 v[40:41], null, s10, 3, v[0:1]
	v_add_nc_u32_e32 v55, s10, v0
	v_mbcnt_lo_u32_b32 v58, -1, 0
	v_lshlrev_b32_e32 v54, 4, v6
	s_waitcnt lgkmcnt(0)
	s_cmp_lg_u64 s[12:13], 0
	s_cselect_b32 s26, -1, 0
	s_abs_i32 s1, s19
	s_lshl_b32 s20, s0, 2
	v_cvt_f32_u32_e32 v5, s1
	s_sub_i32 s0, 0, s1
	s_add_i32 s21, s11, -4
	s_sub_i32 s3, 0, s18
	s_sub_i32 s4, 1, s1
	v_rcp_iflag_f32_e32 v5, v5
	s_mov_b32 s19, 0
	s_waitcnt_depctr 0xfff
	v_mul_f32_e32 v5, 0x4f7ffffe, v5
	s_delay_alu instid0(VALU_DEP_1) | instskip(NEXT) | instid1(VALU_DEP_1)
	v_cvt_u32_f32_e32 v5, v5
	v_readfirstlane_b32 s2, v5
	v_rcp_iflag_f32_e32 v5, v7
	s_delay_alu instid0(VALU_DEP_1) | instskip(NEXT) | instid1(SALU_CYCLE_1)
	s_mul_i32 s0, s0, s2
	s_mul_hi_u32 s0, s2, s0
	s_delay_alu instid0(SALU_CYCLE_1)
	s_add_i32 s2, s2, s0
	s_cmp_lt_u32 s1, 2
	s_waitcnt_depctr 0xfff
	v_mul_f32_e32 v5, 0x4f7ffffe, v5
	s_cselect_b32 s4, s4, 1
	v_cmp_eq_u32_e64 s0, 31, v6
	s_sub_i32 s5, s4, s1
	s_cmp_ge_u32 s4, s1
	v_cvt_u32_f32_e32 v5, v5
	s_cselect_b32 s28, s5, s4
	s_lshr_b32 s4, s2, 31
	s_mul_hi_u32 s2, s2, 3
	s_mul_i32 s4, s4, s1
	v_mul_lo_u32 v6, s3, v5
	s_sub_i32 s4, 2, s4
	s_mul_i32 s2, s2, s1
	s_sub_i32 s5, s4, s1
	s_cmp_ge_u32 s4, s1
	s_mul_i32 s28, s28, s18
	s_cselect_b32 s3, s5, s4
	s_delay_alu instid0(SALU_CYCLE_1)
	s_sub_i32 s4, s3, s1
	s_cmp_ge_u32 s3, s1
	v_mul_hi_u32 v6, v5, v6
	s_cselect_b32 s29, s4, s3
	s_sub_i32 s2, 3, s2
	v_mov_b32_e32 v39, 0
	s_sub_i32 s3, s2, s1
	s_cmp_ge_u32 s2, s1
	s_mul_i32 s29, s29, s18
	s_cselect_b32 s2, s3, s2
	v_add_nc_u32_e32 v56, v5, v6
	s_sub_i32 s3, s2, s1
	s_cmp_ge_u32 s2, s1
	s_cselect_b32 s30, s3, s2
	s_lshl_b32 s27, s10, 1
	s_mul_i32 s30, s30, s18
	v_add_nc_u32_e32 v57, s27, v0
	s_mul_i32 s10, s10, 6
	s_branch .LBB108_19
.LBB108_17:                             ;   in Loop: Header=BB108_19 Depth=1
	s_or_b32 exec_lo, exec_lo, s33
	v_mov_b32_e32 v37, s21
.LBB108_18:                             ;   in Loop: Header=BB108_19 Depth=1
	s_or_b32 exec_lo, exec_lo, s31
	s_delay_alu instid0(VALU_DEP_1) | instskip(SKIP_1) | instid1(SALU_CYCLE_1)
	v_cmp_le_u32_e32 vcc_lo, s11, v37
	s_or_b32 s19, vcc_lo, s19
	s_and_not1_b32 exec_lo, exec_lo, s19
	s_cbranch_execz .LBB108_80
.LBB108_19:                             ; =>This Loop Header: Depth=1
                                        ;     Child Loop BB108_23 Depth 2
                                        ;     Child Loop BB108_63 Depth 2
	v_dual_mov_b32 v74, v39 :: v_dual_add_nc_u32 v43, 1, v37
	v_dual_mov_b32 v73, v39 :: v_dual_add_nc_u32 v42, 2, v37
	;; [unrolled: 1-line block ×3, first 2 shown]
	v_mov_b32_e32 v71, v39
	s_waitcnt vmcnt(10)
	v_mov_b32_e32 v59, v39
	s_waitcnt vmcnt(7)
	v_mov_b32_e32 v60, v39
	v_mov_b32_e32 v61, v39
	;; [unrolled: 1-line block ×11, first 2 shown]
	s_and_not1_b32 vcc_lo, exec_lo, s23
	s_cbranch_vccnz .LBB108_40
; %bb.20:                               ;   in Loop: Header=BB108_19 Depth=1
	v_min_u32_e32 v5, s25, v37
	v_min_u32_e32 v6, s25, v43
	;; [unrolled: 1-line block ×3, first 2 shown]
	s_waitcnt lgkmcnt(1)
	v_min_u32_e32 v8, s25, v41
	v_dual_mov_b32 v10, v39 :: v_dual_mov_b32 v67, 0
	v_mul_lo_u32 v38, v5, s9
	v_mul_lo_u32 v5, v6, s9
	;; [unrolled: 1-line block ×4, first 2 shown]
	v_dual_mov_b32 v6, v39 :: v_dual_mov_b32 v69, 0
	v_dual_mov_b32 v8, v39 :: v_dual_mov_b32 v75, v54
	s_waitcnt vmcnt(0)
	v_lshlrev_b64 v[44:45], 1, v[38:39]
	s_delay_alu instid0(VALU_DEP_3)
	v_lshlrev_b64 v[46:47], 1, v[5:6]
	v_dual_mov_b32 v70, 0 :: v_dual_mov_b32 v65, 0
	v_lshlrev_b64 v[48:49], 1, v[7:8]
	v_lshlrev_b64 v[50:51], 1, v[9:10]
	v_dual_mov_b32 v68, 0 :: v_dual_mov_b32 v63, 0
	v_dual_mov_b32 v66, 0 :: v_dual_mov_b32 v61, 0
	v_dual_mov_b32 v64, 0 :: v_dual_mov_b32 v59, 0
	v_dual_mov_b32 v62, 0 :: v_dual_mov_b32 v71, 0
	v_dual_mov_b32 v60, 0 :: v_dual_mov_b32 v73, 0
	v_mov_b32_e32 v72, 0
	v_mov_b32_e32 v74, 0
	s_mov_b32 s1, 0
	s_branch .LBB108_23
.LBB108_21:                             ;   in Loop: Header=BB108_23 Depth=2
	s_or_b32 exec_lo, exec_lo, s3
.LBB108_22:                             ;   in Loop: Header=BB108_23 Depth=2
	s_delay_alu instid0(SALU_CYCLE_1)
	s_or_b32 exec_lo, exec_lo, s2
	v_add_nc_u32_e32 v75, 0x200, v75
	s_addk_i32 s1, 0x100
	s_waitcnt vmcnt(0) lgkmcnt(0)
	;;#ASMSTART
	v_dot2_f32_f16 v74, v21, v17, v74
	;;#ASMEND
	;;#ASMSTART
	v_dot2_f32_f16 v73, v21, v13, v73
	;;#ASMEND
	;; [unrolled: 3-line block ×32, first 2 shown]
	s_cmp_ge_u32 s1, s8
	;;#ASMSTART
	v_dot2_f32_f16 v74, v23, v19, v74
	;;#ASMEND
	;;#ASMSTART
	v_dot2_f32_f16 v73, v23, v15, v73
	;;#ASMEND
	;;#ASMSTART
	v_dot2_f32_f16 v72, v23, v11, v72
	;;#ASMEND
	;;#ASMSTART
	v_dot2_f32_f16 v71, v23, v7, v71
	;;#ASMEND
	;;#ASMSTART
	v_dot2_f32_f16 v69, v27, v19, v69
	;;#ASMEND
	;;#ASMSTART
	v_dot2_f32_f16 v70, v27, v15, v70
	;;#ASMEND
	;;#ASMSTART
	v_dot2_f32_f16 v68, v27, v11, v68
	;;#ASMEND
	;;#ASMSTART
	v_dot2_f32_f16 v67, v27, v7, v67
	;;#ASMEND
	;;#ASMSTART
	v_dot2_f32_f16 v66, v31, v19, v66
	;;#ASMEND
	;;#ASMSTART
	v_dot2_f32_f16 v65, v31, v15, v65
	;;#ASMEND
	;;#ASMSTART
	v_dot2_f32_f16 v64, v31, v11, v64
	;;#ASMEND
	;;#ASMSTART
	v_dot2_f32_f16 v63, v31, v7, v63
	;;#ASMEND
	;;#ASMSTART
	v_dot2_f32_f16 v62, v35, v19, v62
	;;#ASMEND
	;;#ASMSTART
	v_dot2_f32_f16 v61, v35, v15, v61
	;;#ASMEND
	;;#ASMSTART
	v_dot2_f32_f16 v60, v35, v11, v60
	;;#ASMEND
	;;#ASMSTART
	v_dot2_f32_f16 v59, v35, v7, v59
	;;#ASMEND
	;;#ASMSTART
	v_dot2_f32_f16 v74, v24, v20, v74
	;;#ASMEND
	;;#ASMSTART
	v_dot2_f32_f16 v73, v24, v16, v73
	;;#ASMEND
	;;#ASMSTART
	v_dot2_f32_f16 v72, v24, v12, v72
	;;#ASMEND
	;;#ASMSTART
	v_dot2_f32_f16 v71, v24, v8, v71
	;;#ASMEND
	;;#ASMSTART
	v_dot2_f32_f16 v69, v28, v20, v69
	;;#ASMEND
	;;#ASMSTART
	v_dot2_f32_f16 v70, v28, v16, v70
	;;#ASMEND
	;;#ASMSTART
	v_dot2_f32_f16 v68, v28, v12, v68
	;;#ASMEND
	;;#ASMSTART
	v_dot2_f32_f16 v67, v28, v8, v67
	;;#ASMEND
	;;#ASMSTART
	v_dot2_f32_f16 v66, v32, v20, v66
	;;#ASMEND
	;;#ASMSTART
	v_dot2_f32_f16 v65, v32, v16, v65
	;;#ASMEND
	;;#ASMSTART
	v_dot2_f32_f16 v64, v32, v12, v64
	;;#ASMEND
	;;#ASMSTART
	v_dot2_f32_f16 v63, v32, v8, v63
	;;#ASMEND
	;;#ASMSTART
	v_dot2_f32_f16 v62, v36, v20, v62
	;;#ASMEND
	;;#ASMSTART
	v_dot2_f32_f16 v61, v36, v16, v61
	;;#ASMEND
	;;#ASMSTART
	v_dot2_f32_f16 v60, v36, v12, v60
	;;#ASMEND
	;;#ASMSTART
	v_dot2_f32_f16 v59, v36, v8, v59
	;;#ASMEND
	s_cbranch_scc1 .LBB108_40
.LBB108_23:                             ;   Parent Loop BB108_19 Depth=1
                                        ; =>  This Inner Loop Header: Depth=2
	v_dual_mov_b32 v35, 0 :: v_dual_add_nc_u32 v52, s1, v0
	v_dual_mov_b32 v36, 0 :: v_dual_mov_b32 v33, 0
	v_dual_mov_b32 v34, 0 :: v_dual_mov_b32 v31, 0
	s_delay_alu instid0(VALU_DEP_3) | instskip(SKIP_2) | instid1(VALU_DEP_3)
	v_min_u32_e32 v38, s24, v52
	v_dual_mov_b32 v32, 0 :: v_dual_mov_b32 v29, 0
	v_dual_mov_b32 v30, 0 :: v_dual_mov_b32 v27, 0
	v_lshlrev_b64 v[5:6], 1, v[38:39]
	v_dual_mov_b32 v28, 0 :: v_dual_mov_b32 v25, 0
	v_dual_mov_b32 v26, 0 :: v_dual_mov_b32 v23, 0
	v_mov_b32_e32 v24, 0
	s_delay_alu instid0(VALU_DEP_4) | instskip(SKIP_2) | instid1(VALU_DEP_2)
	v_add_co_u32 v11, vcc_lo, s6, v5
	v_add_co_ci_u32_e32 v12, vcc_lo, s7, v6, vcc_lo
	s_mov_b32 s2, exec_lo
	v_add_co_u32 v5, vcc_lo, v11, v44
	s_delay_alu instid0(VALU_DEP_2)
	v_add_co_ci_u32_e32 v6, vcc_lo, v12, v45, vcc_lo
	v_add_co_u32 v7, vcc_lo, v11, v46
	v_add_co_ci_u32_e32 v8, vcc_lo, v12, v47, vcc_lo
	v_add_co_u32 v9, vcc_lo, v11, v48
	;; [unrolled: 2-line block ×3, first 2 shown]
	v_add_co_ci_u32_e32 v22, vcc_lo, v12, v51, vcc_lo
	global_load_b128 v[17:20], v[5:6], off slc dlc
	s_waitcnt lgkmcnt(0)
	s_clause 0x2
	global_load_b128 v[13:16], v[7:8], off slc dlc
	global_load_b128 v[9:12], v[9:10], off slc dlc
	;; [unrolled: 1-line block ×3, first 2 shown]
	v_dual_mov_b32 v21, 0 :: v_dual_mov_b32 v22, 0
	v_cmpx_gt_u32_e64 s8, v52
	s_cbranch_execz .LBB108_22
; %bb.24:                               ;   in Loop: Header=BB108_23 Depth=2
	s_mov_b32 s3, exec_lo
                                        ; implicit-def: $vgpr24
	v_cmpx_lt_u32_e32 0x7fff, v52
	s_xor_b32 s3, exec_lo, s3
	s_cbranch_execz .LBB108_26
; %bb.25:                               ;   in Loop: Header=BB108_23 Depth=2
	v_mov_b32_e32 v53, v39
	s_delay_alu instid0(VALU_DEP_1) | instskip(NEXT) | instid1(VALU_DEP_1)
	v_lshlrev_b64 v[21:22], 1, v[52:53]
	v_add_co_u32 v21, vcc_lo, s16, v21
	s_delay_alu instid0(VALU_DEP_2)
	v_add_co_ci_u32_e32 v22, vcc_lo, s17, v22, vcc_lo
	global_load_b128 v[21:24], v[21:22], off
.LBB108_26:                             ;   in Loop: Header=BB108_23 Depth=2
	s_and_not1_saveexec_b32 s3, s3
	s_cbranch_execz .LBB108_28
; %bb.27:                               ;   in Loop: Header=BB108_23 Depth=2
	s_waitcnt vmcnt(0)
	ds_load_b128 v[21:24], v75
.LBB108_28:                             ;   in Loop: Header=BB108_23 Depth=2
	s_or_b32 exec_lo, exec_lo, s3
	v_add_nc_u32_e32 v38, s1, v55
	s_mov_b32 s3, exec_lo
                                        ; implicit-def: $vgpr28
	s_delay_alu instid0(VALU_DEP_1)
	v_cmpx_lt_u32_e32 0x7fff, v38
	s_xor_b32 s3, exec_lo, s3
	s_cbranch_execz .LBB108_30
; %bb.29:                               ;   in Loop: Header=BB108_23 Depth=2
	v_lshlrev_b64 v[25:26], 1, v[38:39]
	s_delay_alu instid0(VALU_DEP_1) | instskip(NEXT) | instid1(VALU_DEP_2)
	v_add_co_u32 v25, vcc_lo, s16, v25
	v_add_co_ci_u32_e32 v26, vcc_lo, s17, v26, vcc_lo
	global_load_b128 v[25:28], v[25:26], off
.LBB108_30:                             ;   in Loop: Header=BB108_23 Depth=2
	s_and_not1_saveexec_b32 s3, s3
	s_cbranch_execz .LBB108_32
; %bb.31:                               ;   in Loop: Header=BB108_23 Depth=2
	s_waitcnt vmcnt(0)
	v_add_nc_u32_e32 v25, s27, v75
	ds_load_b128 v[25:28], v25
.LBB108_32:                             ;   in Loop: Header=BB108_23 Depth=2
	s_or_b32 exec_lo, exec_lo, s3
	v_add_nc_u32_e32 v38, s1, v57
	s_mov_b32 s3, exec_lo
                                        ; implicit-def: $vgpr32
	s_delay_alu instid0(VALU_DEP_1)
	v_cmpx_lt_u32_e32 0x7fff, v38
	s_xor_b32 s3, exec_lo, s3
	s_cbranch_execz .LBB108_34
; %bb.33:                               ;   in Loop: Header=BB108_23 Depth=2
	v_lshlrev_b64 v[29:30], 1, v[38:39]
	s_delay_alu instid0(VALU_DEP_1) | instskip(NEXT) | instid1(VALU_DEP_2)
	v_add_co_u32 v29, vcc_lo, s16, v29
	v_add_co_ci_u32_e32 v30, vcc_lo, s17, v30, vcc_lo
	global_load_b128 v[29:32], v[29:30], off
.LBB108_34:                             ;   in Loop: Header=BB108_23 Depth=2
	s_and_not1_saveexec_b32 s3, s3
	s_cbranch_execz .LBB108_36
; %bb.35:                               ;   in Loop: Header=BB108_23 Depth=2
	s_waitcnt vmcnt(0)
	v_add_nc_u32_e32 v31, s22, v75
	ds_load_2addr_b32 v[29:30], v31 offset1:1
	ds_load_2addr_b32 v[31:32], v31 offset0:2 offset1:3
.LBB108_36:                             ;   in Loop: Header=BB108_23 Depth=2
	s_or_b32 exec_lo, exec_lo, s3
	v_add_nc_u32_e32 v38, s1, v40
	s_mov_b32 s3, exec_lo
                                        ; implicit-def: $vgpr36
	s_delay_alu instid0(VALU_DEP_1)
	v_cmpx_lt_u32_e32 0x7fff, v38
	s_xor_b32 s3, exec_lo, s3
	s_cbranch_execz .LBB108_38
; %bb.37:                               ;   in Loop: Header=BB108_23 Depth=2
	v_lshlrev_b64 v[33:34], 1, v[38:39]
	s_delay_alu instid0(VALU_DEP_1) | instskip(NEXT) | instid1(VALU_DEP_2)
	v_add_co_u32 v33, vcc_lo, s16, v33
	v_add_co_ci_u32_e32 v34, vcc_lo, s17, v34, vcc_lo
	global_load_b128 v[33:36], v[33:34], off
.LBB108_38:                             ;   in Loop: Header=BB108_23 Depth=2
	s_and_not1_saveexec_b32 s3, s3
	s_cbranch_execz .LBB108_21
; %bb.39:                               ;   in Loop: Header=BB108_23 Depth=2
	s_waitcnt vmcnt(0)
	v_add_nc_u32_e32 v33, s10, v75
	ds_load_b128 v[33:36], v33
	s_branch .LBB108_21
.LBB108_40:                             ;   in Loop: Header=BB108_19 Depth=1
	v_cvt_i32_f32_e32 v5, v74
	v_xor_b32_e32 v6, 16, v58
	s_waitcnt lgkmcnt(1)
	v_cvt_i32_f32_e32 v8, v72
	v_cvt_i32_f32_e32 v10, v69
	;; [unrolled: 1-line block ×3, first 2 shown]
	v_cvt_f32_i32_dpp v5, v5 row_shr:8 row_mask:0xf bank_mask:0xf bound_ctrl:1
	v_cmp_gt_i32_e32 vcc_lo, 32, v6
	v_cvt_i32_f32_e32 v7, v73
	v_cvt_i32_f32_e32 v9, v71
	v_cvt_f32_i32_dpp v8, v8 row_shr:8 row_mask:0xf bank_mask:0xf bound_ctrl:1
	v_cvt_f32_i32_dpp v10, v10 row_shr:8 row_mask:0xf bank_mask:0xf bound_ctrl:1
	v_cndmask_b32_e32 v6, v58, v6, vcc_lo
	v_add_f32_e32 v5, v74, v5
	v_cvt_f32_i32_dpp v11, v11 row_shr:8 row_mask:0xf bank_mask:0xf bound_ctrl:1
	v_cvt_f32_i32_dpp v7, v7 row_shr:8 row_mask:0xf bank_mask:0xf bound_ctrl:1
	;; [unrolled: 1-line block ×3, first 2 shown]
	v_lshlrev_b32_e32 v38, 2, v6
	v_cvt_i32_f32_e32 v12, v5
	v_dual_add_f32 v10, v69, v10 :: v_dual_add_f32 v11, v70, v11
	s_delay_alu instid0(VALU_DEP_4) | instskip(SKIP_1) | instid1(VALU_DEP_4)
	v_dual_add_f32 v6, v73, v7 :: v_dual_add_f32 v9, v71, v9
	v_add_f32_e32 v7, v72, v8
	v_cvt_f32_i32_dpp v8, v12 row_shr:4 row_mask:0xf bank_mask:0xf bound_ctrl:1
	s_waitcnt lgkmcnt(0)
	v_cvt_i32_f32_e32 v15, v11
	v_cvt_i32_f32_e32 v14, v10
	;; [unrolled: 1-line block ×4, first 2 shown]
	s_delay_alu instid0(VALU_DEP_4)
	v_cvt_f32_i32_dpp v15, v15 row_shr:4 row_mask:0xf bank_mask:0xf bound_ctrl:1
	v_add_f32_e32 v5, v5, v8
	v_cvt_i32_f32_e32 v8, v7
	v_cvt_f32_i32_dpp v13, v13 row_shr:4 row_mask:0xf bank_mask:0xf bound_ctrl:1
	v_cvt_f32_i32_dpp v14, v14 row_shr:4 row_mask:0xf bank_mask:0xf bound_ctrl:1
	v_cvt_f32_i32_dpp v12, v12 row_shr:4 row_mask:0xf bank_mask:0xf bound_ctrl:1
	s_delay_alu instid0(VALU_DEP_4) | instskip(NEXT) | instid1(VALU_DEP_1)
	v_cvt_f32_i32_dpp v8, v8 row_shr:4 row_mask:0xf bank_mask:0xf bound_ctrl:1
	v_dual_add_f32 v7, v7, v8 :: v_dual_add_f32 v8, v9, v13
	s_delay_alu instid0(VALU_DEP_4) | instskip(SKIP_1) | instid1(VALU_DEP_3)
	v_dual_add_f32 v9, v10, v14 :: v_dual_add_f32 v10, v11, v15
	v_cvt_i32_f32_e32 v16, v5
	v_cvt_i32_f32_e32 v14, v8
	s_delay_alu instid0(VALU_DEP_2) | instskip(NEXT) | instid1(VALU_DEP_2)
	v_cvt_f32_i32_dpp v16, v16 row_shr:2 row_mask:0xf bank_mask:0xf bound_ctrl:1
	v_cvt_f32_i32_dpp v14, v14 row_shr:2 row_mask:0xf bank_mask:0xf bound_ctrl:1
	s_delay_alu instid0(VALU_DEP_2) | instskip(SKIP_1) | instid1(VALU_DEP_2)
	v_add_f32_e32 v5, v5, v16
	v_cvt_i32_f32_e32 v16, v10
	v_cvt_i32_f32_e32 v13, v5
	s_delay_alu instid0(VALU_DEP_2) | instskip(NEXT) | instid1(VALU_DEP_2)
	v_cvt_f32_i32_dpp v16, v16 row_shr:2 row_mask:0xf bank_mask:0xf bound_ctrl:1
	v_cvt_f32_i32_dpp v13, v13 row_shr:1 row_mask:0xf bank_mask:0xf bound_ctrl:1
	v_add_f32_e32 v6, v6, v12
	v_cvt_i32_f32_e32 v12, v7
	s_delay_alu instid0(VALU_DEP_3) | instskip(NEXT) | instid1(VALU_DEP_3)
	v_add_f32_e32 v35, v5, v13
	v_cvt_i32_f32_e32 v11, v6
	s_delay_alu instid0(VALU_DEP_3) | instskip(SKIP_2) | instid1(VALU_DEP_1)
	v_cvt_f32_i32_dpp v12, v12 row_shr:2 row_mask:0xf bank_mask:0xf bound_ctrl:1
	ds_bpermute_b32 v36, v38, v35
	v_cvt_f32_i32_dpp v11, v11 row_shr:2 row_mask:0xf bank_mask:0xf bound_ctrl:1
	v_dual_add_f32 v5, v6, v11 :: v_dual_add_f32 v6, v7, v12
	v_cvt_i32_f32_e32 v15, v9
	s_delay_alu instid0(VALU_DEP_2) | instskip(NEXT) | instid1(VALU_DEP_2)
	v_cvt_i32_f32_e32 v11, v6
	v_cvt_f32_i32_dpp v15, v15 row_shr:2 row_mask:0xf bank_mask:0xf bound_ctrl:1
	v_add_f32_e32 v7, v8, v14
	s_delay_alu instid0(VALU_DEP_3) | instskip(NEXT) | instid1(VALU_DEP_3)
	v_cvt_f32_i32_dpp v11, v11 row_shr:1 row_mask:0xf bank_mask:0xf bound_ctrl:1
	v_add_f32_e32 v8, v9, v15
	s_delay_alu instid0(VALU_DEP_3) | instskip(NEXT) | instid1(VALU_DEP_3)
	v_cvt_i32_f32_e32 v12, v7
	v_add_f32_e32 v24, v6, v11
	s_delay_alu instid0(VALU_DEP_3) | instskip(NEXT) | instid1(VALU_DEP_3)
	v_cvt_i32_f32_e32 v13, v8
	v_cvt_f32_i32_dpp v12, v12 row_shr:1 row_mask:0xf bank_mask:0xf bound_ctrl:1
	v_cvt_i32_f32_e32 v6, v67
	ds_bpermute_b32 v27, v38, v24
	v_cvt_f32_i32_dpp v13, v13 row_shr:1 row_mask:0xf bank_mask:0xf bound_ctrl:1
	v_add_f32_e32 v18, v7, v12
	v_add_f32_e32 v9, v10, v16
	v_cvt_i32_f32_e32 v10, v5
	v_cvt_f32_i32_dpp v6, v6 row_shr:8 row_mask:0xf bank_mask:0xf bound_ctrl:1
	v_add_f32_e32 v11, v8, v13
	v_cvt_i32_f32_e32 v8, v66
	v_cvt_i32_f32_e32 v12, v64
	v_cvt_f32_i32_dpp v10, v10 row_shr:1 row_mask:0xf bank_mask:0xf bound_ctrl:1
	v_add_f32_e32 v6, v67, v6
	ds_bpermute_b32 v21, v38, v18
	v_cvt_f32_i32_dpp v8, v8 row_shr:8 row_mask:0xf bank_mask:0xf bound_ctrl:1
	v_cvt_f32_i32_dpp v12, v12 row_shr:8 row_mask:0xf bank_mask:0xf bound_ctrl:1
	v_add_f32_e32 v30, v5, v10
	v_cvt_i32_f32_e32 v14, v9
	v_cvt_i32_f32_e32 v5, v68
	;; [unrolled: 1-line block ×3, first 2 shown]
	v_add_f32_e32 v8, v66, v8
	v_add_f32_e32 v12, v64, v12
	v_cvt_f32_i32_dpp v14, v14 row_shr:1 row_mask:0xf bank_mask:0xf bound_ctrl:1
	v_cvt_f32_i32_dpp v5, v5 row_shr:8 row_mask:0xf bank_mask:0xf bound_ctrl:1
	;; [unrolled: 1-line block ×3, first 2 shown]
	v_cvt_i32_f32_e32 v16, v8
	v_cvt_i32_f32_e32 v19, v12
	v_add_f32_e32 v7, v9, v14
	v_cvt_i32_f32_e32 v9, v65
	v_dual_add_f32 v5, v68, v5 :: v_dual_add_f32 v6, v6, v15
	v_cvt_f32_i32_dpp v16, v16 row_shr:4 row_mask:0xf bank_mask:0xf bound_ctrl:1
	v_cvt_f32_i32_dpp v19, v19 row_shr:4 row_mask:0xf bank_mask:0xf bound_ctrl:1
	s_delay_alu instid0(VALU_DEP_4) | instskip(NEXT) | instid1(VALU_DEP_4)
	v_cvt_f32_i32_dpp v9, v9 row_shr:8 row_mask:0xf bank_mask:0xf bound_ctrl:1
	v_cvt_i32_f32_e32 v13, v5
	v_cvt_i32_f32_e32 v15, v6
	v_add_f32_e32 v8, v8, v16
	s_delay_alu instid0(VALU_DEP_4) | instskip(NEXT) | instid1(VALU_DEP_4)
	v_dual_add_f32 v12, v12, v19 :: v_dual_add_f32 v9, v65, v9
	v_cvt_f32_i32_dpp v13, v13 row_shr:4 row_mask:0xf bank_mask:0xf bound_ctrl:1
	s_delay_alu instid0(VALU_DEP_4) | instskip(NEXT) | instid1(VALU_DEP_4)
	v_cvt_f32_i32_dpp v15, v15 row_shr:2 row_mask:0xf bank_mask:0xf bound_ctrl:1
	v_cvt_i32_f32_e32 v16, v8
	s_delay_alu instid0(VALU_DEP_4) | instskip(SKIP_1) | instid1(VALU_DEP_4)
	v_cvt_i32_f32_e32 v19, v12
	v_cvt_i32_f32_e32 v17, v9
	v_dual_add_f32 v5, v5, v13 :: v_dual_add_f32 v6, v6, v15
	s_delay_alu instid0(VALU_DEP_4) | instskip(NEXT) | instid1(VALU_DEP_4)
	v_cvt_f32_i32_dpp v16, v16 row_shr:2 row_mask:0xf bank_mask:0xf bound_ctrl:1
	v_cvt_f32_i32_dpp v19, v19 row_shr:2 row_mask:0xf bank_mask:0xf bound_ctrl:1
	s_delay_alu instid0(VALU_DEP_4) | instskip(NEXT) | instid1(VALU_DEP_4)
	v_cvt_f32_i32_dpp v17, v17 row_shr:4 row_mask:0xf bank_mask:0xf bound_ctrl:1
	v_cvt_i32_f32_e32 v13, v5
	v_cvt_i32_f32_e32 v15, v6
	ds_bpermute_b32 v33, v38, v30
	ds_bpermute_b32 v14, v38, v11
	v_add_f32_e32 v9, v9, v17
	v_cvt_f32_i32_dpp v13, v13 row_shr:2 row_mask:0xf bank_mask:0xf bound_ctrl:1
	v_cvt_f32_i32_dpp v15, v15 row_shr:1 row_mask:0xf bank_mask:0xf bound_ctrl:1
	ds_bpermute_b32 v10, v38, v7
	v_cvt_i32_f32_e32 v17, v9
	v_add_f32_e32 v5, v5, v13
	v_add_f32_e32 v25, v6, v15
	v_cvt_i32_f32_e32 v15, v60
	s_delay_alu instid0(VALU_DEP_4) | instskip(NEXT) | instid1(VALU_DEP_4)
	v_cvt_f32_i32_dpp v17, v17 row_shr:2 row_mask:0xf bank_mask:0xf bound_ctrl:1
	v_cvt_i32_f32_e32 v13, v5
	v_add_f32_e32 v8, v8, v16
	s_delay_alu instid0(VALU_DEP_4) | instskip(NEXT) | instid1(VALU_DEP_4)
	v_cvt_f32_i32_dpp v15, v15 row_shr:8 row_mask:0xf bank_mask:0xf bound_ctrl:1
	v_add_f32_e32 v9, v9, v17
	s_delay_alu instid0(VALU_DEP_4) | instskip(SKIP_2) | instid1(VALU_DEP_4)
	v_cvt_f32_i32_dpp v13, v13 row_shr:1 row_mask:0xf bank_mask:0xf bound_ctrl:1
	v_add_f32_e32 v12, v12, v19
	v_cvt_i32_f32_e32 v16, v8
	v_cvt_i32_f32_e32 v17, v9
	s_delay_alu instid0(VALU_DEP_4) | instskip(NEXT) | instid1(VALU_DEP_4)
	v_add_f32_e32 v31, v5, v13
	v_cvt_i32_f32_e32 v19, v12
	s_delay_alu instid0(VALU_DEP_4)
	v_cvt_f32_i32_dpp v16, v16 row_shr:1 row_mask:0xf bank_mask:0xf bound_ctrl:1
	v_cvt_i32_f32_e32 v5, v63
	v_cvt_f32_i32_dpp v20, v17 row_shr:1 row_mask:0xf bank_mask:0xf bound_ctrl:1
	ds_bpermute_b32 v34, v38, v31
	v_cvt_f32_i32_dpp v19, v19 row_shr:1 row_mask:0xf bank_mask:0xf bound_ctrl:1
	v_add_f32_e32 v17, v8, v16
	v_cvt_i32_f32_e32 v8, v62
	v_add_f32_e32 v13, v9, v20
	v_cvt_f32_i32_dpp v5, v5 row_shr:8 row_mask:0xf bank_mask:0xf bound_ctrl:1
	v_add_f32_e32 v6, v12, v19
	v_cvt_i32_f32_e32 v12, v61
	v_cvt_i32_f32_e32 v19, v59
	v_cvt_f32_i32_dpp v8, v8 row_shr:8 row_mask:0xf bank_mask:0xf bound_ctrl:1
	v_add_f32_e32 v5, v63, v5
	ds_bpermute_b32 v20, v38, v17
	v_cvt_f32_i32_dpp v12, v12 row_shr:8 row_mask:0xf bank_mask:0xf bound_ctrl:1
	v_cvt_f32_i32_dpp v19, v19 row_shr:8 row_mask:0xf bank_mask:0xf bound_ctrl:1
	v_add_f32_e32 v8, v62, v8
	v_cvt_i32_f32_e32 v22, v5
	ds_bpermute_b32 v16, v38, v13
	v_add_f32_e32 v12, v61, v12
	ds_bpermute_b32 v28, v38, v25
	v_cvt_i32_f32_e32 v23, v8
	v_cvt_f32_i32_dpp v22, v22 row_shr:4 row_mask:0xf bank_mask:0xf bound_ctrl:1
	ds_bpermute_b32 v9, v38, v6
	v_cvt_i32_f32_e32 v26, v12
	v_cvt_f32_i32_dpp v23, v23 row_shr:4 row_mask:0xf bank_mask:0xf bound_ctrl:1
	v_add_f32_e32 v5, v5, v22
	s_delay_alu instid0(VALU_DEP_3) | instskip(SKIP_1) | instid1(VALU_DEP_4)
	v_cvt_f32_i32_dpp v26, v26 row_shr:4 row_mask:0xf bank_mask:0xf bound_ctrl:1
	v_add_f32_e32 v19, v59, v19
	v_add_f32_e32 v8, v8, v23
	s_delay_alu instid0(VALU_DEP_4) | instskip(NEXT) | instid1(VALU_DEP_4)
	v_cvt_i32_f32_e32 v22, v5
	v_add_f32_e32 v12, v12, v26
	s_delay_alu instid0(VALU_DEP_4) | instskip(NEXT) | instid1(VALU_DEP_4)
	v_cvt_i32_f32_e32 v32, v19
	v_cvt_i32_f32_e32 v23, v8
	s_delay_alu instid0(VALU_DEP_4) | instskip(NEXT) | instid1(VALU_DEP_4)
	v_cvt_f32_i32_dpp v22, v22 row_shr:2 row_mask:0xf bank_mask:0xf bound_ctrl:1
	v_cvt_i32_f32_e32 v26, v12
	s_delay_alu instid0(VALU_DEP_4) | instskip(NEXT) | instid1(VALU_DEP_4)
	v_cvt_f32_i32_dpp v32, v32 row_shr:4 row_mask:0xf bank_mask:0xf bound_ctrl:1
	v_cvt_f32_i32_dpp v23, v23 row_shr:2 row_mask:0xf bank_mask:0xf bound_ctrl:1
	s_delay_alu instid0(VALU_DEP_4) | instskip(NEXT) | instid1(VALU_DEP_4)
	v_add_f32_e32 v5, v5, v22
	v_cvt_f32_i32_dpp v26, v26 row_shr:2 row_mask:0xf bank_mask:0xf bound_ctrl:1
	s_delay_alu instid0(VALU_DEP_3) | instskip(NEXT) | instid1(VALU_DEP_2)
	v_dual_add_f32 v19, v19, v32 :: v_dual_add_f32 v8, v8, v23
	v_add_f32_e32 v12, v12, v26
	s_delay_alu instid0(VALU_DEP_2) | instskip(NEXT) | instid1(VALU_DEP_3)
	v_cvt_i32_f32_e32 v32, v19
	v_cvt_i32_f32_e32 v23, v8
	s_delay_alu instid0(VALU_DEP_3) | instskip(NEXT) | instid1(VALU_DEP_3)
	v_cvt_i32_f32_e32 v26, v12
	v_cvt_f32_i32_dpp v32, v32 row_shr:2 row_mask:0xf bank_mask:0xf bound_ctrl:1
	v_add_f32_e32 v15, v60, v15
	s_delay_alu instid0(VALU_DEP_4) | instskip(NEXT) | instid1(VALU_DEP_4)
	v_cvt_f32_i32_dpp v23, v23 row_shr:1 row_mask:0xf bank_mask:0xf bound_ctrl:1
	v_cvt_f32_i32_dpp v26, v26 row_shr:1 row_mask:0xf bank_mask:0xf bound_ctrl:1
	s_delay_alu instid0(VALU_DEP_4) | instskip(NEXT) | instid1(VALU_DEP_4)
	v_add_f32_e32 v22, v19, v32
	v_cvt_i32_f32_e32 v29, v15
	v_cvt_i32_f32_e32 v19, v5
	v_add_f32_e32 v23, v8, v23
	s_delay_alu instid0(VALU_DEP_4) | instskip(NEXT) | instid1(VALU_DEP_4)
	v_cvt_i32_f32_e32 v32, v22
	v_cvt_f32_i32_dpp v29, v29 row_shr:4 row_mask:0xf bank_mask:0xf bound_ctrl:1
	s_delay_alu instid0(VALU_DEP_4) | instskip(NEXT) | instid1(VALU_DEP_3)
	v_cvt_f32_i32_dpp v19, v19 row_shr:1 row_mask:0xf bank_mask:0xf bound_ctrl:1
	v_cvt_f32_i32_dpp v32, v32 row_shr:1 row_mask:0xf bank_mask:0xf bound_ctrl:1
	s_delay_alu instid0(VALU_DEP_3) | instskip(NEXT) | instid1(VALU_DEP_1)
	v_add_f32_e32 v15, v15, v29
	v_cvt_i32_f32_e32 v29, v15
	s_delay_alu instid0(VALU_DEP_1) | instskip(NEXT) | instid1(VALU_DEP_1)
	v_cvt_f32_i32_dpp v29, v29 row_shr:2 row_mask:0xf bank_mask:0xf bound_ctrl:1
	v_add_f32_e32 v15, v15, v29
	s_delay_alu instid0(VALU_DEP_1) | instskip(NEXT) | instid1(VALU_DEP_1)
	v_cvt_i32_f32_e32 v29, v15
	v_cvt_f32_i32_dpp v44, v29 row_shr:1 row_mask:0xf bank_mask:0xf bound_ctrl:1
	v_add_f32_e32 v29, v5, v19
	v_add_f32_e32 v19, v12, v26
	;; [unrolled: 1-line block ×3, first 2 shown]
	ds_bpermute_b32 v26, v38, v23
	v_add_f32_e32 v12, v15, v44
	ds_bpermute_b32 v32, v38, v29
	ds_bpermute_b32 v22, v38, v19
	;; [unrolled: 1-line block ×4, first 2 shown]
	s_and_saveexec_b32 s5, s0
	s_cbranch_execz .LBB108_60
; %bb.41:                               ;   in Loop: Header=BB108_19 Depth=1
	v_dual_mov_b32 v64, 0 :: v_dual_mov_b32 v63, 0
	v_dual_mov_b32 v44, 0 :: v_dual_mov_b32 v61, 0
	;; [unrolled: 1-line block ×3, first 2 shown]
	s_waitcnt vmcnt(6)
	v_dual_mov_b32 v52, 0 :: v_dual_mov_b32 v53, 0
	s_waitcnt vmcnt(5)
	v_dual_mov_b32 v50, 0 :: v_dual_mov_b32 v51, 0
	;; [unrolled: 2-line block ×5, first 2 shown]
	s_and_not1_b32 vcc_lo, exec_lo, s26
	s_cbranch_vccnz .LBB108_43
; %bb.42:                               ;   in Loop: Header=BB108_19 Depth=1
	v_mul_hi_u32 v38, v37, v56
	v_mul_hi_u32 v44, v43, v56
	;; [unrolled: 1-line block ×4, first 2 shown]
	v_mov_b32_e32 v68, v39
	v_mov_b32_e32 v72, v39
	;; [unrolled: 1-line block ×4, first 2 shown]
	v_mul_lo_u32 v38, v38, s18
	v_mul_lo_u32 v44, v44, s18
	;; [unrolled: 1-line block ×4, first 2 shown]
	s_delay_alu instid0(VALU_DEP_4) | instskip(NEXT) | instid1(VALU_DEP_4)
	v_sub_nc_u32_e32 v38, v37, v38
	v_sub_nc_u32_e32 v44, v43, v44
	s_delay_alu instid0(VALU_DEP_4) | instskip(NEXT) | instid1(VALU_DEP_4)
	v_sub_nc_u32_e32 v47, v41, v47
	v_sub_nc_u32_e32 v45, v42, v45
	s_delay_alu instid0(VALU_DEP_4)
	v_subrev_nc_u32_e32 v49, s18, v38
	v_cmp_le_u32_e32 vcc_lo, s18, v38
	v_subrev_nc_u32_e32 v50, s18, v44
	v_subrev_nc_u32_e32 v52, s18, v47
	;; [unrolled: 1-line block ×3, first 2 shown]
	v_cndmask_b32_e32 v38, v38, v49, vcc_lo
	v_cmp_le_u32_e32 vcc_lo, s18, v44
	v_cndmask_b32_e32 v44, v44, v50, vcc_lo
	v_cmp_le_u32_e32 vcc_lo, s18, v45
	v_dual_mov_b32 v46, v39 :: v_dual_cndmask_b32 v49, v45, v51
	v_cmp_le_u32_e32 vcc_lo, s18, v47
	s_delay_alu instid0(VALU_DEP_2) | instskip(SKIP_4) | instid1(VALU_DEP_4)
	v_subrev_nc_u32_e32 v51, s18, v49
	v_cndmask_b32_e32 v53, v47, v52, vcc_lo
	v_subrev_nc_u32_e32 v45, s18, v38
	v_cmp_le_u32_e32 vcc_lo, s18, v38
	v_subrev_nc_u32_e32 v47, s18, v44
	v_subrev_nc_u32_e32 v59, s18, v53
	s_delay_alu instid0(VALU_DEP_4) | instskip(SKIP_1) | instid1(VALU_DEP_4)
	v_cndmask_b32_e32 v38, v38, v45, vcc_lo
	v_cmp_le_u32_e32 vcc_lo, s18, v44
	v_dual_mov_b32 v48, v39 :: v_dual_cndmask_b32 v45, v44, v47
	v_cmp_le_u32_e32 vcc_lo, s18, v49
	s_delay_alu instid0(VALU_DEP_2) | instskip(SKIP_4) | instid1(VALU_DEP_4)
	v_add_nc_u32_e32 v67, s28, v45
	v_cndmask_b32_e32 v47, v49, v51, vcc_lo
	v_cmp_le_u32_e32 vcc_lo, s18, v53
	v_lshlrev_b64 v[51:52], 1, v[38:39]
	v_dual_mov_b32 v50, v39 :: v_dual_add_nc_u32 v77, s29, v45
	v_lshlrev_b64 v[61:62], 1, v[47:48]
	v_cndmask_b32_e32 v49, v53, v59, vcc_lo
	v_lshlrev_b64 v[59:60], 1, v[45:46]
	v_add_co_u32 v51, vcc_lo, s12, v51
	v_add_co_ci_u32_e32 v52, vcc_lo, s13, v52, vcc_lo
	s_delay_alu instid0(VALU_DEP_4) | instskip(NEXT) | instid1(VALU_DEP_4)
	v_lshlrev_b64 v[63:64], 1, v[49:50]
	v_add_co_u32 v59, vcc_lo, s12, v59
	v_add_co_ci_u32_e32 v60, vcc_lo, s13, v60, vcc_lo
	v_add_co_u32 v61, vcc_lo, s12, v61
	v_add_co_ci_u32_e32 v62, vcc_lo, s13, v62, vcc_lo
	;; [unrolled: 2-line block ×3, first 2 shown]
	v_lshlrev_b64 v[63:64], 1, v[67:68]
	v_add_nc_u32_e32 v67, s28, v47
	v_add_nc_u32_e32 v65, s28, v38
	v_add_nc_u32_e32 v71, s28, v49
	s_delay_alu instid0(VALU_DEP_3) | instskip(NEXT) | instid1(VALU_DEP_3)
	v_lshlrev_b64 v[67:68], 1, v[67:68]
	v_lshlrev_b64 v[65:66], 1, v[65:66]
	s_delay_alu instid0(VALU_DEP_1) | instskip(NEXT) | instid1(VALU_DEP_2)
	v_add_co_u32 v65, vcc_lo, s12, v65
	v_add_co_ci_u32_e32 v66, vcc_lo, s13, v66, vcc_lo
	v_add_co_u32 v73, vcc_lo, s12, v63
	v_add_co_ci_u32_e32 v74, vcc_lo, s13, v64, vcc_lo
	v_lshlrev_b64 v[63:64], 1, v[71:72]
	v_add_nc_u32_e32 v71, s29, v38
	v_add_co_u32 v67, vcc_lo, s12, v67
	v_add_co_ci_u32_e32 v68, vcc_lo, s13, v68, vcc_lo
	s_delay_alu instid0(VALU_DEP_3)
	v_lshlrev_b64 v[71:72], 1, v[71:72]
	v_add_co_u32 v75, vcc_lo, s12, v63
	v_add_co_ci_u32_e32 v76, vcc_lo, s13, v64, vcc_lo
	s_clause 0x7
	global_load_u16 v64, v[51:52], off
	global_load_u16 v44, v[59:60], off
	;; [unrolled: 1-line block ×8, first 2 shown]
	v_dual_mov_b32 v68, v39 :: v_dual_add_nc_u32 v67, s29, v47
	v_add_co_u32 v69, vcc_lo, s12, v71
	v_lshlrev_b64 v[65:66], 1, v[77:78]
	v_add_co_ci_u32_e32 v70, vcc_lo, s13, v72, vcc_lo
	v_dual_mov_b32 v72, v39 :: v_dual_add_nc_u32 v71, s29, v49
	v_lshlrev_b64 v[67:68], 1, v[67:68]
	v_add_nc_u32_e32 v38, s30, v38
	v_add_co_u32 v65, vcc_lo, s12, v65
	s_delay_alu instid0(VALU_DEP_4)
	v_lshlrev_b64 v[71:72], 1, v[71:72]
	v_add_co_ci_u32_e32 v66, vcc_lo, s13, v66, vcc_lo
	v_add_co_u32 v67, vcc_lo, s12, v67
	v_lshlrev_b64 v[73:74], 1, v[38:39]
	v_add_nc_u32_e32 v38, s30, v45
	v_add_co_ci_u32_e32 v68, vcc_lo, s13, v68, vcc_lo
	v_add_co_u32 v45, vcc_lo, s12, v71
	v_add_co_ci_u32_e32 v46, vcc_lo, s13, v72, vcc_lo
	s_delay_alu instid0(VALU_DEP_4) | instskip(SKIP_3) | instid1(VALU_DEP_3)
	v_lshlrev_b64 v[71:72], 1, v[38:39]
	v_add_nc_u32_e32 v38, s30, v47
	v_add_co_u32 v47, vcc_lo, s12, v73
	v_add_co_ci_u32_e32 v48, vcc_lo, s13, v74, vcc_lo
	v_lshlrev_b64 v[73:74], 1, v[38:39]
	v_add_nc_u32_e32 v38, s30, v49
	v_add_co_u32 v71, vcc_lo, s12, v71
	v_add_co_ci_u32_e32 v72, vcc_lo, s13, v72, vcc_lo
	s_delay_alu instid0(VALU_DEP_3) | instskip(SKIP_2) | instid1(VALU_DEP_3)
	v_lshlrev_b64 v[75:76], 1, v[38:39]
	v_add_co_u32 v73, vcc_lo, s12, v73
	v_add_co_ci_u32_e32 v74, vcc_lo, s13, v74, vcc_lo
	v_add_co_u32 v75, vcc_lo, s12, v75
	s_delay_alu instid0(VALU_DEP_4)
	v_add_co_ci_u32_e32 v76, vcc_lo, s13, v76, vcc_lo
	s_clause 0x7
	global_load_u16 v60, v[69:70], off
	global_load_u16 v53, v[65:66], off
	;; [unrolled: 1-line block ×8, first 2 shown]
.LBB108_43:                             ;   in Loop: Header=BB108_19 Depth=1
	v_cmp_ne_u32_e32 vcc_lo, 0, v1
	s_and_saveexec_b32 s2, vcc_lo
	s_cbranch_execnz .LBB108_65
; %bb.44:                               ;   in Loop: Header=BB108_19 Depth=1
	s_or_b32 exec_lo, exec_lo, s2
	v_cmp_ne_u32_e64 s1, 0, v2
	s_delay_alu instid0(VALU_DEP_1)
	s_and_saveexec_b32 s3, s1
	s_cbranch_execnz .LBB108_66
.LBB108_45:                             ;   in Loop: Header=BB108_19 Depth=1
	s_or_b32 exec_lo, exec_lo, s3
	v_cmp_ne_u32_e64 s2, 0, v3
	s_delay_alu instid0(VALU_DEP_1)
	s_and_saveexec_b32 s4, s2
	s_cbranch_execnz .LBB108_67
.LBB108_46:                             ;   in Loop: Header=BB108_19 Depth=1
	s_or_b32 exec_lo, exec_lo, s4
	v_cmp_ne_u32_e64 s3, 0, v4
	s_delay_alu instid0(VALU_DEP_1)
	s_and_saveexec_b32 s31, s3
	s_cbranch_execnz .LBB108_68
.LBB108_47:                             ;   in Loop: Header=BB108_19 Depth=1
	s_or_b32 exec_lo, exec_lo, s31
	v_add_nc_u32_e32 v38, s11, v37
	s_and_saveexec_b32 s31, vcc_lo
	s_cbranch_execnz .LBB108_69
.LBB108_48:                             ;   in Loop: Header=BB108_19 Depth=1
	s_or_b32 exec_lo, exec_lo, s31
	s_and_saveexec_b32 s31, s1
	s_cbranch_execnz .LBB108_70
.LBB108_49:                             ;   in Loop: Header=BB108_19 Depth=1
	s_or_b32 exec_lo, exec_lo, s31
	s_and_saveexec_b32 s31, s2
	s_cbranch_execnz .LBB108_71
.LBB108_50:                             ;   in Loop: Header=BB108_19 Depth=1
	s_or_b32 exec_lo, exec_lo, s31
	s_and_saveexec_b32 s31, s3
	s_cbranch_execnz .LBB108_72
.LBB108_51:                             ;   in Loop: Header=BB108_19 Depth=1
	s_or_b32 exec_lo, exec_lo, s31
	v_add_nc_u32_e32 v38, s11, v38
	s_and_saveexec_b32 s31, vcc_lo
	s_cbranch_execnz .LBB108_73
.LBB108_52:                             ;   in Loop: Header=BB108_19 Depth=1
	s_or_b32 exec_lo, exec_lo, s31
	s_and_saveexec_b32 s31, s1
	s_cbranch_execnz .LBB108_74
.LBB108_53:                             ;   in Loop: Header=BB108_19 Depth=1
	s_or_b32 exec_lo, exec_lo, s31
	s_and_saveexec_b32 s31, s2
	s_cbranch_execnz .LBB108_75
.LBB108_54:                             ;   in Loop: Header=BB108_19 Depth=1
	s_or_b32 exec_lo, exec_lo, s31
	s_and_saveexec_b32 s31, s3
	s_cbranch_execnz .LBB108_76
.LBB108_55:                             ;   in Loop: Header=BB108_19 Depth=1
	s_or_b32 exec_lo, exec_lo, s31
	v_add_nc_u32_e32 v38, s11, v38
	s_and_saveexec_b32 s4, vcc_lo
	s_cbranch_execnz .LBB108_77
.LBB108_56:                             ;   in Loop: Header=BB108_19 Depth=1
	s_or_b32 exec_lo, exec_lo, s4
	s_and_saveexec_b32 s4, s1
	s_cbranch_execnz .LBB108_78
.LBB108_57:                             ;   in Loop: Header=BB108_19 Depth=1
	s_or_b32 exec_lo, exec_lo, s4
	s_and_saveexec_b32 s1, s2
	s_cbranch_execnz .LBB108_79
.LBB108_58:                             ;   in Loop: Header=BB108_19 Depth=1
	s_or_b32 exec_lo, exec_lo, s1
	s_delay_alu instid0(SALU_CYCLE_1)
	s_and_b32 exec_lo, exec_lo, s3
	s_cbranch_execz .LBB108_60
.LBB108_59:                             ;   in Loop: Header=BB108_19 Depth=1
	s_waitcnt lgkmcnt(1)
	v_dual_add_f32 v5, v5, v8 :: v_dual_add_nc_u32 v38, 3, v38
	s_waitcnt vmcnt(0)
	v_cvt_f32_f16_e32 v6, v45
	s_delay_alu instid0(VALU_DEP_1) | instskip(NEXT) | instid1(VALU_DEP_3)
	v_add_f32_e32 v7, v5, v6
	v_lshlrev_b64 v[5:6], 1, v[38:39]
	s_delay_alu instid0(VALU_DEP_2) | instskip(NEXT) | instid1(VALU_DEP_2)
	v_cvt_f16_f32_e32 v7, v7
	v_add_co_u32 v5, vcc_lo, s14, v5
	s_delay_alu instid0(VALU_DEP_3)
	v_add_co_ci_u32_e32 v6, vcc_lo, s15, v6, vcc_lo
	global_store_b16 v[5:6], v7, off
.LBB108_60:                             ;   in Loop: Header=BB108_19 Depth=1
	s_or_b32 exec_lo, exec_lo, s5
	v_add_nc_u32_e32 v37, s20, v37
	s_delay_alu instid0(VALU_DEP_1) | instskip(SKIP_1) | instid1(VALU_DEP_2)
	v_add_nc_u32_e32 v5, 4, v37
	v_cmp_gt_u32_e32 vcc_lo, s11, v37
	v_cmp_le_u32_e64 s1, s11, v5
	s_delay_alu instid0(VALU_DEP_1) | instskip(NEXT) | instid1(SALU_CYCLE_1)
	s_and_b32 s1, vcc_lo, s1
	s_and_saveexec_b32 s31, s1
	s_cbranch_execz .LBB108_18
; %bb.61:                               ;   in Loop: Header=BB108_19 Depth=1
	s_mov_b32 s33, exec_lo
	v_cmpx_ne_u32_e64 s21, v37
	s_cbranch_execz .LBB108_17
; %bb.62:                               ;   in Loop: Header=BB108_19 Depth=1
	v_subrev_nc_u32_e32 v5, s21, v37
	s_mov_b32 s34, 0
	s_mov_b64 s[4:5], 0
	s_delay_alu instid0(VALU_DEP_1)
	v_cmp_lt_u32_e32 vcc_lo, 1, v5
	v_cndmask_b32_e32 v5, 1, v5, vcc_lo
	.p2align	6
.LBB108_63:                             ;   Parent Loop BB108_19 Depth=1
                                        ; =>  This Inner Loop Header: Depth=2
	s_cmp_lg_u32 s4, 3
	s_cselect_b32 vcc_lo, -1, 0
	s_cmp_lg_u32 s4, 2
	v_cndmask_b32_e32 v4, 0, v4, vcc_lo
	s_cselect_b32 s1, -1, 0
	s_cmp_lg_u32 s4, 1
	v_cndmask_b32_e64 v3, 0, v3, s1
	s_cselect_b32 s2, -1, 0
	s_cmp_lg_u32 s4, 0
	v_cndmask_b32_e64 v2, 0, v2, s2
	s_cselect_b32 s3, -1, 0
	s_add_u32 s4, s4, 1
	v_cndmask_b32_e64 v1, 0, v1, s3
	v_cmp_eq_u32_e32 vcc_lo, s4, v5
	s_addc_u32 s5, s5, 0
	s_or_b32 s34, vcc_lo, s34
	s_delay_alu instid0(SALU_CYCLE_1)
	s_and_not1_b32 exec_lo, exec_lo, s34
	s_cbranch_execnz .LBB108_63
; %bb.64:                               ;   in Loop: Header=BB108_19 Depth=1
	s_or_b32 exec_lo, exec_lo, s34
	s_branch .LBB108_17
.LBB108_65:                             ;   in Loop: Header=BB108_19 Depth=1
	s_waitcnt lgkmcnt(15)
	v_add_f32_e32 v35, v35, v36
	s_waitcnt vmcnt(15)
	v_cvt_f32_f16_e32 v36, v64
	v_mov_b32_e32 v38, v39
	s_delay_alu instid0(VALU_DEP_2) | instskip(NEXT) | instid1(VALU_DEP_2)
	v_add_f32_e32 v64, v35, v36
	v_lshlrev_b64 v[35:36], 1, v[37:38]
	s_delay_alu instid0(VALU_DEP_2) | instskip(NEXT) | instid1(VALU_DEP_2)
	v_cvt_f16_f32_e32 v38, v64
	v_add_co_u32 v35, s1, s14, v35
	s_delay_alu instid0(VALU_DEP_1) | instskip(SKIP_3) | instid1(VALU_DEP_1)
	v_add_co_ci_u32_e64 v36, s1, s15, v36, s1
	global_store_b16 v[35:36], v38, off
	s_or_b32 exec_lo, exec_lo, s2
	v_cmp_ne_u32_e64 s1, 0, v2
	s_and_saveexec_b32 s3, s1
	s_cbranch_execz .LBB108_45
.LBB108_66:                             ;   in Loop: Header=BB108_19 Depth=1
	s_waitcnt lgkmcnt(12)
	v_add_f32_e32 v30, v30, v33
	s_waitcnt vmcnt(14)
	v_cvt_f32_f16_e32 v33, v44
	v_mov_b32_e32 v44, v39
	s_delay_alu instid0(VALU_DEP_2) | instskip(NEXT) | instid1(VALU_DEP_2)
	v_add_f32_e32 v30, v30, v33
	v_lshlrev_b64 v[35:36], 1, v[43:44]
	s_delay_alu instid0(VALU_DEP_2) | instskip(NEXT) | instid1(VALU_DEP_2)
	v_cvt_f16_f32_e32 v30, v30
	v_add_co_u32 v35, s2, s14, v35
	s_delay_alu instid0(VALU_DEP_1) | instskip(SKIP_3) | instid1(VALU_DEP_1)
	v_add_co_ci_u32_e64 v36, s2, s15, v36, s2
	global_store_b16 v[35:36], v30, off
	s_or_b32 exec_lo, exec_lo, s3
	v_cmp_ne_u32_e64 s2, 0, v3
	s_and_saveexec_b32 s4, s2
	s_cbranch_execz .LBB108_46
.LBB108_67:                             ;   in Loop: Header=BB108_19 Depth=1
	s_waitcnt lgkmcnt(14)
	v_dual_add_f32 v24, v24, v27 :: v_dual_mov_b32 v43, v39
	s_waitcnt vmcnt(13)
	v_cvt_f32_f16_e32 v27, v63
	s_delay_alu instid0(VALU_DEP_2) | instskip(NEXT) | instid1(VALU_DEP_2)
	v_lshlrev_b64 v[35:36], 1, v[42:43]
	v_add_f32_e32 v24, v24, v27
	s_delay_alu instid0(VALU_DEP_1) | instskip(NEXT) | instid1(VALU_DEP_3)
	v_cvt_f16_f32_e32 v24, v24
	v_add_co_u32 v35, s3, s14, v35
	s_delay_alu instid0(VALU_DEP_1) | instskip(SKIP_3) | instid1(VALU_DEP_1)
	v_add_co_ci_u32_e64 v36, s3, s15, v36, s3
	global_store_b16 v[35:36], v24, off
	s_or_b32 exec_lo, exec_lo, s4
	v_cmp_ne_u32_e64 s3, 0, v4
	s_and_saveexec_b32 s31, s3
	s_cbranch_execz .LBB108_47
.LBB108_68:                             ;   in Loop: Header=BB108_19 Depth=1
	v_mov_b32_e32 v42, v39
	s_waitcnt lgkmcnt(13)
	v_add_f32_e32 v18, v18, v21
	s_waitcnt vmcnt(12)
	v_cvt_f32_f16_e32 v21, v62
	v_lshlrev_b64 v[35:36], 1, v[41:42]
	s_delay_alu instid0(VALU_DEP_2) | instskip(NEXT) | instid1(VALU_DEP_2)
	v_add_f32_e32 v18, v18, v21
	v_add_co_u32 v35, s4, s14, v35
	s_delay_alu instid0(VALU_DEP_2) | instskip(NEXT) | instid1(VALU_DEP_4)
	v_cvt_f16_f32_e32 v18, v18
	v_add_co_ci_u32_e64 v36, s4, s15, v36, s4
	global_store_b16 v[35:36], v18, off
	s_or_b32 exec_lo, exec_lo, s31
	v_add_nc_u32_e32 v38, s11, v37
	s_and_saveexec_b32 s31, vcc_lo
	s_cbranch_execz .LBB108_48
.LBB108_69:                             ;   in Loop: Header=BB108_19 Depth=1
	s_waitcnt lgkmcnt(11)
	v_add_f32_e32 v11, v11, v14
	s_waitcnt vmcnt(11)
	v_cvt_f32_f16_e32 v14, v61
	v_lshlrev_b64 v[35:36], 1, v[38:39]
	s_delay_alu instid0(VALU_DEP_2) | instskip(NEXT) | instid1(VALU_DEP_2)
	v_add_f32_e32 v11, v11, v14
	v_add_co_u32 v35, s4, s14, v35
	s_delay_alu instid0(VALU_DEP_1) | instskip(NEXT) | instid1(VALU_DEP_3)
	v_add_co_ci_u32_e64 v36, s4, s15, v36, s4
	v_cvt_f16_f32_e32 v11, v11
	global_store_b16 v[35:36], v11, off
	s_or_b32 exec_lo, exec_lo, s31
	s_and_saveexec_b32 s31, s1
	s_cbranch_execz .LBB108_49
.LBB108_70:                             ;   in Loop: Header=BB108_19 Depth=1
	s_waitcnt lgkmcnt(10)
	v_add_f32_e32 v7, v7, v10
	v_dual_mov_b32 v11, v39 :: v_dual_add_nc_u32 v10, 1, v38
	s_waitcnt vmcnt(10)
	v_cvt_f32_f16_e32 v14, v59
	s_delay_alu instid0(VALU_DEP_2) | instskip(NEXT) | instid1(VALU_DEP_2)
	v_lshlrev_b64 v[10:11], 1, v[10:11]
	v_add_f32_e32 v7, v7, v14
	s_delay_alu instid0(VALU_DEP_1) | instskip(NEXT) | instid1(VALU_DEP_3)
	v_cvt_f16_f32_e32 v7, v7
	v_add_co_u32 v10, s4, s14, v10
	s_delay_alu instid0(VALU_DEP_1)
	v_add_co_ci_u32_e64 v11, s4, s15, v11, s4
	global_store_b16 v[10:11], v7, off
	s_or_b32 exec_lo, exec_lo, s31
	s_and_saveexec_b32 s31, s2
	s_cbranch_execz .LBB108_50
.LBB108_71:                             ;   in Loop: Header=BB108_19 Depth=1
	s_waitcnt lgkmcnt(10)
	v_dual_mov_b32 v11, v39 :: v_dual_add_nc_u32 v10, 2, v38
	s_waitcnt lgkmcnt(9)
	v_add_f32_e32 v7, v31, v34
	s_waitcnt vmcnt(9)
	v_cvt_f32_f16_e32 v14, v52
	v_lshlrev_b64 v[10:11], 1, v[10:11]
	s_delay_alu instid0(VALU_DEP_2) | instskip(NEXT) | instid1(VALU_DEP_2)
	v_add_f32_e32 v7, v7, v14
	v_add_co_u32 v10, s4, s14, v10
	s_delay_alu instid0(VALU_DEP_2) | instskip(NEXT) | instid1(VALU_DEP_4)
	v_cvt_f16_f32_e32 v7, v7
	v_add_co_ci_u32_e64 v11, s4, s15, v11, s4
	global_store_b16 v[10:11], v7, off
	s_or_b32 exec_lo, exec_lo, s31
	s_and_saveexec_b32 s31, s3
	s_cbranch_execz .LBB108_51
.LBB108_72:                             ;   in Loop: Header=BB108_19 Depth=1
	s_waitcnt lgkmcnt(6)
	v_dual_add_f32 v7, v25, v28 :: v_dual_add_nc_u32 v10, 3, v38
	v_mov_b32_e32 v11, v39
	s_waitcnt vmcnt(8)
	v_cvt_f32_f16_e32 v14, v50
	s_delay_alu instid0(VALU_DEP_2) | instskip(NEXT) | instid1(VALU_DEP_2)
	v_lshlrev_b64 v[10:11], 1, v[10:11]
	v_add_f32_e32 v7, v7, v14
	s_delay_alu instid0(VALU_DEP_1) | instskip(NEXT) | instid1(VALU_DEP_3)
	v_cvt_f16_f32_e32 v7, v7
	v_add_co_u32 v10, s4, s14, v10
	s_delay_alu instid0(VALU_DEP_1)
	v_add_co_ci_u32_e64 v11, s4, s15, v11, s4
	global_store_b16 v[10:11], v7, off
	s_or_b32 exec_lo, exec_lo, s31
	v_add_nc_u32_e32 v38, s11, v38
	s_and_saveexec_b32 s31, vcc_lo
	s_cbranch_execz .LBB108_52
.LBB108_73:                             ;   in Loop: Header=BB108_19 Depth=1
	s_waitcnt lgkmcnt(8)
	v_add_f32_e32 v7, v17, v20
	s_waitcnt vmcnt(7)
	v_cvt_f32_f16_e32 v10, v60
	s_delay_alu instid0(VALU_DEP_1) | instskip(SKIP_1) | instid1(VALU_DEP_2)
	v_add_f32_e32 v7, v7, v10
	v_lshlrev_b64 v[10:11], 1, v[38:39]
	v_cvt_f16_f32_e32 v7, v7
	s_delay_alu instid0(VALU_DEP_2) | instskip(NEXT) | instid1(VALU_DEP_1)
	v_add_co_u32 v10, s4, s14, v10
	v_add_co_ci_u32_e64 v11, s4, s15, v11, s4
	global_store_b16 v[10:11], v7, off
	s_or_b32 exec_lo, exec_lo, s31
	s_and_saveexec_b32 s31, s1
	s_cbranch_execz .LBB108_53
.LBB108_74:                             ;   in Loop: Header=BB108_19 Depth=1
	s_waitcnt lgkmcnt(7)
	v_dual_add_f32 v7, v13, v16 :: v_dual_add_nc_u32 v10, 1, v38
	v_mov_b32_e32 v11, v39
	s_waitcnt vmcnt(6)
	v_cvt_f32_f16_e32 v13, v53
	s_delay_alu instid0(VALU_DEP_2) | instskip(NEXT) | instid1(VALU_DEP_2)
	v_lshlrev_b64 v[10:11], 1, v[10:11]
	v_add_f32_e32 v7, v7, v13
	s_delay_alu instid0(VALU_DEP_1) | instskip(NEXT) | instid1(VALU_DEP_3)
	v_cvt_f16_f32_e32 v7, v7
	v_add_co_u32 v10, s4, s14, v10
	s_delay_alu instid0(VALU_DEP_1)
	v_add_co_ci_u32_e64 v11, s4, s15, v11, s4
	global_store_b16 v[10:11], v7, off
	s_or_b32 exec_lo, exec_lo, s31
	s_and_saveexec_b32 s31, s2
	s_cbranch_execz .LBB108_54
.LBB108_75:                             ;   in Loop: Header=BB108_19 Depth=1
	s_waitcnt lgkmcnt(5)
	v_dual_add_f32 v9, v6, v9 :: v_dual_add_nc_u32 v6, 2, v38
	v_mov_b32_e32 v7, v39
	s_waitcnt vmcnt(5)
	v_cvt_f32_f16_e32 v10, v51
	s_delay_alu instid0(VALU_DEP_2) | instskip(NEXT) | instid1(VALU_DEP_2)
	v_lshlrev_b64 v[6:7], 1, v[6:7]
	v_add_f32_e32 v9, v9, v10
	s_delay_alu instid0(VALU_DEP_1) | instskip(NEXT) | instid1(VALU_DEP_3)
	v_cvt_f16_f32_e32 v9, v9
	v_add_co_u32 v6, s4, s14, v6
	s_delay_alu instid0(VALU_DEP_1)
	v_add_co_ci_u32_e64 v7, s4, s15, v7, s4
	global_store_b16 v[6:7], v9, off
	s_or_b32 exec_lo, exec_lo, s31
	s_and_saveexec_b32 s31, s3
	s_cbranch_execz .LBB108_55
.LBB108_76:                             ;   in Loop: Header=BB108_19 Depth=1
	s_waitcnt lgkmcnt(3)
	v_dual_add_f32 v9, v29, v32 :: v_dual_add_nc_u32 v6, 3, v38
	v_mov_b32_e32 v7, v39
	s_waitcnt vmcnt(4)
	v_cvt_f32_f16_e32 v10, v49
	s_delay_alu instid0(VALU_DEP_2) | instskip(NEXT) | instid1(VALU_DEP_2)
	v_lshlrev_b64 v[6:7], 1, v[6:7]
	v_add_f32_e32 v9, v9, v10
	s_delay_alu instid0(VALU_DEP_1) | instskip(NEXT) | instid1(VALU_DEP_3)
	v_cvt_f16_f32_e32 v9, v9
	v_add_co_u32 v6, s4, s14, v6
	s_delay_alu instid0(VALU_DEP_1)
	v_add_co_ci_u32_e64 v7, s4, s15, v7, s4
	global_store_b16 v[6:7], v9, off
	s_or_b32 exec_lo, exec_lo, s31
	v_add_nc_u32_e32 v38, s11, v38
	s_and_saveexec_b32 s4, vcc_lo
	s_cbranch_execz .LBB108_56
.LBB108_77:                             ;   in Loop: Header=BB108_19 Depth=1
	s_waitcnt lgkmcnt(4)
	v_add_f32_e32 v6, v23, v26
	s_waitcnt vmcnt(3)
	v_cvt_f32_f16_e32 v7, v48
	s_delay_alu instid0(VALU_DEP_1) | instskip(SKIP_1) | instid1(VALU_DEP_2)
	v_add_f32_e32 v9, v6, v7
	v_lshlrev_b64 v[6:7], 1, v[38:39]
	v_cvt_f16_f32_e32 v9, v9
	s_delay_alu instid0(VALU_DEP_2) | instskip(NEXT) | instid1(VALU_DEP_3)
	v_add_co_u32 v6, vcc_lo, s14, v6
	v_add_co_ci_u32_e32 v7, vcc_lo, s15, v7, vcc_lo
	global_store_b16 v[6:7], v9, off
	s_or_b32 exec_lo, exec_lo, s4
	s_and_saveexec_b32 s4, s1
	s_cbranch_execz .LBB108_57
.LBB108_78:                             ;   in Loop: Header=BB108_19 Depth=1
	v_dual_mov_b32 v7, v39 :: v_dual_add_nc_u32 v6, 1, v38
	s_waitcnt lgkmcnt(2)
	v_add_f32_e32 v9, v19, v22
	s_waitcnt vmcnt(2)
	v_cvt_f32_f16_e32 v10, v47
	v_lshlrev_b64 v[6:7], 1, v[6:7]
	s_delay_alu instid0(VALU_DEP_2) | instskip(NEXT) | instid1(VALU_DEP_2)
	v_add_f32_e32 v9, v9, v10
	v_add_co_u32 v6, vcc_lo, s14, v6
	s_delay_alu instid0(VALU_DEP_2) | instskip(NEXT) | instid1(VALU_DEP_4)
	v_cvt_f16_f32_e32 v9, v9
	v_add_co_ci_u32_e32 v7, vcc_lo, s15, v7, vcc_lo
	global_store_b16 v[6:7], v9, off
	s_or_b32 exec_lo, exec_lo, s4
	s_and_saveexec_b32 s1, s2
	s_cbranch_execz .LBB108_58
.LBB108_79:                             ;   in Loop: Header=BB108_19 Depth=1
	s_waitcnt lgkmcnt(0)
	v_dual_add_f32 v9, v12, v15 :: v_dual_add_nc_u32 v6, 2, v38
	v_mov_b32_e32 v7, v39
	s_waitcnt vmcnt(1)
	v_cvt_f32_f16_e32 v10, v46
	s_delay_alu instid0(VALU_DEP_2) | instskip(NEXT) | instid1(VALU_DEP_2)
	v_lshlrev_b64 v[6:7], 1, v[6:7]
	v_add_f32_e32 v9, v9, v10
	s_delay_alu instid0(VALU_DEP_1) | instskip(NEXT) | instid1(VALU_DEP_3)
	v_cvt_f16_f32_e32 v9, v9
	v_add_co_u32 v6, vcc_lo, s14, v6
	s_delay_alu instid0(VALU_DEP_4) | instskip(SKIP_2) | instid1(SALU_CYCLE_1)
	v_add_co_ci_u32_e32 v7, vcc_lo, s15, v7, vcc_lo
	global_store_b16 v[6:7], v9, off
	s_or_b32 exec_lo, exec_lo, s1
	s_and_b32 exec_lo, exec_lo, s3
	s_cbranch_execnz .LBB108_59
	s_branch .LBB108_60
.LBB108_80:
	s_nop 0
	s_sendmsg sendmsg(MSG_DEALLOC_VGPRS)
	s_endpgm
	.section	.rodata,"a",@progbits
	.p2align	6, 0x0
	.amdhsa_kernel _Z12wvSplitK_hf_I6__halfLi32ELi4ELi16ELi8ELi1ELi4EEviiiiiiPKT_S3_S3_PS1_ii
		.amdhsa_group_segment_fixed_size 65536
		.amdhsa_private_segment_fixed_size 0
		.amdhsa_kernarg_size 64
		.amdhsa_user_sgpr_count 15
		.amdhsa_user_sgpr_dispatch_ptr 0
		.amdhsa_user_sgpr_queue_ptr 0
		.amdhsa_user_sgpr_kernarg_segment_ptr 1
		.amdhsa_user_sgpr_dispatch_id 0
		.amdhsa_user_sgpr_private_segment_size 0
		.amdhsa_wavefront_size32 1
		.amdhsa_uses_dynamic_stack 0
		.amdhsa_enable_private_segment 0
		.amdhsa_system_sgpr_workgroup_id_x 1
		.amdhsa_system_sgpr_workgroup_id_y 0
		.amdhsa_system_sgpr_workgroup_id_z 0
		.amdhsa_system_sgpr_workgroup_info 0
		.amdhsa_system_vgpr_workitem_id 1
		.amdhsa_next_free_vgpr 79
		.amdhsa_next_free_sgpr 35
		.amdhsa_reserve_vcc 1
		.amdhsa_float_round_mode_32 0
		.amdhsa_float_round_mode_16_64 0
		.amdhsa_float_denorm_mode_32 3
		.amdhsa_float_denorm_mode_16_64 3
		.amdhsa_dx10_clamp 1
		.amdhsa_ieee_mode 1
		.amdhsa_fp16_overflow 0
		.amdhsa_workgroup_processor_mode 1
		.amdhsa_memory_ordered 1
		.amdhsa_forward_progress 0
		.amdhsa_shared_vgpr_count 0
		.amdhsa_exception_fp_ieee_invalid_op 0
		.amdhsa_exception_fp_denorm_src 0
		.amdhsa_exception_fp_ieee_div_zero 0
		.amdhsa_exception_fp_ieee_overflow 0
		.amdhsa_exception_fp_ieee_underflow 0
		.amdhsa_exception_fp_ieee_inexact 0
		.amdhsa_exception_int_div_zero 0
	.end_amdhsa_kernel
	.section	.text._Z12wvSplitK_hf_I6__halfLi32ELi4ELi16ELi8ELi1ELi4EEviiiiiiPKT_S3_S3_PS1_ii,"axG",@progbits,_Z12wvSplitK_hf_I6__halfLi32ELi4ELi16ELi8ELi1ELi4EEviiiiiiPKT_S3_S3_PS1_ii,comdat
.Lfunc_end108:
	.size	_Z12wvSplitK_hf_I6__halfLi32ELi4ELi16ELi8ELi1ELi4EEviiiiiiPKT_S3_S3_PS1_ii, .Lfunc_end108-_Z12wvSplitK_hf_I6__halfLi32ELi4ELi16ELi8ELi1ELi4EEviiiiiiPKT_S3_S3_PS1_ii
                                        ; -- End function
	.section	.AMDGPU.csdata,"",@progbits
; Kernel info:
; codeLenInByte = 7416
; NumSgprs: 37
; NumVgprs: 79
; ScratchSize: 0
; MemoryBound: 0
; FloatMode: 240
; IeeeMode: 1
; LDSByteSize: 65536 bytes/workgroup (compile time only)
; SGPRBlocks: 4
; VGPRBlocks: 9
; NumSGPRsForWavesPerEU: 37
; NumVGPRsForWavesPerEU: 79
; Occupancy: 8
; WaveLimiterHint : 0
; COMPUTE_PGM_RSRC2:SCRATCH_EN: 0
; COMPUTE_PGM_RSRC2:USER_SGPR: 15
; COMPUTE_PGM_RSRC2:TRAP_HANDLER: 0
; COMPUTE_PGM_RSRC2:TGID_X_EN: 1
; COMPUTE_PGM_RSRC2:TGID_Y_EN: 0
; COMPUTE_PGM_RSRC2:TGID_Z_EN: 0
; COMPUTE_PGM_RSRC2:TIDIG_COMP_CNT: 1
	.section	.text._Z16wvSplitK_hf_big_I6__halfLi32ELi4ELi16ELi8ELi1ELi4EEviiiiiiPKT_S3_S3_PS1_ii,"axG",@progbits,_Z16wvSplitK_hf_big_I6__halfLi32ELi4ELi16ELi8ELi1ELi4EEviiiiiiPKT_S3_S3_PS1_ii,comdat
	.protected	_Z16wvSplitK_hf_big_I6__halfLi32ELi4ELi16ELi8ELi1ELi4EEviiiiiiPKT_S3_S3_PS1_ii ; -- Begin function _Z16wvSplitK_hf_big_I6__halfLi32ELi4ELi16ELi8ELi1ELi4EEviiiiiiPKT_S3_S3_PS1_ii
	.globl	_Z16wvSplitK_hf_big_I6__halfLi32ELi4ELi16ELi8ELi1ELi4EEviiiiiiPKT_S3_S3_PS1_ii
	.p2align	8
	.type	_Z16wvSplitK_hf_big_I6__halfLi32ELi4ELi16ELi8ELi1ELi4EEviiiiiiPKT_S3_S3_PS1_ii,@function
_Z16wvSplitK_hf_big_I6__halfLi32ELi4ELi16ELi8ELi1ELi4EEviiiiiiPKT_S3_S3_PS1_ii: ; @_Z16wvSplitK_hf_big_I6__halfLi32ELi4ELi16ELi8ELi1ELi4EEviiiiiiPKT_S3_S3_PS1_ii
; %bb.0:
	s_load_b64 s[20:21], s[0:1], 0x38
	v_bfe_u32 v5, v0, 10, 10
	s_mov_b32 s2, exec_lo
	s_waitcnt lgkmcnt(0)
	s_delay_alu instid0(VALU_DEP_1)
	v_cmpx_gt_u32_e64 s20, v5
	s_cbranch_execz .LBB109_70
; %bb.1:
	s_load_b128 s[16:19], s[0:1], 0x0
	s_mul_i32 s15, s15, s20
	s_mov_b32 s4, 1
	v_add_lshl_u32 v37, s15, v5, 2
	s_mov_b32 s5, s4
	s_mov_b32 s6, s4
	;; [unrolled: 1-line block ×3, first 2 shown]
	s_delay_alu instid0(VALU_DEP_1) | instskip(SKIP_2) | instid1(VALU_DEP_2)
	v_add_nc_u32_e32 v1, 4, v37
	s_waitcnt lgkmcnt(0)
	v_cmp_gt_u32_e32 vcc_lo, s19, v37
	v_cmp_le_u32_e64 s2, s19, v1
	v_dual_mov_b32 v1, s4 :: v_dual_mov_b32 v4, s7
	v_dual_mov_b32 v2, s5 :: v_dual_mov_b32 v3, s6
	s_delay_alu instid0(VALU_DEP_3) | instskip(NEXT) | instid1(SALU_CYCLE_1)
	s_and_b32 s2, vcc_lo, s2
	s_and_saveexec_b32 s8, s2
	s_cbranch_execz .LBB109_7
; %bb.2:
	v_dual_mov_b32 v1, s4 :: v_dual_mov_b32 v2, s5
	v_dual_mov_b32 v3, s6 :: v_dual_mov_b32 v4, s7
	s_add_i32 s9, s19, -4
	s_mov_b32 s10, exec_lo
	v_cmpx_ne_u32_e64 s9, v37
	s_cbranch_execz .LBB109_6
; %bb.3:
	v_subrev_nc_u32_e32 v1, s9, v37
	s_mov_b32 s11, 0
	s_mov_b64 s[2:3], 0
	s_mov_b32 s5, s4
	s_mov_b32 s6, s4
	v_cmp_lt_u32_e32 vcc_lo, 1, v1
	s_mov_b32 s7, s4
	v_cndmask_b32_e32 v6, 1, v1, vcc_lo
	.p2align	6
.LBB109_4:                              ; =>This Inner Loop Header: Depth=1
	s_cmp_lg_u32 s2, 3
	s_cselect_b32 s7, s7, 0
	s_cmp_lg_u32 s2, 2
	s_cselect_b32 s6, s6, 0
	;; [unrolled: 2-line block ×4, first 2 shown]
	s_add_u32 s2, s2, 1
	v_dual_mov_b32 v1, s4 :: v_dual_mov_b32 v2, s5
	v_cmp_eq_u32_e32 vcc_lo, s2, v6
	v_dual_mov_b32 v3, s6 :: v_dual_mov_b32 v4, s7
	s_addc_u32 s3, s3, 0
	s_or_b32 s11, vcc_lo, s11
	s_delay_alu instid0(SALU_CYCLE_1)
	s_and_not1_b32 exec_lo, exec_lo, s11
	s_cbranch_execnz .LBB109_4
; %bb.5:
	s_or_b32 exec_lo, exec_lo, s11
	v_mov_b32_e32 v37, s9
.LBB109_6:
	s_or_b32 exec_lo, exec_lo, s10
.LBB109_7:
	s_delay_alu instid0(SALU_CYCLE_1)
	s_or_b32 exec_lo, exec_lo, s8
	s_lshl_b32 s2, s20, 2
	s_abs_i32 s6, s19
	s_abs_i32 s3, s2
	s_mov_b32 s23, 0
	v_cvt_f32_u32_e32 v6, s3
	s_sub_i32 s5, 0, s3
	s_delay_alu instid0(VALU_DEP_1) | instskip(SKIP_2) | instid1(VALU_DEP_1)
	v_rcp_iflag_f32_e32 v6, v6
	s_waitcnt_depctr 0xfff
	v_mul_f32_e32 v6, 0x4f7ffffe, v6
	v_cvt_u32_f32_e32 v6, v6
	s_delay_alu instid0(VALU_DEP_1) | instskip(NEXT) | instid1(VALU_DEP_1)
	v_readfirstlane_b32 s4, v6
	s_mul_i32 s5, s5, s4
	s_delay_alu instid0(SALU_CYCLE_1) | instskip(NEXT) | instid1(SALU_CYCLE_1)
	s_mul_hi_u32 s5, s4, s5
	s_add_i32 s4, s4, s5
	s_ashr_i32 s5, s19, 31
	s_mul_hi_u32 s4, s6, s4
	s_delay_alu instid0(SALU_CYCLE_1) | instskip(NEXT) | instid1(SALU_CYCLE_1)
	s_mul_i32 s4, s4, s3
	s_sub_i32 s4, s6, s4
	s_delay_alu instid0(SALU_CYCLE_1) | instskip(SKIP_2) | instid1(SALU_CYCLE_1)
	s_sub_i32 s6, s4, s3
	s_cmp_ge_u32 s4, s3
	s_cselect_b32 s4, s6, s4
	s_sub_i32 s6, s4, s3
	s_cmp_ge_u32 s4, s3
	s_cselect_b32 s3, s6, s4
	s_add_i32 s2, s2, s19
	s_xor_b32 s3, s3, s5
	s_delay_alu instid0(SALU_CYCLE_1) | instskip(NEXT) | instid1(SALU_CYCLE_1)
	s_sub_i32 s3, s3, s5
	s_sub_i32 s2, s2, s3
	s_cmp_eq_u32 s3, 0
	s_cselect_b32 s22, s19, s2
	s_delay_alu instid0(SALU_CYCLE_1)
	v_cmp_gt_u32_e32 vcc_lo, s22, v37
	s_and_b32 exec_lo, exec_lo, vcc_lo
	s_cbranch_execz .LBB109_70
; %bb.8:
	s_load_b256 s[8:15], s[0:1], 0x10
	s_min_u32 s24, s18, 0x2000
	s_cmp_lg_u32 s16, 0
	s_mul_i32 s2, s21, s20
	s_cselect_b32 s25, -1, 0
	s_cmp_lg_u32 s18, 0
	v_dual_mov_b32 v39, 0 :: v_dual_and_b32 v0, 0x3ff, v0
	s_cselect_b32 s21, -1, 0
	s_lshl_b32 s26, s20, 8
	s_add_i32 s27, s16, -8
	s_add_i32 s28, s19, -1
	s_lshl_b32 s29, s2, 2
	s_load_b64 s[6:7], s[0:1], 0x30
	v_lshlrev_b32_e32 v50, 3, v0
	v_cmp_eq_u32_e64 s0, 31, v0
	v_lshlrev_b32_e32 v0, 4, v0
	v_mbcnt_lo_u32_b32 v49, -1, 0
	s_waitcnt lgkmcnt(0)
	s_cmp_lg_u64 s[14:15], 0
	s_delay_alu instid0(VALU_DEP_2)
	v_lshl_add_u32 v51, v5, 9, v0
	s_cselect_b32 s30, -1, 0
	s_abs_i32 s2, s9
	v_lshl_add_u32 v0, v5, 8, v50
	v_cvt_f32_u32_e32 v6, s2
	v_cvt_f32_u32_e32 v7, s8
	s_sub_i32 s3, 0, s2
	s_add_i32 s31, s19, -4
	s_sub_i32 s4, 0, s8
	v_rcp_iflag_f32_e32 v6, v6
	v_rcp_iflag_f32_e32 v7, v7
	s_sub_i32 s5, 1, s2
	v_mad_u64_u32 v[40:41], null, s18, 3, v[0:1]
	v_lshl_add_u32 v52, s18, 1, v0
	s_mul_i32 s9, s24, 6
	s_waitcnt_depctr 0xfff
	v_dual_mul_f32 v6, 0x4f7ffffe, v6 :: v_dual_add_nc_u32 v53, s18, v0
	s_delay_alu instid0(VALU_DEP_1) | instskip(NEXT) | instid1(VALU_DEP_1)
	v_cvt_u32_f32_e32 v6, v6
	v_readfirstlane_b32 s1, v6
	v_mul_f32_e32 v6, 0x4f7ffffe, v7
	s_delay_alu instid0(VALU_DEP_2) | instskip(NEXT) | instid1(VALU_DEP_1)
	s_mul_i32 s3, s3, s1
	v_cvt_u32_f32_e32 v6, v6
	s_mul_hi_u32 s3, s1, s3
	s_delay_alu instid0(SALU_CYCLE_1) | instskip(SKIP_1) | instid1(VALU_DEP_1)
	s_add_i32 s1, s1, s3
	s_cmp_lt_u32 s2, 2
	v_mul_lo_u32 v5, s4, v6
	s_cselect_b32 s3, s5, 1
	s_delay_alu instid0(SALU_CYCLE_1)
	s_sub_i32 s5, s3, s2
	s_cmp_ge_u32 s3, s2
	s_cselect_b32 s33, s5, s3
	s_lshr_b32 s3, s1, 31
	s_mul_hi_u32 s1, s1, 3
	s_mul_i32 s3, s3, s2
	s_mul_i32 s1, s1, s2
	s_sub_i32 s3, 2, s3
	v_mul_hi_u32 v5, v6, v5
	s_sub_i32 s4, s3, s2
	s_cmp_ge_u32 s3, s2
	s_mul_i32 s33, s33, s8
	s_cselect_b32 s3, s4, s3
	s_delay_alu instid0(SALU_CYCLE_1) | instskip(SKIP_1) | instid1(VALU_DEP_1)
	s_sub_i32 s4, s3, s2
	s_cmp_ge_u32 s3, s2
	v_add_nc_u32_e32 v54, v6, v5
	s_cselect_b32 s34, s4, s3
	s_sub_i32 s1, 3, s1
	s_mul_i32 s34, s34, s8
	s_sub_i32 s3, s1, s2
	s_cmp_ge_u32 s1, s2
	s_cselect_b32 s1, s3, s1
	s_delay_alu instid0(SALU_CYCLE_1)
	s_sub_i32 s3, s1, s2
	s_cmp_ge_u32 s1, s2
	s_cselect_b32 s38, s3, s1
	s_add_u32 s35, s6, 2
	s_addc_u32 s36, s7, 0
	s_lshl_b32 s20, s20, 9
	s_lshl_b32 s37, s24, 2
	s_mul_i32 s38, s38, s8
	s_lshl_b32 s39, s24, 1
	s_branch .LBB109_12
.LBB109_9:                              ;   in Loop: Header=BB109_12 Depth=1
	s_or_b32 exec_lo, exec_lo, s42
	v_mov_b32_e32 v37, s31
.LBB109_10:                             ;   in Loop: Header=BB109_12 Depth=1
	s_or_b32 exec_lo, exec_lo, s41
.LBB109_11:                             ;   in Loop: Header=BB109_12 Depth=1
	s_delay_alu instid0(SALU_CYCLE_1) | instskip(NEXT) | instid1(VALU_DEP_1)
	s_or_b32 exec_lo, exec_lo, s40
	v_cmp_le_u32_e32 vcc_lo, s22, v37
	s_or_b32 s23, vcc_lo, s23
	s_delay_alu instid0(SALU_CYCLE_1)
	s_and_not1_b32 exec_lo, exec_lo, s23
	s_cbranch_execz .LBB109_70
.LBB109_12:                             ; =>This Loop Header: Depth=1
                                        ;     Child Loop BB109_16 Depth 2
                                        ;       Child Loop BB109_21 Depth 3
                                        ;     Child Loop BB109_53 Depth 2
	v_mov_b32_e32 v69, v39
	v_mov_b32_e32 v67, v39
	;; [unrolled: 1-line block ×4, first 2 shown]
	s_waitcnt vmcnt(5)
	v_mov_b32_e32 v55, v39
	v_mov_b32_e32 v56, v39
	v_mov_b32_e32 v57, v39
	v_mov_b32_e32 v58, v39
	v_mov_b32_e32 v59, v39
	v_mov_b32_e32 v60, v39
	v_mov_b32_e32 v61, v39
	v_mov_b32_e32 v62, v39
	v_mov_b32_e32 v63, v39
	v_mov_b32_e32 v64, v39
	v_mov_b32_e32 v70, v39
	v_mov_b32_e32 v68, v39
	s_and_not1_b32 vcc_lo, exec_lo, s25
	s_mov_b32 s3, 0
	s_cbranch_vccnz .LBB109_27
; %bb.13:                               ;   in Loop: Header=BB109_12 Depth=1
	v_dual_mov_b32 v63, 0 :: v_dual_add_nc_u32 v6, 2, v37
	v_add_nc_u32_e32 v5, 1, v37
	v_add_nc_u32_e32 v7, 3, v37
	v_min_u32_e32 v8, s28, v37
	s_delay_alu instid0(VALU_DEP_4) | instskip(SKIP_2) | instid1(VALU_DEP_4)
	v_min_u32_e32 v6, s28, v6
	v_dual_mov_b32 v10, v39 :: v_dual_mov_b32 v61, 0
	v_cmp_gt_u32_e64 s1, s19, v37
	v_mul_lo_u32 v38, v8, s17
	v_mov_b32_e32 v8, v39
	v_min_u32_e32 v9, s28, v7
	v_mul_lo_u32 v7, v6, s17
	v_mov_b32_e32 v6, v39
	v_min_u32_e32 v5, s28, v5
	v_dual_mov_b32 v68, 0 :: v_dual_mov_b32 v59, 0
	v_mul_lo_u32 v9, v9, s17
	s_waitcnt lgkmcnt(13)
	v_lshlrev_b64 v[41:42], 1, v[38:39]
	v_mul_lo_u32 v5, v5, s17
	s_waitcnt vmcnt(2)
	v_lshlrev_b64 v[45:46], 1, v[7:8]
	v_dual_mov_b32 v70, 0 :: v_dual_mov_b32 v57, 0
	v_dual_mov_b32 v64, 0 :: v_dual_mov_b32 v55, 0
	v_lshlrev_b64 v[47:48], 1, v[9:10]
	v_dual_mov_b32 v62, 0 :: v_dual_mov_b32 v65, 0
	s_waitcnt vmcnt(0)
	v_lshlrev_b64 v[43:44], 1, v[5:6]
	v_dual_mov_b32 v60, 0 :: v_dual_mov_b32 v67, 0
	v_dual_mov_b32 v58, 0 :: v_dual_mov_b32 v69, 0
	v_mov_b32_e32 v56, 0
	v_mov_b32_e32 v66, 0
	s_mov_b32 s4, 0
	s_branch .LBB109_16
.LBB109_14:                             ;   in Loop: Header=BB109_16 Depth=2
	s_or_b32 exec_lo, exec_lo, s5
	s_waitcnt vmcnt(3) lgkmcnt(3)
	;;#ASMSTART
	v_dot2_f32_f16 v69, v33, v17, v69
	;;#ASMEND
	s_waitcnt vmcnt(2)
	;;#ASMSTART
	v_dot2_f32_f16 v67, v33, v13, v67
	;;#ASMEND
	s_waitcnt vmcnt(1)
	;; [unrolled: 4-line block ×3, first 2 shown]
	;;#ASMSTART
	v_dot2_f32_f16 v65, v33, v5, v65
	;;#ASMEND
	s_waitcnt lgkmcnt(2)
	;;#ASMSTART
	v_dot2_f32_f16 v68, v29, v17, v68
	;;#ASMEND
	;;#ASMSTART
	v_dot2_f32_f16 v70, v29, v13, v70
	;;#ASMEND
	;;#ASMSTART
	v_dot2_f32_f16 v64, v29, v9, v64
	;;#ASMEND
	;;#ASMSTART
	v_dot2_f32_f16 v63, v29, v5, v63
	;;#ASMEND
	s_waitcnt lgkmcnt(1)
	;;#ASMSTART
	v_dot2_f32_f16 v62, v25, v17, v62
	;;#ASMEND
	;;#ASMSTART
	v_dot2_f32_f16 v61, v25, v13, v61
	;;#ASMEND
	;;#ASMSTART
	v_dot2_f32_f16 v60, v25, v9, v60
	;;#ASMEND
	;; [unrolled: 13-line block ×3, first 2 shown]
	;;#ASMSTART
	v_dot2_f32_f16 v55, v21, v5, v55
	;;#ASMEND
	;;#ASMSTART
	v_dot2_f32_f16 v69, v34, v18, v69
	;;#ASMEND
	;; [unrolled: 3-line block ×49, first 2 shown]
.LBB109_15:                             ;   in Loop: Header=BB109_16 Depth=2
	s_or_b32 exec_lo, exec_lo, s2
	s_addk_i32 s4, 0x100
	s_delay_alu instid0(SALU_CYCLE_1)
	s_cmp_ge_u32 s4, s16
	s_cbranch_scc1 .LBB109_27
.LBB109_16:                             ;   Parent Loop BB109_12 Depth=1
                                        ; =>  This Loop Header: Depth=2
                                        ;       Child Loop BB109_21 Depth 3
	s_cmp_eq_u32 s4, 0
	s_cselect_b32 s5, -1, 0
	s_add_i32 s2, s3, s24
	s_delay_alu instid0(SALU_CYCLE_1) | instskip(SKIP_1) | instid1(SALU_CYCLE_1)
	s_cmp_eq_u32 s4, s2
	s_cselect_b32 s40, -1, 0
	s_or_b32 s40, s5, s40
	s_delay_alu instid0(SALU_CYCLE_1)
	s_and_not1_b32 vcc_lo, exec_lo, s40
	s_cbranch_vccz .LBB109_18
; %bb.17:                               ;   in Loop: Header=BB109_16 Depth=2
	s_and_saveexec_b32 s2, s1
	s_cbranch_execz .LBB109_15
	s_branch .LBB109_25
.LBB109_18:                             ;   in Loop: Header=BB109_16 Depth=2
	s_and_b32 s5, s5, exec_lo
	s_cselect_b32 s3, s3, s2
	s_and_not1_b32 vcc_lo, exec_lo, s21
	s_waitcnt lgkmcnt(0)
	s_waitcnt_vscnt null, 0x0
	s_barrier
	buffer_gl0_inv
	s_cbranch_vccnz .LBB109_24
; %bb.19:                               ;   in Loop: Header=BB109_16 Depth=2
	v_add_nc_u32_e32 v5, s3, v52
	v_dual_mov_b32 v9, v51 :: v_dual_add_nc_u32 v6, s3, v40
	v_add_nc_u32_e32 v7, s3, v53
	v_add_nc_u32_e32 v8, s3, v0
	s_mov_b32 s5, 0
	s_mov_b32 s40, 0
                                        ; implicit-def: $sgpr41
	s_branch .LBB109_21
.LBB109_20:                             ;   in Loop: Header=BB109_21 Depth=3
	s_or_b32 exec_lo, exec_lo, s2
	s_delay_alu instid0(SALU_CYCLE_1) | instskip(NEXT) | instid1(SALU_CYCLE_1)
	s_and_b32 s2, exec_lo, s41
	s_or_b32 s5, s2, s5
	s_delay_alu instid0(SALU_CYCLE_1)
	s_and_not1_b32 exec_lo, exec_lo, s5
	s_cbranch_execz .LBB109_23
.LBB109_21:                             ;   Parent Loop BB109_12 Depth=1
                                        ;     Parent Loop BB109_16 Depth=2
                                        ; =>    This Inner Loop Header: Depth=3
	s_delay_alu instid0(VALU_DEP_1) | instskip(SKIP_2) | instid1(VALU_DEP_2)
	v_add_nc_u32_e32 v38, s40, v8
	v_add_nc_u32_e32 v10, s40, v0
	s_or_b32 s41, s41, exec_lo
	v_cmp_gt_u32_e32 vcc_lo, s18, v38
	s_delay_alu instid0(VALU_DEP_2) | instskip(NEXT) | instid1(VALU_DEP_1)
	v_cmp_gt_u32_e64 s2, s24, v10
	s_and_b32 s42, s2, vcc_lo
	s_delay_alu instid0(SALU_CYCLE_1)
	s_and_saveexec_b32 s2, s42
	s_cbranch_execz .LBB109_20
; %bb.22:                               ;   in Loop: Header=BB109_21 Depth=3
	v_lshlrev_b64 v[10:11], 1, v[38:39]
	v_add_nc_u32_e32 v38, s40, v7
	v_add_nc_u32_e32 v26, s39, v9
	;; [unrolled: 1-line block ×3, first 2 shown]
	s_delay_alu instid0(VALU_DEP_3) | instskip(SKIP_3) | instid1(VALU_DEP_3)
	v_lshlrev_b64 v[12:13], 1, v[38:39]
	v_add_nc_u32_e32 v38, s40, v5
	v_add_co_u32 v10, vcc_lo, s12, v10
	v_add_co_ci_u32_e32 v11, vcc_lo, s13, v11, vcc_lo
	v_lshlrev_b64 v[18:19], 1, v[38:39]
	v_add_nc_u32_e32 v38, s40, v6
	v_add_co_u32 v14, vcc_lo, s12, v12
	v_add_co_ci_u32_e32 v15, vcc_lo, s13, v13, vcc_lo
	s_delay_alu instid0(VALU_DEP_3)
	v_lshlrev_b64 v[20:21], 1, v[38:39]
	v_add_co_u32 v18, vcc_lo, s12, v18
	v_add_co_ci_u32_e32 v19, vcc_lo, s13, v19, vcc_lo
	s_clause 0x1
	global_load_b128 v[10:13], v[10:11], off
	global_load_b128 v[14:17], v[14:15], off
	v_add_co_u32 v22, vcc_lo, s12, v20
	v_add_co_ci_u32_e32 v23, vcc_lo, s13, v21, vcc_lo
	s_clause 0x1
	global_load_b128 v[18:21], v[18:19], off
	global_load_b128 v[22:25], v[22:23], off
	s_add_i32 s40, s40, s26
	s_waitcnt vmcnt(3)
	ds_store_b128 v9, v[10:13]
	s_waitcnt vmcnt(2)
	ds_store_2addr_b64 v26, v[14:15], v[16:17] offset1:1
	s_cmp_ge_u32 s40, s24
	v_add_nc_u32_e32 v10, s9, v9
	s_cselect_b32 s42, -1, 0
	v_add_nc_u32_e32 v9, s20, v9
	s_and_not1_b32 s41, s41, exec_lo
	s_and_b32 s42, s42, exec_lo
	s_waitcnt vmcnt(1)
	ds_store_2addr_b32 v27, v18, v19 offset1:1
	ds_store_2addr_b32 v27, v20, v21 offset0:2 offset1:3
	s_or_b32 s41, s41, s42
	s_waitcnt vmcnt(0)
	ds_store_2addr_b64 v10, v[22:23], v[24:25] offset1:1
	s_branch .LBB109_20
.LBB109_23:                             ;   in Loop: Header=BB109_16 Depth=2
	s_or_b32 exec_lo, exec_lo, s5
.LBB109_24:                             ;   in Loop: Header=BB109_16 Depth=2
	s_waitcnt lgkmcnt(0)
	s_barrier
	buffer_gl0_inv
	s_and_saveexec_b32 s2, s1
	s_cbranch_execz .LBB109_15
.LBB109_25:                             ;   in Loop: Header=BB109_16 Depth=2
	s_waitcnt lgkmcnt(3)
	v_dual_mov_b32 v34, 0 :: v_dual_add_nc_u32 v71, s4, v50
	v_dual_mov_b32 v33, 0 :: v_dual_mov_b32 v36, 0
	v_dual_mov_b32 v35, 0 :: v_dual_mov_b32 v30, 0
	s_delay_alu instid0(VALU_DEP_3) | instskip(SKIP_2) | instid1(VALU_DEP_3)
	v_min_u32_e32 v38, s27, v71
	v_dual_mov_b32 v29, 0 :: v_dual_mov_b32 v32, 0
	v_dual_mov_b32 v31, 0 :: v_dual_mov_b32 v26, 0
	v_lshlrev_b64 v[5:6], 1, v[38:39]
	s_waitcnt lgkmcnt(1)
	v_dual_mov_b32 v25, 0 :: v_dual_mov_b32 v28, 0
	v_mov_b32_e32 v27, 0
	v_mov_b32_e32 v23, 0
	s_mov_b32 s5, exec_lo
	v_add_co_u32 v11, vcc_lo, s10, v5
	v_add_co_ci_u32_e32 v12, vcc_lo, s11, v6, vcc_lo
	v_mov_b32_e32 v24, 0
	s_delay_alu instid0(VALU_DEP_3) | instskip(NEXT) | instid1(VALU_DEP_3)
	v_add_co_u32 v5, vcc_lo, v11, v41
	v_add_co_ci_u32_e32 v6, vcc_lo, v12, v42, vcc_lo
	v_add_co_u32 v7, vcc_lo, v11, v43
	v_add_co_ci_u32_e32 v8, vcc_lo, v12, v44, vcc_lo
	;; [unrolled: 2-line block ×4, first 2 shown]
	s_waitcnt lgkmcnt(0)
	s_clause 0x3
	global_load_b128 v[17:20], v[5:6], off slc dlc
	global_load_b128 v[13:16], v[7:8], off slc dlc
	;; [unrolled: 1-line block ×4, first 2 shown]
	v_dual_mov_b32 v22, 0 :: v_dual_mov_b32 v21, 0
	v_cmpx_gt_u32_e64 s16, v71
	s_cbranch_execz .LBB109_14
; %bb.26:                               ;   in Loop: Header=BB109_16 Depth=2
	v_subrev_nc_u32_e32 v21, s3, v71
	s_delay_alu instid0(VALU_DEP_1) | instskip(NEXT) | instid1(VALU_DEP_1)
	v_lshlrev_b32_e32 v21, 1, v21
	v_add_nc_u32_e32 v22, s39, v21
	s_delay_alu instid0(VALU_DEP_1) | instskip(NEXT) | instid1(VALU_DEP_1)
	v_add_nc_u32_e32 v23, s39, v22
	v_add_nc_u32_e32 v24, s39, v23
	ds_load_b128 v[33:36], v21
	ds_load_b128 v[29:32], v22
	;; [unrolled: 1-line block ×4, first 2 shown]
	s_branch .LBB109_14
.LBB109_27:                             ;   in Loop: Header=BB109_12 Depth=1
	s_mov_b32 s1, exec_lo
	v_cmpx_le_u32_e64 s19, v37
	s_xor_b32 s1, exec_lo, s1
; %bb.28:                               ;   in Loop: Header=BB109_12 Depth=1
	v_add_nc_u32_e32 v37, s29, v37
                                        ; implicit-def: $vgpr69
                                        ; implicit-def: $vgpr67
                                        ; implicit-def: $vgpr66
                                        ; implicit-def: $vgpr65
                                        ; implicit-def: $vgpr55
                                        ; implicit-def: $vgpr56
                                        ; implicit-def: $vgpr57
                                        ; implicit-def: $vgpr58
                                        ; implicit-def: $vgpr59
                                        ; implicit-def: $vgpr60
                                        ; implicit-def: $vgpr61
                                        ; implicit-def: $vgpr62
                                        ; implicit-def: $vgpr63
                                        ; implicit-def: $vgpr64
                                        ; implicit-def: $vgpr70
                                        ; implicit-def: $vgpr68
; %bb.29:                               ;   in Loop: Header=BB109_12 Depth=1
	s_and_not1_saveexec_b32 s40, s1
	s_cbranch_execz .LBB109_11
; %bb.30:                               ;   in Loop: Header=BB109_12 Depth=1
	v_cvt_i32_f32_e32 v5, v69
	v_xor_b32_e32 v6, 16, v49
	v_cvt_i32_f32_e32 v7, v67
	v_cvt_i32_f32_e32 v10, v68
	s_waitcnt lgkmcnt(4)
	v_cvt_i32_f32_e32 v11, v70
	v_cvt_f32_i32_dpp v5, v5 row_shr:8 row_mask:0xf bank_mask:0xf bound_ctrl:1
	v_cmp_gt_i32_e32 vcc_lo, 32, v6
	v_cvt_f32_i32_dpp v7, v7 row_shr:8 row_mask:0xf bank_mask:0xf bound_ctrl:1
	v_cvt_f32_i32_dpp v10, v10 row_shr:8 row_mask:0xf bank_mask:0xf bound_ctrl:1
	;; [unrolled: 1-line block ×3, first 2 shown]
	v_cvt_i32_f32_e32 v8, v66
	s_delay_alu instid0(VALU_DEP_4) | instskip(NEXT) | instid1(VALU_DEP_4)
	v_dual_cndmask_b32 v6, v49, v6 :: v_dual_add_f32 v7, v67, v7
	v_dual_add_f32 v5, v69, v5 :: v_dual_add_f32 v10, v68, v10
	s_delay_alu instid0(VALU_DEP_2) | instskip(SKIP_1) | instid1(VALU_DEP_3)
	v_dual_add_f32 v11, v70, v11 :: v_dual_lshlrev_b32 v6, 2, v6
	v_cvt_i32_f32_e32 v9, v65
	v_cvt_i32_f32_e32 v12, v5
	s_delay_alu instid0(VALU_DEP_4)
	v_cvt_i32_f32_e32 v15, v10
	v_cvt_f32_i32_dpp v8, v8 row_shr:8 row_mask:0xf bank_mask:0xf bound_ctrl:1
	v_cvt_i32_f32_e32 v16, v11
	v_cvt_f32_i32_dpp v9, v9 row_shr:8 row_mask:0xf bank_mask:0xf bound_ctrl:1
	v_cvt_f32_i32_dpp v12, v12 row_shr:4 row_mask:0xf bank_mask:0xf bound_ctrl:1
	v_cvt_f32_i32_dpp v15, v15 row_shr:4 row_mask:0xf bank_mask:0xf bound_ctrl:1
	v_add_f32_e32 v8, v66, v8
	v_cvt_f32_i32_dpp v16, v16 row_shr:4 row_mask:0xf bank_mask:0xf bound_ctrl:1
	v_add_f32_e32 v9, v65, v9
	s_delay_alu instid0(VALU_DEP_4) | instskip(SKIP_2) | instid1(VALU_DEP_4)
	v_dual_add_f32 v5, v5, v12 :: v_dual_add_f32 v10, v10, v15
	v_cvt_i32_f32_e32 v13, v7
	v_cvt_i32_f32_e32 v12, v8
	;; [unrolled: 1-line block ×3, first 2 shown]
	s_delay_alu instid0(VALU_DEP_4)
	v_cvt_i32_f32_e32 v17, v5
	v_add_f32_e32 v11, v11, v16
	v_cvt_f32_i32_dpp v13, v13 row_shr:4 row_mask:0xf bank_mask:0xf bound_ctrl:1
	v_cvt_f32_i32_dpp v12, v12 row_shr:4 row_mask:0xf bank_mask:0xf bound_ctrl:1
	;; [unrolled: 1-line block ×4, first 2 shown]
	v_cvt_i32_f32_e32 v16, v10
	s_delay_alu instid0(VALU_DEP_4) | instskip(NEXT) | instid1(VALU_DEP_3)
	v_dual_add_f32 v7, v7, v13 :: v_dual_add_f32 v8, v8, v12
	v_add_f32_e32 v5, v5, v17
	v_cvt_i32_f32_e32 v17, v11
	s_delay_alu instid0(VALU_DEP_3) | instskip(NEXT) | instid1(VALU_DEP_4)
	v_cvt_i32_f32_e32 v12, v7
	v_cvt_i32_f32_e32 v13, v8
	v_cvt_f32_i32_dpp v16, v16 row_shr:2 row_mask:0xf bank_mask:0xf bound_ctrl:1
	s_delay_alu instid0(VALU_DEP_4) | instskip(SKIP_4) | instid1(VALU_DEP_4)
	v_cvt_f32_i32_dpp v17, v17 row_shr:2 row_mask:0xf bank_mask:0xf bound_ctrl:1
	v_add_f32_e32 v9, v9, v14
	v_cvt_i32_f32_e32 v14, v5
	v_cvt_f32_i32_dpp v12, v12 row_shr:2 row_mask:0xf bank_mask:0xf bound_ctrl:1
	v_cvt_f32_i32_dpp v13, v13 row_shr:2 row_mask:0xf bank_mask:0xf bound_ctrl:1
	v_cvt_i32_f32_e32 v15, v9
	s_delay_alu instid0(VALU_DEP_4) | instskip(NEXT) | instid1(VALU_DEP_2)
	v_cvt_f32_i32_dpp v14, v14 row_shr:1 row_mask:0xf bank_mask:0xf bound_ctrl:1
	v_cvt_f32_i32_dpp v15, v15 row_shr:2 row_mask:0xf bank_mask:0xf bound_ctrl:1
	s_delay_alu instid0(VALU_DEP_2) | instskip(SKIP_1) | instid1(VALU_DEP_3)
	v_add_f32_e32 v41, v5, v14
	v_add_f32_e32 v5, v7, v12
	v_dual_add_f32 v7, v8, v13 :: v_dual_add_f32 v8, v9, v15
	v_dual_add_f32 v9, v10, v16 :: v_dual_add_f32 v10, v11, v17
	s_delay_alu instid0(VALU_DEP_2) | instskip(NEXT) | instid1(VALU_DEP_2)
	v_cvt_i32_f32_e32 v13, v8
	v_cvt_i32_f32_e32 v14, v9
	s_delay_alu instid0(VALU_DEP_3) | instskip(NEXT) | instid1(VALU_DEP_3)
	v_cvt_i32_f32_e32 v15, v10
	v_cvt_f32_i32_dpp v13, v13 row_shr:1 row_mask:0xf bank_mask:0xf bound_ctrl:1
	s_delay_alu instid0(VALU_DEP_3) | instskip(NEXT) | instid1(VALU_DEP_3)
	v_cvt_f32_i32_dpp v14, v14 row_shr:1 row_mask:0xf bank_mask:0xf bound_ctrl:1
	v_cvt_f32_i32_dpp v15, v15 row_shr:1 row_mask:0xf bank_mask:0xf bound_ctrl:1
	s_delay_alu instid0(VALU_DEP_2)
	v_dual_add_f32 v21, v8, v13 :: v_dual_add_f32 v14, v9, v14
	v_cvt_i32_f32_e32 v9, v62
	v_cvt_i32_f32_e32 v11, v5
	;; [unrolled: 1-line block ×3, first 2 shown]
	v_add_f32_e32 v10, v10, v15
	ds_bpermute_b32 v17, v6, v14
	v_cvt_f32_i32_dpp v9, v9 row_shr:8 row_mask:0xf bank_mask:0xf bound_ctrl:1
	v_cvt_f32_i32_dpp v11, v11 row_shr:1 row_mask:0xf bank_mask:0xf bound_ctrl:1
	;; [unrolled: 1-line block ×3, first 2 shown]
	ds_bpermute_b32 v13, v6, v10
	v_dual_add_f32 v9, v62, v9 :: v_dual_add_f32 v32, v5, v11
	v_cvt_i32_f32_e32 v12, v7
	v_cvt_i32_f32_e32 v11, v61
	v_add_f32_e32 v8, v63, v8
	s_waitcnt lgkmcnt(2)
	v_cvt_i32_f32_e32 v18, v9
	v_cvt_i32_f32_e32 v5, v64
	v_cvt_f32_i32_dpp v12, v12 row_shr:1 row_mask:0xf bank_mask:0xf bound_ctrl:1
	v_cvt_f32_i32_dpp v11, v11 row_shr:8 row_mask:0xf bank_mask:0xf bound_ctrl:1
	v_cvt_i32_f32_e32 v16, v8
	v_cvt_f32_i32_dpp v18, v18 row_shr:4 row_mask:0xf bank_mask:0xf bound_ctrl:1
	v_cvt_f32_i32_dpp v5, v5 row_shr:8 row_mask:0xf bank_mask:0xf bound_ctrl:1
	ds_bpermute_b32 v42, v6, v41
	ds_bpermute_b32 v35, v6, v32
	v_cvt_f32_i32_dpp v16, v16 row_shr:4 row_mask:0xf bank_mask:0xf bound_ctrl:1
	v_add_f32_e32 v9, v9, v18
	s_delay_alu instid0(VALU_DEP_2) | instskip(NEXT) | instid1(VALU_DEP_2)
	v_dual_add_f32 v11, v61, v11 :: v_dual_add_f32 v8, v8, v16
	v_cvt_i32_f32_e32 v18, v9
	s_delay_alu instid0(VALU_DEP_2) | instskip(NEXT) | instid1(VALU_DEP_3)
	v_cvt_i32_f32_e32 v19, v11
	v_cvt_i32_f32_e32 v16, v8
	s_delay_alu instid0(VALU_DEP_3) | instskip(NEXT) | instid1(VALU_DEP_3)
	v_cvt_f32_i32_dpp v18, v18 row_shr:2 row_mask:0xf bank_mask:0xf bound_ctrl:1
	v_cvt_f32_i32_dpp v19, v19 row_shr:4 row_mask:0xf bank_mask:0xf bound_ctrl:1
	s_delay_alu instid0(VALU_DEP_3) | instskip(NEXT) | instid1(VALU_DEP_1)
	v_cvt_f32_i32_dpp v16, v16 row_shr:2 row_mask:0xf bank_mask:0xf bound_ctrl:1
	v_dual_add_f32 v9, v9, v18 :: v_dual_add_f32 v8, v8, v16
	s_delay_alu instid0(VALU_DEP_1) | instskip(NEXT) | instid1(VALU_DEP_2)
	v_cvt_i32_f32_e32 v18, v9
	v_cvt_i32_f32_e32 v16, v8
	s_delay_alu instid0(VALU_DEP_2) | instskip(SKIP_2) | instid1(VALU_DEP_4)
	v_cvt_f32_i32_dpp v18, v18 row_shr:1 row_mask:0xf bank_mask:0xf bound_ctrl:1
	v_add_f32_e32 v7, v7, v12
	v_cvt_i32_f32_e32 v12, v60
	v_cvt_f32_i32_dpp v16, v16 row_shr:1 row_mask:0xf bank_mask:0xf bound_ctrl:1
	s_delay_alu instid0(VALU_DEP_2) | instskip(NEXT) | instid1(VALU_DEP_1)
	v_cvt_f32_i32_dpp v12, v12 row_shr:8 row_mask:0xf bank_mask:0xf bound_ctrl:1
	v_add_f32_e32 v12, v60, v12
	s_delay_alu instid0(VALU_DEP_1) | instskip(NEXT) | instid1(VALU_DEP_1)
	v_cvt_i32_f32_e32 v20, v12
	v_cvt_f32_i32_dpp v20, v20 row_shr:4 row_mask:0xf bank_mask:0xf bound_ctrl:1
	s_delay_alu instid0(VALU_DEP_1) | instskip(NEXT) | instid1(VALU_DEP_1)
	v_add_f32_e32 v12, v12, v20
	v_cvt_i32_f32_e32 v20, v12
	s_delay_alu instid0(VALU_DEP_1) | instskip(NEXT) | instid1(VALU_DEP_1)
	v_cvt_f32_i32_dpp v20, v20 row_shr:2 row_mask:0xf bank_mask:0xf bound_ctrl:1
	v_dual_add_f32 v11, v11, v19 :: v_dual_add_f32 v12, v12, v20
	s_delay_alu instid0(VALU_DEP_1) | instskip(NEXT) | instid1(VALU_DEP_2)
	v_cvt_i32_f32_e32 v19, v11
	v_cvt_i32_f32_e32 v20, v12
	s_delay_alu instid0(VALU_DEP_2) | instskip(NEXT) | instid1(VALU_DEP_2)
	v_cvt_f32_i32_dpp v19, v19 row_shr:2 row_mask:0xf bank_mask:0xf bound_ctrl:1
	v_cvt_f32_i32_dpp v22, v20 row_shr:1 row_mask:0xf bank_mask:0xf bound_ctrl:1
	v_add_f32_e32 v20, v9, v18
	v_cvt_i32_f32_e32 v18, v55
	ds_bpermute_b32 v29, v6, v7
	v_add_f32_e32 v9, v12, v22
	ds_bpermute_b32 v23, v6, v20
	v_cvt_f32_i32_dpp v18, v18 row_shr:8 row_mask:0xf bank_mask:0xf bound_ctrl:1
	v_add_f32_e32 v5, v64, v5
	ds_bpermute_b32 v12, v6, v9
	v_add_f32_e32 v18, v55, v18
	v_cvt_i32_f32_e32 v15, v5
	s_delay_alu instid0(VALU_DEP_2) | instskip(NEXT) | instid1(VALU_DEP_2)
	v_cvt_i32_f32_e32 v31, v18
	v_cvt_f32_i32_dpp v15, v15 row_shr:4 row_mask:0xf bank_mask:0xf bound_ctrl:1
	s_delay_alu instid0(VALU_DEP_2) | instskip(NEXT) | instid1(VALU_DEP_2)
	v_cvt_f32_i32_dpp v31, v31 row_shr:4 row_mask:0xf bank_mask:0xf bound_ctrl:1
	v_add_f32_e32 v5, v5, v15
	s_delay_alu instid0(VALU_DEP_2) | instskip(NEXT) | instid1(VALU_DEP_2)
	v_add_f32_e32 v18, v18, v31
	v_cvt_i32_f32_e32 v15, v5
	s_delay_alu instid0(VALU_DEP_2) | instskip(NEXT) | instid1(VALU_DEP_2)
	v_cvt_i32_f32_e32 v31, v18
	v_cvt_f32_i32_dpp v15, v15 row_shr:2 row_mask:0xf bank_mask:0xf bound_ctrl:1
	s_delay_alu instid0(VALU_DEP_2) | instskip(SKIP_2) | instid1(VALU_DEP_3)
	v_cvt_f32_i32_dpp v31, v31 row_shr:2 row_mask:0xf bank_mask:0xf bound_ctrl:1
	v_add_f32_e32 v27, v8, v16
	v_cvt_i32_f32_e32 v8, v58
	v_add_f32_e32 v18, v18, v31
	ds_bpermute_b32 v30, v6, v27
	v_cvt_f32_i32_dpp v8, v8 row_shr:8 row_mask:0xf bank_mask:0xf bound_ctrl:1
	v_cvt_i32_f32_e32 v31, v18
	s_delay_alu instid0(VALU_DEP_2) | instskip(SKIP_3) | instid1(VALU_DEP_1)
	v_add_f32_e32 v8, v58, v8
	ds_bpermute_b32 v24, v6, v21
	v_cvt_f32_i32_dpp v38, v31 row_shr:1 row_mask:0xf bank_mask:0xf bound_ctrl:1
	v_cvt_i32_f32_e32 v25, v8
	v_cvt_f32_i32_dpp v25, v25 row_shr:4 row_mask:0xf bank_mask:0xf bound_ctrl:1
	s_delay_alu instid0(VALU_DEP_1) | instskip(NEXT) | instid1(VALU_DEP_1)
	v_dual_add_f32 v5, v5, v15 :: v_dual_add_f32 v8, v8, v25
	v_cvt_i32_f32_e32 v15, v5
	s_delay_alu instid0(VALU_DEP_2) | instskip(NEXT) | instid1(VALU_DEP_2)
	v_cvt_i32_f32_e32 v25, v8
	v_cvt_f32_i32_dpp v15, v15 row_shr:1 row_mask:0xf bank_mask:0xf bound_ctrl:1
	s_delay_alu instid0(VALU_DEP_2) | instskip(NEXT) | instid1(VALU_DEP_1)
	v_cvt_f32_i32_dpp v25, v25 row_shr:2 row_mask:0xf bank_mask:0xf bound_ctrl:1
	v_dual_add_f32 v11, v11, v19 :: v_dual_add_f32 v8, v8, v25
	s_delay_alu instid0(VALU_DEP_1) | instskip(NEXT) | instid1(VALU_DEP_2)
	v_cvt_i32_f32_e32 v19, v11
	v_cvt_i32_f32_e32 v25, v8
	s_delay_alu instid0(VALU_DEP_2) | instskip(NEXT) | instid1(VALU_DEP_2)
	v_cvt_f32_i32_dpp v19, v19 row_shr:1 row_mask:0xf bank_mask:0xf bound_ctrl:1
	v_cvt_f32_i32_dpp v25, v25 row_shr:1 row_mask:0xf bank_mask:0xf bound_ctrl:1
	s_delay_alu instid0(VALU_DEP_2)
	v_add_f32_e32 v16, v11, v19
	v_cvt_i32_f32_e32 v11, v57
	v_add_f32_e32 v33, v5, v15
	v_cvt_i32_f32_e32 v5, v59
	v_cvt_i32_f32_e32 v15, v56
	ds_bpermute_b32 v19, v6, v16
	v_cvt_f32_i32_dpp v11, v11 row_shr:8 row_mask:0xf bank_mask:0xf bound_ctrl:1
	v_cvt_f32_i32_dpp v5, v5 row_shr:8 row_mask:0xf bank_mask:0xf bound_ctrl:1
	;; [unrolled: 1-line block ×3, first 2 shown]
	s_delay_alu instid0(VALU_DEP_3) | instskip(NEXT) | instid1(VALU_DEP_3)
	v_add_f32_e32 v11, v57, v11
	v_add_f32_e32 v5, v59, v5
	s_delay_alu instid0(VALU_DEP_2) | instskip(NEXT) | instid1(VALU_DEP_1)
	v_cvt_i32_f32_e32 v26, v11
	v_cvt_f32_i32_dpp v26, v26 row_shr:4 row_mask:0xf bank_mask:0xf bound_ctrl:1
	s_delay_alu instid0(VALU_DEP_1) | instskip(NEXT) | instid1(VALU_DEP_1)
	v_add_f32_e32 v11, v11, v26
	v_cvt_i32_f32_e32 v26, v11
	s_delay_alu instid0(VALU_DEP_1) | instskip(NEXT) | instid1(VALU_DEP_1)
	v_cvt_f32_i32_dpp v26, v26 row_shr:2 row_mask:0xf bank_mask:0xf bound_ctrl:1
	v_add_f32_e32 v11, v11, v26
	s_delay_alu instid0(VALU_DEP_1) | instskip(NEXT) | instid1(VALU_DEP_1)
	v_cvt_i32_f32_e32 v26, v11
	v_cvt_f32_i32_dpp v34, v26 row_shr:1 row_mask:0xf bank_mask:0xf bound_ctrl:1
	v_add_f32_e32 v26, v8, v25
	v_add_f32_e32 v8, v18, v38
	v_cvt_i32_f32_e32 v22, v5
	v_add_f32_e32 v15, v56, v15
	ds_bpermute_b32 v36, v6, v33
	v_cvt_f32_i32_dpp v22, v22 row_shr:4 row_mask:0xf bank_mask:0xf bound_ctrl:1
	s_delay_alu instid0(VALU_DEP_1) | instskip(NEXT) | instid1(VALU_DEP_1)
	v_add_f32_e32 v5, v5, v22
	v_cvt_i32_f32_e32 v22, v5
	s_delay_alu instid0(VALU_DEP_1) | instskip(NEXT) | instid1(VALU_DEP_1)
	v_cvt_f32_i32_dpp v22, v22 row_shr:2 row_mask:0xf bank_mask:0xf bound_ctrl:1
	v_add_f32_e32 v5, v5, v22
	s_delay_alu instid0(VALU_DEP_1) | instskip(NEXT) | instid1(VALU_DEP_1)
	v_cvt_i32_f32_e32 v22, v5
	v_cvt_f32_i32_dpp v22, v22 row_shr:1 row_mask:0xf bank_mask:0xf bound_ctrl:1
	s_delay_alu instid0(VALU_DEP_1)
	v_add_f32_e32 v31, v5, v22
	v_add_f32_e32 v22, v11, v34
	v_cvt_i32_f32_e32 v28, v15
	ds_bpermute_b32 v11, v6, v8
	ds_bpermute_b32 v34, v6, v31
	;; [unrolled: 1-line block ×3, first 2 shown]
	v_cvt_f32_i32_dpp v28, v28 row_shr:4 row_mask:0xf bank_mask:0xf bound_ctrl:1
	s_delay_alu instid0(VALU_DEP_1) | instskip(NEXT) | instid1(VALU_DEP_1)
	v_add_f32_e32 v15, v15, v28
	v_cvt_i32_f32_e32 v28, v15
	s_delay_alu instid0(VALU_DEP_1) | instskip(NEXT) | instid1(VALU_DEP_1)
	v_cvt_f32_i32_dpp v28, v28 row_shr:2 row_mask:0xf bank_mask:0xf bound_ctrl:1
	v_add_f32_e32 v15, v15, v28
	s_delay_alu instid0(VALU_DEP_1) | instskip(NEXT) | instid1(VALU_DEP_1)
	v_cvt_i32_f32_e32 v28, v15
	v_cvt_f32_i32_dpp v28, v28 row_shr:1 row_mask:0xf bank_mask:0xf bound_ctrl:1
	s_delay_alu instid0(VALU_DEP_1)
	v_add_f32_e32 v15, v15, v28
	ds_bpermute_b32 v28, v6, v26
	ds_bpermute_b32 v18, v6, v15
	s_and_saveexec_b32 s5, s0
	s_cbranch_execz .LBB109_50
; %bb.31:                               ;   in Loop: Header=BB109_12 Depth=1
	v_dual_mov_b32 v64, 0 :: v_dual_add_nc_u32 v5, 3, v37
	v_dual_mov_b32 v63, 0 :: v_dual_add_nc_u32 v6, 2, v37
	v_dual_mov_b32 v62, 0 :: v_dual_mov_b32 v61, 0
	v_dual_mov_b32 v60, 0 :: v_dual_mov_b32 v59, 0
	;; [unrolled: 1-line block ×4, first 2 shown]
	s_waitcnt vmcnt(4)
	v_dual_mov_b32 v48, 0 :: v_dual_mov_b32 v47, 0
	s_waitcnt vmcnt(2)
	v_dual_mov_b32 v46, 0 :: v_dual_mov_b32 v45, 0
	s_waitcnt vmcnt(0)
	v_dual_mov_b32 v44, 0 :: v_dual_mov_b32 v43, 0
	s_and_not1_b32 vcc_lo, exec_lo, s30
	s_cbranch_vccnz .LBB109_33
; %bb.32:                               ;   in Loop: Header=BB109_12 Depth=1
	v_mul_hi_u32 v38, v37, v54
	v_mul_hi_u32 v44, v6, v54
	v_add_nc_u32_e32 v43, 1, v37
	v_mul_hi_u32 v45, v5, v54
	v_mov_b32_e32 v78, v39
	v_mul_lo_u32 v38, v38, s8
	v_mul_lo_u32 v47, v44, s8
	v_mov_b32_e32 v44, v39
	v_mul_hi_u32 v46, v43, v54
	v_mul_lo_u32 v45, v45, s8
	v_sub_nc_u32_e32 v38, v37, v38
	v_sub_nc_u32_e32 v47, v6, v47
	s_delay_alu instid0(VALU_DEP_4) | instskip(NEXT) | instid1(VALU_DEP_4)
	v_mul_lo_u32 v55, v46, s8
	v_sub_nc_u32_e32 v45, v5, v45
	s_delay_alu instid0(VALU_DEP_4) | instskip(SKIP_1) | instid1(VALU_DEP_3)
	v_subrev_nc_u32_e32 v56, s8, v38
	v_cmp_le_u32_e32 vcc_lo, s8, v38
	v_subrev_nc_u32_e32 v57, s8, v45
	v_sub_nc_u32_e32 v43, v43, v55
	v_subrev_nc_u32_e32 v55, s8, v47
	v_cndmask_b32_e32 v38, v38, v56, vcc_lo
	v_cmp_le_u32_e32 vcc_lo, s8, v47
	s_delay_alu instid0(VALU_DEP_4) | instskip(NEXT) | instid1(VALU_DEP_4)
	v_subrev_nc_u32_e32 v56, s8, v43
	v_cndmask_b32_e32 v47, v47, v55, vcc_lo
	v_cmp_le_u32_e32 vcc_lo, s8, v45
	v_dual_mov_b32 v46, v39 :: v_dual_cndmask_b32 v55, v45, v57
	v_cmp_le_u32_e32 vcc_lo, s8, v43
	v_subrev_nc_u32_e32 v45, s8, v38
	s_delay_alu instid0(VALU_DEP_3)
	v_subrev_nc_u32_e32 v57, s8, v55
	v_cndmask_b32_e32 v43, v43, v56, vcc_lo
	v_cmp_le_u32_e32 vcc_lo, s8, v38
	v_subrev_nc_u32_e32 v56, s8, v47
	v_cndmask_b32_e32 v38, v38, v45, vcc_lo
	v_cmp_le_u32_e32 vcc_lo, s8, v47
	v_subrev_nc_u32_e32 v58, s8, v43
	s_delay_alu instid0(VALU_DEP_3) | instskip(SKIP_2) | instid1(VALU_DEP_2)
	v_dual_mov_b32 v48, v39 :: v_dual_add_nc_u32 v61, s33, v38
	v_cndmask_b32_e32 v45, v47, v56, vcc_lo
	v_cmp_le_u32_e32 vcc_lo, s8, v55
	v_dual_mov_b32 v64, v39 :: v_dual_add_nc_u32 v67, s33, v45
	v_cndmask_b32_e32 v47, v55, v57, vcc_lo
	v_cmp_le_u32_e32 vcc_lo, s8, v43
	v_lshlrev_b64 v[55:56], 1, v[38:39]
	v_mov_b32_e32 v68, v39
	s_delay_alu instid0(VALU_DEP_4) | instskip(SKIP_4) | instid1(VALU_DEP_4)
	v_lshlrev_b64 v[59:60], 1, v[47:48]
	v_cndmask_b32_e32 v43, v43, v58, vcc_lo
	v_lshlrev_b64 v[57:58], 1, v[45:46]
	v_add_co_u32 v55, vcc_lo, s14, v55
	v_add_co_ci_u32_e32 v56, vcc_lo, s15, v56, vcc_lo
	v_lshlrev_b64 v[62:63], 1, v[43:44]
	v_add_nc_u32_e32 v77, s34, v43
	s_delay_alu instid0(VALU_DEP_2) | instskip(SKIP_1) | instid1(VALU_DEP_4)
	v_add_co_u32 v65, vcc_lo, s14, v62
	v_mov_b32_e32 v62, v39
	v_add_co_ci_u32_e32 v66, vcc_lo, s15, v63, vcc_lo
	v_add_nc_u32_e32 v63, s33, v43
	v_add_co_u32 v57, vcc_lo, s14, v57
	s_delay_alu instid0(VALU_DEP_4)
	v_lshlrev_b64 v[61:62], 1, v[61:62]
	v_add_co_ci_u32_e32 v58, vcc_lo, s15, v58, vcc_lo
	v_add_co_u32 v59, vcc_lo, s14, v59
	v_add_co_ci_u32_e32 v60, vcc_lo, s15, v60, vcc_lo
	v_lshlrev_b64 v[63:64], 1, v[63:64]
	v_add_co_u32 v69, vcc_lo, s14, v61
	v_add_co_ci_u32_e32 v70, vcc_lo, s15, v62, vcc_lo
	v_lshlrev_b64 v[61:62], 1, v[67:68]
	v_add_nc_u32_e32 v67, s33, v47
	v_add_co_u32 v71, vcc_lo, s14, v63
	v_add_co_ci_u32_e32 v72, vcc_lo, s15, v64, vcc_lo
	s_delay_alu instid0(VALU_DEP_3) | instskip(SKIP_3) | instid1(VALU_DEP_4)
	v_lshlrev_b64 v[63:64], 1, v[67:68]
	v_add_co_u32 v67, vcc_lo, s14, v61
	v_add_co_ci_u32_e32 v68, vcc_lo, s15, v62, vcc_lo
	v_dual_mov_b32 v62, v39 :: v_dual_add_nc_u32 v61, s34, v38
	v_add_co_u32 v73, vcc_lo, s14, v63
	v_add_nc_u32_e32 v38, s38, v38
	v_add_co_ci_u32_e32 v74, vcc_lo, s15, v64, vcc_lo
	s_delay_alu instid0(VALU_DEP_4)
	v_lshlrev_b64 v[75:76], 1, v[61:62]
	s_clause 0x7
	global_load_u16 v64, v[55:56], off
	global_load_u16 v63, v[65:66], off
	;; [unrolled: 1-line block ×8, first 2 shown]
	v_dual_mov_b32 v68, v39 :: v_dual_add_nc_u32 v67, s34, v45
	v_lshlrev_b64 v[65:66], 1, v[77:78]
	v_mov_b32_e32 v72, v39
	v_lshlrev_b64 v[73:74], 1, v[38:39]
	v_add_nc_u32_e32 v38, s38, v43
	v_add_nc_u32_e32 v71, s34, v47
	v_add_co_u32 v69, vcc_lo, s14, v75
	v_lshlrev_b64 v[67:68], 1, v[67:68]
	v_add_co_ci_u32_e32 v70, vcc_lo, s15, v76, vcc_lo
	v_add_co_u32 v65, vcc_lo, s14, v65
	v_lshlrev_b64 v[71:72], 1, v[71:72]
	v_add_co_ci_u32_e32 v66, vcc_lo, s15, v66, vcc_lo
	v_add_co_u32 v67, vcc_lo, s14, v67
	v_add_co_ci_u32_e32 v68, vcc_lo, s15, v68, vcc_lo
	s_delay_alu instid0(VALU_DEP_4)
	v_add_co_u32 v43, vcc_lo, s14, v71
	v_add_co_ci_u32_e32 v44, vcc_lo, s15, v72, vcc_lo
	v_lshlrev_b64 v[71:72], 1, v[38:39]
	v_add_nc_u32_e32 v38, s38, v45
	v_add_co_u32 v45, vcc_lo, s14, v73
	v_add_co_ci_u32_e32 v46, vcc_lo, s15, v74, vcc_lo
	s_delay_alu instid0(VALU_DEP_3) | instskip(SKIP_3) | instid1(VALU_DEP_3)
	v_lshlrev_b64 v[73:74], 1, v[38:39]
	v_add_nc_u32_e32 v38, s38, v47
	v_add_co_u32 v71, vcc_lo, s14, v71
	v_add_co_ci_u32_e32 v72, vcc_lo, s15, v72, vcc_lo
	v_lshlrev_b64 v[75:76], 1, v[38:39]
	v_add_co_u32 v73, vcc_lo, s14, v73
	v_add_co_ci_u32_e32 v74, vcc_lo, s15, v74, vcc_lo
	s_delay_alu instid0(VALU_DEP_3) | instskip(NEXT) | instid1(VALU_DEP_4)
	v_add_co_u32 v75, vcc_lo, s14, v75
	v_add_co_ci_u32_e32 v76, vcc_lo, s15, v76, vcc_lo
	s_clause 0x7
	global_load_u16 v59, v[69:70], off
	global_load_u16 v57, v[65:66], off
	;; [unrolled: 1-line block ×8, first 2 shown]
.LBB109_33:                             ;   in Loop: Header=BB109_12 Depth=1
	v_cmp_ne_u32_e32 vcc_lo, 0, v1
	s_and_saveexec_b32 s2, vcc_lo
	s_cbranch_execnz .LBB109_55
; %bb.34:                               ;   in Loop: Header=BB109_12 Depth=1
	s_or_b32 exec_lo, exec_lo, s2
	v_cmp_ne_u32_e64 s1, 0, v2
	s_delay_alu instid0(VALU_DEP_1)
	s_and_saveexec_b32 s3, s1
	s_cbranch_execnz .LBB109_56
.LBB109_35:                             ;   in Loop: Header=BB109_12 Depth=1
	s_or_b32 exec_lo, exec_lo, s3
	v_cmp_ne_u32_e64 s2, 0, v3
	s_delay_alu instid0(VALU_DEP_1)
	s_and_saveexec_b32 s4, s2
	s_cbranch_execnz .LBB109_57
.LBB109_36:                             ;   in Loop: Header=BB109_12 Depth=1
	s_or_b32 exec_lo, exec_lo, s4
	v_cmp_ne_u32_e64 s3, 0, v4
	s_delay_alu instid0(VALU_DEP_1)
	s_and_saveexec_b32 s41, s3
	s_cbranch_execnz .LBB109_58
.LBB109_37:                             ;   in Loop: Header=BB109_12 Depth=1
	s_or_b32 exec_lo, exec_lo, s41
	v_add_nc_u32_e32 v38, s19, v37
	s_and_saveexec_b32 s41, vcc_lo
	s_cbranch_execnz .LBB109_59
.LBB109_38:                             ;   in Loop: Header=BB109_12 Depth=1
	s_or_b32 exec_lo, exec_lo, s41
	s_and_saveexec_b32 s41, s1
	s_cbranch_execnz .LBB109_60
.LBB109_39:                             ;   in Loop: Header=BB109_12 Depth=1
	s_or_b32 exec_lo, exec_lo, s41
	s_and_saveexec_b32 s41, s2
	s_cbranch_execnz .LBB109_61
.LBB109_40:                             ;   in Loop: Header=BB109_12 Depth=1
	s_or_b32 exec_lo, exec_lo, s41
	s_and_saveexec_b32 s41, s3
	s_cbranch_execnz .LBB109_62
.LBB109_41:                             ;   in Loop: Header=BB109_12 Depth=1
	s_or_b32 exec_lo, exec_lo, s41
	v_add_nc_u32_e32 v38, s19, v38
	s_and_saveexec_b32 s41, vcc_lo
	s_cbranch_execnz .LBB109_63
.LBB109_42:                             ;   in Loop: Header=BB109_12 Depth=1
	s_or_b32 exec_lo, exec_lo, s41
	s_and_saveexec_b32 s41, s1
	s_cbranch_execnz .LBB109_64
.LBB109_43:                             ;   in Loop: Header=BB109_12 Depth=1
	s_or_b32 exec_lo, exec_lo, s41
	s_and_saveexec_b32 s41, s2
	s_cbranch_execnz .LBB109_65
.LBB109_44:                             ;   in Loop: Header=BB109_12 Depth=1
	s_or_b32 exec_lo, exec_lo, s41
	s_and_saveexec_b32 s41, s3
	s_cbranch_execnz .LBB109_66
.LBB109_45:                             ;   in Loop: Header=BB109_12 Depth=1
	s_or_b32 exec_lo, exec_lo, s41
	v_add_nc_u32_e32 v38, s19, v38
	s_and_saveexec_b32 s4, vcc_lo
	s_cbranch_execnz .LBB109_67
.LBB109_46:                             ;   in Loop: Header=BB109_12 Depth=1
	s_or_b32 exec_lo, exec_lo, s4
	s_and_saveexec_b32 s4, s1
	s_cbranch_execnz .LBB109_68
.LBB109_47:                             ;   in Loop: Header=BB109_12 Depth=1
	s_or_b32 exec_lo, exec_lo, s4
	s_and_saveexec_b32 s1, s2
	s_cbranch_execnz .LBB109_69
.LBB109_48:                             ;   in Loop: Header=BB109_12 Depth=1
	s_or_b32 exec_lo, exec_lo, s1
	s_delay_alu instid0(SALU_CYCLE_1)
	s_and_b32 exec_lo, exec_lo, s3
	s_cbranch_execz .LBB109_50
.LBB109_49:                             ;   in Loop: Header=BB109_12 Depth=1
	s_waitcnt lgkmcnt(4)
	v_dual_add_f32 v5, v8, v11 :: v_dual_add_nc_u32 v38, 3, v38
	s_waitcnt vmcnt(0)
	v_cvt_f32_f16_e32 v6, v43
	s_delay_alu instid0(VALU_DEP_1) | instskip(NEXT) | instid1(VALU_DEP_3)
	v_add_f32_e32 v7, v5, v6
	v_lshlrev_b64 v[5:6], 1, v[38:39]
	s_delay_alu instid0(VALU_DEP_2) | instskip(NEXT) | instid1(VALU_DEP_2)
	v_cvt_f16_f32_e32 v7, v7
	v_add_co_u32 v5, vcc_lo, s6, v5
	s_delay_alu instid0(VALU_DEP_3)
	v_add_co_ci_u32_e32 v6, vcc_lo, s7, v6, vcc_lo
	global_store_b16 v[5:6], v7, off
.LBB109_50:                             ;   in Loop: Header=BB109_12 Depth=1
	s_or_b32 exec_lo, exec_lo, s5
	v_add_nc_u32_e32 v37, s29, v37
	s_delay_alu instid0(VALU_DEP_1) | instskip(SKIP_1) | instid1(VALU_DEP_2)
	v_add_nc_u32_e32 v5, 4, v37
	v_cmp_gt_u32_e32 vcc_lo, s19, v37
	v_cmp_le_u32_e64 s1, s19, v5
	s_delay_alu instid0(VALU_DEP_1) | instskip(NEXT) | instid1(SALU_CYCLE_1)
	s_and_b32 s1, vcc_lo, s1
	s_and_saveexec_b32 s41, s1
	s_cbranch_execz .LBB109_10
; %bb.51:                               ;   in Loop: Header=BB109_12 Depth=1
	s_mov_b32 s42, exec_lo
	v_cmpx_ne_u32_e64 s31, v37
	s_cbranch_execz .LBB109_9
; %bb.52:                               ;   in Loop: Header=BB109_12 Depth=1
	v_subrev_nc_u32_e32 v5, s31, v37
	s_mov_b32 s43, 0
	s_mov_b64 s[4:5], 0
	s_delay_alu instid0(VALU_DEP_1)
	v_cmp_lt_u32_e32 vcc_lo, 1, v5
	v_cndmask_b32_e32 v5, 1, v5, vcc_lo
	.p2align	6
.LBB109_53:                             ;   Parent Loop BB109_12 Depth=1
                                        ; =>  This Inner Loop Header: Depth=2
	s_cmp_lg_u32 s4, 3
	s_cselect_b32 vcc_lo, -1, 0
	s_cmp_lg_u32 s4, 2
	v_cndmask_b32_e32 v4, 0, v4, vcc_lo
	s_cselect_b32 s1, -1, 0
	s_cmp_lg_u32 s4, 1
	v_cndmask_b32_e64 v3, 0, v3, s1
	s_cselect_b32 s2, -1, 0
	s_cmp_lg_u32 s4, 0
	v_cndmask_b32_e64 v2, 0, v2, s2
	s_cselect_b32 s3, -1, 0
	s_add_u32 s4, s4, 1
	v_cndmask_b32_e64 v1, 0, v1, s3
	v_cmp_eq_u32_e32 vcc_lo, s4, v5
	s_addc_u32 s5, s5, 0
	s_or_b32 s43, vcc_lo, s43
	s_delay_alu instid0(SALU_CYCLE_1)
	s_and_not1_b32 exec_lo, exec_lo, s43
	s_cbranch_execnz .LBB109_53
; %bb.54:                               ;   in Loop: Header=BB109_12 Depth=1
	s_or_b32 exec_lo, exec_lo, s43
	s_branch .LBB109_9
.LBB109_55:                             ;   in Loop: Header=BB109_12 Depth=1
	s_waitcnt lgkmcnt(13)
	v_dual_add_f32 v41, v41, v42 :: v_dual_mov_b32 v38, v39
	s_waitcnt vmcnt(15)
	v_cvt_f32_f16_e32 v42, v64
	s_delay_alu instid0(VALU_DEP_1) | instskip(NEXT) | instid1(VALU_DEP_3)
	v_add_f32_e32 v64, v41, v42
	v_lshlrev_b64 v[41:42], 1, v[37:38]
	s_delay_alu instid0(VALU_DEP_2) | instskip(NEXT) | instid1(VALU_DEP_2)
	v_cvt_f16_f32_e32 v38, v64
	v_add_co_u32 v41, s1, s6, v41
	s_delay_alu instid0(VALU_DEP_1) | instskip(SKIP_3) | instid1(VALU_DEP_1)
	v_add_co_ci_u32_e64 v42, s1, s7, v42, s1
	global_store_b16 v[41:42], v38, off
	s_or_b32 exec_lo, exec_lo, s2
	v_cmp_ne_u32_e64 s1, 0, v2
	s_and_saveexec_b32 s3, s1
	s_cbranch_execz .LBB109_35
.LBB109_56:                             ;   in Loop: Header=BB109_12 Depth=1
	v_mov_b32_e32 v38, v39
	s_waitcnt lgkmcnt(12)
	v_add_f32_e32 v32, v32, v35
	s_waitcnt vmcnt(14)
	v_cvt_f32_f16_e32 v35, v63
	v_lshlrev_b64 v[41:42], 1, v[37:38]
	s_delay_alu instid0(VALU_DEP_2) | instskip(NEXT) | instid1(VALU_DEP_2)
	v_add_f32_e32 v32, v32, v35
	v_add_co_u32 v41, s2, s35, v41
	s_delay_alu instid0(VALU_DEP_2) | instskip(NEXT) | instid1(VALU_DEP_4)
	v_cvt_f16_f32_e32 v32, v32
	v_add_co_ci_u32_e64 v42, s2, s36, v42, s2
	global_store_b16 v[41:42], v32, off
	s_or_b32 exec_lo, exec_lo, s3
	v_cmp_ne_u32_e64 s2, 0, v3
	s_delay_alu instid0(VALU_DEP_1)
	s_and_saveexec_b32 s4, s2
	s_cbranch_execz .LBB109_36
.LBB109_57:                             ;   in Loop: Header=BB109_12 Depth=1
	s_waitcnt lgkmcnt(11)
	v_add_f32_e32 v29, v7, v29
	v_mov_b32_e32 v7, v39
	s_waitcnt vmcnt(13)
	v_cvt_f32_f16_e32 v32, v62
	s_delay_alu instid0(VALU_DEP_2) | instskip(NEXT) | instid1(VALU_DEP_2)
	v_lshlrev_b64 v[6:7], 1, v[6:7]
	v_add_f32_e32 v29, v29, v32
	s_delay_alu instid0(VALU_DEP_1) | instskip(NEXT) | instid1(VALU_DEP_3)
	v_cvt_f16_f32_e32 v29, v29
	v_add_co_u32 v6, s3, s6, v6
	s_delay_alu instid0(VALU_DEP_1) | instskip(SKIP_3) | instid1(VALU_DEP_1)
	v_add_co_ci_u32_e64 v7, s3, s7, v7, s3
	global_store_b16 v[6:7], v29, off
	s_or_b32 exec_lo, exec_lo, s4
	v_cmp_ne_u32_e64 s3, 0, v4
	s_and_saveexec_b32 s41, s3
	s_cbranch_execz .LBB109_37
.LBB109_58:                             ;   in Loop: Header=BB109_12 Depth=1
	s_waitcnt lgkmcnt(7)
	v_dual_add_f32 v7, v21, v24 :: v_dual_mov_b32 v6, v39
	s_waitcnt vmcnt(12)
	v_cvt_f32_f16_e32 v21, v61
	s_delay_alu instid0(VALU_DEP_2) | instskip(NEXT) | instid1(VALU_DEP_2)
	v_lshlrev_b64 v[5:6], 1, v[5:6]
	v_add_f32_e32 v7, v7, v21
	s_delay_alu instid0(VALU_DEP_1) | instskip(NEXT) | instid1(VALU_DEP_3)
	v_cvt_f16_f32_e32 v7, v7
	v_add_co_u32 v5, s4, s6, v5
	s_delay_alu instid0(VALU_DEP_1)
	v_add_co_ci_u32_e64 v6, s4, s7, v6, s4
	global_store_b16 v[5:6], v7, off
	s_or_b32 exec_lo, exec_lo, s41
	v_add_nc_u32_e32 v38, s19, v37
	s_and_saveexec_b32 s41, vcc_lo
	s_cbranch_execz .LBB109_38
.LBB109_59:                             ;   in Loop: Header=BB109_12 Depth=1
	s_waitcnt lgkmcnt(15)
	v_add_f32_e32 v5, v14, v17
	s_waitcnt vmcnt(11)
	v_cvt_f32_f16_e32 v6, v60
	s_delay_alu instid0(VALU_DEP_1) | instskip(SKIP_1) | instid1(VALU_DEP_2)
	v_add_f32_e32 v7, v5, v6
	v_lshlrev_b64 v[5:6], 1, v[38:39]
	v_cvt_f16_f32_e32 v7, v7
	s_delay_alu instid0(VALU_DEP_2) | instskip(NEXT) | instid1(VALU_DEP_1)
	v_add_co_u32 v5, s4, s6, v5
	v_add_co_ci_u32_e64 v6, s4, s7, v6, s4
	global_store_b16 v[5:6], v7, off
	s_or_b32 exec_lo, exec_lo, s41
	s_and_saveexec_b32 s41, s1
	s_cbranch_execz .LBB109_39
.LBB109_60:                             ;   in Loop: Header=BB109_12 Depth=1
	s_waitcnt lgkmcnt(14)
	v_dual_add_f32 v7, v10, v13 :: v_dual_mov_b32 v6, v39
	v_add_nc_u32_e32 v5, 1, v38
	s_waitcnt vmcnt(10)
	v_cvt_f32_f16_e32 v10, v58
	s_delay_alu instid0(VALU_DEP_2) | instskip(NEXT) | instid1(VALU_DEP_2)
	v_lshlrev_b64 v[5:6], 1, v[5:6]
	v_add_f32_e32 v7, v7, v10
	s_delay_alu instid0(VALU_DEP_1) | instskip(NEXT) | instid1(VALU_DEP_3)
	v_cvt_f16_f32_e32 v7, v7
	v_add_co_u32 v5, s4, s6, v5
	s_delay_alu instid0(VALU_DEP_1)
	v_add_co_ci_u32_e64 v6, s4, s7, v6, s4
	global_store_b16 v[5:6], v7, off
	s_or_b32 exec_lo, exec_lo, s41
	s_and_saveexec_b32 s41, s2
	s_cbranch_execz .LBB109_40
.LBB109_61:                             ;   in Loop: Header=BB109_12 Depth=1
	s_waitcnt lgkmcnt(5)
	v_dual_add_f32 v7, v33, v36 :: v_dual_mov_b32 v6, v39
	v_add_nc_u32_e32 v5, 2, v38
	s_waitcnt vmcnt(9)
	v_cvt_f32_f16_e32 v10, v56
	s_delay_alu instid0(VALU_DEP_2) | instskip(NEXT) | instid1(VALU_DEP_2)
	v_lshlrev_b64 v[5:6], 1, v[5:6]
	v_add_f32_e32 v7, v7, v10
	s_delay_alu instid0(VALU_DEP_1) | instskip(NEXT) | instid1(VALU_DEP_3)
	v_cvt_f16_f32_e32 v7, v7
	v_add_co_u32 v5, s4, s6, v5
	s_delay_alu instid0(VALU_DEP_1)
	v_add_co_ci_u32_e64 v6, s4, s7, v6, s4
	global_store_b16 v[5:6], v7, off
	s_or_b32 exec_lo, exec_lo, s41
	s_and_saveexec_b32 s41, s3
	s_cbranch_execz .LBB109_41
.LBB109_62:                             ;   in Loop: Header=BB109_12 Depth=1
	v_dual_mov_b32 v6, v39 :: v_dual_add_nc_u32 v5, 3, v38
	s_waitcnt lgkmcnt(8)
	v_add_f32_e32 v7, v27, v30
	s_waitcnt vmcnt(8)
	v_cvt_f32_f16_e32 v10, v48
	v_lshlrev_b64 v[5:6], 1, v[5:6]
	s_delay_alu instid0(VALU_DEP_2) | instskip(NEXT) | instid1(VALU_DEP_2)
	v_add_f32_e32 v7, v7, v10
	v_add_co_u32 v5, s4, s6, v5
	s_delay_alu instid0(VALU_DEP_2) | instskip(NEXT) | instid1(VALU_DEP_4)
	v_cvt_f16_f32_e32 v7, v7
	v_add_co_ci_u32_e64 v6, s4, s7, v6, s4
	global_store_b16 v[5:6], v7, off
	s_or_b32 exec_lo, exec_lo, s41
	v_add_nc_u32_e32 v38, s19, v38
	s_and_saveexec_b32 s41, vcc_lo
	s_cbranch_execz .LBB109_42
.LBB109_63:                             ;   in Loop: Header=BB109_12 Depth=1
	s_waitcnt lgkmcnt(10)
	v_add_f32_e32 v5, v20, v23
	s_waitcnt vmcnt(7)
	v_cvt_f32_f16_e32 v6, v59
	s_delay_alu instid0(VALU_DEP_1) | instskip(SKIP_1) | instid1(VALU_DEP_2)
	v_add_f32_e32 v7, v5, v6
	v_lshlrev_b64 v[5:6], 1, v[38:39]
	v_cvt_f16_f32_e32 v7, v7
	s_delay_alu instid0(VALU_DEP_2) | instskip(NEXT) | instid1(VALU_DEP_1)
	v_add_co_u32 v5, s4, s6, v5
	v_add_co_ci_u32_e64 v6, s4, s7, v6, s4
	global_store_b16 v[5:6], v7, off
	s_or_b32 exec_lo, exec_lo, s41
	s_and_saveexec_b32 s41, s1
	s_cbranch_execz .LBB109_43
.LBB109_64:                             ;   in Loop: Header=BB109_12 Depth=1
	s_waitcnt lgkmcnt(6)
	v_dual_add_f32 v7, v16, v19 :: v_dual_mov_b32 v6, v39
	v_add_nc_u32_e32 v5, 1, v38
	s_waitcnt vmcnt(6)
	v_cvt_f32_f16_e32 v10, v57
	s_delay_alu instid0(VALU_DEP_2) | instskip(NEXT) | instid1(VALU_DEP_2)
	v_lshlrev_b64 v[5:6], 1, v[5:6]
	v_add_f32_e32 v7, v7, v10
	s_delay_alu instid0(VALU_DEP_1) | instskip(NEXT) | instid1(VALU_DEP_3)
	v_cvt_f16_f32_e32 v7, v7
	v_add_co_u32 v5, s4, s6, v5
	s_delay_alu instid0(VALU_DEP_1)
	v_add_co_ci_u32_e64 v6, s4, s7, v6, s4
	global_store_b16 v[5:6], v7, off
	s_or_b32 exec_lo, exec_lo, s41
	s_and_saveexec_b32 s41, s2
	s_cbranch_execz .LBB109_44
.LBB109_65:                             ;   in Loop: Header=BB109_12 Depth=1
	s_waitcnt lgkmcnt(9)
	v_dual_add_f32 v7, v9, v12 :: v_dual_mov_b32 v6, v39
	v_add_nc_u32_e32 v5, 2, v38
	s_waitcnt vmcnt(5)
	v_cvt_f32_f16_e32 v9, v55
	s_delay_alu instid0(VALU_DEP_2) | instskip(NEXT) | instid1(VALU_DEP_2)
	v_lshlrev_b64 v[5:6], 1, v[5:6]
	v_add_f32_e32 v7, v7, v9
	s_delay_alu instid0(VALU_DEP_1) | instskip(NEXT) | instid1(VALU_DEP_3)
	v_cvt_f16_f32_e32 v7, v7
	v_add_co_u32 v5, s4, s6, v5
	s_delay_alu instid0(VALU_DEP_1)
	v_add_co_ci_u32_e64 v6, s4, s7, v6, s4
	global_store_b16 v[5:6], v7, off
	s_or_b32 exec_lo, exec_lo, s41
	s_and_saveexec_b32 s41, s3
	s_cbranch_execz .LBB109_45
.LBB109_66:                             ;   in Loop: Header=BB109_12 Depth=1
	v_dual_mov_b32 v6, v39 :: v_dual_add_nc_u32 v5, 3, v38
	s_waitcnt lgkmcnt(3)
	v_add_f32_e32 v7, v31, v34
	s_waitcnt vmcnt(4)
	v_cvt_f32_f16_e32 v9, v47
	v_lshlrev_b64 v[5:6], 1, v[5:6]
	s_delay_alu instid0(VALU_DEP_2) | instskip(NEXT) | instid1(VALU_DEP_2)
	v_add_f32_e32 v7, v7, v9
	v_add_co_u32 v5, s4, s6, v5
	s_delay_alu instid0(VALU_DEP_2) | instskip(NEXT) | instid1(VALU_DEP_4)
	v_cvt_f16_f32_e32 v7, v7
	v_add_co_ci_u32_e64 v6, s4, s7, v6, s4
	global_store_b16 v[5:6], v7, off
	s_or_b32 exec_lo, exec_lo, s41
	v_add_nc_u32_e32 v38, s19, v38
	s_and_saveexec_b32 s4, vcc_lo
	s_cbranch_execz .LBB109_46
.LBB109_67:                             ;   in Loop: Header=BB109_12 Depth=1
	s_waitcnt lgkmcnt(1)
	v_add_f32_e32 v5, v26, v28
	s_waitcnt vmcnt(3)
	v_cvt_f32_f16_e32 v6, v46
	s_delay_alu instid0(VALU_DEP_1) | instskip(SKIP_1) | instid1(VALU_DEP_2)
	v_add_f32_e32 v7, v5, v6
	v_lshlrev_b64 v[5:6], 1, v[38:39]
	v_cvt_f16_f32_e32 v7, v7
	s_delay_alu instid0(VALU_DEP_2) | instskip(NEXT) | instid1(VALU_DEP_3)
	v_add_co_u32 v5, vcc_lo, s6, v5
	v_add_co_ci_u32_e32 v6, vcc_lo, s7, v6, vcc_lo
	global_store_b16 v[5:6], v7, off
	s_or_b32 exec_lo, exec_lo, s4
	s_and_saveexec_b32 s4, s1
	s_cbranch_execz .LBB109_47
.LBB109_68:                             ;   in Loop: Header=BB109_12 Depth=1
	s_waitcnt lgkmcnt(2)
	v_dual_add_f32 v7, v22, v25 :: v_dual_mov_b32 v6, v39
	v_add_nc_u32_e32 v5, 1, v38
	s_waitcnt vmcnt(2)
	v_cvt_f32_f16_e32 v9, v45
	s_delay_alu instid0(VALU_DEP_2) | instskip(NEXT) | instid1(VALU_DEP_2)
	v_lshlrev_b64 v[5:6], 1, v[5:6]
	v_add_f32_e32 v7, v7, v9
	s_delay_alu instid0(VALU_DEP_1) | instskip(NEXT) | instid1(VALU_DEP_3)
	v_cvt_f16_f32_e32 v7, v7
	v_add_co_u32 v5, vcc_lo, s6, v5
	s_delay_alu instid0(VALU_DEP_4)
	v_add_co_ci_u32_e32 v6, vcc_lo, s7, v6, vcc_lo
	global_store_b16 v[5:6], v7, off
	s_or_b32 exec_lo, exec_lo, s4
	s_and_saveexec_b32 s1, s2
	s_cbranch_execz .LBB109_48
.LBB109_69:                             ;   in Loop: Header=BB109_12 Depth=1
	v_dual_mov_b32 v6, v39 :: v_dual_add_nc_u32 v5, 2, v38
	s_waitcnt lgkmcnt(0)
	v_add_f32_e32 v7, v15, v18
	s_waitcnt vmcnt(1)
	v_cvt_f32_f16_e32 v9, v44
	v_lshlrev_b64 v[5:6], 1, v[5:6]
	s_delay_alu instid0(VALU_DEP_2) | instskip(NEXT) | instid1(VALU_DEP_2)
	v_add_f32_e32 v7, v7, v9
	v_add_co_u32 v5, vcc_lo, s6, v5
	s_delay_alu instid0(VALU_DEP_2) | instskip(NEXT) | instid1(VALU_DEP_4)
	v_cvt_f16_f32_e32 v7, v7
	v_add_co_ci_u32_e32 v6, vcc_lo, s7, v6, vcc_lo
	global_store_b16 v[5:6], v7, off
	s_or_b32 exec_lo, exec_lo, s1
	s_delay_alu instid0(SALU_CYCLE_1)
	s_and_b32 exec_lo, exec_lo, s3
	s_cbranch_execnz .LBB109_49
	s_branch .LBB109_50
.LBB109_70:
	s_nop 0
	s_sendmsg sendmsg(MSG_DEALLOC_VGPRS)
	s_endpgm
	.section	.rodata,"a",@progbits
	.p2align	6, 0x0
	.amdhsa_kernel _Z16wvSplitK_hf_big_I6__halfLi32ELi4ELi16ELi8ELi1ELi4EEviiiiiiPKT_S3_S3_PS1_ii
		.amdhsa_group_segment_fixed_size 65536
		.amdhsa_private_segment_fixed_size 0
		.amdhsa_kernarg_size 64
		.amdhsa_user_sgpr_count 15
		.amdhsa_user_sgpr_dispatch_ptr 0
		.amdhsa_user_sgpr_queue_ptr 0
		.amdhsa_user_sgpr_kernarg_segment_ptr 1
		.amdhsa_user_sgpr_dispatch_id 0
		.amdhsa_user_sgpr_private_segment_size 0
		.amdhsa_wavefront_size32 1
		.amdhsa_uses_dynamic_stack 0
		.amdhsa_enable_private_segment 0
		.amdhsa_system_sgpr_workgroup_id_x 1
		.amdhsa_system_sgpr_workgroup_id_y 0
		.amdhsa_system_sgpr_workgroup_id_z 0
		.amdhsa_system_sgpr_workgroup_info 0
		.amdhsa_system_vgpr_workitem_id 1
		.amdhsa_next_free_vgpr 79
		.amdhsa_next_free_sgpr 44
		.amdhsa_reserve_vcc 1
		.amdhsa_float_round_mode_32 0
		.amdhsa_float_round_mode_16_64 0
		.amdhsa_float_denorm_mode_32 3
		.amdhsa_float_denorm_mode_16_64 3
		.amdhsa_dx10_clamp 1
		.amdhsa_ieee_mode 1
		.amdhsa_fp16_overflow 0
		.amdhsa_workgroup_processor_mode 1
		.amdhsa_memory_ordered 1
		.amdhsa_forward_progress 0
		.amdhsa_shared_vgpr_count 0
		.amdhsa_exception_fp_ieee_invalid_op 0
		.amdhsa_exception_fp_denorm_src 0
		.amdhsa_exception_fp_ieee_div_zero 0
		.amdhsa_exception_fp_ieee_overflow 0
		.amdhsa_exception_fp_ieee_underflow 0
		.amdhsa_exception_fp_ieee_inexact 0
		.amdhsa_exception_int_div_zero 0
	.end_amdhsa_kernel
	.section	.text._Z16wvSplitK_hf_big_I6__halfLi32ELi4ELi16ELi8ELi1ELi4EEviiiiiiPKT_S3_S3_PS1_ii,"axG",@progbits,_Z16wvSplitK_hf_big_I6__halfLi32ELi4ELi16ELi8ELi1ELi4EEviiiiiiPKT_S3_S3_PS1_ii,comdat
.Lfunc_end109:
	.size	_Z16wvSplitK_hf_big_I6__halfLi32ELi4ELi16ELi8ELi1ELi4EEviiiiiiPKT_S3_S3_PS1_ii, .Lfunc_end109-_Z16wvSplitK_hf_big_I6__halfLi32ELi4ELi16ELi8ELi1ELi4EEviiiiiiPKT_S3_S3_PS1_ii
                                        ; -- End function
	.section	.AMDGPU.csdata,"",@progbits
; Kernel info:
; codeLenInByte = 7332
; NumSgprs: 46
; NumVgprs: 79
; ScratchSize: 0
; MemoryBound: 0
; FloatMode: 240
; IeeeMode: 1
; LDSByteSize: 65536 bytes/workgroup (compile time only)
; SGPRBlocks: 5
; VGPRBlocks: 9
; NumSGPRsForWavesPerEU: 46
; NumVGPRsForWavesPerEU: 79
; Occupancy: 8
; WaveLimiterHint : 0
; COMPUTE_PGM_RSRC2:SCRATCH_EN: 0
; COMPUTE_PGM_RSRC2:USER_SGPR: 15
; COMPUTE_PGM_RSRC2:TRAP_HANDLER: 0
; COMPUTE_PGM_RSRC2:TGID_X_EN: 1
; COMPUTE_PGM_RSRC2:TGID_Y_EN: 0
; COMPUTE_PGM_RSRC2:TGID_Z_EN: 0
; COMPUTE_PGM_RSRC2:TIDIG_COMP_CNT: 1
	.section	.text._Z16wvSplitK_hf_sml_I6__halfLi32ELi4ELi16ELi8ELi2ELi4EEviiiiiiPKT_S3_S3_PS1_ii,"axG",@progbits,_Z16wvSplitK_hf_sml_I6__halfLi32ELi4ELi16ELi8ELi2ELi4EEviiiiiiPKT_S3_S3_PS1_ii,comdat
	.protected	_Z16wvSplitK_hf_sml_I6__halfLi32ELi4ELi16ELi8ELi2ELi4EEviiiiiiPKT_S3_S3_PS1_ii ; -- Begin function _Z16wvSplitK_hf_sml_I6__halfLi32ELi4ELi16ELi8ELi2ELi4EEviiiiiiPKT_S3_S3_PS1_ii
	.globl	_Z16wvSplitK_hf_sml_I6__halfLi32ELi4ELi16ELi8ELi2ELi4EEviiiiiiPKT_S3_S3_PS1_ii
	.p2align	8
	.type	_Z16wvSplitK_hf_sml_I6__halfLi32ELi4ELi16ELi8ELi2ELi4EEviiiiiiPKT_S3_S3_PS1_ii,@function
_Z16wvSplitK_hf_sml_I6__halfLi32ELi4ELi16ELi8ELi2ELi4EEviiiiiiPKT_S3_S3_PS1_ii: ; @_Z16wvSplitK_hf_sml_I6__halfLi32ELi4ELi16ELi8ELi2ELi4EEviiiiiiPKT_S3_S3_PS1_ii
; %bb.0:
	s_load_b128 s[4:7], s[0:1], 0x0
	v_and_b32_e32 v1, 0x3ff, v0
	v_bfe_u32 v0, v0, 10, 10
	s_mov_b32 s8, exec_lo
	s_delay_alu instid0(VALU_DEP_2) | instskip(NEXT) | instid1(VALU_DEP_1)
	v_lshlrev_b32_e32 v75, 3, v1
	v_lshl_add_u32 v3, v0, 8, v75
	s_waitcnt lgkmcnt(0)
	s_lshl_b32 s14, s6, 2
	s_delay_alu instid0(SALU_CYCLE_1)
	s_min_u32 s9, s14, 0x8000
	s_delay_alu instid0(VALU_DEP_1) | instid1(SALU_CYCLE_1)
	v_cmpx_gt_u32_e64 s9, v3
	s_cbranch_execz .LBB110_9
; %bb.1:
	s_load_b64 s[2:3], s[0:1], 0x20
	v_lshlrev_b32_e32 v2, 1, v3
	v_add_nc_u32_e32 v8, 0x1000, v3
	s_mov_b32 s10, exec_lo
	s_waitcnt lgkmcnt(0)
	global_load_b128 v[4:7], v2, s[2:3]
	s_waitcnt vmcnt(0)
	ds_store_b128 v2, v[4:7]
	v_cmpx_gt_u32_e64 s9, v8
	s_xor_b32 s10, exec_lo, s10
	s_cbranch_execz .LBB110_9
; %bb.2:
	v_add_co_u32 v4, s2, s2, v2
	s_delay_alu instid0(VALU_DEP_1) | instskip(SKIP_1) | instid1(VALU_DEP_3)
	v_add_co_ci_u32_e64 v5, null, s3, 0, s2
	v_add_nc_u32_e32 v10, 0x2000, v3
	v_add_co_u32 v6, vcc_lo, 0x2000, v4
	s_delay_alu instid0(VALU_DEP_3)
	v_add_co_ci_u32_e32 v7, vcc_lo, 0, v5, vcc_lo
	s_mov_b32 s2, exec_lo
	global_load_b128 v[6:9], v[6:7], off
	s_waitcnt vmcnt(0)
	ds_store_b128 v2, v[6:9] offset:8192
	v_cmpx_gt_u32_e64 s9, v10
	s_xor_b32 s2, exec_lo, s2
	s_cbranch_execz .LBB110_9
; %bb.3:
	v_add_co_u32 v6, vcc_lo, 0x4000, v4
	v_add_co_ci_u32_e32 v7, vcc_lo, 0, v5, vcc_lo
	v_add_nc_u32_e32 v10, 0x3000, v3
	s_mov_b32 s2, exec_lo
	global_load_b128 v[6:9], v[6:7], off
	s_waitcnt vmcnt(0)
	ds_store_b128 v2, v[6:9] offset:16384
	v_cmpx_gt_u32_e64 s9, v10
	s_xor_b32 s2, exec_lo, s2
	s_cbranch_execz .LBB110_9
; %bb.4:
	v_add_co_u32 v6, vcc_lo, 0x6000, v4
	v_add_co_ci_u32_e32 v7, vcc_lo, 0, v5, vcc_lo
	v_add_nc_u32_e32 v10, 0x4000, v3
	;; [unrolled: 11-line block ×5, first 2 shown]
	s_mov_b32 s2, exec_lo
	global_load_b128 v[6:9], v[6:7], off
	s_waitcnt vmcnt(0)
	ds_store_b128 v2, v[6:9] offset:49152
	v_cmpx_gt_u32_e64 s9, v3
	s_xor_b32 s2, exec_lo, s2
	s_cbranch_execz .LBB110_9
; %bb.8:
	v_add_co_u32 v3, vcc_lo, 0xe000, v4
	v_add_co_ci_u32_e32 v4, vcc_lo, 0, v5, vcc_lo
	global_load_b128 v[3:6], v[3:4], off
	s_waitcnt vmcnt(0)
	ds_store_b128 v2, v[3:6] offset:57344
.LBB110_9:
	s_or_b32 exec_lo, exec_lo, s8
	s_load_b64 s[16:17], s[0:1], 0x38
	s_waitcnt lgkmcnt(0)
	s_barrier
	buffer_gl0_inv
	s_mov_b32 s2, exec_lo
	v_cmpx_gt_u32_e64 s16, v0
	s_cbranch_execz .LBB110_26
; %bb.10:
	s_load_b64 s[2:3], s[0:1], 0x10
	s_mul_i32 s15, s15, s16
	s_delay_alu instid0(SALU_CYCLE_1) | instskip(NEXT) | instid1(VALU_DEP_1)
	v_add_lshl_u32 v56, s15, v0, 2
	v_cmp_gt_u32_e32 vcc_lo, s7, v56
	s_and_b32 exec_lo, exec_lo, vcc_lo
	s_cbranch_execz .LBB110_26
; %bb.11:
	s_clause 0x1
	s_load_b128 s[8:11], s[0:1], 0x28
	s_load_b64 s[12:13], s[0:1], 0x18
	s_cmp_lg_u32 s4, 0
	s_waitcnt lgkmcnt(0)
	v_cvt_f32_u32_e32 v2, s2
	s_cselect_b32 s1, -1, 0
	s_add_i32 s15, s4, -8
	s_add_i32 s18, s7, -1
	s_mul_i32 s0, s16, s17
	v_rcp_iflag_f32_e32 v2, v2
	v_lshlrev_b32_e32 v76, 4, v1
	v_mov_b32_e32 v58, 0
	v_mbcnt_lo_u32_b32 v77, -1, 0
	s_cmp_lg_u64 s[8:9], 0
	s_cselect_b32 s19, -1, 0
	s_abs_i32 s20, s3
	s_lshl_b32 s16, s0, 2
	v_cvt_f32_u32_e32 v0, s20
	s_sub_i32 s21, 0, s20
	s_sub_i32 s22, 0, s2
	s_mov_b32 s3, 0
	s_delay_alu instid0(VALU_DEP_1) | instskip(SKIP_2) | instid1(VALU_DEP_1)
	v_rcp_iflag_f32_e32 v0, v0
	s_waitcnt_depctr 0xfff
	v_mul_f32_e32 v0, 0x4f7ffffe, v0
	v_cvt_u32_f32_e32 v0, v0
	s_delay_alu instid0(VALU_DEP_1) | instskip(SKIP_1) | instid1(VALU_DEP_2)
	v_readfirstlane_b32 s17, v0
	v_mul_f32_e32 v0, 0x4f7ffffe, v2
	s_mul_i32 s21, s21, s17
	s_delay_alu instid0(VALU_DEP_1)
	v_cvt_u32_f32_e32 v0, v0
	s_mul_hi_u32 s0, s17, s21
	s_sub_i32 s21, 1, s20
	s_add_i32 s23, s17, s0
	s_cmp_lt_u32 s20, 2
	v_mul_lo_u32 v2, s22, v0
	s_cselect_b32 s17, s21, 1
	v_cmp_eq_u32_e64 s0, 31, v1
	s_sub_i32 s21, s17, s20
	s_cmp_ge_u32 s17, s20
	s_cselect_b32 s21, s21, s17
	s_lshr_b32 s17, s23, 31
	s_mul_hi_u32 s23, s23, 3
	s_mul_i32 s22, s17, s20
	s_mul_i32 s23, s23, s20
	s_sub_i32 s22, 2, s22
	v_mul_hi_u32 v1, v0, v2
	s_sub_i32 s24, s22, s20
	s_cmp_ge_u32 s22, s20
	s_mul_i32 s17, s6, 6
	s_cselect_b32 s22, s24, s22
	s_delay_alu instid0(SALU_CYCLE_1) | instskip(SKIP_1) | instid1(VALU_DEP_1)
	s_sub_i32 s24, s22, s20
	s_cmp_ge_u32 s22, s20
	v_add_nc_u32_e32 v78, v0, v1
	s_cselect_b32 s22, s24, s22
	s_sub_i32 s23, 3, s23
	s_delay_alu instid0(SALU_CYCLE_1) | instskip(SKIP_2) | instid1(SALU_CYCLE_1)
	s_sub_i32 s24, s23, s20
	s_cmp_ge_u32 s23, s20
	s_cselect_b32 s23, s24, s23
	s_sub_i32 s24, s23, s20
	s_cmp_ge_u32 s23, s20
	s_mul_i32 s20, s21, s2
	s_cselect_b32 s23, s24, s23
	s_mul_i32 s21, s22, s2
	s_mul_i32 s22, s23, s2
	s_lshl_b32 s6, s6, 1
	s_branch .LBB110_14
.LBB110_12:                             ;   in Loop: Header=BB110_14 Depth=1
	s_waitcnt lgkmcnt(14)
	v_dual_add_f32 v0, v0, v1 :: v_dual_add_f32 v1, v2, v7
	s_waitcnt vmcnt(15)
	v_cvt_f32_f16_e32 v7, v47
	s_waitcnt lgkmcnt(12)
	v_dual_add_f32 v2, v3, v8 :: v_dual_add_f32 v3, v4, v9
	s_waitcnt lgkmcnt(10)
	v_dual_add_f32 v4, v5, v10 :: v_dual_add_f32 v5, v6, v11
	;; [unrolled: 2-line block ×5, first 2 shown]
	s_waitcnt vmcnt(14)
	v_cvt_f32_f16_e32 v15, v46
	s_waitcnt vmcnt(13)
	v_cvt_f32_f16_e32 v16, v45
	s_waitcnt vmcnt(12)
	v_cvt_f32_f16_e32 v17, v44
	v_add_f32_e32 v0, v0, v7
	v_dual_add_f32 v12, v27, v30 :: v_dual_add_f32 v7, v1, v15
	s_delay_alu instid0(VALU_DEP_3) | instskip(NEXT) | instid1(VALU_DEP_3)
	v_dual_add_f32 v2, v2, v16 :: v_dual_add_f32 v3, v3, v17
	v_cvt_f16_f32_e32 v15, v0
	v_lshlrev_b64 v[0:1], 1, v[56:57]
	s_delay_alu instid0(VALU_DEP_4) | instskip(NEXT) | instid1(VALU_DEP_4)
	v_cvt_f16_f32_e32 v7, v7
	v_cvt_f16_f32_e32 v2, v2
	;; [unrolled: 1-line block ×3, first 2 shown]
	s_waitcnt vmcnt(11)
	v_cvt_f32_f16_e32 v16, v42
	s_waitcnt lgkmcnt(2)
	v_dual_add_f32 v14, v26, v29 :: v_dual_add_nc_u32 v57, s7, v56
	v_add_co_u32 v0, vcc_lo, s10, v0
	v_add_co_ci_u32_e32 v1, vcc_lo, s11, v1, vcc_lo
	v_pack_b32_f16 v3, v2, v3
	v_pack_b32_f16 v2, v15, v7
	s_waitcnt vmcnt(10)
	v_cvt_f32_f16_e32 v7, v39
	v_add_f32_e32 v4, v4, v16
	s_waitcnt vmcnt(9)
	v_cvt_f32_f16_e32 v17, v37
	s_waitcnt vmcnt(8)
	v_cvt_f32_f16_e32 v20, v35
	global_store_b64 v[0:1], v[2:3], off
	v_dual_mov_b32 v3, v58 :: v_dual_add_nc_u32 v2, 1, v57
	v_add_f32_e32 v7, v5, v7
	v_mov_b32_e32 v5, v58
	v_lshlrev_b64 v[0:1], 1, v[57:58]
	v_cvt_f16_f32_e32 v16, v4
	v_add_nc_u32_e32 v4, 2, v57
	v_lshlrev_b64 v[2:3], 1, v[2:3]
	v_cvt_f16_f32_e32 v19, v7
	v_mov_b32_e32 v7, v58
	v_dual_add_f32 v17, v6, v17 :: v_dual_add_f32 v8, v8, v20
	s_waitcnt vmcnt(7)
	v_cvt_f32_f16_e32 v20, v43
	v_add_nc_u32_e32 v6, 3, v57
	v_add_co_u32 v0, vcc_lo, s10, v0
	v_lshlrev_b64 v[4:5], 1, v[4:5]
	s_delay_alu instid0(VALU_DEP_4)
	v_add_f32_e32 v9, v9, v20
	v_add_co_ci_u32_e32 v1, vcc_lo, s11, v1, vcc_lo
	v_add_co_u32 v2, vcc_lo, s10, v2
	v_lshlrev_b64 v[6:7], 1, v[6:7]
	v_add_co_ci_u32_e32 v3, vcc_lo, s11, v3, vcc_lo
	s_waitcnt vmcnt(6)
	v_cvt_f32_f16_e32 v21, v41
	v_add_co_u32 v4, vcc_lo, s10, v4
	v_add_co_ci_u32_e32 v5, vcc_lo, s11, v5, vcc_lo
	s_waitcnt vmcnt(5)
	v_cvt_f32_f16_e32 v20, v40
	v_add_co_u32 v6, vcc_lo, s10, v6
	v_cvt_f16_f32_e32 v17, v17
	v_add_f32_e32 v10, v10, v21
	v_cvt_f16_f32_e32 v8, v8
	v_add_co_ci_u32_e32 v7, vcc_lo, s11, v7, vcc_lo
	v_add_nc_u32_e32 v57, s7, v57
	s_clause 0x3
	global_store_b16 v[0:1], v16, off
	global_store_b16 v[2:3], v19, off
	;; [unrolled: 1-line block ×4, first 2 shown]
	v_add_f32_e32 v6, v11, v20
	s_waitcnt vmcnt(4)
	v_cvt_f32_f16_e32 v7, v38
	v_cvt_f16_f32_e32 v4, v9
	v_cvt_f16_f32_e32 v5, v10
	v_dual_mov_b32 v3, v58 :: v_dual_add_nc_u32 v2, 2, v57
	v_cvt_f16_f32_e32 v17, v6
	v_add_f32_e32 v6, v12, v7
	s_waitcnt vmcnt(3)
	v_cvt_f32_f16_e32 v7, v36
	v_lshlrev_b64 v[0:1], 1, v[57:58]
	v_pack_b32_f16 v16, v4, v5
	v_dual_mov_b32 v5, v58 :: v_dual_add_nc_u32 v4, 3, v57
	v_mov_b32_e32 v9, v58
	v_add_nc_u32_e32 v57, s7, v57
	s_waitcnt vmcnt(2)
	v_cvt_f32_f16_e32 v8, v34
	v_lshlrev_b64 v[2:3], 1, v[2:3]
	v_cvt_f16_f32_e32 v19, v6
	v_add_f32_e32 v6, v13, v7
	v_add_co_u32 v0, vcc_lo, s10, v0
	v_lshlrev_b64 v[4:5], 1, v[4:5]
	v_add_f32_e32 v12, v14, v8
	v_dual_mov_b32 v11, v58 :: v_dual_add_nc_u32 v8, 1, v57
	s_waitcnt lgkmcnt(0)
	v_dual_add_f32 v18, v24, v25 :: v_dual_add_f32 v15, v22, v23
	v_add_co_ci_u32_e32 v1, vcc_lo, s11, v1, vcc_lo
	s_waitcnt vmcnt(1)
	v_cvt_f32_f16_e32 v13, v33
	v_add_co_u32 v2, vcc_lo, s10, v2
	v_cvt_f16_f32_e32 v20, v6
	v_lshlrev_b64 v[6:7], 1, v[57:58]
	v_add_nc_u32_e32 v10, 2, v57
	v_add_co_ci_u32_e32 v3, vcc_lo, s11, v3, vcc_lo
	v_add_co_u32 v4, vcc_lo, s10, v4
	v_lshlrev_b64 v[8:9], 1, v[8:9]
	v_add_nc_u32_e32 v57, 3, v57
	v_cvt_f16_f32_e32 v14, v12
	v_add_f32_e32 v12, v18, v13
	s_waitcnt vmcnt(0)
	v_cvt_f32_f16_e32 v13, v32
	v_add_co_ci_u32_e32 v5, vcc_lo, s11, v5, vcc_lo
	v_add_co_u32 v6, vcc_lo, s10, v6
	v_lshlrev_b64 v[10:11], 1, v[10:11]
	v_add_co_ci_u32_e32 v7, vcc_lo, s11, v7, vcc_lo
	v_add_co_u32 v8, vcc_lo, s10, v8
	v_cvt_f16_f32_e32 v18, v12
	v_add_f32_e32 v15, v15, v13
	v_lshlrev_b64 v[12:13], 1, v[57:58]
	v_add_co_ci_u32_e32 v9, vcc_lo, s11, v9, vcc_lo
	v_add_co_u32 v10, vcc_lo, s10, v10
	v_add_co_ci_u32_e32 v11, vcc_lo, s11, v11, vcc_lo
	s_delay_alu instid0(VALU_DEP_4)
	v_add_co_u32 v12, vcc_lo, s10, v12
	v_cvt_f16_f32_e32 v15, v15
	v_add_co_ci_u32_e32 v13, vcc_lo, s11, v13, vcc_lo
	s_clause 0x6
	global_store_b32 v[0:1], v16, off
	global_store_b16 v[2:3], v17, off
	global_store_b16 v[4:5], v19, off
	;; [unrolled: 1-line block ×6, first 2 shown]
.LBB110_13:                             ;   in Loop: Header=BB110_14 Depth=1
	s_or_b32 exec_lo, exec_lo, s23
	v_add_nc_u32_e32 v56, s16, v56
	s_delay_alu instid0(VALU_DEP_1) | instskip(SKIP_1) | instid1(SALU_CYCLE_1)
	v_cmp_le_u32_e32 vcc_lo, s7, v56
	s_or_b32 s3, vcc_lo, s3
	s_and_not1_b32 exec_lo, exec_lo, s3
	s_cbranch_execz .LBB110_26
.LBB110_14:                             ; =>This Loop Header: Depth=1
                                        ;     Child Loop BB110_18 Depth 2
	v_mov_b32_e32 v94, v58
	v_mov_b32_e32 v93, v58
	;; [unrolled: 1-line block ×16, first 2 shown]
	s_and_not1_b32 vcc_lo, exec_lo, s1
	s_cbranch_vccnz .LBB110_21
; %bb.15:                               ;   in Loop: Header=BB110_14 Depth=1
	v_or_b32_e32 v0, 1, v56
	s_waitcnt lgkmcnt(15)
	v_or_b32_e32 v1, 2, v56
	v_or_b32_e32 v2, 3, v56
	v_min_u32_e32 v3, s18, v56
	v_dual_mov_b32 v5, v58 :: v_dual_mov_b32 v82, 0
	v_min_u32_e32 v0, s18, v0
	v_min_u32_e32 v1, s18, v1
	;; [unrolled: 1-line block ×3, first 2 shown]
	v_mul_lo_u32 v57, v3, s5
	v_dual_mov_b32 v3, v58 :: v_dual_mov_b32 v86, 0
	v_mul_lo_u32 v0, v0, s5
	v_mul_lo_u32 v2, v1, s5
	;; [unrolled: 1-line block ×3, first 2 shown]
	v_dual_mov_b32 v1, v58 :: v_dual_mov_b32 v84, 0
	v_lshlrev_b64 v[59:60], 1, v[57:58]
	v_dual_mov_b32 v95, v76 :: v_dual_mov_b32 v80, 0
	s_delay_alu instid0(VALU_DEP_3)
	v_lshlrev_b64 v[61:62], 1, v[0:1]
	v_lshlrev_b64 v[63:64], 1, v[2:3]
	;; [unrolled: 1-line block ×3, first 2 shown]
	v_dual_mov_b32 v85, 0 :: v_dual_mov_b32 v88, 0
	v_dual_mov_b32 v83, 0 :: v_dual_mov_b32 v90, 0
	;; [unrolled: 1-line block ×4, first 2 shown]
	v_mov_b32_e32 v87, 0
	v_mov_b32_e32 v89, 0
	;; [unrolled: 1-line block ×4, first 2 shown]
	s_mov_b32 s23, 0
	s_branch .LBB110_18
.LBB110_16:                             ;   in Loop: Header=BB110_18 Depth=2
	s_or_b32 exec_lo, exec_lo, s25
.LBB110_17:                             ;   in Loop: Header=BB110_18 Depth=2
	s_delay_alu instid0(SALU_CYCLE_1)
	s_or_b32 exec_lo, exec_lo, s24
	s_waitcnt vmcnt(7) lgkmcnt(4)
	;;#ASMSTART
	v_dot2_f32_f16 v94, v52, v32, v94
	;;#ASMEND
	s_waitcnt vmcnt(6)
	;;#ASMSTART
	v_dot2_f32_f16 v93, v52, v28, v93
	;;#ASMEND
	s_waitcnt vmcnt(5)
	;; [unrolled: 4-line block ×3, first 2 shown]
	;;#ASMSTART
	v_dot2_f32_f16 v91, v52, v36, v91
	;;#ASMEND
	s_waitcnt lgkmcnt(3)
	;;#ASMSTART
	v_dot2_f32_f16 v90, v48, v32, v90
	;;#ASMEND
	;;#ASMSTART
	v_dot2_f32_f16 v89, v48, v28, v89
	;;#ASMEND
	;;#ASMSTART
	v_dot2_f32_f16 v88, v48, v40, v88
	;;#ASMEND
	;;#ASMSTART
	v_dot2_f32_f16 v87, v48, v36, v87
	;;#ASMEND
	s_waitcnt lgkmcnt(2)
	;;#ASMSTART
	v_dot2_f32_f16 v84, v73, v32, v84
	;;#ASMEND
	;;#ASMSTART
	v_dot2_f32_f16 v86, v73, v28, v86
	;;#ASMEND
	;;#ASMSTART
	v_dot2_f32_f16 v85, v73, v40, v85
	;;#ASMEND
	;; [unrolled: 13-line block ×3, first 2 shown]
	;;#ASMSTART
	v_dot2_f32_f16 v79, v44, v36, v79
	;;#ASMEND
	;;#ASMSTART
	v_dot2_f32_f16 v94, v53, v33, v94
	;;#ASMEND
	;;#ASMSTART
	v_dot2_f32_f16 v93, v53, v29, v93
	;;#ASMEND
	;;#ASMSTART
	v_dot2_f32_f16 v92, v53, v41, v92
	;;#ASMEND
	;;#ASMSTART
	v_dot2_f32_f16 v91, v53, v37, v91
	;;#ASMEND
	;;#ASMSTART
	v_dot2_f32_f16 v90, v49, v33, v90
	;;#ASMEND
	;;#ASMSTART
	v_dot2_f32_f16 v89, v49, v29, v89
	;;#ASMEND
	;;#ASMSTART
	v_dot2_f32_f16 v88, v49, v41, v88
	;;#ASMEND
	;;#ASMSTART
	v_dot2_f32_f16 v87, v49, v37, v87
	;;#ASMEND
	;;#ASMSTART
	v_dot2_f32_f16 v84, v74, v33, v84
	;;#ASMEND
	;;#ASMSTART
	v_dot2_f32_f16 v86, v74, v29, v86
	;;#ASMEND
	;;#ASMSTART
	v_dot2_f32_f16 v85, v74, v41, v85
	;;#ASMEND
	;;#ASMSTART
	v_dot2_f32_f16 v83, v74, v37, v83
	;;#ASMEND
	;;#ASMSTART
	v_dot2_f32_f16 v82, v45, v33, v82
	;;#ASMEND
	;;#ASMSTART
	v_dot2_f32_f16 v81, v45, v29, v81
	;;#ASMEND
	;;#ASMSTART
	v_dot2_f32_f16 v80, v45, v41, v80
	;;#ASMEND
	;;#ASMSTART
	v_dot2_f32_f16 v79, v45, v37, v79
	;;#ASMEND
	;;#ASMSTART
	v_dot2_f32_f16 v94, v54, v34, v94
	;;#ASMEND
	;;#ASMSTART
	v_dot2_f32_f16 v93, v54, v30, v93
	;;#ASMEND
	;;#ASMSTART
	v_dot2_f32_f16 v92, v54, v42, v92
	;;#ASMEND
	;;#ASMSTART
	v_dot2_f32_f16 v91, v54, v38, v91
	;;#ASMEND
	;;#ASMSTART
	v_dot2_f32_f16 v90, v50, v34, v90
	;;#ASMEND
	;;#ASMSTART
	v_dot2_f32_f16 v89, v50, v30, v89
	;;#ASMEND
	;;#ASMSTART
	v_dot2_f32_f16 v88, v50, v42, v88
	;;#ASMEND
	;;#ASMSTART
	v_dot2_f32_f16 v87, v50, v38, v87
	;;#ASMEND
	;;#ASMSTART
	v_dot2_f32_f16 v84, v71, v34, v84
	;;#ASMEND
	;;#ASMSTART
	v_dot2_f32_f16 v86, v71, v30, v86
	;;#ASMEND
	;;#ASMSTART
	v_dot2_f32_f16 v85, v71, v42, v85
	;;#ASMEND
	;;#ASMSTART
	v_dot2_f32_f16 v83, v71, v38, v83
	;;#ASMEND
	;;#ASMSTART
	v_dot2_f32_f16 v82, v46, v34, v82
	;;#ASMEND
	;;#ASMSTART
	v_dot2_f32_f16 v81, v46, v30, v81
	;;#ASMEND
	;;#ASMSTART
	v_dot2_f32_f16 v80, v46, v42, v80
	;;#ASMEND
	;;#ASMSTART
	v_dot2_f32_f16 v79, v46, v38, v79
	;;#ASMEND
	v_add_nc_u32_e32 v95, 0x400, v95
	;;#ASMSTART
	v_dot2_f32_f16 v94, v55, v35, v94
	;;#ASMEND
	;;#ASMSTART
	v_dot2_f32_f16 v93, v55, v31, v93
	;;#ASMEND
	;; [unrolled: 3-line block ×16, first 2 shown]
	s_addk_i32 s23, 0x200
	s_waitcnt vmcnt(3)
	;;#ASMSTART
	v_dot2_f32_f16 v94, v24, v12, v94
	;;#ASMEND
	s_waitcnt vmcnt(2)
	;;#ASMSTART
	v_dot2_f32_f16 v93, v24, v8, v93
	;;#ASMEND
	;; [unrolled: 4-line block ×4, first 2 shown]
	;;#ASMSTART
	v_dot2_f32_f16 v90, v20, v12, v90
	;;#ASMEND
	;;#ASMSTART
	v_dot2_f32_f16 v89, v20, v8, v89
	;;#ASMEND
	;; [unrolled: 3-line block ×28, first 2 shown]
	s_cmp_ge_u32 s23, s4
	;;#ASMSTART
	v_dot2_f32_f16 v94, v26, v14, v94
	;;#ASMEND
	;;#ASMSTART
	v_dot2_f32_f16 v93, v26, v10, v93
	;;#ASMEND
	;; [unrolled: 3-line block ×32, first 2 shown]
	s_cbranch_scc1 .LBB110_21
.LBB110_18:                             ;   Parent Loop BB110_14 Depth=1
                                        ; =>  This Inner Loop Header: Depth=2
	s_waitcnt lgkmcnt(6)
	v_dual_mov_b32 v53, 0 :: v_dual_add_nc_u32 v20, s23, v75
	s_waitcnt lgkmcnt(1)
	v_dual_mov_b32 v52, 0 :: v_dual_mov_b32 v25, 0
	v_dual_mov_b32 v54, 0 :: v_dual_mov_b32 v27, 0
	s_delay_alu instid0(VALU_DEP_3) | instskip(SKIP_2) | instid1(VALU_DEP_3)
	v_min_u32_e32 v57, s15, v20
	v_dual_mov_b32 v55, 0 :: v_dual_add_nc_u32 v96, 0x100, v20
	v_dual_mov_b32 v24, 0 :: v_dual_mov_b32 v49, 0
	v_lshlrev_b64 v[0:1], 1, v[57:58]
	s_delay_alu instid0(VALU_DEP_3) | instskip(SKIP_2) | instid1(VALU_DEP_4)
	v_min_u32_e32 v57, s15, v96
	v_dual_mov_b32 v26, 0 :: v_dual_mov_b32 v51, 0
	v_dual_mov_b32 v48, 0 :: v_dual_mov_b32 v21, 0
	v_add_co_u32 v8, vcc_lo, s12, v0
	v_add_co_ci_u32_e32 v9, vcc_lo, s13, v1, vcc_lo
	v_lshlrev_b64 v[0:1], 1, v[57:58]
	s_delay_alu instid0(VALU_DEP_3) | instskip(NEXT) | instid1(VALU_DEP_3)
	v_add_co_u32 v2, vcc_lo, v8, v59
	v_add_co_ci_u32_e32 v3, vcc_lo, v9, v60, vcc_lo
	v_add_co_u32 v4, vcc_lo, v8, v61
	v_add_co_ci_u32_e32 v5, vcc_lo, v9, v62, vcc_lo
	;; [unrolled: 2-line block ×5, first 2 shown]
	s_clause 0x1
	global_load_b128 v[32:35], v[2:3], off slc dlc
	global_load_b128 v[28:31], v[4:5], off slc dlc
	v_add_co_u32 v2, vcc_lo, v10, v59
	v_add_co_ci_u32_e32 v3, vcc_lo, v11, v60, vcc_lo
	v_add_co_u32 v4, vcc_lo, v10, v61
	v_add_co_ci_u32_e32 v5, vcc_lo, v11, v62, vcc_lo
	v_add_co_u32 v16, vcc_lo, v10, v63
	v_add_co_ci_u32_e32 v17, vcc_lo, v11, v64, vcc_lo
	v_add_co_u32 v18, vcc_lo, v10, v65
	v_add_co_ci_u32_e32 v19, vcc_lo, v11, v66, vcc_lo
	s_clause 0x5
	global_load_b128 v[40:43], v[6:7], off slc dlc
	global_load_b128 v[36:39], v[0:1], off slc dlc
	;; [unrolled: 1-line block ×6, first 2 shown]
	v_cmp_gt_u32_e32 vcc_lo, s4, v20
	s_waitcnt lgkmcnt(0)
	v_dual_mov_b32 v50, 0 :: v_dual_mov_b32 v23, 0
	v_dual_mov_b32 v20, 0 :: v_dual_mov_b32 v73, 0
	;; [unrolled: 1-line block ×9, first 2 shown]
	v_mov_b32_e32 v16, 0
	v_mov_b32_e32 v18, 0
	s_and_saveexec_b32 s24, vcc_lo
	s_cbranch_execz .LBB110_17
; %bb.19:                               ;   in Loop: Header=BB110_18 Depth=2
	v_dual_mov_b32 v19, 0 :: v_dual_add_nc_u32 v98, s6, v95
	v_dual_mov_b32 v18, 0 :: v_dual_add_nc_u32 v57, s14, v95
	;; [unrolled: 1-line block ×3, first 2 shown]
	ds_load_b128 v[52:55], v95
	ds_load_b128 v[48:51], v98
	ds_load_2addr_b32 v[73:74], v57 offset1:1
	ds_load_2addr_b32 v[71:72], v57 offset0:2 offset1:3
	ds_load_b128 v[44:47], v97
	v_dual_mov_b32 v17, 0 :: v_dual_mov_b32 v68, 0
	v_dual_mov_b32 v67, 0 :: v_dual_mov_b32 v70, 0
	;; [unrolled: 1-line block ×6, first 2 shown]
	v_mov_b32_e32 v25, 0
	s_mov_b32 s25, exec_lo
	v_cmpx_gt_u32_e64 s4, v96
	s_cbranch_execz .LBB110_16
; %bb.20:                               ;   in Loop: Header=BB110_18 Depth=2
	ds_load_b128 v[24:27], v95 offset:512
	ds_load_b128 v[20:23], v98 offset:512
	ds_load_2addr_b32 v[69:70], v57 offset0:128 offset1:129
	ds_load_2addr_b32 v[67:68], v57 offset0:130 offset1:131
	ds_load_b128 v[16:19], v97 offset:512
	s_branch .LBB110_16
.LBB110_21:                             ;   in Loop: Header=BB110_14 Depth=1
	; sched_barrier mask(0x00000000)
	v_cvt_i32_f32_e32 v0, v94
	s_waitcnt lgkmcnt(15)
	v_xor_b32_e32 v1, 16, v77
	v_cvt_i32_f32_e32 v5, v90
	v_cvt_i32_f32_e32 v6, v89
	;; [unrolled: 1-line block ×3, first 2 shown]
	v_cvt_f32_i32_dpp v0, v0 row_shr:8 row_mask:0xf bank_mask:0xf bound_ctrl:1
	v_cmp_gt_i32_e32 vcc_lo, 32, v1
	v_cvt_i32_f32_e32 v3, v92
	v_cvt_i32_f32_e32 v4, v91
	v_cvt_f32_i32_dpp v5, v5 row_shr:8 row_mask:0xf bank_mask:0xf bound_ctrl:1
	v_dual_add_f32 v0, v94, v0 :: v_dual_cndmask_b32 v1, v77, v1
	v_cvt_f32_i32_dpp v6, v6 row_shr:8 row_mask:0xf bank_mask:0xf bound_ctrl:1
	v_cvt_f32_i32_dpp v2, v2 row_shr:8 row_mask:0xf bank_mask:0xf bound_ctrl:1
	;; [unrolled: 1-line block ×4, first 2 shown]
	s_waitcnt lgkmcnt(14)
	v_cvt_i32_f32_e32 v7, v0
	v_dual_add_f32 v5, v90, v5 :: v_dual_add_f32 v6, v89, v6
	s_waitcnt lgkmcnt(0)
	v_lshlrev_b32_e32 v23, 2, v1
	v_dual_add_f32 v1, v93, v2 :: v_dual_add_f32 v4, v91, v4
	v_add_f32_e32 v2, v92, v3
	v_cvt_f32_i32_dpp v3, v7 row_shr:4 row_mask:0xf bank_mask:0xf bound_ctrl:1
	v_cvt_i32_f32_e32 v10, v6
	v_cvt_i32_f32_e32 v9, v5
	v_cvt_i32_f32_e32 v8, v4
	v_cvt_i32_f32_e32 v7, v1
	v_cvt_i32_f32_e32 v15, v86
	v_cvt_f32_i32_dpp v10, v10 row_shr:4 row_mask:0xf bank_mask:0xf bound_ctrl:1
	v_add_f32_e32 v0, v0, v3
	v_cvt_i32_f32_e32 v3, v2
	v_cvt_f32_i32_dpp v8, v8 row_shr:4 row_mask:0xf bank_mask:0xf bound_ctrl:1
	v_cvt_f32_i32_dpp v9, v9 row_shr:4 row_mask:0xf bank_mask:0xf bound_ctrl:1
	;; [unrolled: 1-line block ×5, first 2 shown]
	v_cvt_i32_f32_e32 v13, v87
	v_cvt_i32_f32_e32 v14, v84
	;; [unrolled: 1-line block ×4, first 2 shown]
	v_dual_add_f32 v2, v2, v3 :: v_dual_add_f32 v3, v4, v8
	v_dual_add_f32 v4, v5, v9 :: v_dual_add_f32 v5, v6, v10
	v_cvt_i32_f32_e32 v11, v0
	v_cvt_f32_i32_dpp v13, v13 row_shr:8 row_mask:0xf bank_mask:0xf bound_ctrl:1
	s_delay_alu instid0(VALU_DEP_4)
	v_cvt_i32_f32_e32 v9, v3
	v_cvt_f32_i32_dpp v14, v14 row_shr:8 row_mask:0xf bank_mask:0xf bound_ctrl:1
	v_cvt_f32_i32_dpp v12, v12 row_shr:8 row_mask:0xf bank_mask:0xf bound_ctrl:1
	;; [unrolled: 1-line block ×3, first 2 shown]
	v_cvt_i32_f32_e32 v22, v83
	v_cvt_f32_i32_dpp v9, v9 row_shr:2 row_mask:0xf bank_mask:0xf bound_ctrl:1
	v_cvt_i32_f32_e32 v24, v82
	v_cvt_i32_f32_e32 v25, v81
	v_add_f32_e32 v0, v0, v11
	v_cvt_i32_f32_e32 v11, v5
	v_cvt_i32_f32_e32 v26, v80
	;; [unrolled: 1-line block ×3, first 2 shown]
	v_cvt_f32_i32_dpp v16, v16 row_shr:8 row_mask:0xf bank_mask:0xf bound_ctrl:1
	v_cvt_i32_f32_e32 v8, v0
	v_cvt_f32_i32_dpp v11, v11 row_shr:2 row_mask:0xf bank_mask:0xf bound_ctrl:1
	v_cvt_f32_i32_dpp v22, v22 row_shr:8 row_mask:0xf bank_mask:0xf bound_ctrl:1
	;; [unrolled: 1-line block ×5, first 2 shown]
	v_add_f32_e32 v1, v1, v7
	v_cvt_i32_f32_e32 v7, v2
	v_cvt_f32_i32_dpp v26, v26 row_shr:8 row_mask:0xf bank_mask:0xf bound_ctrl:1
	v_cvt_f32_i32_dpp v27, v27 row_shr:8 row_mask:0xf bank_mask:0xf bound_ctrl:1
	v_add_f32_e32 v0, v0, v8
	v_cvt_i32_f32_e32 v6, v1
	v_cvt_f32_i32_dpp v7, v7 row_shr:2 row_mask:0xf bank_mask:0xf bound_ctrl:1
	s_delay_alu instid0(VALU_DEP_4) | instskip(SKIP_1) | instid1(VALU_DEP_4)
	v_dual_add_f32 v16, v85, v16 :: v_dual_add_f32 v27, v79, v27
	v_add_f32_e32 v13, v87, v13
	v_cvt_f32_i32_dpp v6, v6 row_shr:2 row_mask:0xf bank_mask:0xf bound_ctrl:1
	s_delay_alu instid0(VALU_DEP_4)
	v_add_f32_e32 v7, v2, v7
	v_cvt_i32_f32_e32 v10, v4
	v_add_f32_e32 v22, v83, v22
	v_cvt_i32_f32_e32 v18, v13
	v_add_f32_e32 v24, v82, v24
	v_add_f32_e32 v26, v80, v26
	v_cvt_f32_i32_dpp v10, v10 row_shr:2 row_mask:0xf bank_mask:0xf bound_ctrl:1
	v_add_f32_e32 v8, v3, v9
	v_cvt_i32_f32_e32 v3, v7
	v_add_f32_e32 v15, v86, v15
	v_cvt_f32_i32_dpp v18, v18 row_shr:4 row_mask:0xf bank_mask:0xf bound_ctrl:1
	v_add_f32_e32 v9, v4, v10
	v_cvt_i32_f32_e32 v4, v8
	v_cvt_f32_i32_dpp v3, v3 row_shr:1 row_mask:0xf bank_mask:0xf bound_ctrl:1
	v_add_f32_e32 v6, v1, v6
	v_cvt_i32_f32_e32 v20, v15
	v_add_f32_e32 v10, v5, v11
	v_cvt_f32_i32_dpp v4, v4 row_shr:1 row_mask:0xf bank_mask:0xf bound_ctrl:1
	v_add_f32_e32 v3, v7, v3
	v_cvt_i32_f32_e32 v2, v6
	v_cvt_f32_i32_dpp v20, v20 row_shr:4 row_mask:0xf bank_mask:0xf bound_ctrl:1
	v_cvt_i32_f32_e32 v11, v10
	v_dual_add_f32 v4, v8, v4 :: v_dual_add_f32 v13, v13, v18
	s_delay_alu instid0(VALU_DEP_4) | instskip(NEXT) | instid1(VALU_DEP_4)
	v_cvt_f32_i32_dpp v2, v2 row_shr:1 row_mask:0xf bank_mask:0xf bound_ctrl:1
	v_add_f32_e32 v15, v15, v20
	s_delay_alu instid0(VALU_DEP_4)
	v_cvt_f32_i32_dpp v11, v11 row_shr:1 row_mask:0xf bank_mask:0xf bound_ctrl:1
	v_cvt_i32_f32_e32 v21, v16
	v_cvt_i32_f32_e32 v18, v13
	v_add_f32_e32 v2, v6, v2
	v_cvt_i32_f32_e32 v20, v15
	v_add_f32_e32 v6, v10, v11
	v_cvt_i32_f32_e32 v28, v22
	v_cvt_f32_i32_dpp v18, v18 row_shr:2 row_mask:0xf bank_mask:0xf bound_ctrl:1
	v_add_f32_e32 v12, v88, v12
	v_cvt_f32_i32_dpp v20, v20 row_shr:2 row_mask:0xf bank_mask:0xf bound_ctrl:1
	v_add_f32_e32 v14, v84, v14
	v_cvt_i32_f32_e32 v29, v24
	v_add_f32_e32 v13, v13, v18
	v_cvt_i32_f32_e32 v17, v12
	v_add_f32_e32 v15, v15, v20
	v_cvt_i32_f32_e32 v19, v14
	v_cvt_i32_f32_e32 v31, v26
	v_cvt_i32_f32_e32 v18, v13
	v_cvt_f32_i32_dpp v17, v17 row_shr:4 row_mask:0xf bank_mask:0xf bound_ctrl:1
	v_cvt_i32_f32_e32 v20, v15
	v_cvt_f32_i32_dpp v19, v19 row_shr:4 row_mask:0xf bank_mask:0xf bound_ctrl:1
	;; [unrolled: 2-line block ×3, first 2 shown]
	v_add_f32_e32 v12, v12, v17
	v_cvt_f32_i32_dpp v20, v20 row_shr:1 row_mask:0xf bank_mask:0xf bound_ctrl:1
	v_add_f32_e32 v14, v14, v19
	v_cvt_f32_i32_dpp v21, v21 row_shr:4 row_mask:0xf bank_mask:0xf bound_ctrl:1
	v_add_f32_e32 v13, v13, v18
	v_cvt_i32_f32_e32 v17, v12
	v_add_f32_e32 v15, v15, v20
	v_cvt_i32_f32_e32 v19, v14
	v_cvt_f32_i32_dpp v28, v28 row_shr:4 row_mask:0xf bank_mask:0xf bound_ctrl:1
	v_cvt_f32_i32_dpp v29, v29 row_shr:4 row_mask:0xf bank_mask:0xf bound_ctrl:1
	;; [unrolled: 1-line block ×6, first 2 shown]
	v_add_f32_e32 v25, v81, v25
	v_add_f32_e32 v12, v12, v17
	;; [unrolled: 1-line block ×5, first 2 shown]
	v_cvt_i32_f32_e32 v30, v25
	v_dual_add_f32 v26, v26, v31 :: v_dual_add_f32 v27, v27, v32
	v_cvt_i32_f32_e32 v17, v12
	v_cvt_i32_f32_e32 v28, v22
	s_delay_alu instid0(VALU_DEP_4)
	v_cvt_f32_i32_dpp v30, v30 row_shr:4 row_mask:0xf bank_mask:0xf bound_ctrl:1
	v_add_f32_e32 v16, v16, v21
	v_cvt_i32_f32_e32 v29, v24
	v_cvt_i32_f32_e32 v31, v26
	v_cvt_i32_f32_e32 v32, v27
	v_add_f32_e32 v25, v25, v30
	v_cvt_i32_f32_e32 v21, v16
	v_cvt_f32_i32_dpp v17, v17 row_shr:1 row_mask:0xf bank_mask:0xf bound_ctrl:1
	v_cvt_f32_i32_dpp v28, v28 row_shr:2 row_mask:0xf bank_mask:0xf bound_ctrl:1
	;; [unrolled: 1-line block ×3, first 2 shown]
	v_cvt_i32_f32_e32 v30, v25
	v_cvt_f32_i32_dpp v21, v21 row_shr:2 row_mask:0xf bank_mask:0xf bound_ctrl:1
	v_cvt_f32_i32_dpp v31, v31 row_shr:2 row_mask:0xf bank_mask:0xf bound_ctrl:1
	;; [unrolled: 1-line block ×3, first 2 shown]
	v_add_f32_e32 v12, v12, v17
	v_cvt_f32_i32_dpp v30, v30 row_shr:2 row_mask:0xf bank_mask:0xf bound_ctrl:1
	v_add_f32_e32 v16, v16, v21
	v_add_f32_e32 v22, v22, v28
	v_dual_add_f32 v24, v24, v29 :: v_dual_add_f32 v29, v26, v31
	s_delay_alu instid0(VALU_DEP_4)
	v_dual_add_f32 v25, v25, v30 :: v_dual_add_f32 v30, v27, v32
	v_cvt_i32_f32_e32 v5, v9
	v_cvt_i32_f32_e32 v19, v14
	;; [unrolled: 1-line block ×8, first 2 shown]
	v_cvt_f32_i32_dpp v5, v5 row_shr:1 row_mask:0xf bank_mask:0xf bound_ctrl:1
	v_cvt_f32_i32_dpp v19, v19 row_shr:1 row_mask:0xf bank_mask:0xf bound_ctrl:1
	v_cvt_f32_i32_dpp v21, v21 row_shr:1 row_mask:0xf bank_mask:0xf bound_ctrl:1
	v_cvt_f32_i32_dpp v26, v26 row_shr:1 row_mask:0xf bank_mask:0xf bound_ctrl:1
	v_cvt_f32_i32_dpp v33, v27 row_shr:1 row_mask:0xf bank_mask:0xf bound_ctrl:1
	v_cvt_f32_i32_dpp v34, v28 row_shr:1 row_mask:0xf bank_mask:0xf bound_ctrl:1
	v_cvt_f32_i32_dpp v31, v31 row_shr:1 row_mask:0xf bank_mask:0xf bound_ctrl:1
	v_cvt_f32_i32_dpp v32, v32 row_shr:1 row_mask:0xf bank_mask:0xf bound_ctrl:1
	v_dual_add_f32 v5, v9, v5 :: v_dual_add_f32 v14, v14, v19
	v_dual_add_f32 v16, v16, v21 :: v_dual_add_f32 v27, v22, v26
	v_add_f32_e32 v28, v24, v33
	v_add_f32_e32 v26, v25, v34
	;; [unrolled: 1-line block ×4, first 2 shown]
	ds_bpermute_b32 v1, v23, v0
	ds_bpermute_b32 v7, v23, v2
	ds_bpermute_b32 v8, v23, v3
	ds_bpermute_b32 v9, v23, v4
	ds_bpermute_b32 v10, v23, v5
	ds_bpermute_b32 v11, v23, v6
	ds_bpermute_b32 v17, v23, v12
	ds_bpermute_b32 v18, v23, v13
	ds_bpermute_b32 v19, v23, v14
	ds_bpermute_b32 v20, v23, v15
	ds_bpermute_b32 v21, v23, v16
	ds_bpermute_b32 v30, v23, v27
	ds_bpermute_b32 v31, v23, v28
	ds_bpermute_b32 v29, v23, v26
	ds_bpermute_b32 v25, v23, v24
	ds_bpermute_b32 v23, v23, v22
	s_and_saveexec_b32 s23, s0
	s_cbranch_execz .LBB110_13
; %bb.22:                               ;   in Loop: Header=BB110_14 Depth=1
	s_and_b32 vcc_lo, exec_lo, s19
	s_cbranch_vccz .LBB110_24
; %bb.23:                               ;   in Loop: Header=BB110_14 Depth=1
	v_mul_hi_u32 v32, v56, v78
	v_or_b32_e32 v34, 1, v56
	v_or_b32_e32 v36, 2, v56
	;; [unrolled: 1-line block ×3, first 2 shown]
	v_mov_b32_e32 v49, v58
	s_delay_alu instid0(VALU_DEP_4) | instskip(NEXT) | instid1(VALU_DEP_4)
	v_mul_hi_u32 v33, v34, v78
	v_mul_hi_u32 v35, v36, v78
	v_mul_lo_u32 v32, v32, s2
	v_mul_hi_u32 v38, v37, v78
	v_mov_b32_e32 v47, v58
	v_mul_lo_u32 v39, v33, s2
	v_mul_lo_u32 v40, v35, s2
	v_sub_nc_u32_e32 v32, v56, v32
	v_mul_lo_u32 v38, v38, s2
	s_delay_alu instid0(VALU_DEP_2)
	v_subrev_nc_u32_e32 v41, s2, v32
	v_sub_nc_u32_e32 v34, v34, v39
	v_cmp_le_u32_e32 vcc_lo, s2, v32
	v_mov_b32_e32 v33, v58
	v_sub_nc_u32_e32 v36, v36, v40
	v_sub_nc_u32_e32 v38, v37, v38
	v_subrev_nc_u32_e32 v39, s2, v34
	v_cndmask_b32_e32 v32, v32, v41, vcc_lo
	v_cmp_le_u32_e32 vcc_lo, s2, v34
	v_subrev_nc_u32_e32 v40, s2, v36
	v_subrev_nc_u32_e32 v41, s2, v38
	s_delay_alu instid0(VALU_DEP_4) | instskip(SKIP_4) | instid1(VALU_DEP_2)
	v_subrev_nc_u32_e32 v42, s2, v32
	v_cndmask_b32_e32 v34, v34, v39, vcc_lo
	v_cmp_le_u32_e32 vcc_lo, s2, v36
	v_dual_mov_b32 v35, v58 :: v_dual_cndmask_b32 v36, v36, v40
	v_cmp_le_u32_e32 vcc_lo, s2, v38
	v_subrev_nc_u32_e32 v39, s2, v36
	v_cndmask_b32_e32 v40, v38, v41, vcc_lo
	v_cmp_le_u32_e32 vcc_lo, s2, v32
	v_cndmask_b32_e32 v57, v32, v42, vcc_lo
	v_subrev_nc_u32_e32 v38, s2, v34
	v_cmp_le_u32_e32 vcc_lo, s2, v34
	s_delay_alu instid0(VALU_DEP_3) | instskip(NEXT) | instid1(VALU_DEP_3)
	v_add_nc_u32_e32 v46, s20, v57
	v_cndmask_b32_e32 v32, v34, v38, vcc_lo
	v_cmp_le_u32_e32 vcc_lo, s2, v36
	v_mov_b32_e32 v37, v58
	v_mov_b32_e32 v64, v58
	v_lshlrev_b64 v[46:47], 1, v[46:47]
	v_add_nc_u32_e32 v63, s21, v32
	v_subrev_nc_u32_e32 v41, s2, v40
	v_cndmask_b32_e32 v34, v36, v39, vcc_lo
	v_cmp_le_u32_e32 vcc_lo, s2, v40
	v_lshlrev_b64 v[38:39], 1, v[57:58]
	v_add_nc_u32_e32 v48, s20, v32
	s_delay_alu instid0(VALU_DEP_4) | instskip(SKIP_4) | instid1(VALU_DEP_4)
	v_lshlrev_b64 v[42:43], 1, v[34:35]
	v_cndmask_b32_e32 v36, v40, v41, vcc_lo
	v_lshlrev_b64 v[40:41], 1, v[32:33]
	v_add_co_u32 v38, vcc_lo, s8, v38
	v_add_co_ci_u32_e32 v39, vcc_lo, s9, v39, vcc_lo
	v_lshlrev_b64 v[44:45], 1, v[36:37]
	s_delay_alu instid0(VALU_DEP_4)
	v_add_co_u32 v40, vcc_lo, s8, v40
	v_add_co_ci_u32_e32 v41, vcc_lo, s9, v41, vcc_lo
	v_add_co_u32 v42, vcc_lo, s8, v42
	v_add_co_ci_u32_e32 v43, vcc_lo, s9, v43, vcc_lo
	;; [unrolled: 2-line block ×3, first 2 shown]
	v_lshlrev_b64 v[44:45], 1, v[48:49]
	v_add_nc_u32_e32 v48, s20, v34
	v_add_co_u32 v52, vcc_lo, s8, v46
	v_add_co_ci_u32_e32 v53, vcc_lo, s9, v47, vcc_lo
	s_delay_alu instid0(VALU_DEP_3) | instskip(SKIP_3) | instid1(VALU_DEP_3)
	v_lshlrev_b64 v[46:47], 1, v[48:49]
	v_add_nc_u32_e32 v48, s20, v36
	v_add_co_u32 v54, vcc_lo, s8, v44
	v_add_co_ci_u32_e32 v55, vcc_lo, s9, v45, vcc_lo
	v_lshlrev_b64 v[44:45], 1, v[48:49]
	v_add_co_u32 v48, vcc_lo, s8, v46
	v_add_co_ci_u32_e32 v49, vcc_lo, s9, v47, vcc_lo
	v_dual_mov_b32 v47, v58 :: v_dual_add_nc_u32 v46, s21, v57
	v_add_nc_u32_e32 v57, s22, v57
	v_add_co_u32 v59, vcc_lo, s8, v44
	v_add_co_ci_u32_e32 v60, vcc_lo, s9, v45, vcc_lo
	s_delay_alu instid0(VALU_DEP_4)
	v_lshlrev_b64 v[61:62], 1, v[46:47]
	s_clause 0x7
	global_load_u16 v47, v[38:39], off
	global_load_u16 v46, v[40:41], off
	;; [unrolled: 1-line block ×8, first 2 shown]
	v_dual_mov_b32 v49, v58 :: v_dual_add_nc_u32 v48, s21, v34
	v_lshlrev_b64 v[54:55], 1, v[57:58]
	v_add_nc_u32_e32 v57, s22, v32
	v_lshlrev_b64 v[40:41], 1, v[63:64]
	v_dual_mov_b32 v53, v58 :: v_dual_add_nc_u32 v52, s21, v36
	v_add_co_u32 v50, vcc_lo, s8, v61
	v_lshlrev_b64 v[48:49], 1, v[48:49]
	v_add_co_ci_u32_e32 v51, vcc_lo, s9, v62, vcc_lo
	v_add_co_u32 v40, vcc_lo, s8, v40
	v_lshlrev_b64 v[52:53], 1, v[52:53]
	v_add_co_ci_u32_e32 v41, vcc_lo, s9, v41, vcc_lo
	v_add_co_u32 v48, vcc_lo, s8, v48
	v_add_co_ci_u32_e32 v49, vcc_lo, s9, v49, vcc_lo
	s_delay_alu instid0(VALU_DEP_4)
	v_add_co_u32 v32, vcc_lo, s8, v52
	v_add_co_ci_u32_e32 v33, vcc_lo, s9, v53, vcc_lo
	v_lshlrev_b64 v[52:53], 1, v[57:58]
	v_add_nc_u32_e32 v57, s22, v34
	v_add_co_u32 v54, vcc_lo, s8, v54
	v_add_co_ci_u32_e32 v55, vcc_lo, s9, v55, vcc_lo
	s_delay_alu instid0(VALU_DEP_3) | instskip(SKIP_3) | instid1(VALU_DEP_3)
	v_lshlrev_b64 v[59:60], 1, v[57:58]
	v_add_nc_u32_e32 v57, s22, v36
	v_add_co_u32 v52, vcc_lo, s8, v52
	v_add_co_ci_u32_e32 v53, vcc_lo, s9, v53, vcc_lo
	v_lshlrev_b64 v[61:62], 1, v[57:58]
	v_mov_b32_e32 v57, v58
	v_add_co_u32 v59, vcc_lo, s8, v59
	v_add_co_ci_u32_e32 v60, vcc_lo, s9, v60, vcc_lo
	s_delay_alu instid0(VALU_DEP_4)
	v_add_co_u32 v61, vcc_lo, s8, v61
	v_add_co_ci_u32_e32 v62, vcc_lo, s9, v62, vcc_lo
	s_clause 0x7
	global_load_u16 v43, v[50:51], off
	global_load_u16 v41, v[40:41], off
	;; [unrolled: 1-line block ×8, first 2 shown]
	s_cbranch_execnz .LBB110_12
	s_branch .LBB110_25
.LBB110_24:                             ;   in Loop: Header=BB110_14 Depth=1
                                        ; implicit-def: $vgpr32
                                        ; implicit-def: $vgpr33
                                        ; implicit-def: $vgpr34
                                        ; implicit-def: $vgpr36
                                        ; implicit-def: $vgpr38
                                        ; implicit-def: $vgpr40
                                        ; implicit-def: $vgpr41
                                        ; implicit-def: $vgpr43
                                        ; implicit-def: $vgpr35
                                        ; implicit-def: $vgpr37
                                        ; implicit-def: $vgpr39
                                        ; implicit-def: $vgpr42
                                        ; implicit-def: $vgpr44
                                        ; implicit-def: $vgpr45
                                        ; implicit-def: $vgpr46
                                        ; implicit-def: $vgpr47
.LBB110_25:                             ;   in Loop: Header=BB110_14 Depth=1
	s_waitcnt vmcnt(14)
	v_dual_mov_b32 v57, v58 :: v_dual_mov_b32 v46, 0
	s_waitcnt vmcnt(12)
	v_dual_mov_b32 v47, 0 :: v_dual_mov_b32 v44, 0
	;; [unrolled: 2-line block ×8, first 2 shown]
	v_mov_b32_e32 v33, 0
	s_branch .LBB110_12
.LBB110_26:
	s_nop 0
	s_sendmsg sendmsg(MSG_DEALLOC_VGPRS)
	s_endpgm
	.section	.rodata,"a",@progbits
	.p2align	6, 0x0
	.amdhsa_kernel _Z16wvSplitK_hf_sml_I6__halfLi32ELi4ELi16ELi8ELi2ELi4EEviiiiiiPKT_S3_S3_PS1_ii
		.amdhsa_group_segment_fixed_size 65536
		.amdhsa_private_segment_fixed_size 0
		.amdhsa_kernarg_size 64
		.amdhsa_user_sgpr_count 15
		.amdhsa_user_sgpr_dispatch_ptr 0
		.amdhsa_user_sgpr_queue_ptr 0
		.amdhsa_user_sgpr_kernarg_segment_ptr 1
		.amdhsa_user_sgpr_dispatch_id 0
		.amdhsa_user_sgpr_private_segment_size 0
		.amdhsa_wavefront_size32 1
		.amdhsa_uses_dynamic_stack 0
		.amdhsa_enable_private_segment 0
		.amdhsa_system_sgpr_workgroup_id_x 1
		.amdhsa_system_sgpr_workgroup_id_y 0
		.amdhsa_system_sgpr_workgroup_id_z 0
		.amdhsa_system_sgpr_workgroup_info 0
		.amdhsa_system_vgpr_workitem_id 1
		.amdhsa_next_free_vgpr 99
		.amdhsa_next_free_sgpr 26
		.amdhsa_reserve_vcc 1
		.amdhsa_float_round_mode_32 0
		.amdhsa_float_round_mode_16_64 0
		.amdhsa_float_denorm_mode_32 3
		.amdhsa_float_denorm_mode_16_64 3
		.amdhsa_dx10_clamp 1
		.amdhsa_ieee_mode 1
		.amdhsa_fp16_overflow 0
		.amdhsa_workgroup_processor_mode 1
		.amdhsa_memory_ordered 1
		.amdhsa_forward_progress 0
		.amdhsa_shared_vgpr_count 0
		.amdhsa_exception_fp_ieee_invalid_op 0
		.amdhsa_exception_fp_denorm_src 0
		.amdhsa_exception_fp_ieee_div_zero 0
		.amdhsa_exception_fp_ieee_overflow 0
		.amdhsa_exception_fp_ieee_underflow 0
		.amdhsa_exception_fp_ieee_inexact 0
		.amdhsa_exception_int_div_zero 0
	.end_amdhsa_kernel
	.section	.text._Z16wvSplitK_hf_sml_I6__halfLi32ELi4ELi16ELi8ELi2ELi4EEviiiiiiPKT_S3_S3_PS1_ii,"axG",@progbits,_Z16wvSplitK_hf_sml_I6__halfLi32ELi4ELi16ELi8ELi2ELi4EEviiiiiiPKT_S3_S3_PS1_ii,comdat
.Lfunc_end110:
	.size	_Z16wvSplitK_hf_sml_I6__halfLi32ELi4ELi16ELi8ELi2ELi4EEviiiiiiPKT_S3_S3_PS1_ii, .Lfunc_end110-_Z16wvSplitK_hf_sml_I6__halfLi32ELi4ELi16ELi8ELi2ELi4EEviiiiiiPKT_S3_S3_PS1_ii
                                        ; -- End function
	.section	.AMDGPU.csdata,"",@progbits
; Kernel info:
; codeLenInByte = 7408
; NumSgprs: 28
; NumVgprs: 99
; ScratchSize: 0
; MemoryBound: 0
; FloatMode: 240
; IeeeMode: 1
; LDSByteSize: 65536 bytes/workgroup (compile time only)
; SGPRBlocks: 3
; VGPRBlocks: 12
; NumSGPRsForWavesPerEU: 28
; NumVGPRsForWavesPerEU: 99
; Occupancy: 8
; WaveLimiterHint : 0
; COMPUTE_PGM_RSRC2:SCRATCH_EN: 0
; COMPUTE_PGM_RSRC2:USER_SGPR: 15
; COMPUTE_PGM_RSRC2:TRAP_HANDLER: 0
; COMPUTE_PGM_RSRC2:TGID_X_EN: 1
; COMPUTE_PGM_RSRC2:TGID_Y_EN: 0
; COMPUTE_PGM_RSRC2:TGID_Z_EN: 0
; COMPUTE_PGM_RSRC2:TIDIG_COMP_CNT: 1
	.section	.text._Z12wvSplitK_hf_I6__halfLi32ELi4ELi16ELi8ELi2ELi4EEviiiiiiPKT_S3_S3_PS1_ii,"axG",@progbits,_Z12wvSplitK_hf_I6__halfLi32ELi4ELi16ELi8ELi2ELi4EEviiiiiiPKT_S3_S3_PS1_ii,comdat
	.protected	_Z12wvSplitK_hf_I6__halfLi32ELi4ELi16ELi8ELi2ELi4EEviiiiiiPKT_S3_S3_PS1_ii ; -- Begin function _Z12wvSplitK_hf_I6__halfLi32ELi4ELi16ELi8ELi2ELi4EEviiiiiiPKT_S3_S3_PS1_ii
	.globl	_Z12wvSplitK_hf_I6__halfLi32ELi4ELi16ELi8ELi2ELi4EEviiiiiiPKT_S3_S3_PS1_ii
	.p2align	8
	.type	_Z12wvSplitK_hf_I6__halfLi32ELi4ELi16ELi8ELi2ELi4EEviiiiiiPKT_S3_S3_PS1_ii,@function
_Z12wvSplitK_hf_I6__halfLi32ELi4ELi16ELi8ELi2ELi4EEviiiiiiPKT_S3_S3_PS1_ii: ; @_Z12wvSplitK_hf_I6__halfLi32ELi4ELi16ELi8ELi2ELi4EEviiiiiiPKT_S3_S3_PS1_ii
; %bb.0:
	s_clause 0x1
	s_load_b64 s[20:21], s[0:1], 0x38
	s_load_b128 s[8:11], s[0:1], 0x0
	v_bfe_u32 v5, v0, 10, 10
	s_clause 0x1
	s_load_b64 s[16:17], s[0:1], 0x20
	s_load_b64 s[18:19], s[0:1], 0x10
	s_mov_b32 s4, 1
	s_delay_alu instid0(SALU_CYCLE_1) | instskip(SKIP_4) | instid1(SALU_CYCLE_1)
	s_mov_b32 s5, s4
	s_mov_b32 s6, s4
	;; [unrolled: 1-line block ×3, first 2 shown]
	s_waitcnt lgkmcnt(0)
	s_mul_i32 s15, s15, s20
	v_add_lshl_u32 v69, s15, v5, 2
	s_delay_alu instid0(VALU_DEP_1) | instskip(SKIP_1) | instid1(VALU_DEP_2)
	v_add_nc_u32_e32 v1, 4, v69
	v_cmp_gt_u32_e32 vcc_lo, s11, v69
	v_cmp_le_u32_e64 s2, s11, v1
	v_dual_mov_b32 v1, s4 :: v_dual_mov_b32 v4, s7
	v_dual_mov_b32 v2, s5 :: v_dual_mov_b32 v3, s6
	s_delay_alu instid0(VALU_DEP_3) | instskip(NEXT) | instid1(SALU_CYCLE_1)
	s_and_b32 s2, vcc_lo, s2
	s_and_saveexec_b32 s12, s2
	s_cbranch_execz .LBB111_6
; %bb.1:
	v_dual_mov_b32 v1, s4 :: v_dual_mov_b32 v2, s5
	v_dual_mov_b32 v3, s6 :: v_dual_mov_b32 v4, s7
	s_add_i32 s13, s11, -4
	s_mov_b32 s14, exec_lo
	v_cmpx_ne_u32_e64 s13, v69
	s_cbranch_execz .LBB111_5
; %bb.2:
	v_subrev_nc_u32_e32 v1, s13, v69
	s_mov_b32 s15, 0
	s_mov_b64 s[2:3], 0
	s_mov_b32 s5, s4
	s_mov_b32 s6, s4
	v_cmp_lt_u32_e32 vcc_lo, 1, v1
	s_mov_b32 s7, s4
	v_cndmask_b32_e32 v6, 1, v1, vcc_lo
	.p2align	6
.LBB111_3:                              ; =>This Inner Loop Header: Depth=1
	s_cmp_lg_u32 s2, 3
	s_cselect_b32 s7, s7, 0
	s_cmp_lg_u32 s2, 2
	s_cselect_b32 s6, s6, 0
	;; [unrolled: 2-line block ×4, first 2 shown]
	s_add_u32 s2, s2, 1
	v_dual_mov_b32 v1, s4 :: v_dual_mov_b32 v2, s5
	v_cmp_eq_u32_e32 vcc_lo, s2, v6
	v_dual_mov_b32 v3, s6 :: v_dual_mov_b32 v4, s7
	s_addc_u32 s3, s3, 0
	s_or_b32 s15, vcc_lo, s15
	s_delay_alu instid0(SALU_CYCLE_1)
	s_and_not1_b32 exec_lo, exec_lo, s15
	s_cbranch_execnz .LBB111_3
; %bb.4:
	s_or_b32 exec_lo, exec_lo, s15
	v_mov_b32_e32 v69, s13
.LBB111_5:
	s_or_b32 exec_lo, exec_lo, s14
.LBB111_6:
	s_delay_alu instid0(SALU_CYCLE_1) | instskip(SKIP_4) | instid1(VALU_DEP_1)
	s_or_b32 exec_lo, exec_lo, s12
	v_and_b32_e32 v6, 0x3ff, v0
	s_lshl_b32 s22, s10, 2
	s_mov_b32 s2, exec_lo
	s_min_u32 s3, s22, 0x8000
	v_lshlrev_b32_e32 v0, 3, v6
	s_delay_alu instid0(VALU_DEP_1) | instskip(NEXT) | instid1(VALU_DEP_1)
	v_lshl_add_u32 v8, v5, 8, v0
	v_cmpx_gt_u32_e64 s3, v8
	s_cbranch_execz .LBB111_15
; %bb.7:
	v_lshlrev_b32_e32 v7, 1, v8
	v_add_nc_u32_e32 v13, 0x1000, v8
	s_mov_b32 s4, exec_lo
	global_load_b128 v[9:12], v7, s[16:17]
	s_waitcnt vmcnt(0)
	ds_store_b128 v7, v[9:12]
	v_cmpx_gt_u32_e64 s3, v13
	s_xor_b32 s4, exec_lo, s4
	s_cbranch_execz .LBB111_15
; %bb.8:
	v_add_co_u32 v9, s4, s16, v7
	s_delay_alu instid0(VALU_DEP_1) | instskip(SKIP_1) | instid1(VALU_DEP_3)
	v_add_co_ci_u32_e64 v10, null, s17, 0, s4
	v_add_nc_u32_e32 v15, 0x2000, v8
	v_add_co_u32 v11, vcc_lo, 0x2000, v9
	s_delay_alu instid0(VALU_DEP_3)
	v_add_co_ci_u32_e32 v12, vcc_lo, 0, v10, vcc_lo
	s_mov_b32 s4, exec_lo
	global_load_b128 v[11:14], v[11:12], off
	s_waitcnt vmcnt(0)
	ds_store_b128 v7, v[11:14] offset:8192
	v_cmpx_gt_u32_e64 s3, v15
	s_xor_b32 s4, exec_lo, s4
	s_cbranch_execz .LBB111_15
; %bb.9:
	v_add_co_u32 v11, vcc_lo, 0x4000, v9
	v_add_co_ci_u32_e32 v12, vcc_lo, 0, v10, vcc_lo
	v_add_nc_u32_e32 v15, 0x3000, v8
	s_mov_b32 s4, exec_lo
	global_load_b128 v[11:14], v[11:12], off
	s_waitcnt vmcnt(0)
	ds_store_b128 v7, v[11:14] offset:16384
	v_cmpx_gt_u32_e64 s3, v15
	s_xor_b32 s4, exec_lo, s4
	s_cbranch_execz .LBB111_15
; %bb.10:
	v_add_co_u32 v11, vcc_lo, 0x6000, v9
	v_add_co_ci_u32_e32 v12, vcc_lo, 0, v10, vcc_lo
	v_add_nc_u32_e32 v15, 0x4000, v8
	;; [unrolled: 11-line block ×5, first 2 shown]
	global_load_b128 v[11:14], v[11:12], off
	v_cmp_gt_u32_e32 vcc_lo, s3, v8
	s_waitcnt vmcnt(0)
	ds_store_b128 v7, v[11:14] offset:49152
	s_and_saveexec_b32 s3, vcc_lo
	s_delay_alu instid0(SALU_CYCLE_1)
	s_xor_b32 s3, exec_lo, s3
	s_cbranch_execz .LBB111_15
; %bb.14:
	v_add_co_u32 v8, vcc_lo, 0xe000, v9
	v_add_co_ci_u32_e32 v9, vcc_lo, 0, v10, vcc_lo
	global_load_b128 v[8:11], v[8:9], off
	s_waitcnt vmcnt(0)
	ds_store_b128 v7, v[8:11] offset:57344
.LBB111_15:
	s_or_b32 exec_lo, exec_lo, s2
	v_cmp_gt_u32_e32 vcc_lo, s20, v5
	v_cmp_gt_u32_e64 s2, s11, v69
	s_waitcnt lgkmcnt(0)
	s_barrier
	buffer_gl0_inv
	s_and_b32 s2, vcc_lo, s2
	s_delay_alu instid0(SALU_CYCLE_1)
	s_and_saveexec_b32 s3, s2
	s_cbranch_execz .LBB111_98
; %bb.16:
	s_clause 0x1
	s_load_b128 s[12:15], s[0:1], 0x28
	s_load_b64 s[6:7], s[0:1], 0x18
	s_cmp_lg_u32 s8, 0
	v_cvt_f32_u32_e32 v7, s18
	s_cselect_b32 s23, -1, 0
	s_add_i32 s24, s8, -8
	s_add_i32 s25, s11, -1
	s_mul_i32 s0, s20, s21
	v_mad_u64_u32 v[72:73], null, s10, 3, v[0:1]
	v_add_nc_u32_e32 v91, s10, v0
	v_mbcnt_lo_u32_b32 v94, -1, 0
	v_lshlrev_b32_e32 v90, 4, v6
	s_waitcnt lgkmcnt(0)
	s_cmp_lg_u64 s[12:13], 0
	s_cselect_b32 s26, -1, 0
	s_abs_i32 s1, s19
	s_lshl_b32 s20, s0, 2
	v_cvt_f32_u32_e32 v5, s1
	s_sub_i32 s0, 0, s1
	s_add_i32 s21, s11, -4
	s_sub_i32 s3, 0, s18
	s_sub_i32 s4, 1, s1
	v_rcp_iflag_f32_e32 v5, v5
	s_mov_b32 s19, 0
	s_waitcnt_depctr 0xfff
	v_mul_f32_e32 v5, 0x4f7ffffe, v5
	s_delay_alu instid0(VALU_DEP_1) | instskip(NEXT) | instid1(VALU_DEP_1)
	v_cvt_u32_f32_e32 v5, v5
	v_readfirstlane_b32 s2, v5
	v_rcp_iflag_f32_e32 v5, v7
	s_delay_alu instid0(VALU_DEP_1) | instskip(NEXT) | instid1(SALU_CYCLE_1)
	s_mul_i32 s0, s0, s2
	s_mul_hi_u32 s0, s2, s0
	s_delay_alu instid0(SALU_CYCLE_1)
	s_add_i32 s2, s2, s0
	s_cmp_lt_u32 s1, 2
	s_waitcnt_depctr 0xfff
	v_mul_f32_e32 v5, 0x4f7ffffe, v5
	s_cselect_b32 s4, s4, 1
	v_cmp_eq_u32_e64 s0, 31, v6
	s_sub_i32 s5, s4, s1
	s_cmp_ge_u32 s4, s1
	v_cvt_u32_f32_e32 v5, v5
	s_cselect_b32 s28, s5, s4
	s_lshr_b32 s4, s2, 31
	s_mul_hi_u32 s2, s2, 3
	s_mul_i32 s4, s4, s1
	v_mul_lo_u32 v6, s3, v5
	s_sub_i32 s4, 2, s4
	s_mul_i32 s2, s2, s1
	s_sub_i32 s5, s4, s1
	s_cmp_ge_u32 s4, s1
	s_mul_i32 s28, s28, s18
	s_cselect_b32 s3, s5, s4
	s_delay_alu instid0(SALU_CYCLE_1)
	s_sub_i32 s4, s3, s1
	s_cmp_ge_u32 s3, s1
	v_mul_hi_u32 v6, v5, v6
	s_cselect_b32 s29, s4, s3
	s_sub_i32 s2, 3, s2
	v_mov_b32_e32 v71, 0
	s_sub_i32 s3, s2, s1
	s_cmp_ge_u32 s2, s1
	s_mul_i32 s29, s29, s18
	s_cselect_b32 s2, s3, s2
	v_add_nc_u32_e32 v92, v5, v6
	s_sub_i32 s3, s2, s1
	s_cmp_ge_u32 s2, s1
	s_cselect_b32 s30, s3, s2
	s_lshl_b32 s27, s10, 1
	s_mul_i32 s30, s30, s18
	v_add_nc_u32_e32 v93, s27, v0
	s_mul_i32 s10, s10, 6
	s_branch .LBB111_19
.LBB111_17:                             ;   in Loop: Header=BB111_19 Depth=1
	s_or_b32 exec_lo, exec_lo, s33
	v_mov_b32_e32 v69, s21
.LBB111_18:                             ;   in Loop: Header=BB111_19 Depth=1
	s_or_b32 exec_lo, exec_lo, s31
	s_delay_alu instid0(VALU_DEP_1) | instskip(SKIP_1) | instid1(SALU_CYCLE_1)
	v_cmp_le_u32_e32 vcc_lo, s11, v69
	s_or_b32 s19, vcc_lo, s19
	s_and_not1_b32 exec_lo, exec_lo, s19
	s_cbranch_execz .LBB111_98
.LBB111_19:                             ; =>This Loop Header: Depth=1
                                        ;     Child Loop BB111_24 Depth 2
                                        ;     Child Loop BB111_81 Depth 2
	v_dual_mov_b32 v110, v71 :: v_dual_add_nc_u32 v75, 1, v69
	v_dual_mov_b32 v109, v71 :: v_dual_add_nc_u32 v74, 2, v69
	;; [unrolled: 1-line block ×3, first 2 shown]
	v_mov_b32_e32 v107, v71
	v_mov_b32_e32 v106, v71
	;; [unrolled: 1-line block ×13, first 2 shown]
	s_and_not1_b32 vcc_lo, exec_lo, s23
	s_cbranch_vccnz .LBB111_58
; %bb.20:                               ;   in Loop: Header=BB111_19 Depth=1
	v_min_u32_e32 v5, s25, v69
	v_min_u32_e32 v6, s25, v75
	;; [unrolled: 1-line block ×3, first 2 shown]
	s_waitcnt lgkmcnt(0)
	v_min_u32_e32 v8, s25, v73
	v_dual_mov_b32 v10, v71 :: v_dual_mov_b32 v99, 0
	v_mul_lo_u32 v70, v5, s9
	v_mul_lo_u32 v5, v6, s9
	;; [unrolled: 1-line block ×4, first 2 shown]
	v_dual_mov_b32 v6, v71 :: v_dual_mov_b32 v111, v90
	v_dual_mov_b32 v8, v71 :: v_dual_mov_b32 v101, 0
	v_lshlrev_b64 v[76:77], 1, v[70:71]
	s_delay_alu instid0(VALU_DEP_3) | instskip(SKIP_1) | instid1(VALU_DEP_4)
	v_lshlrev_b64 v[78:79], 1, v[5:6]
	v_dual_mov_b32 v100, 0 :: v_dual_mov_b32 v97, 0
	v_lshlrev_b64 v[80:81], 1, v[7:8]
	v_lshlrev_b64 v[82:83], 1, v[9:10]
	v_dual_mov_b32 v102, 0 :: v_dual_mov_b32 v95, 0
	v_dual_mov_b32 v98, 0 :: v_dual_mov_b32 v103, 0
	;; [unrolled: 1-line block ×5, first 2 shown]
	v_mov_b32_e32 v108, 0
	v_mov_b32_e32 v110, 0
	s_mov_b32 s1, 0
	s_branch .LBB111_24
.LBB111_21:                             ;   in Loop: Header=BB111_24 Depth=2
	s_or_b32 exec_lo, exec_lo, s4
.LBB111_22:                             ;   in Loop: Header=BB111_24 Depth=2
	s_delay_alu instid0(SALU_CYCLE_1)
	s_or_b32 exec_lo, exec_lo, s3
.LBB111_23:                             ;   in Loop: Header=BB111_24 Depth=2
	s_delay_alu instid0(SALU_CYCLE_1)
	s_or_b32 exec_lo, exec_lo, s2
	s_waitcnt vmcnt(0) lgkmcnt(0)
	;;#ASMSTART
	v_dot2_f32_f16 v110, v49, v25, v110
	;;#ASMEND
	;;#ASMSTART
	v_dot2_f32_f16 v109, v49, v21, v109
	;;#ASMEND
	;; [unrolled: 3-line block ×48, first 2 shown]
	v_add_nc_u32_e32 v111, 0x400, v111
	;;#ASMSTART
	v_dot2_f32_f16 v110, v52, v28, v110
	;;#ASMEND
	;;#ASMSTART
	v_dot2_f32_f16 v109, v52, v24, v109
	;;#ASMEND
	;; [unrolled: 3-line block ×16, first 2 shown]
	s_addk_i32 s1, 0x200
	;;#ASMSTART
	v_dot2_f32_f16 v110, v65, v17, v110
	;;#ASMEND
	;;#ASMSTART
	v_dot2_f32_f16 v109, v65, v13, v109
	;;#ASMEND
	;; [unrolled: 3-line block ×32, first 2 shown]
	s_cmp_ge_u32 s1, s8
	;;#ASMSTART
	v_dot2_f32_f16 v110, v67, v19, v110
	;;#ASMEND
	;;#ASMSTART
	v_dot2_f32_f16 v109, v67, v15, v109
	;;#ASMEND
	;; [unrolled: 3-line block ×32, first 2 shown]
	s_cbranch_scc1 .LBB111_58
.LBB111_24:                             ;   Parent Loop BB111_19 Depth=1
                                        ; =>  This Inner Loop Header: Depth=2
	v_dual_mov_b32 v56, 0 :: v_dual_add_nc_u32 v85, s1, v0
	v_dual_mov_b32 v54, 0 :: v_dual_mov_b32 v53, 0
	v_dual_mov_b32 v60, 0 :: v_dual_mov_b32 v59, 0
	s_delay_alu instid0(VALU_DEP_3) | instskip(SKIP_2) | instid1(VALU_DEP_3)
	v_min_u32_e32 v70, s24, v85
	v_dual_mov_b32 v55, 0 :: v_dual_add_nc_u32 v84, 0x100, v85
	v_dual_mov_b32 v58, 0 :: v_dual_mov_b32 v57, 0
	v_lshlrev_b64 v[5:6], 1, v[70:71]
	s_delay_alu instid0(VALU_DEP_3)
	v_min_u32_e32 v70, s24, v84
	s_waitcnt vmcnt(5)
	v_dual_mov_b32 v44, 0 :: v_dual_mov_b32 v43, 0
	s_waitcnt vmcnt(4)
	v_dual_mov_b32 v42, 0 :: v_dual_mov_b32 v41, 0
	v_add_co_u32 v13, vcc_lo, s6, v5
	v_add_co_ci_u32_e32 v14, vcc_lo, s7, v6, vcc_lo
	v_lshlrev_b64 v[5:6], 1, v[70:71]
	s_delay_alu instid0(VALU_DEP_3) | instskip(NEXT) | instid1(VALU_DEP_3)
	v_add_co_u32 v7, vcc_lo, v13, v76
	v_add_co_ci_u32_e32 v8, vcc_lo, v14, v77, vcc_lo
	v_add_co_u32 v9, vcc_lo, v13, v78
	v_add_co_ci_u32_e32 v10, vcc_lo, v14, v79, vcc_lo
	;; [unrolled: 2-line block ×5, first 2 shown]
	s_clause 0x1
	global_load_b128 v[25:28], v[7:8], off slc dlc
	global_load_b128 v[21:24], v[9:10], off slc dlc
	v_add_co_u32 v7, vcc_lo, v15, v76
	v_add_co_ci_u32_e32 v8, vcc_lo, v16, v77, vcc_lo
	v_add_co_u32 v9, vcc_lo, v15, v78
	v_add_co_ci_u32_e32 v10, vcc_lo, v16, v79, vcc_lo
	s_waitcnt vmcnt(2)
	v_add_co_u32 v37, vcc_lo, v15, v80
	v_add_co_ci_u32_e32 v38, vcc_lo, v16, v81, vcc_lo
	v_add_co_u32 v39, vcc_lo, v15, v82
	v_add_co_ci_u32_e32 v40, vcc_lo, v16, v83, vcc_lo
	s_clause 0x5
	global_load_b128 v[33:36], v[11:12], off slc dlc
	global_load_b128 v[29:32], v[5:6], off slc dlc
	;; [unrolled: 1-line block ×6, first 2 shown]
	v_cmp_gt_u32_e32 vcc_lo, s8, v85
	v_dual_mov_b32 v40, 0 :: v_dual_mov_b32 v39, 0
	v_dual_mov_b32 v38, 0 :: v_dual_mov_b32 v37, 0
	;; [unrolled: 1-line block ×10, first 2 shown]
	s_and_saveexec_b32 s2, vcc_lo
	s_cbranch_execz .LBB111_23
; %bb.25:                               ;   in Loop: Header=BB111_24 Depth=2
	s_mov_b32 s3, exec_lo
                                        ; implicit-def: $vgpr52
	v_cmpx_lt_u32_e32 0x7fff, v85
	s_xor_b32 s3, exec_lo, s3
	s_cbranch_execz .LBB111_27
; %bb.26:                               ;   in Loop: Header=BB111_24 Depth=2
	v_mov_b32_e32 v86, v71
	s_delay_alu instid0(VALU_DEP_1) | instskip(NEXT) | instid1(VALU_DEP_1)
	v_lshlrev_b64 v[37:38], 1, v[85:86]
	v_add_co_u32 v37, vcc_lo, s16, v37
	s_delay_alu instid0(VALU_DEP_2)
	v_add_co_ci_u32_e32 v38, vcc_lo, s17, v38, vcc_lo
	global_load_b128 v[49:52], v[37:38], off
.LBB111_27:                             ;   in Loop: Header=BB111_24 Depth=2
	s_and_not1_saveexec_b32 s3, s3
	s_cbranch_execz .LBB111_29
; %bb.28:                               ;   in Loop: Header=BB111_24 Depth=2
	s_waitcnt vmcnt(0)
	ds_load_b128 v[49:52], v111
.LBB111_29:                             ;   in Loop: Header=BB111_24 Depth=2
	s_or_b32 exec_lo, exec_lo, s3
	v_add_nc_u32_e32 v70, s1, v91
	s_mov_b32 s3, exec_lo
                                        ; implicit-def: $vgpr48
	s_delay_alu instid0(VALU_DEP_1)
	v_cmpx_lt_u32_e32 0x7fff, v70
	s_xor_b32 s3, exec_lo, s3
	s_cbranch_execz .LBB111_31
; %bb.30:                               ;   in Loop: Header=BB111_24 Depth=2
	v_lshlrev_b64 v[37:38], 1, v[70:71]
	s_delay_alu instid0(VALU_DEP_1) | instskip(NEXT) | instid1(VALU_DEP_2)
	v_add_co_u32 v37, vcc_lo, s16, v37
	v_add_co_ci_u32_e32 v38, vcc_lo, s17, v38, vcc_lo
	global_load_b128 v[45:48], v[37:38], off
.LBB111_31:                             ;   in Loop: Header=BB111_24 Depth=2
	s_and_not1_saveexec_b32 s3, s3
	s_cbranch_execz .LBB111_33
; %bb.32:                               ;   in Loop: Header=BB111_24 Depth=2
	v_add_nc_u32_e32 v37, s27, v111
	s_waitcnt vmcnt(0)
	ds_load_b128 v[45:48], v37
.LBB111_33:                             ;   in Loop: Header=BB111_24 Depth=2
	s_or_b32 exec_lo, exec_lo, s3
	v_add_nc_u32_e32 v88, s1, v93
	s_mov_b32 s3, exec_lo
                                        ; implicit-def: $vgpr44
	s_delay_alu instid0(VALU_DEP_1)
	v_cmpx_lt_u32_e32 0x7fff, v88
	s_xor_b32 s3, exec_lo, s3
	s_cbranch_execz .LBB111_35
; %bb.34:                               ;   in Loop: Header=BB111_24 Depth=2
	v_mov_b32_e32 v89, v71
	s_delay_alu instid0(VALU_DEP_1) | instskip(NEXT) | instid1(VALU_DEP_1)
	v_lshlrev_b64 v[37:38], 1, v[88:89]
	v_add_co_u32 v37, vcc_lo, s16, v37
	s_delay_alu instid0(VALU_DEP_2)
	v_add_co_ci_u32_e32 v38, vcc_lo, s17, v38, vcc_lo
	global_load_b128 v[41:44], v[37:38], off
.LBB111_35:                             ;   in Loop: Header=BB111_24 Depth=2
	s_and_not1_saveexec_b32 s3, s3
	s_cbranch_execz .LBB111_37
; %bb.36:                               ;   in Loop: Header=BB111_24 Depth=2
	v_add_nc_u32_e32 v37, s22, v111
	s_waitcnt vmcnt(0)
	ds_load_2addr_b32 v[41:42], v37 offset1:1
	ds_load_2addr_b32 v[43:44], v37 offset0:2 offset1:3
.LBB111_37:                             ;   in Loop: Header=BB111_24 Depth=2
	s_or_b32 exec_lo, exec_lo, s3
	v_add_nc_u32_e32 v86, s1, v72
	s_mov_b32 s3, exec_lo
                                        ; implicit-def: $vgpr40
	s_delay_alu instid0(VALU_DEP_1)
	v_cmpx_lt_u32_e32 0x7fff, v86
	s_xor_b32 s3, exec_lo, s3
	s_cbranch_execz .LBB111_39
; %bb.38:                               ;   in Loop: Header=BB111_24 Depth=2
	v_mov_b32_e32 v87, v71
	s_delay_alu instid0(VALU_DEP_1) | instskip(NEXT) | instid1(VALU_DEP_1)
	v_lshlrev_b64 v[37:38], 1, v[86:87]
	v_add_co_u32 v37, vcc_lo, s16, v37
	s_delay_alu instid0(VALU_DEP_2)
	v_add_co_ci_u32_e32 v38, vcc_lo, s17, v38, vcc_lo
	global_load_b128 v[37:40], v[37:38], off
.LBB111_39:                             ;   in Loop: Header=BB111_24 Depth=2
	s_and_not1_saveexec_b32 s3, s3
	s_cbranch_execz .LBB111_41
; %bb.40:                               ;   in Loop: Header=BB111_24 Depth=2
	s_waitcnt vmcnt(0)
	v_add_nc_u32_e32 v37, s10, v111
	ds_load_b128 v[37:40], v37
.LBB111_41:                             ;   in Loop: Header=BB111_24 Depth=2
	s_or_b32 exec_lo, exec_lo, s3
	v_dual_mov_b32 v56, 0 :: v_dual_mov_b32 v55, 0
	v_dual_mov_b32 v54, 0 :: v_dual_mov_b32 v53, 0
	;; [unrolled: 1-line block ×8, first 2 shown]
	s_mov_b32 s3, exec_lo
	v_cmpx_gt_u32_e64 s8, v84
	s_cbranch_execz .LBB111_22
; %bb.42:                               ;   in Loop: Header=BB111_24 Depth=2
	s_mov_b32 s4, exec_lo
                                        ; implicit-def: $vgpr68
	v_cmpx_lt_u32_e32 0x7fff, v84
	s_xor_b32 s4, exec_lo, s4
	s_cbranch_execz .LBB111_44
; %bb.43:                               ;   in Loop: Header=BB111_24 Depth=2
	v_mov_b32_e32 v85, v71
	s_delay_alu instid0(VALU_DEP_1) | instskip(NEXT) | instid1(VALU_DEP_1)
	v_lshlrev_b64 v[53:54], 1, v[84:85]
	v_add_co_u32 v53, vcc_lo, s16, v53
	s_delay_alu instid0(VALU_DEP_2)
	v_add_co_ci_u32_e32 v54, vcc_lo, s17, v54, vcc_lo
	global_load_b128 v[65:68], v[53:54], off
.LBB111_44:                             ;   in Loop: Header=BB111_24 Depth=2
	s_and_not1_saveexec_b32 s4, s4
	s_cbranch_execz .LBB111_46
; %bb.45:                               ;   in Loop: Header=BB111_24 Depth=2
	s_waitcnt vmcnt(0)
	ds_load_b128 v[65:68], v111 offset:512
.LBB111_46:                             ;   in Loop: Header=BB111_24 Depth=2
	s_or_b32 exec_lo, exec_lo, s4
	v_add_nc_u32_e32 v70, 0x100, v70
	s_mov_b32 s4, exec_lo
                                        ; implicit-def: $vgpr64
	s_delay_alu instid0(VALU_DEP_1)
	v_cmpx_lt_u32_e32 0x7fff, v70
	s_xor_b32 s4, exec_lo, s4
	s_cbranch_execz .LBB111_48
; %bb.47:                               ;   in Loop: Header=BB111_24 Depth=2
	v_lshlrev_b64 v[53:54], 1, v[70:71]
	s_delay_alu instid0(VALU_DEP_1) | instskip(NEXT) | instid1(VALU_DEP_2)
	v_add_co_u32 v53, vcc_lo, s16, v53
	v_add_co_ci_u32_e32 v54, vcc_lo, s17, v54, vcc_lo
	global_load_b128 v[61:64], v[53:54], off
.LBB111_48:                             ;   in Loop: Header=BB111_24 Depth=2
	s_and_not1_saveexec_b32 s4, s4
	s_cbranch_execz .LBB111_50
; %bb.49:                               ;   in Loop: Header=BB111_24 Depth=2
	v_add_nc_u32_e32 v53, s27, v111
	s_waitcnt vmcnt(0)
	ds_load_b128 v[61:64], v53 offset:512
.LBB111_50:                             ;   in Loop: Header=BB111_24 Depth=2
	s_or_b32 exec_lo, exec_lo, s4
	v_add_nc_u32_e32 v70, 0x100, v88
	s_mov_b32 s4, exec_lo
                                        ; implicit-def: $vgpr60
	s_delay_alu instid0(VALU_DEP_1)
	v_cmpx_lt_u32_e32 0x7fff, v70
	s_xor_b32 s4, exec_lo, s4
	s_cbranch_execz .LBB111_52
; %bb.51:                               ;   in Loop: Header=BB111_24 Depth=2
	v_lshlrev_b64 v[53:54], 1, v[70:71]
	s_delay_alu instid0(VALU_DEP_1) | instskip(NEXT) | instid1(VALU_DEP_2)
	v_add_co_u32 v53, vcc_lo, s16, v53
	v_add_co_ci_u32_e32 v54, vcc_lo, s17, v54, vcc_lo
	global_load_b128 v[57:60], v[53:54], off
.LBB111_52:                             ;   in Loop: Header=BB111_24 Depth=2
	s_and_not1_saveexec_b32 s4, s4
	s_cbranch_execz .LBB111_54
; %bb.53:                               ;   in Loop: Header=BB111_24 Depth=2
	v_add_nc_u32_e32 v53, s22, v111
	s_waitcnt vmcnt(0)
	ds_load_2addr_b32 v[57:58], v53 offset0:128 offset1:129
	ds_load_2addr_b32 v[59:60], v53 offset0:130 offset1:131
.LBB111_54:                             ;   in Loop: Header=BB111_24 Depth=2
	s_or_b32 exec_lo, exec_lo, s4
	v_add_nc_u32_e32 v70, 0x100, v86
	s_mov_b32 s4, exec_lo
                                        ; implicit-def: $vgpr56
	s_delay_alu instid0(VALU_DEP_1)
	v_cmpx_lt_u32_e32 0x7fff, v70
	s_xor_b32 s4, exec_lo, s4
	s_cbranch_execz .LBB111_56
; %bb.55:                               ;   in Loop: Header=BB111_24 Depth=2
	v_lshlrev_b64 v[53:54], 1, v[70:71]
	s_delay_alu instid0(VALU_DEP_1) | instskip(NEXT) | instid1(VALU_DEP_2)
	v_add_co_u32 v53, vcc_lo, s16, v53
	v_add_co_ci_u32_e32 v54, vcc_lo, s17, v54, vcc_lo
	global_load_b128 v[53:56], v[53:54], off
.LBB111_56:                             ;   in Loop: Header=BB111_24 Depth=2
	s_and_not1_saveexec_b32 s4, s4
	s_cbranch_execz .LBB111_21
; %bb.57:                               ;   in Loop: Header=BB111_24 Depth=2
	s_waitcnt vmcnt(0)
	v_add_nc_u32_e32 v53, s10, v111
	ds_load_b128 v[53:56], v53 offset:512
	s_branch .LBB111_21
.LBB111_58:                             ;   in Loop: Header=BB111_19 Depth=1
	v_cvt_i32_f32_e32 v5, v110
	v_xor_b32_e32 v6, 16, v94
	v_cvt_i32_f32_e32 v7, v109
	s_waitcnt lgkmcnt(0)
	v_cvt_i32_f32_e32 v8, v108
	v_cvt_i32_f32_e32 v9, v107
	v_cvt_f32_i32_dpp v5, v5 row_shr:8 row_mask:0xf bank_mask:0xf bound_ctrl:1
	v_cmp_gt_i32_e32 vcc_lo, 32, v6
	v_cvt_f32_i32_dpp v7, v7 row_shr:8 row_mask:0xf bank_mask:0xf bound_ctrl:1
	v_cvt_f32_i32_dpp v8, v8 row_shr:8 row_mask:0xf bank_mask:0xf bound_ctrl:1
	v_cvt_i32_f32_e32 v10, v106
	v_add_f32_e32 v5, v110, v5
	v_cndmask_b32_e32 v6, v94, v6, vcc_lo
	v_cvt_f32_i32_dpp v9, v9 row_shr:8 row_mask:0xf bank_mask:0xf bound_ctrl:1
	v_cvt_i32_f32_e32 v11, v105
	v_cvt_f32_i32_dpp v10, v10 row_shr:8 row_mask:0xf bank_mask:0xf bound_ctrl:1
	s_waitcnt vmcnt(0)
	v_dual_add_f32 v6, v109, v7 :: v_dual_lshlrev_b32 v37, 2, v6
	v_cvt_i32_f32_e32 v12, v5
	v_add_f32_e32 v7, v108, v8
	v_dual_add_f32 v9, v107, v9 :: v_dual_add_f32 v10, v106, v10
	v_cvt_f32_i32_dpp v11, v11 row_shr:8 row_mask:0xf bank_mask:0xf bound_ctrl:1
	s_delay_alu instid0(VALU_DEP_4) | instskip(SKIP_1) | instid1(VALU_DEP_4)
	v_cvt_f32_i32_dpp v8, v12 row_shr:4 row_mask:0xf bank_mask:0xf bound_ctrl:1
	v_cvt_i32_f32_e32 v12, v6
	v_cvt_i32_f32_e32 v13, v9
	v_cvt_i32_f32_e32 v14, v10
	s_delay_alu instid0(VALU_DEP_4) | instskip(SKIP_4) | instid1(VALU_DEP_4)
	v_add_f32_e32 v5, v5, v8
	v_cvt_i32_f32_e32 v8, v7
	v_cvt_f32_i32_dpp v12, v12 row_shr:4 row_mask:0xf bank_mask:0xf bound_ctrl:1
	v_cvt_f32_i32_dpp v13, v13 row_shr:4 row_mask:0xf bank_mask:0xf bound_ctrl:1
	;; [unrolled: 1-line block ×4, first 2 shown]
	s_delay_alu instid0(VALU_DEP_4) | instskip(NEXT) | instid1(VALU_DEP_2)
	v_add_f32_e32 v6, v6, v12
	v_dual_add_f32 v7, v7, v8 :: v_dual_add_f32 v8, v9, v13
	s_delay_alu instid0(VALU_DEP_4) | instskip(NEXT) | instid1(VALU_DEP_2)
	v_add_f32_e32 v9, v10, v14
	v_cvt_i32_f32_e32 v12, v7
	s_delay_alu instid0(VALU_DEP_3) | instskip(NEXT) | instid1(VALU_DEP_2)
	v_cvt_i32_f32_e32 v14, v8
	v_cvt_f32_i32_dpp v12, v12 row_shr:2 row_mask:0xf bank_mask:0xf bound_ctrl:1
	v_add_f32_e32 v11, v105, v11
	s_delay_alu instid0(VALU_DEP_3) | instskip(NEXT) | instid1(VALU_DEP_2)
	v_cvt_f32_i32_dpp v14, v14 row_shr:2 row_mask:0xf bank_mask:0xf bound_ctrl:1
	v_cvt_i32_f32_e32 v15, v11
	s_delay_alu instid0(VALU_DEP_1) | instskip(NEXT) | instid1(VALU_DEP_1)
	v_cvt_f32_i32_dpp v15, v15 row_shr:4 row_mask:0xf bank_mask:0xf bound_ctrl:1
	v_add_f32_e32 v10, v11, v15
	v_cvt_i32_f32_e32 v16, v5
	v_cvt_i32_f32_e32 v11, v6
	s_delay_alu instid0(VALU_DEP_2) | instskip(NEXT) | instid1(VALU_DEP_2)
	v_cvt_f32_i32_dpp v16, v16 row_shr:2 row_mask:0xf bank_mask:0xf bound_ctrl:1
	v_cvt_f32_i32_dpp v11, v11 row_shr:2 row_mask:0xf bank_mask:0xf bound_ctrl:1
	s_delay_alu instid0(VALU_DEP_2) | instskip(SKIP_1) | instid1(VALU_DEP_2)
	v_add_f32_e32 v5, v5, v16
	v_cvt_i32_f32_e32 v16, v10
	v_cvt_i32_f32_e32 v13, v5
	s_delay_alu instid0(VALU_DEP_2) | instskip(NEXT) | instid1(VALU_DEP_2)
	v_cvt_f32_i32_dpp v16, v16 row_shr:2 row_mask:0xf bank_mask:0xf bound_ctrl:1
	v_cvt_f32_i32_dpp v13, v13 row_shr:1 row_mask:0xf bank_mask:0xf bound_ctrl:1
	s_delay_alu instid0(VALU_DEP_1) | instskip(SKIP_2) | instid1(VALU_DEP_2)
	v_add_f32_e32 v35, v5, v13
	v_dual_add_f32 v5, v6, v11 :: v_dual_add_f32 v6, v7, v12
	v_add_f32_e32 v7, v8, v14
	v_cvt_i32_f32_e32 v11, v6
	s_delay_alu instid0(VALU_DEP_2) | instskip(NEXT) | instid1(VALU_DEP_2)
	v_cvt_i32_f32_e32 v12, v7
	v_cvt_f32_i32_dpp v11, v11 row_shr:1 row_mask:0xf bank_mask:0xf bound_ctrl:1
	s_delay_alu instid0(VALU_DEP_2) | instskip(NEXT) | instid1(VALU_DEP_2)
	v_cvt_f32_i32_dpp v12, v12 row_shr:1 row_mask:0xf bank_mask:0xf bound_ctrl:1
	v_add_f32_e32 v24, v6, v11
	s_delay_alu instid0(VALU_DEP_2)
	v_add_f32_e32 v18, v7, v12
	v_cvt_i32_f32_e32 v15, v9
	v_cvt_i32_f32_e32 v12, v101
	v_cvt_i32_f32_e32 v6, v103
	ds_bpermute_b32 v27, v37, v24
	ds_bpermute_b32 v21, v37, v18
	v_cvt_f32_i32_dpp v15, v15 row_shr:2 row_mask:0xf bank_mask:0xf bound_ctrl:1
	v_cvt_f32_i32_dpp v12, v12 row_shr:8 row_mask:0xf bank_mask:0xf bound_ctrl:1
	;; [unrolled: 1-line block ×3, first 2 shown]
	s_delay_alu instid0(VALU_DEP_3) | instskip(NEXT) | instid1(VALU_DEP_3)
	v_add_f32_e32 v8, v9, v15
	v_add_f32_e32 v12, v101, v12
	s_delay_alu instid0(VALU_DEP_3) | instskip(SKIP_4) | instid1(VALU_DEP_3)
	v_add_f32_e32 v6, v103, v6
	ds_bpermute_b32 v36, v37, v35
	v_cvt_i32_f32_e32 v13, v8
	v_cvt_i32_f32_e32 v19, v12
	;; [unrolled: 1-line block ×3, first 2 shown]
	v_cvt_f32_i32_dpp v13, v13 row_shr:1 row_mask:0xf bank_mask:0xf bound_ctrl:1
	s_delay_alu instid0(VALU_DEP_3) | instskip(NEXT) | instid1(VALU_DEP_3)
	v_cvt_f32_i32_dpp v19, v19 row_shr:4 row_mask:0xf bank_mask:0xf bound_ctrl:1
	v_cvt_f32_i32_dpp v15, v15 row_shr:4 row_mask:0xf bank_mask:0xf bound_ctrl:1
	s_delay_alu instid0(VALU_DEP_3) | instskip(SKIP_1) | instid1(VALU_DEP_3)
	v_add_f32_e32 v11, v8, v13
	v_cvt_i32_f32_e32 v8, v100
	v_add_f32_e32 v6, v6, v15
	v_add_f32_e32 v12, v12, v19
	s_delay_alu instid0(VALU_DEP_3) | instskip(NEXT) | instid1(VALU_DEP_3)
	v_cvt_f32_i32_dpp v8, v8 row_shr:8 row_mask:0xf bank_mask:0xf bound_ctrl:1
	v_cvt_i32_f32_e32 v15, v6
	s_delay_alu instid0(VALU_DEP_3) | instskip(NEXT) | instid1(VALU_DEP_3)
	v_cvt_i32_f32_e32 v19, v12
	v_add_f32_e32 v8, v100, v8
	v_add_f32_e32 v9, v10, v16
	v_cvt_i32_f32_e32 v10, v5
	v_cvt_f32_i32_dpp v15, v15 row_shr:2 row_mask:0xf bank_mask:0xf bound_ctrl:1
	v_cvt_f32_i32_dpp v19, v19 row_shr:2 row_mask:0xf bank_mask:0xf bound_ctrl:1
	v_cvt_i32_f32_e32 v16, v8
	s_delay_alu instid0(VALU_DEP_4) | instskip(NEXT) | instid1(VALU_DEP_4)
	v_cvt_f32_i32_dpp v10, v10 row_shr:1 row_mask:0xf bank_mask:0xf bound_ctrl:1
	v_add_f32_e32 v6, v6, v15
	s_delay_alu instid0(VALU_DEP_4) | instskip(NEXT) | instid1(VALU_DEP_4)
	v_add_f32_e32 v12, v12, v19
	v_cvt_f32_i32_dpp v16, v16 row_shr:4 row_mask:0xf bank_mask:0xf bound_ctrl:1
	s_delay_alu instid0(VALU_DEP_4) | instskip(SKIP_2) | instid1(VALU_DEP_4)
	v_add_f32_e32 v30, v5, v10
	v_cvt_i32_f32_e32 v14, v9
	v_cvt_i32_f32_e32 v5, v104
	v_add_f32_e32 v8, v8, v16
	v_cvt_i32_f32_e32 v15, v6
	ds_bpermute_b32 v33, v37, v30
	v_cvt_f32_i32_dpp v14, v14 row_shr:1 row_mask:0xf bank_mask:0xf bound_ctrl:1
	v_cvt_f32_i32_dpp v5, v5 row_shr:8 row_mask:0xf bank_mask:0xf bound_ctrl:1
	v_cvt_i32_f32_e32 v16, v8
	v_cvt_f32_i32_dpp v15, v15 row_shr:1 row_mask:0xf bank_mask:0xf bound_ctrl:1
	v_cvt_i32_f32_e32 v19, v12
	v_add_f32_e32 v7, v9, v14
	v_add_f32_e32 v5, v104, v5
	v_cvt_i32_f32_e32 v9, v102
	v_cvt_f32_i32_dpp v16, v16 row_shr:2 row_mask:0xf bank_mask:0xf bound_ctrl:1
	v_add_f32_e32 v25, v6, v15
	v_cvt_i32_f32_e32 v15, v96
	v_cvt_i32_f32_e32 v13, v5
	v_cvt_f32_i32_dpp v9, v9 row_shr:8 row_mask:0xf bank_mask:0xf bound_ctrl:1
	v_add_f32_e32 v8, v8, v16
	ds_bpermute_b32 v14, v37, v11
	v_cvt_f32_i32_dpp v15, v15 row_shr:8 row_mask:0xf bank_mask:0xf bound_ctrl:1
	v_cvt_f32_i32_dpp v13, v13 row_shr:4 row_mask:0xf bank_mask:0xf bound_ctrl:1
	v_add_f32_e32 v9, v102, v9
	v_cvt_i32_f32_e32 v16, v8
	ds_bpermute_b32 v10, v37, v7
	v_cvt_f32_i32_dpp v19, v19 row_shr:1 row_mask:0xf bank_mask:0xf bound_ctrl:1
	v_add_f32_e32 v5, v5, v13
	v_cvt_i32_f32_e32 v17, v9
	v_cvt_f32_i32_dpp v16, v16 row_shr:1 row_mask:0xf bank_mask:0xf bound_ctrl:1
	s_delay_alu instid0(VALU_DEP_4) | instskip(NEXT) | instid1(VALU_DEP_4)
	v_add_f32_e32 v6, v12, v19
	v_cvt_i32_f32_e32 v13, v5
	s_delay_alu instid0(VALU_DEP_4) | instskip(SKIP_2) | instid1(VALU_DEP_4)
	v_cvt_f32_i32_dpp v17, v17 row_shr:4 row_mask:0xf bank_mask:0xf bound_ctrl:1
	v_cvt_i32_f32_e32 v19, v95
	v_cvt_i32_f32_e32 v12, v97
	v_cvt_f32_i32_dpp v13, v13 row_shr:2 row_mask:0xf bank_mask:0xf bound_ctrl:1
	s_delay_alu instid0(VALU_DEP_4) | instskip(NEXT) | instid1(VALU_DEP_4)
	v_add_f32_e32 v9, v9, v17
	v_cvt_f32_i32_dpp v19, v19 row_shr:8 row_mask:0xf bank_mask:0xf bound_ctrl:1
	s_delay_alu instid0(VALU_DEP_4) | instskip(NEXT) | instid1(VALU_DEP_4)
	v_cvt_f32_i32_dpp v12, v12 row_shr:8 row_mask:0xf bank_mask:0xf bound_ctrl:1
	v_add_f32_e32 v5, v5, v13
	s_delay_alu instid0(VALU_DEP_4) | instskip(NEXT) | instid1(VALU_DEP_3)
	v_cvt_i32_f32_e32 v17, v9
	v_dual_add_f32 v19, v95, v19 :: v_dual_add_f32 v12, v97, v12
	ds_bpermute_b32 v28, v37, v25
	v_cvt_i32_f32_e32 v13, v5
	v_cvt_f32_i32_dpp v17, v17 row_shr:2 row_mask:0xf bank_mask:0xf bound_ctrl:1
	v_cvt_i32_f32_e32 v32, v19
	v_cvt_i32_f32_e32 v26, v12
	s_delay_alu instid0(VALU_DEP_4) | instskip(NEXT) | instid1(VALU_DEP_4)
	v_cvt_f32_i32_dpp v13, v13 row_shr:1 row_mask:0xf bank_mask:0xf bound_ctrl:1
	v_add_f32_e32 v9, v9, v17
	s_delay_alu instid0(VALU_DEP_4) | instskip(NEXT) | instid1(VALU_DEP_4)
	v_cvt_f32_i32_dpp v32, v32 row_shr:4 row_mask:0xf bank_mask:0xf bound_ctrl:1
	v_cvt_f32_i32_dpp v26, v26 row_shr:4 row_mask:0xf bank_mask:0xf bound_ctrl:1
	s_delay_alu instid0(VALU_DEP_3) | instskip(NEXT) | instid1(VALU_DEP_2)
	v_cvt_i32_f32_e32 v17, v9
	v_dual_add_f32 v19, v19, v32 :: v_dual_add_f32 v12, v12, v26
	s_delay_alu instid0(VALU_DEP_2) | instskip(NEXT) | instid1(VALU_DEP_2)
	v_cvt_f32_i32_dpp v20, v17 row_shr:1 row_mask:0xf bank_mask:0xf bound_ctrl:1
	v_cvt_i32_f32_e32 v32, v19
	s_delay_alu instid0(VALU_DEP_3) | instskip(NEXT) | instid1(VALU_DEP_2)
	v_cvt_i32_f32_e32 v26, v12
	v_cvt_f32_i32_dpp v32, v32 row_shr:2 row_mask:0xf bank_mask:0xf bound_ctrl:1
	v_add_f32_e32 v15, v96, v15
	s_delay_alu instid0(VALU_DEP_3) | instskip(NEXT) | instid1(VALU_DEP_2)
	v_cvt_f32_i32_dpp v26, v26 row_shr:2 row_mask:0xf bank_mask:0xf bound_ctrl:1
	v_cvt_i32_f32_e32 v29, v15
	s_delay_alu instid0(VALU_DEP_2) | instskip(NEXT) | instid1(VALU_DEP_2)
	v_add_f32_e32 v12, v12, v26
	v_cvt_f32_i32_dpp v29, v29 row_shr:4 row_mask:0xf bank_mask:0xf bound_ctrl:1
	s_delay_alu instid0(VALU_DEP_2) | instskip(NEXT) | instid1(VALU_DEP_2)
	v_cvt_i32_f32_e32 v26, v12
	v_add_f32_e32 v15, v15, v29
	s_delay_alu instid0(VALU_DEP_2) | instskip(NEXT) | instid1(VALU_DEP_2)
	v_cvt_f32_i32_dpp v26, v26 row_shr:1 row_mask:0xf bank_mask:0xf bound_ctrl:1
	v_cvt_i32_f32_e32 v29, v15
	s_delay_alu instid0(VALU_DEP_1) | instskip(NEXT) | instid1(VALU_DEP_1)
	v_cvt_f32_i32_dpp v29, v29 row_shr:2 row_mask:0xf bank_mask:0xf bound_ctrl:1
	v_add_f32_e32 v15, v15, v29
	s_delay_alu instid0(VALU_DEP_1) | instskip(NEXT) | instid1(VALU_DEP_1)
	v_cvt_i32_f32_e32 v29, v15
	v_cvt_f32_i32_dpp v38, v29 row_shr:1 row_mask:0xf bank_mask:0xf bound_ctrl:1
	v_add_f32_e32 v17, v8, v16
	v_cvt_i32_f32_e32 v8, v98
	s_delay_alu instid0(VALU_DEP_1) | instskip(SKIP_2) | instid1(VALU_DEP_3)
	v_cvt_f32_i32_dpp v8, v8 row_shr:8 row_mask:0xf bank_mask:0xf bound_ctrl:1
	v_add_f32_e32 v31, v5, v13
	v_cvt_i32_f32_e32 v5, v99
	v_add_f32_e32 v8, v98, v8
	ds_bpermute_b32 v34, v37, v31
	v_cvt_f32_i32_dpp v5, v5 row_shr:8 row_mask:0xf bank_mask:0xf bound_ctrl:1
	v_cvt_i32_f32_e32 v23, v8
	s_delay_alu instid0(VALU_DEP_2) | instskip(NEXT) | instid1(VALU_DEP_2)
	v_add_f32_e32 v5, v99, v5
	v_cvt_f32_i32_dpp v23, v23 row_shr:4 row_mask:0xf bank_mask:0xf bound_ctrl:1
	v_add_f32_e32 v13, v9, v20
	s_delay_alu instid0(VALU_DEP_3)
	v_cvt_i32_f32_e32 v22, v5
	ds_bpermute_b32 v9, v37, v6
	v_add_f32_e32 v8, v8, v23
	ds_bpermute_b32 v16, v37, v13
	v_cvt_f32_i32_dpp v22, v22 row_shr:4 row_mask:0xf bank_mask:0xf bound_ctrl:1
	v_cvt_i32_f32_e32 v23, v8
	s_delay_alu instid0(VALU_DEP_1) | instskip(NEXT) | instid1(VALU_DEP_1)
	v_cvt_f32_i32_dpp v23, v23 row_shr:2 row_mask:0xf bank_mask:0xf bound_ctrl:1
	v_dual_add_f32 v5, v5, v22 :: v_dual_add_f32 v8, v8, v23
	s_delay_alu instid0(VALU_DEP_1) | instskip(NEXT) | instid1(VALU_DEP_2)
	v_cvt_i32_f32_e32 v22, v5
	v_cvt_i32_f32_e32 v23, v8
	s_delay_alu instid0(VALU_DEP_2) | instskip(NEXT) | instid1(VALU_DEP_2)
	v_cvt_f32_i32_dpp v22, v22 row_shr:2 row_mask:0xf bank_mask:0xf bound_ctrl:1
	v_cvt_f32_i32_dpp v23, v23 row_shr:1 row_mask:0xf bank_mask:0xf bound_ctrl:1
	s_delay_alu instid0(VALU_DEP_2) | instskip(NEXT) | instid1(VALU_DEP_2)
	v_dual_add_f32 v5, v5, v22 :: v_dual_add_f32 v22, v19, v32
	v_add_f32_e32 v23, v8, v23
	s_delay_alu instid0(VALU_DEP_2) | instskip(NEXT) | instid1(VALU_DEP_3)
	v_cvt_i32_f32_e32 v19, v5
	v_cvt_i32_f32_e32 v32, v22
	s_delay_alu instid0(VALU_DEP_2) | instskip(NEXT) | instid1(VALU_DEP_2)
	v_cvt_f32_i32_dpp v19, v19 row_shr:1 row_mask:0xf bank_mask:0xf bound_ctrl:1
	v_cvt_f32_i32_dpp v32, v32 row_shr:1 row_mask:0xf bank_mask:0xf bound_ctrl:1
	s_delay_alu instid0(VALU_DEP_2) | instskip(SKIP_1) | instid1(VALU_DEP_3)
	v_add_f32_e32 v29, v5, v19
	v_add_f32_e32 v19, v12, v26
	v_dual_add_f32 v12, v15, v38 :: v_dual_add_f32 v5, v22, v32
	ds_bpermute_b32 v20, v37, v17
	ds_bpermute_b32 v26, v37, v23
	;; [unrolled: 1-line block ×6, first 2 shown]
	s_and_saveexec_b32 s5, s0
	s_cbranch_execz .LBB111_78
; %bb.59:                               ;   in Loop: Header=BB111_19 Depth=1
	v_dual_mov_b32 v52, 0 :: v_dual_mov_b32 v51, 0
	v_dual_mov_b32 v50, 0 :: v_dual_mov_b32 v49, 0
	;; [unrolled: 1-line block ×8, first 2 shown]
	s_and_not1_b32 vcc_lo, exec_lo, s26
	s_cbranch_vccnz .LBB111_61
; %bb.60:                               ;   in Loop: Header=BB111_19 Depth=1
	v_mul_hi_u32 v37, v69, v92
	v_mul_hi_u32 v38, v75, v92
	;; [unrolled: 1-line block ×4, first 2 shown]
	v_mov_b32_e32 v52, v71
	v_mov_b32_e32 v66, v71
	;; [unrolled: 1-line block ×3, first 2 shown]
	v_mul_lo_u32 v37, v37, s18
	v_mul_lo_u32 v41, v38, s18
	;; [unrolled: 1-line block ×4, first 2 shown]
	s_delay_alu instid0(VALU_DEP_4) | instskip(NEXT) | instid1(VALU_DEP_4)
	v_sub_nc_u32_e32 v37, v69, v37
	v_sub_nc_u32_e32 v41, v75, v41
	s_delay_alu instid0(VALU_DEP_4) | instskip(NEXT) | instid1(VALU_DEP_4)
	v_sub_nc_u32_e32 v39, v74, v39
	v_sub_nc_u32_e32 v42, v73, v40
	s_delay_alu instid0(VALU_DEP_4)
	v_subrev_nc_u32_e32 v43, s18, v37
	v_cmp_le_u32_e32 vcc_lo, s18, v37
	v_mov_b32_e32 v38, v71
	v_subrev_nc_u32_e32 v44, s18, v41
	v_subrev_nc_u32_e32 v45, s18, v39
	;; [unrolled: 1-line block ×3, first 2 shown]
	v_cndmask_b32_e32 v37, v37, v43, vcc_lo
	v_cmp_le_u32_e32 vcc_lo, s18, v41
	v_mov_b32_e32 v40, v71
	s_delay_alu instid0(VALU_DEP_3) | instskip(SKIP_2) | instid1(VALU_DEP_2)
	v_subrev_nc_u32_e32 v43, s18, v37
	v_cndmask_b32_e32 v41, v41, v44, vcc_lo
	v_cmp_le_u32_e32 vcc_lo, s18, v39
	v_subrev_nc_u32_e32 v44, s18, v41
	v_cndmask_b32_e32 v39, v39, v45, vcc_lo
	v_cmp_le_u32_e32 vcc_lo, s18, v42
	v_dual_cndmask_b32 v45, v42, v46 :: v_dual_mov_b32 v42, v71
	v_cmp_le_u32_e32 vcc_lo, s18, v37
	s_delay_alu instid0(VALU_DEP_2) | instskip(SKIP_3) | instid1(VALU_DEP_3)
	v_subrev_nc_u32_e32 v47, s18, v45
	v_cndmask_b32_e32 v70, v37, v43, vcc_lo
	v_cmp_le_u32_e32 vcc_lo, s18, v41
	v_subrev_nc_u32_e32 v46, s18, v39
	v_add_nc_u32_e32 v51, s28, v70
	v_cndmask_b32_e32 v37, v41, v44, vcc_lo
	v_cmp_le_u32_e32 vcc_lo, s18, v39
	v_lshlrev_b64 v[43:44], 1, v[70:71]
	s_delay_alu instid0(VALU_DEP_4) | instskip(NEXT) | instid1(VALU_DEP_4)
	v_lshlrev_b64 v[51:52], 1, v[51:52]
	v_add_nc_u32_e32 v53, s28, v37
	v_cndmask_b32_e32 v39, v39, v46, vcc_lo
	v_cmp_le_u32_e32 vcc_lo, s18, v45
	v_add_nc_u32_e32 v65, s29, v37
	v_cndmask_b32_e32 v41, v45, v47, vcc_lo
	v_lshlrev_b64 v[45:46], 1, v[37:38]
	v_lshlrev_b64 v[47:48], 1, v[39:40]
	v_add_co_u32 v43, vcc_lo, s12, v43
	v_add_co_ci_u32_e32 v44, vcc_lo, s13, v44, vcc_lo
	s_delay_alu instid0(VALU_DEP_4) | instskip(SKIP_4) | instid1(VALU_DEP_4)
	v_add_co_u32 v45, vcc_lo, s12, v45
	v_lshlrev_b64 v[49:50], 1, v[41:42]
	v_add_co_ci_u32_e32 v46, vcc_lo, s13, v46, vcc_lo
	v_add_co_u32 v47, vcc_lo, s12, v47
	v_add_co_ci_u32_e32 v48, vcc_lo, s13, v48, vcc_lo
	v_add_co_u32 v55, vcc_lo, s12, v49
	v_add_co_ci_u32_e32 v56, vcc_lo, s13, v50, vcc_lo
	v_lshlrev_b64 v[49:50], 1, v[53:54]
	v_add_nc_u32_e32 v53, s28, v39
	v_add_co_u32 v57, vcc_lo, s12, v51
	v_add_co_ci_u32_e32 v58, vcc_lo, s13, v52, vcc_lo
	s_delay_alu instid0(VALU_DEP_3) | instskip(SKIP_3) | instid1(VALU_DEP_3)
	v_lshlrev_b64 v[51:52], 1, v[53:54]
	v_add_nc_u32_e32 v53, s28, v41
	v_add_co_u32 v59, vcc_lo, s12, v49
	v_add_co_ci_u32_e32 v60, vcc_lo, s13, v50, vcc_lo
	v_lshlrev_b64 v[49:50], 1, v[53:54]
	v_add_co_u32 v53, vcc_lo, s12, v51
	v_add_co_ci_u32_e32 v54, vcc_lo, s13, v52, vcc_lo
	v_dual_mov_b32 v52, v71 :: v_dual_add_nc_u32 v51, s29, v70
	v_add_nc_u32_e32 v70, s30, v70
	v_add_co_u32 v61, vcc_lo, s12, v49
	v_add_co_ci_u32_e32 v62, vcc_lo, s13, v50, vcc_lo
	s_delay_alu instid0(VALU_DEP_4)
	v_lshlrev_b64 v[63:64], 1, v[51:52]
	s_clause 0x7
	global_load_u16 v52, v[43:44], off
	global_load_u16 v51, v[45:46], off
	global_load_u16 v50, v[47:48], off
	global_load_u16 v49, v[55:56], off
	global_load_u16 v48, v[57:58], off
	global_load_u16 v46, v[59:60], off
	global_load_u16 v44, v[53:54], off
	global_load_u16 v42, v[61:62], off
	v_mov_b32_e32 v60, v71
	v_mov_b32_e32 v56, v71
	v_lshlrev_b64 v[61:62], 1, v[70:71]
	v_add_nc_u32_e32 v70, s30, v37
	v_add_nc_u32_e32 v55, s29, v39
	v_lshlrev_b64 v[53:54], 1, v[65:66]
	v_add_nc_u32_e32 v59, s29, v41
	v_add_co_u32 v57, vcc_lo, s12, v63
	s_delay_alu instid0(VALU_DEP_4)
	v_lshlrev_b64 v[55:56], 1, v[55:56]
	v_add_co_ci_u32_e32 v58, vcc_lo, s13, v64, vcc_lo
	v_add_co_u32 v53, vcc_lo, s12, v53
	v_lshlrev_b64 v[59:60], 1, v[59:60]
	v_add_co_ci_u32_e32 v54, vcc_lo, s13, v54, vcc_lo
	v_add_co_u32 v55, vcc_lo, s12, v55
	v_add_co_ci_u32_e32 v56, vcc_lo, s13, v56, vcc_lo
	s_delay_alu instid0(VALU_DEP_4)
	v_add_co_u32 v37, vcc_lo, s12, v59
	v_add_co_ci_u32_e32 v38, vcc_lo, s13, v60, vcc_lo
	v_lshlrev_b64 v[59:60], 1, v[70:71]
	v_add_nc_u32_e32 v70, s30, v39
	v_add_co_u32 v39, vcc_lo, s12, v61
	v_add_co_ci_u32_e32 v40, vcc_lo, s13, v62, vcc_lo
	s_delay_alu instid0(VALU_DEP_3) | instskip(SKIP_3) | instid1(VALU_DEP_3)
	v_lshlrev_b64 v[61:62], 1, v[70:71]
	v_add_nc_u32_e32 v70, s30, v41
	v_add_co_u32 v59, vcc_lo, s12, v59
	v_add_co_ci_u32_e32 v60, vcc_lo, s13, v60, vcc_lo
	v_lshlrev_b64 v[63:64], 1, v[70:71]
	v_add_co_u32 v61, vcc_lo, s12, v61
	v_add_co_ci_u32_e32 v62, vcc_lo, s13, v62, vcc_lo
	s_delay_alu instid0(VALU_DEP_3) | instskip(NEXT) | instid1(VALU_DEP_4)
	v_add_co_u32 v63, vcc_lo, s12, v63
	v_add_co_ci_u32_e32 v64, vcc_lo, s13, v64, vcc_lo
	s_clause 0x7
	global_load_u16 v47, v[57:58], off
	global_load_u16 v45, v[53:54], off
	;; [unrolled: 1-line block ×8, first 2 shown]
.LBB111_61:                             ;   in Loop: Header=BB111_19 Depth=1
	v_cmp_ne_u32_e32 vcc_lo, 0, v1
	s_and_saveexec_b32 s2, vcc_lo
	s_cbranch_execnz .LBB111_83
; %bb.62:                               ;   in Loop: Header=BB111_19 Depth=1
	s_or_b32 exec_lo, exec_lo, s2
	v_cmp_ne_u32_e64 s1, 0, v2
	s_delay_alu instid0(VALU_DEP_1)
	s_and_saveexec_b32 s3, s1
	s_cbranch_execnz .LBB111_84
.LBB111_63:                             ;   in Loop: Header=BB111_19 Depth=1
	s_or_b32 exec_lo, exec_lo, s3
	v_cmp_ne_u32_e64 s2, 0, v3
	s_delay_alu instid0(VALU_DEP_1)
	s_and_saveexec_b32 s4, s2
	s_cbranch_execnz .LBB111_85
.LBB111_64:                             ;   in Loop: Header=BB111_19 Depth=1
	s_or_b32 exec_lo, exec_lo, s4
	v_cmp_ne_u32_e64 s3, 0, v4
	s_delay_alu instid0(VALU_DEP_1)
	s_and_saveexec_b32 s31, s3
	s_cbranch_execnz .LBB111_86
.LBB111_65:                             ;   in Loop: Header=BB111_19 Depth=1
	s_or_b32 exec_lo, exec_lo, s31
	v_add_nc_u32_e32 v70, s11, v69
	s_and_saveexec_b32 s31, vcc_lo
	s_cbranch_execnz .LBB111_87
.LBB111_66:                             ;   in Loop: Header=BB111_19 Depth=1
	s_or_b32 exec_lo, exec_lo, s31
	s_and_saveexec_b32 s31, s1
	s_cbranch_execnz .LBB111_88
.LBB111_67:                             ;   in Loop: Header=BB111_19 Depth=1
	s_or_b32 exec_lo, exec_lo, s31
	s_and_saveexec_b32 s31, s2
	s_cbranch_execnz .LBB111_89
.LBB111_68:                             ;   in Loop: Header=BB111_19 Depth=1
	s_or_b32 exec_lo, exec_lo, s31
	s_and_saveexec_b32 s31, s3
	s_cbranch_execnz .LBB111_90
.LBB111_69:                             ;   in Loop: Header=BB111_19 Depth=1
	s_or_b32 exec_lo, exec_lo, s31
	v_add_nc_u32_e32 v70, s11, v70
	s_and_saveexec_b32 s31, vcc_lo
	s_cbranch_execnz .LBB111_91
.LBB111_70:                             ;   in Loop: Header=BB111_19 Depth=1
	s_or_b32 exec_lo, exec_lo, s31
	s_and_saveexec_b32 s31, s1
	s_cbranch_execnz .LBB111_92
.LBB111_71:                             ;   in Loop: Header=BB111_19 Depth=1
	s_or_b32 exec_lo, exec_lo, s31
	s_and_saveexec_b32 s31, s2
	s_cbranch_execnz .LBB111_93
.LBB111_72:                             ;   in Loop: Header=BB111_19 Depth=1
	s_or_b32 exec_lo, exec_lo, s31
	s_and_saveexec_b32 s31, s3
	s_cbranch_execnz .LBB111_94
.LBB111_73:                             ;   in Loop: Header=BB111_19 Depth=1
	s_or_b32 exec_lo, exec_lo, s31
	v_add_nc_u32_e32 v70, s11, v70
	s_and_saveexec_b32 s4, vcc_lo
	s_cbranch_execnz .LBB111_95
.LBB111_74:                             ;   in Loop: Header=BB111_19 Depth=1
	s_or_b32 exec_lo, exec_lo, s4
	s_and_saveexec_b32 s4, s1
	s_cbranch_execnz .LBB111_96
.LBB111_75:                             ;   in Loop: Header=BB111_19 Depth=1
	s_or_b32 exec_lo, exec_lo, s4
	s_and_saveexec_b32 s1, s2
	s_cbranch_execnz .LBB111_97
.LBB111_76:                             ;   in Loop: Header=BB111_19 Depth=1
	s_or_b32 exec_lo, exec_lo, s1
	s_delay_alu instid0(SALU_CYCLE_1)
	s_and_b32 exec_lo, exec_lo, s3
	s_cbranch_execz .LBB111_78
.LBB111_77:                             ;   in Loop: Header=BB111_19 Depth=1
	s_waitcnt lgkmcnt(0)
	v_dual_add_f32 v5, v5, v8 :: v_dual_add_nc_u32 v70, 3, v70
	s_waitcnt vmcnt(0)
	v_cvt_f32_f16_e32 v6, v37
	s_delay_alu instid0(VALU_DEP_1) | instskip(NEXT) | instid1(VALU_DEP_3)
	v_add_f32_e32 v7, v5, v6
	v_lshlrev_b64 v[5:6], 1, v[70:71]
	s_delay_alu instid0(VALU_DEP_2) | instskip(NEXT) | instid1(VALU_DEP_2)
	v_cvt_f16_f32_e32 v7, v7
	v_add_co_u32 v5, vcc_lo, s14, v5
	s_delay_alu instid0(VALU_DEP_3)
	v_add_co_ci_u32_e32 v6, vcc_lo, s15, v6, vcc_lo
	global_store_b16 v[5:6], v7, off
.LBB111_78:                             ;   in Loop: Header=BB111_19 Depth=1
	s_or_b32 exec_lo, exec_lo, s5
	v_add_nc_u32_e32 v69, s20, v69
	s_delay_alu instid0(VALU_DEP_1) | instskip(SKIP_1) | instid1(VALU_DEP_2)
	v_add_nc_u32_e32 v5, 4, v69
	v_cmp_gt_u32_e32 vcc_lo, s11, v69
	v_cmp_le_u32_e64 s1, s11, v5
	s_delay_alu instid0(VALU_DEP_1) | instskip(NEXT) | instid1(SALU_CYCLE_1)
	s_and_b32 s1, vcc_lo, s1
	s_and_saveexec_b32 s31, s1
	s_cbranch_execz .LBB111_18
; %bb.79:                               ;   in Loop: Header=BB111_19 Depth=1
	s_mov_b32 s33, exec_lo
	v_cmpx_ne_u32_e64 s21, v69
	s_cbranch_execz .LBB111_17
; %bb.80:                               ;   in Loop: Header=BB111_19 Depth=1
	v_subrev_nc_u32_e32 v5, s21, v69
	s_mov_b32 s34, 0
	s_mov_b64 s[4:5], 0
	s_delay_alu instid0(VALU_DEP_1)
	v_cmp_lt_u32_e32 vcc_lo, 1, v5
	v_cndmask_b32_e32 v5, 1, v5, vcc_lo
	.p2align	6
.LBB111_81:                             ;   Parent Loop BB111_19 Depth=1
                                        ; =>  This Inner Loop Header: Depth=2
	s_cmp_lg_u32 s4, 3
	s_cselect_b32 vcc_lo, -1, 0
	s_cmp_lg_u32 s4, 2
	v_cndmask_b32_e32 v4, 0, v4, vcc_lo
	s_cselect_b32 s1, -1, 0
	s_cmp_lg_u32 s4, 1
	v_cndmask_b32_e64 v3, 0, v3, s1
	s_cselect_b32 s2, -1, 0
	s_cmp_lg_u32 s4, 0
	v_cndmask_b32_e64 v2, 0, v2, s2
	s_cselect_b32 s3, -1, 0
	s_add_u32 s4, s4, 1
	v_cndmask_b32_e64 v1, 0, v1, s3
	v_cmp_eq_u32_e32 vcc_lo, s4, v5
	s_addc_u32 s5, s5, 0
	s_or_b32 s34, vcc_lo, s34
	s_delay_alu instid0(SALU_CYCLE_1)
	s_and_not1_b32 exec_lo, exec_lo, s34
	s_cbranch_execnz .LBB111_81
; %bb.82:                               ;   in Loop: Header=BB111_19 Depth=1
	s_or_b32 exec_lo, exec_lo, s34
	s_branch .LBB111_17
.LBB111_83:                             ;   in Loop: Header=BB111_19 Depth=1
	s_waitcnt lgkmcnt(13)
	v_add_f32_e32 v35, v35, v36
	s_waitcnt vmcnt(15)
	v_cvt_f32_f16_e32 v36, v52
	v_mov_b32_e32 v70, v71
	s_delay_alu instid0(VALU_DEP_2) | instskip(NEXT) | instid1(VALU_DEP_2)
	v_add_f32_e32 v52, v35, v36
	v_lshlrev_b64 v[35:36], 1, v[69:70]
	s_delay_alu instid0(VALU_DEP_2) | instskip(NEXT) | instid1(VALU_DEP_2)
	v_cvt_f16_f32_e32 v52, v52
	v_add_co_u32 v35, s1, s14, v35
	s_delay_alu instid0(VALU_DEP_1) | instskip(SKIP_3) | instid1(VALU_DEP_1)
	v_add_co_ci_u32_e64 v36, s1, s15, v36, s1
	global_store_b16 v[35:36], v52, off
	s_or_b32 exec_lo, exec_lo, s2
	v_cmp_ne_u32_e64 s1, 0, v2
	s_and_saveexec_b32 s3, s1
	s_cbranch_execz .LBB111_63
.LBB111_84:                             ;   in Loop: Header=BB111_19 Depth=1
	v_mov_b32_e32 v76, v71
	s_waitcnt lgkmcnt(12)
	v_add_f32_e32 v30, v30, v33
	s_waitcnt vmcnt(14)
	v_cvt_f32_f16_e32 v33, v51
	v_lshlrev_b64 v[35:36], 1, v[75:76]
	s_delay_alu instid0(VALU_DEP_2) | instskip(NEXT) | instid1(VALU_DEP_2)
	v_add_f32_e32 v30, v30, v33
	v_add_co_u32 v35, s2, s14, v35
	s_delay_alu instid0(VALU_DEP_2) | instskip(NEXT) | instid1(VALU_DEP_4)
	v_cvt_f16_f32_e32 v30, v30
	v_add_co_ci_u32_e64 v36, s2, s15, v36, s2
	global_store_b16 v[35:36], v30, off
	s_or_b32 exec_lo, exec_lo, s3
	v_cmp_ne_u32_e64 s2, 0, v3
	s_delay_alu instid0(VALU_DEP_1)
	s_and_saveexec_b32 s4, s2
	s_cbranch_execz .LBB111_64
.LBB111_85:                             ;   in Loop: Header=BB111_19 Depth=1
	s_waitcnt lgkmcnt(15)
	v_dual_add_f32 v24, v24, v27 :: v_dual_mov_b32 v75, v71
	s_waitcnt vmcnt(13)
	v_cvt_f32_f16_e32 v27, v50
	s_waitcnt lgkmcnt(13)
	s_delay_alu instid0(VALU_DEP_2) | instskip(NEXT) | instid1(VALU_DEP_2)
	v_lshlrev_b64 v[35:36], 1, v[74:75]
	v_add_f32_e32 v24, v24, v27
	s_delay_alu instid0(VALU_DEP_1) | instskip(NEXT) | instid1(VALU_DEP_3)
	v_cvt_f16_f32_e32 v24, v24
	v_add_co_u32 v35, s3, s14, v35
	s_delay_alu instid0(VALU_DEP_1) | instskip(SKIP_3) | instid1(VALU_DEP_1)
	v_add_co_ci_u32_e64 v36, s3, s15, v36, s3
	global_store_b16 v[35:36], v24, off
	s_or_b32 exec_lo, exec_lo, s4
	v_cmp_ne_u32_e64 s3, 0, v4
	s_and_saveexec_b32 s31, s3
	s_cbranch_execz .LBB111_65
.LBB111_86:                             ;   in Loop: Header=BB111_19 Depth=1
	v_mov_b32_e32 v74, v71
	s_waitcnt lgkmcnt(14)
	v_add_f32_e32 v18, v18, v21
	s_waitcnt vmcnt(12)
	v_cvt_f32_f16_e32 v21, v49
	s_waitcnt lgkmcnt(13)
	v_lshlrev_b64 v[35:36], 1, v[73:74]
	s_delay_alu instid0(VALU_DEP_2) | instskip(NEXT) | instid1(VALU_DEP_2)
	v_add_f32_e32 v18, v18, v21
	v_add_co_u32 v35, s4, s14, v35
	s_delay_alu instid0(VALU_DEP_2) | instskip(NEXT) | instid1(VALU_DEP_4)
	v_cvt_f16_f32_e32 v18, v18
	v_add_co_ci_u32_e64 v36, s4, s15, v36, s4
	global_store_b16 v[35:36], v18, off
	s_or_b32 exec_lo, exec_lo, s31
	v_add_nc_u32_e32 v70, s11, v69
	s_and_saveexec_b32 s31, vcc_lo
	s_cbranch_execz .LBB111_66
.LBB111_87:                             ;   in Loop: Header=BB111_19 Depth=1
	s_waitcnt lgkmcnt(11)
	v_add_f32_e32 v11, v11, v14
	s_waitcnt vmcnt(11)
	v_cvt_f32_f16_e32 v14, v48
	v_lshlrev_b64 v[35:36], 1, v[70:71]
	s_delay_alu instid0(VALU_DEP_2) | instskip(NEXT) | instid1(VALU_DEP_2)
	v_add_f32_e32 v11, v11, v14
	v_add_co_u32 v35, s4, s14, v35
	s_delay_alu instid0(VALU_DEP_1) | instskip(NEXT) | instid1(VALU_DEP_3)
	v_add_co_ci_u32_e64 v36, s4, s15, v36, s4
	v_cvt_f16_f32_e32 v11, v11
	global_store_b16 v[35:36], v11, off
	s_or_b32 exec_lo, exec_lo, s31
	s_and_saveexec_b32 s31, s1
	s_cbranch_execz .LBB111_67
.LBB111_88:                             ;   in Loop: Header=BB111_19 Depth=1
	s_waitcnt lgkmcnt(10)
	v_add_f32_e32 v7, v7, v10
	v_dual_mov_b32 v11, v71 :: v_dual_add_nc_u32 v10, 1, v70
	s_waitcnt vmcnt(10)
	v_cvt_f32_f16_e32 v14, v46
	s_delay_alu instid0(VALU_DEP_2) | instskip(NEXT) | instid1(VALU_DEP_2)
	v_lshlrev_b64 v[10:11], 1, v[10:11]
	v_add_f32_e32 v7, v7, v14
	s_delay_alu instid0(VALU_DEP_1) | instskip(NEXT) | instid1(VALU_DEP_3)
	v_cvt_f16_f32_e32 v7, v7
	v_add_co_u32 v10, s4, s14, v10
	s_delay_alu instid0(VALU_DEP_1)
	v_add_co_ci_u32_e64 v11, s4, s15, v11, s4
	global_store_b16 v[10:11], v7, off
	s_or_b32 exec_lo, exec_lo, s31
	s_and_saveexec_b32 s31, s2
	s_cbranch_execz .LBB111_68
.LBB111_89:                             ;   in Loop: Header=BB111_19 Depth=1
	s_waitcnt lgkmcnt(10)
	v_dual_mov_b32 v11, v71 :: v_dual_add_nc_u32 v10, 2, v70
	s_waitcnt lgkmcnt(8)
	v_add_f32_e32 v7, v31, v34
	s_waitcnt vmcnt(9)
	v_cvt_f32_f16_e32 v14, v44
	v_lshlrev_b64 v[10:11], 1, v[10:11]
	s_delay_alu instid0(VALU_DEP_2) | instskip(NEXT) | instid1(VALU_DEP_2)
	v_add_f32_e32 v7, v7, v14
	v_add_co_u32 v10, s4, s14, v10
	s_delay_alu instid0(VALU_DEP_2) | instskip(NEXT) | instid1(VALU_DEP_4)
	v_cvt_f16_f32_e32 v7, v7
	v_add_co_ci_u32_e64 v11, s4, s15, v11, s4
	global_store_b16 v[10:11], v7, off
	s_or_b32 exec_lo, exec_lo, s31
	s_and_saveexec_b32 s31, s3
	s_cbranch_execz .LBB111_69
.LBB111_90:                             ;   in Loop: Header=BB111_19 Depth=1
	s_waitcnt lgkmcnt(9)
	v_dual_add_f32 v7, v25, v28 :: v_dual_add_nc_u32 v10, 3, v70
	v_mov_b32_e32 v11, v71
	s_waitcnt vmcnt(8)
	v_cvt_f32_f16_e32 v14, v42
	s_delay_alu instid0(VALU_DEP_2) | instskip(NEXT) | instid1(VALU_DEP_2)
	v_lshlrev_b64 v[10:11], 1, v[10:11]
	v_add_f32_e32 v7, v7, v14
	s_delay_alu instid0(VALU_DEP_1) | instskip(NEXT) | instid1(VALU_DEP_3)
	v_cvt_f16_f32_e32 v7, v7
	v_add_co_u32 v10, s4, s14, v10
	s_delay_alu instid0(VALU_DEP_1)
	v_add_co_ci_u32_e64 v11, s4, s15, v11, s4
	global_store_b16 v[10:11], v7, off
	s_or_b32 exec_lo, exec_lo, s31
	v_add_nc_u32_e32 v70, s11, v70
	s_and_saveexec_b32 s31, vcc_lo
	s_cbranch_execz .LBB111_70
.LBB111_91:                             ;   in Loop: Header=BB111_19 Depth=1
	s_waitcnt lgkmcnt(5)
	v_add_f32_e32 v7, v17, v20
	s_waitcnt vmcnt(7)
	v_cvt_f32_f16_e32 v10, v47
	s_delay_alu instid0(VALU_DEP_1) | instskip(SKIP_1) | instid1(VALU_DEP_2)
	v_add_f32_e32 v7, v7, v10
	v_lshlrev_b64 v[10:11], 1, v[70:71]
	v_cvt_f16_f32_e32 v7, v7
	s_delay_alu instid0(VALU_DEP_2) | instskip(NEXT) | instid1(VALU_DEP_1)
	v_add_co_u32 v10, s4, s14, v10
	v_add_co_ci_u32_e64 v11, s4, s15, v11, s4
	global_store_b16 v[10:11], v7, off
	s_or_b32 exec_lo, exec_lo, s31
	s_and_saveexec_b32 s31, s1
	s_cbranch_execz .LBB111_71
.LBB111_92:                             ;   in Loop: Header=BB111_19 Depth=1
	s_waitcnt lgkmcnt(6)
	v_dual_add_f32 v7, v13, v16 :: v_dual_add_nc_u32 v10, 1, v70
	v_mov_b32_e32 v11, v71
	s_waitcnt vmcnt(6)
	v_cvt_f32_f16_e32 v13, v45
	s_delay_alu instid0(VALU_DEP_2) | instskip(NEXT) | instid1(VALU_DEP_2)
	v_lshlrev_b64 v[10:11], 1, v[10:11]
	v_add_f32_e32 v7, v7, v13
	s_delay_alu instid0(VALU_DEP_1) | instskip(NEXT) | instid1(VALU_DEP_3)
	v_cvt_f16_f32_e32 v7, v7
	v_add_co_u32 v10, s4, s14, v10
	s_delay_alu instid0(VALU_DEP_1)
	v_add_co_ci_u32_e64 v11, s4, s15, v11, s4
	global_store_b16 v[10:11], v7, off
	s_or_b32 exec_lo, exec_lo, s31
	s_and_saveexec_b32 s31, s2
	s_cbranch_execz .LBB111_72
.LBB111_93:                             ;   in Loop: Header=BB111_19 Depth=1
	s_waitcnt lgkmcnt(7)
	v_dual_add_f32 v9, v6, v9 :: v_dual_add_nc_u32 v6, 2, v70
	v_mov_b32_e32 v7, v71
	s_waitcnt vmcnt(5)
	v_cvt_f32_f16_e32 v10, v43
	s_delay_alu instid0(VALU_DEP_2) | instskip(NEXT) | instid1(VALU_DEP_2)
	v_lshlrev_b64 v[6:7], 1, v[6:7]
	v_add_f32_e32 v9, v9, v10
	s_delay_alu instid0(VALU_DEP_1) | instskip(NEXT) | instid1(VALU_DEP_3)
	v_cvt_f16_f32_e32 v9, v9
	v_add_co_u32 v6, s4, s14, v6
	s_delay_alu instid0(VALU_DEP_1)
	v_add_co_ci_u32_e64 v7, s4, s15, v7, s4
	global_store_b16 v[6:7], v9, off
	s_or_b32 exec_lo, exec_lo, s31
	s_and_saveexec_b32 s31, s3
	s_cbranch_execz .LBB111_73
.LBB111_94:                             ;   in Loop: Header=BB111_19 Depth=1
	s_waitcnt lgkmcnt(3)
	v_dual_add_f32 v9, v29, v32 :: v_dual_add_nc_u32 v6, 3, v70
	v_mov_b32_e32 v7, v71
	s_waitcnt vmcnt(4)
	v_cvt_f32_f16_e32 v10, v41
	s_delay_alu instid0(VALU_DEP_2) | instskip(NEXT) | instid1(VALU_DEP_2)
	v_lshlrev_b64 v[6:7], 1, v[6:7]
	v_add_f32_e32 v9, v9, v10
	s_delay_alu instid0(VALU_DEP_1) | instskip(NEXT) | instid1(VALU_DEP_3)
	v_cvt_f16_f32_e32 v9, v9
	v_add_co_u32 v6, s4, s14, v6
	s_delay_alu instid0(VALU_DEP_1)
	v_add_co_ci_u32_e64 v7, s4, s15, v7, s4
	global_store_b16 v[6:7], v9, off
	s_or_b32 exec_lo, exec_lo, s31
	v_add_nc_u32_e32 v70, s11, v70
	s_and_saveexec_b32 s4, vcc_lo
	s_cbranch_execz .LBB111_74
.LBB111_95:                             ;   in Loop: Header=BB111_19 Depth=1
	s_waitcnt lgkmcnt(4)
	v_add_f32_e32 v6, v23, v26
	s_waitcnt vmcnt(3)
	v_cvt_f32_f16_e32 v7, v40
	s_delay_alu instid0(VALU_DEP_1) | instskip(SKIP_1) | instid1(VALU_DEP_2)
	v_add_f32_e32 v9, v6, v7
	v_lshlrev_b64 v[6:7], 1, v[70:71]
	v_cvt_f16_f32_e32 v9, v9
	s_delay_alu instid0(VALU_DEP_2) | instskip(NEXT) | instid1(VALU_DEP_3)
	v_add_co_u32 v6, vcc_lo, s14, v6
	v_add_co_ci_u32_e32 v7, vcc_lo, s15, v7, vcc_lo
	global_store_b16 v[6:7], v9, off
	s_or_b32 exec_lo, exec_lo, s4
	s_and_saveexec_b32 s4, s1
	s_cbranch_execz .LBB111_75
.LBB111_96:                             ;   in Loop: Header=BB111_19 Depth=1
	v_dual_mov_b32 v7, v71 :: v_dual_add_nc_u32 v6, 1, v70
	s_waitcnt lgkmcnt(2)
	v_add_f32_e32 v9, v19, v22
	s_waitcnt vmcnt(2)
	v_cvt_f32_f16_e32 v10, v39
	v_lshlrev_b64 v[6:7], 1, v[6:7]
	s_delay_alu instid0(VALU_DEP_2) | instskip(NEXT) | instid1(VALU_DEP_2)
	v_add_f32_e32 v9, v9, v10
	v_add_co_u32 v6, vcc_lo, s14, v6
	s_delay_alu instid0(VALU_DEP_2) | instskip(NEXT) | instid1(VALU_DEP_4)
	v_cvt_f16_f32_e32 v9, v9
	v_add_co_ci_u32_e32 v7, vcc_lo, s15, v7, vcc_lo
	global_store_b16 v[6:7], v9, off
	s_or_b32 exec_lo, exec_lo, s4
	s_and_saveexec_b32 s1, s2
	s_cbranch_execz .LBB111_76
.LBB111_97:                             ;   in Loop: Header=BB111_19 Depth=1
	s_waitcnt lgkmcnt(1)
	v_dual_add_f32 v9, v12, v15 :: v_dual_add_nc_u32 v6, 2, v70
	v_mov_b32_e32 v7, v71
	s_waitcnt vmcnt(1)
	v_cvt_f32_f16_e32 v10, v38
	s_delay_alu instid0(VALU_DEP_2) | instskip(NEXT) | instid1(VALU_DEP_2)
	v_lshlrev_b64 v[6:7], 1, v[6:7]
	v_add_f32_e32 v9, v9, v10
	s_delay_alu instid0(VALU_DEP_1) | instskip(NEXT) | instid1(VALU_DEP_3)
	v_cvt_f16_f32_e32 v9, v9
	v_add_co_u32 v6, vcc_lo, s14, v6
	s_delay_alu instid0(VALU_DEP_4) | instskip(SKIP_2) | instid1(SALU_CYCLE_1)
	v_add_co_ci_u32_e32 v7, vcc_lo, s15, v7, vcc_lo
	global_store_b16 v[6:7], v9, off
	s_or_b32 exec_lo, exec_lo, s1
	s_and_b32 exec_lo, exec_lo, s3
	s_cbranch_execnz .LBB111_77
	s_branch .LBB111_78
.LBB111_98:
	s_nop 0
	s_sendmsg sendmsg(MSG_DEALLOC_VGPRS)
	s_endpgm
	.section	.rodata,"a",@progbits
	.p2align	6, 0x0
	.amdhsa_kernel _Z12wvSplitK_hf_I6__halfLi32ELi4ELi16ELi8ELi2ELi4EEviiiiiiPKT_S3_S3_PS1_ii
		.amdhsa_group_segment_fixed_size 65536
		.amdhsa_private_segment_fixed_size 0
		.amdhsa_kernarg_size 64
		.amdhsa_user_sgpr_count 15
		.amdhsa_user_sgpr_dispatch_ptr 0
		.amdhsa_user_sgpr_queue_ptr 0
		.amdhsa_user_sgpr_kernarg_segment_ptr 1
		.amdhsa_user_sgpr_dispatch_id 0
		.amdhsa_user_sgpr_private_segment_size 0
		.amdhsa_wavefront_size32 1
		.amdhsa_uses_dynamic_stack 0
		.amdhsa_enable_private_segment 0
		.amdhsa_system_sgpr_workgroup_id_x 1
		.amdhsa_system_sgpr_workgroup_id_y 0
		.amdhsa_system_sgpr_workgroup_id_z 0
		.amdhsa_system_sgpr_workgroup_info 0
		.amdhsa_system_vgpr_workitem_id 1
		.amdhsa_next_free_vgpr 112
		.amdhsa_next_free_sgpr 35
		.amdhsa_reserve_vcc 1
		.amdhsa_float_round_mode_32 0
		.amdhsa_float_round_mode_16_64 0
		.amdhsa_float_denorm_mode_32 3
		.amdhsa_float_denorm_mode_16_64 3
		.amdhsa_dx10_clamp 1
		.amdhsa_ieee_mode 1
		.amdhsa_fp16_overflow 0
		.amdhsa_workgroup_processor_mode 1
		.amdhsa_memory_ordered 1
		.amdhsa_forward_progress 0
		.amdhsa_shared_vgpr_count 0
		.amdhsa_exception_fp_ieee_invalid_op 0
		.amdhsa_exception_fp_denorm_src 0
		.amdhsa_exception_fp_ieee_div_zero 0
		.amdhsa_exception_fp_ieee_overflow 0
		.amdhsa_exception_fp_ieee_underflow 0
		.amdhsa_exception_fp_ieee_inexact 0
		.amdhsa_exception_int_div_zero 0
	.end_amdhsa_kernel
	.section	.text._Z12wvSplitK_hf_I6__halfLi32ELi4ELi16ELi8ELi2ELi4EEviiiiiiPKT_S3_S3_PS1_ii,"axG",@progbits,_Z12wvSplitK_hf_I6__halfLi32ELi4ELi16ELi8ELi2ELi4EEviiiiiiPKT_S3_S3_PS1_ii,comdat
.Lfunc_end111:
	.size	_Z12wvSplitK_hf_I6__halfLi32ELi4ELi16ELi8ELi2ELi4EEviiiiiiPKT_S3_S3_PS1_ii, .Lfunc_end111-_Z12wvSplitK_hf_I6__halfLi32ELi4ELi16ELi8ELi2ELi4EEviiiiiiPKT_S3_S3_PS1_ii
                                        ; -- End function
	.section	.AMDGPU.csdata,"",@progbits
; Kernel info:
; codeLenInByte = 9360
; NumSgprs: 37
; NumVgprs: 112
; ScratchSize: 0
; MemoryBound: 0
; FloatMode: 240
; IeeeMode: 1
; LDSByteSize: 65536 bytes/workgroup (compile time only)
; SGPRBlocks: 4
; VGPRBlocks: 13
; NumSGPRsForWavesPerEU: 37
; NumVGPRsForWavesPerEU: 112
; Occupancy: 8
; WaveLimiterHint : 0
; COMPUTE_PGM_RSRC2:SCRATCH_EN: 0
; COMPUTE_PGM_RSRC2:USER_SGPR: 15
; COMPUTE_PGM_RSRC2:TRAP_HANDLER: 0
; COMPUTE_PGM_RSRC2:TGID_X_EN: 1
; COMPUTE_PGM_RSRC2:TGID_Y_EN: 0
; COMPUTE_PGM_RSRC2:TGID_Z_EN: 0
; COMPUTE_PGM_RSRC2:TIDIG_COMP_CNT: 1
	.section	.text._Z16wvSplitK_hf_big_I6__halfLi32ELi4ELi16ELi8ELi2ELi4EEviiiiiiPKT_S3_S3_PS1_ii,"axG",@progbits,_Z16wvSplitK_hf_big_I6__halfLi32ELi4ELi16ELi8ELi2ELi4EEviiiiiiPKT_S3_S3_PS1_ii,comdat
	.protected	_Z16wvSplitK_hf_big_I6__halfLi32ELi4ELi16ELi8ELi2ELi4EEviiiiiiPKT_S3_S3_PS1_ii ; -- Begin function _Z16wvSplitK_hf_big_I6__halfLi32ELi4ELi16ELi8ELi2ELi4EEviiiiiiPKT_S3_S3_PS1_ii
	.globl	_Z16wvSplitK_hf_big_I6__halfLi32ELi4ELi16ELi8ELi2ELi4EEviiiiiiPKT_S3_S3_PS1_ii
	.p2align	8
	.type	_Z16wvSplitK_hf_big_I6__halfLi32ELi4ELi16ELi8ELi2ELi4EEviiiiiiPKT_S3_S3_PS1_ii,@function
_Z16wvSplitK_hf_big_I6__halfLi32ELi4ELi16ELi8ELi2ELi4EEviiiiiiPKT_S3_S3_PS1_ii: ; @_Z16wvSplitK_hf_big_I6__halfLi32ELi4ELi16ELi8ELi2ELi4EEviiiiiiPKT_S3_S3_PS1_ii
; %bb.0:
	s_load_b64 s[20:21], s[0:1], 0x38
	v_bfe_u32 v5, v0, 10, 10
	s_mov_b32 s2, exec_lo
	s_waitcnt lgkmcnt(0)
	s_delay_alu instid0(VALU_DEP_1)
	v_cmpx_gt_u32_e64 s20, v5
	s_cbranch_execz .LBB112_72
; %bb.1:
	s_load_b128 s[16:19], s[0:1], 0x0
	s_mul_i32 s15, s15, s20
	s_mov_b32 s4, 1
	v_add_lshl_u32 v69, s15, v5, 2
	s_mov_b32 s5, s4
	s_mov_b32 s6, s4
	s_mov_b32 s7, s4
	s_delay_alu instid0(VALU_DEP_1) | instskip(SKIP_2) | instid1(VALU_DEP_2)
	v_add_nc_u32_e32 v1, 4, v69
	s_waitcnt lgkmcnt(0)
	v_cmp_gt_u32_e32 vcc_lo, s19, v69
	v_cmp_le_u32_e64 s2, s19, v1
	v_dual_mov_b32 v1, s4 :: v_dual_mov_b32 v4, s7
	v_dual_mov_b32 v2, s5 :: v_dual_mov_b32 v3, s6
	s_delay_alu instid0(VALU_DEP_3) | instskip(NEXT) | instid1(SALU_CYCLE_1)
	s_and_b32 s2, vcc_lo, s2
	s_and_saveexec_b32 s8, s2
	s_cbranch_execz .LBB112_7
; %bb.2:
	v_dual_mov_b32 v1, s4 :: v_dual_mov_b32 v2, s5
	v_dual_mov_b32 v3, s6 :: v_dual_mov_b32 v4, s7
	s_add_i32 s9, s19, -4
	s_mov_b32 s10, exec_lo
	v_cmpx_ne_u32_e64 s9, v69
	s_cbranch_execz .LBB112_6
; %bb.3:
	v_subrev_nc_u32_e32 v1, s9, v69
	s_mov_b32 s11, 0
	s_mov_b64 s[2:3], 0
	s_mov_b32 s5, s4
	s_mov_b32 s6, s4
	v_cmp_lt_u32_e32 vcc_lo, 1, v1
	s_mov_b32 s7, s4
	v_cndmask_b32_e32 v6, 1, v1, vcc_lo
	.p2align	6
.LBB112_4:                              ; =>This Inner Loop Header: Depth=1
	s_cmp_lg_u32 s2, 3
	s_cselect_b32 s7, s7, 0
	s_cmp_lg_u32 s2, 2
	s_cselect_b32 s6, s6, 0
	;; [unrolled: 2-line block ×4, first 2 shown]
	s_add_u32 s2, s2, 1
	v_dual_mov_b32 v1, s4 :: v_dual_mov_b32 v2, s5
	v_cmp_eq_u32_e32 vcc_lo, s2, v6
	v_dual_mov_b32 v3, s6 :: v_dual_mov_b32 v4, s7
	s_addc_u32 s3, s3, 0
	s_or_b32 s11, vcc_lo, s11
	s_delay_alu instid0(SALU_CYCLE_1)
	s_and_not1_b32 exec_lo, exec_lo, s11
	s_cbranch_execnz .LBB112_4
; %bb.5:
	s_or_b32 exec_lo, exec_lo, s11
	v_mov_b32_e32 v69, s9
.LBB112_6:
	s_or_b32 exec_lo, exec_lo, s10
.LBB112_7:
	s_delay_alu instid0(SALU_CYCLE_1)
	s_or_b32 exec_lo, exec_lo, s8
	s_lshl_b32 s2, s20, 2
	s_abs_i32 s6, s19
	s_abs_i32 s3, s2
	s_mov_b32 s23, 0
	v_cvt_f32_u32_e32 v6, s3
	s_sub_i32 s5, 0, s3
	s_delay_alu instid0(VALU_DEP_1) | instskip(SKIP_2) | instid1(VALU_DEP_1)
	v_rcp_iflag_f32_e32 v6, v6
	s_waitcnt_depctr 0xfff
	v_mul_f32_e32 v6, 0x4f7ffffe, v6
	v_cvt_u32_f32_e32 v6, v6
	s_delay_alu instid0(VALU_DEP_1) | instskip(NEXT) | instid1(VALU_DEP_1)
	v_readfirstlane_b32 s4, v6
	s_mul_i32 s5, s5, s4
	s_delay_alu instid0(SALU_CYCLE_1) | instskip(NEXT) | instid1(SALU_CYCLE_1)
	s_mul_hi_u32 s5, s4, s5
	s_add_i32 s4, s4, s5
	s_ashr_i32 s5, s19, 31
	s_mul_hi_u32 s4, s6, s4
	s_delay_alu instid0(SALU_CYCLE_1) | instskip(NEXT) | instid1(SALU_CYCLE_1)
	s_mul_i32 s4, s4, s3
	s_sub_i32 s4, s6, s4
	s_delay_alu instid0(SALU_CYCLE_1) | instskip(SKIP_2) | instid1(SALU_CYCLE_1)
	s_sub_i32 s6, s4, s3
	s_cmp_ge_u32 s4, s3
	s_cselect_b32 s4, s6, s4
	s_sub_i32 s6, s4, s3
	s_cmp_ge_u32 s4, s3
	s_cselect_b32 s3, s6, s4
	s_add_i32 s2, s2, s19
	s_xor_b32 s3, s3, s5
	s_delay_alu instid0(SALU_CYCLE_1) | instskip(NEXT) | instid1(SALU_CYCLE_1)
	s_sub_i32 s3, s3, s5
	s_sub_i32 s2, s2, s3
	s_cmp_eq_u32 s3, 0
	s_cselect_b32 s22, s19, s2
	s_delay_alu instid0(SALU_CYCLE_1)
	v_cmp_gt_u32_e32 vcc_lo, s22, v69
	s_and_b32 exec_lo, exec_lo, vcc_lo
	s_cbranch_execz .LBB112_72
; %bb.8:
	s_load_b256 s[8:15], s[0:1], 0x10
	s_min_u32 s24, s18, 0x2000
	s_cmp_lg_u32 s16, 0
	s_mul_i32 s2, s21, s20
	s_cselect_b32 s25, -1, 0
	s_cmp_lg_u32 s18, 0
	v_dual_mov_b32 v71, 0 :: v_dual_and_b32 v0, 0x3ff, v0
	s_cselect_b32 s21, -1, 0
	s_lshl_b32 s26, s20, 8
	s_add_i32 s27, s16, -8
	s_add_i32 s28, s19, -1
	s_lshl_b32 s29, s2, 2
	s_load_b64 s[6:7], s[0:1], 0x30
	v_lshlrev_b32_e32 v82, 3, v0
	v_cmp_eq_u32_e64 s0, 31, v0
	v_lshlrev_b32_e32 v0, 4, v0
	v_mbcnt_lo_u32_b32 v81, -1, 0
	s_waitcnt lgkmcnt(0)
	s_cmp_lg_u64 s[14:15], 0
	s_delay_alu instid0(VALU_DEP_2)
	v_lshl_add_u32 v83, v5, 9, v0
	s_cselect_b32 s30, -1, 0
	s_abs_i32 s2, s9
	v_lshl_add_u32 v0, v5, 8, v82
	v_cvt_f32_u32_e32 v6, s2
	v_cvt_f32_u32_e32 v7, s8
	s_sub_i32 s3, 0, s2
	s_add_i32 s31, s19, -4
	s_sub_i32 s4, 0, s8
	v_rcp_iflag_f32_e32 v6, v6
	v_rcp_iflag_f32_e32 v7, v7
	s_sub_i32 s5, 1, s2
	v_mad_u64_u32 v[72:73], null, s18, 3, v[0:1]
	v_lshl_add_u32 v84, s18, 1, v0
	s_mul_i32 s9, s24, 6
	s_waitcnt_depctr 0xfff
	v_dual_mul_f32 v6, 0x4f7ffffe, v6 :: v_dual_add_nc_u32 v85, s18, v0
	s_delay_alu instid0(VALU_DEP_1) | instskip(NEXT) | instid1(VALU_DEP_1)
	v_cvt_u32_f32_e32 v6, v6
	v_readfirstlane_b32 s1, v6
	v_mul_f32_e32 v6, 0x4f7ffffe, v7
	s_delay_alu instid0(VALU_DEP_2) | instskip(NEXT) | instid1(VALU_DEP_1)
	s_mul_i32 s3, s3, s1
	v_cvt_u32_f32_e32 v6, v6
	s_mul_hi_u32 s3, s1, s3
	s_delay_alu instid0(SALU_CYCLE_1) | instskip(SKIP_1) | instid1(VALU_DEP_1)
	s_add_i32 s1, s1, s3
	s_cmp_lt_u32 s2, 2
	v_mul_lo_u32 v5, s4, v6
	s_cselect_b32 s3, s5, 1
	s_delay_alu instid0(SALU_CYCLE_1)
	s_sub_i32 s5, s3, s2
	s_cmp_ge_u32 s3, s2
	s_cselect_b32 s33, s5, s3
	s_lshr_b32 s3, s1, 31
	s_mul_hi_u32 s1, s1, 3
	s_mul_i32 s3, s3, s2
	s_mul_i32 s1, s1, s2
	s_sub_i32 s3, 2, s3
	v_mul_hi_u32 v5, v6, v5
	s_sub_i32 s4, s3, s2
	s_cmp_ge_u32 s3, s2
	s_mul_i32 s33, s33, s8
	s_cselect_b32 s3, s4, s3
	s_delay_alu instid0(SALU_CYCLE_1) | instskip(SKIP_1) | instid1(VALU_DEP_1)
	s_sub_i32 s4, s3, s2
	s_cmp_ge_u32 s3, s2
	v_add_nc_u32_e32 v86, v6, v5
	s_cselect_b32 s34, s4, s3
	s_sub_i32 s1, 3, s1
	s_mul_i32 s34, s34, s8
	s_sub_i32 s3, s1, s2
	s_cmp_ge_u32 s1, s2
	s_cselect_b32 s1, s3, s1
	s_delay_alu instid0(SALU_CYCLE_1)
	s_sub_i32 s3, s1, s2
	s_cmp_ge_u32 s1, s2
	s_cselect_b32 s38, s3, s1
	s_add_u32 s35, s6, 2
	s_addc_u32 s36, s7, 0
	s_lshl_b32 s20, s20, 9
	s_lshl_b32 s37, s24, 2
	s_mul_i32 s38, s38, s8
	s_lshl_b32 s39, s24, 1
	s_branch .LBB112_12
.LBB112_9:                              ;   in Loop: Header=BB112_12 Depth=1
	s_or_b32 exec_lo, exec_lo, s42
	v_mov_b32_e32 v69, s31
.LBB112_10:                             ;   in Loop: Header=BB112_12 Depth=1
	s_or_b32 exec_lo, exec_lo, s41
.LBB112_11:                             ;   in Loop: Header=BB112_12 Depth=1
	s_delay_alu instid0(SALU_CYCLE_1) | instskip(NEXT) | instid1(VALU_DEP_1)
	s_or_b32 exec_lo, exec_lo, s40
	v_cmp_le_u32_e32 vcc_lo, s22, v69
	s_or_b32 s23, vcc_lo, s23
	s_delay_alu instid0(SALU_CYCLE_1)
	s_and_not1_b32 exec_lo, exec_lo, s23
	s_cbranch_execz .LBB112_72
.LBB112_12:                             ; =>This Loop Header: Depth=1
                                        ;     Child Loop BB112_17 Depth 2
                                        ;       Child Loop BB112_22 Depth 3
                                        ;     Child Loop BB112_55 Depth 2
	v_mov_b32_e32 v102, v71
	v_mov_b32_e32 v101, v71
	;; [unrolled: 1-line block ×16, first 2 shown]
	s_and_not1_b32 vcc_lo, exec_lo, s25
	s_mov_b32 s3, 0
	s_cbranch_vccnz .LBB112_29
; %bb.13:                               ;   in Loop: Header=BB112_12 Depth=1
	v_dual_mov_b32 v95, 0 :: v_dual_add_nc_u32 v6, 2, v69
	v_add_nc_u32_e32 v5, 1, v69
	v_add_nc_u32_e32 v7, 3, v69
	v_min_u32_e32 v8, s28, v69
	s_delay_alu instid0(VALU_DEP_4) | instskip(SKIP_2) | instid1(VALU_DEP_4)
	v_min_u32_e32 v6, s28, v6
	v_dual_mov_b32 v10, v71 :: v_dual_mov_b32 v91, 0
	v_cmp_gt_u32_e64 s1, s19, v69
	v_mul_lo_u32 v70, v8, s17
	v_mov_b32_e32 v8, v71
	v_min_u32_e32 v9, s28, v7
	v_mul_lo_u32 v7, v6, s17
	v_mov_b32_e32 v6, v71
	v_min_u32_e32 v5, s28, v5
	v_dual_mov_b32 v94, 0 :: v_dual_mov_b32 v89, 0
	v_mul_lo_u32 v9, v9, s17
	v_lshlrev_b64 v[73:74], 1, v[70:71]
	s_delay_alu instid0(VALU_DEP_4)
	v_mul_lo_u32 v5, v5, s17
	v_lshlrev_b64 v[77:78], 1, v[7:8]
	v_dual_mov_b32 v96, 0 :: v_dual_mov_b32 v87, 0
	v_dual_mov_b32 v90, 0 :: v_dual_mov_b32 v93, 0
	v_lshlrev_b64 v[79:80], 1, v[9:10]
	v_dual_mov_b32 v88, 0 :: v_dual_mov_b32 v97, 0
	v_lshlrev_b64 v[75:76], 1, v[5:6]
	v_dual_mov_b32 v92, 0 :: v_dual_mov_b32 v99, 0
	v_dual_mov_b32 v98, 0 :: v_dual_mov_b32 v101, 0
	v_mov_b32_e32 v100, 0
	v_mov_b32_e32 v102, 0
	s_mov_b32 s4, 0
	s_branch .LBB112_17
.LBB112_14:                             ;   in Loop: Header=BB112_17 Depth=2
	s_or_b32 exec_lo, exec_lo, s40
.LBB112_15:                             ;   in Loop: Header=BB112_17 Depth=2
	s_delay_alu instid0(SALU_CYCLE_1)
	s_or_b32 exec_lo, exec_lo, s5
	s_waitcnt vmcnt(7) lgkmcnt(3)
	;;#ASMSTART
	v_dot2_f32_f16 v102, v65, v49, v102
	;;#ASMEND
	s_waitcnt vmcnt(6)
	;;#ASMSTART
	v_dot2_f32_f16 v101, v65, v41, v101
	;;#ASMEND
	s_waitcnt vmcnt(5)
	;; [unrolled: 4-line block ×3, first 2 shown]
	;;#ASMSTART
	v_dot2_f32_f16 v99, v65, v37, v99
	;;#ASMEND
	s_waitcnt lgkmcnt(2)
	;;#ASMSTART
	v_dot2_f32_f16 v98, v61, v49, v98
	;;#ASMEND
	;;#ASMSTART
	v_dot2_f32_f16 v97, v61, v41, v97
	;;#ASMEND
	;;#ASMSTART
	v_dot2_f32_f16 v93, v61, v45, v93
	;;#ASMEND
	;;#ASMSTART
	v_dot2_f32_f16 v92, v61, v37, v92
	;;#ASMEND
	s_waitcnt lgkmcnt(1)
	;;#ASMSTART
	v_dot2_f32_f16 v94, v57, v49, v94
	;;#ASMEND
	;;#ASMSTART
	v_dot2_f32_f16 v96, v57, v41, v96
	;;#ASMEND
	;;#ASMSTART
	v_dot2_f32_f16 v95, v57, v45, v95
	;;#ASMEND
	;; [unrolled: 13-line block ×3, first 2 shown]
	;;#ASMSTART
	v_dot2_f32_f16 v87, v53, v37, v87
	;;#ASMEND
	;;#ASMSTART
	v_dot2_f32_f16 v102, v66, v50, v102
	;;#ASMEND
	;; [unrolled: 3-line block ×49, first 2 shown]
	s_waitcnt vmcnt(3)
	;;#ASMSTART
	v_dot2_f32_f16 v102, v33, v17, v102
	;;#ASMEND
	s_waitcnt vmcnt(2)
	;;#ASMSTART
	v_dot2_f32_f16 v101, v33, v13, v101
	;;#ASMEND
	;; [unrolled: 4-line block ×4, first 2 shown]
	;;#ASMSTART
	v_dot2_f32_f16 v98, v29, v17, v98
	;;#ASMEND
	;;#ASMSTART
	v_dot2_f32_f16 v97, v29, v13, v97
	;;#ASMEND
	;; [unrolled: 3-line block ×60, first 2 shown]
.LBB112_16:                             ;   in Loop: Header=BB112_17 Depth=2
	s_or_b32 exec_lo, exec_lo, s2
	s_addk_i32 s4, 0x200
	s_delay_alu instid0(SALU_CYCLE_1)
	s_cmp_ge_u32 s4, s16
	s_cbranch_scc1 .LBB112_29
.LBB112_17:                             ;   Parent Loop BB112_12 Depth=1
                                        ; =>  This Loop Header: Depth=2
                                        ;       Child Loop BB112_22 Depth 3
	s_cmp_eq_u32 s4, 0
	s_cselect_b32 s5, -1, 0
	s_add_i32 s2, s3, s24
	s_delay_alu instid0(SALU_CYCLE_1) | instskip(SKIP_1) | instid1(SALU_CYCLE_1)
	s_cmp_eq_u32 s4, s2
	s_cselect_b32 s40, -1, 0
	s_or_b32 s40, s5, s40
	s_delay_alu instid0(SALU_CYCLE_1)
	s_and_not1_b32 vcc_lo, exec_lo, s40
	s_cbranch_vccz .LBB112_19
; %bb.18:                               ;   in Loop: Header=BB112_17 Depth=2
	s_and_saveexec_b32 s2, s1
	s_cbranch_execz .LBB112_16
	s_branch .LBB112_26
.LBB112_19:                             ;   in Loop: Header=BB112_17 Depth=2
	s_and_b32 s5, s5, exec_lo
	s_cselect_b32 s3, s3, s2
	s_and_not1_b32 vcc_lo, exec_lo, s21
	s_waitcnt vmcnt(0) lgkmcnt(0)
	s_waitcnt_vscnt null, 0x0
	s_barrier
	buffer_gl0_inv
	s_cbranch_vccnz .LBB112_25
; %bb.20:                               ;   in Loop: Header=BB112_17 Depth=2
	v_add_nc_u32_e32 v5, s3, v84
	v_dual_mov_b32 v9, v83 :: v_dual_add_nc_u32 v6, s3, v72
	v_add_nc_u32_e32 v7, s3, v85
	v_add_nc_u32_e32 v8, s3, v0
	s_mov_b32 s5, 0
	s_mov_b32 s40, 0
                                        ; implicit-def: $sgpr41
	s_branch .LBB112_22
.LBB112_21:                             ;   in Loop: Header=BB112_22 Depth=3
	s_or_b32 exec_lo, exec_lo, s2
	s_delay_alu instid0(SALU_CYCLE_1) | instskip(NEXT) | instid1(SALU_CYCLE_1)
	s_and_b32 s2, exec_lo, s41
	s_or_b32 s5, s2, s5
	s_delay_alu instid0(SALU_CYCLE_1)
	s_and_not1_b32 exec_lo, exec_lo, s5
	s_cbranch_execz .LBB112_24
.LBB112_22:                             ;   Parent Loop BB112_12 Depth=1
                                        ;     Parent Loop BB112_17 Depth=2
                                        ; =>    This Inner Loop Header: Depth=3
	s_delay_alu instid0(VALU_DEP_1) | instskip(SKIP_2) | instid1(VALU_DEP_2)
	v_add_nc_u32_e32 v70, s40, v8
	v_add_nc_u32_e32 v10, s40, v0
	s_or_b32 s41, s41, exec_lo
	v_cmp_gt_u32_e32 vcc_lo, s18, v70
	s_delay_alu instid0(VALU_DEP_2) | instskip(NEXT) | instid1(VALU_DEP_1)
	v_cmp_gt_u32_e64 s2, s24, v10
	s_and_b32 s42, s2, vcc_lo
	s_delay_alu instid0(SALU_CYCLE_1)
	s_and_saveexec_b32 s2, s42
	s_cbranch_execz .LBB112_21
; %bb.23:                               ;   in Loop: Header=BB112_22 Depth=3
	v_lshlrev_b64 v[10:11], 1, v[70:71]
	v_add_nc_u32_e32 v70, s40, v7
	v_add_nc_u32_e32 v26, s39, v9
	;; [unrolled: 1-line block ×3, first 2 shown]
	s_delay_alu instid0(VALU_DEP_3) | instskip(SKIP_3) | instid1(VALU_DEP_3)
	v_lshlrev_b64 v[12:13], 1, v[70:71]
	v_add_nc_u32_e32 v70, s40, v5
	v_add_co_u32 v10, vcc_lo, s12, v10
	v_add_co_ci_u32_e32 v11, vcc_lo, s13, v11, vcc_lo
	v_lshlrev_b64 v[18:19], 1, v[70:71]
	v_add_nc_u32_e32 v70, s40, v6
	v_add_co_u32 v14, vcc_lo, s12, v12
	v_add_co_ci_u32_e32 v15, vcc_lo, s13, v13, vcc_lo
	s_delay_alu instid0(VALU_DEP_3)
	v_lshlrev_b64 v[20:21], 1, v[70:71]
	v_add_co_u32 v18, vcc_lo, s12, v18
	v_add_co_ci_u32_e32 v19, vcc_lo, s13, v19, vcc_lo
	s_clause 0x1
	global_load_b128 v[10:13], v[10:11], off
	global_load_b128 v[14:17], v[14:15], off
	v_add_co_u32 v22, vcc_lo, s12, v20
	v_add_co_ci_u32_e32 v23, vcc_lo, s13, v21, vcc_lo
	s_clause 0x1
	global_load_b128 v[18:21], v[18:19], off
	global_load_b128 v[22:25], v[22:23], off
	s_add_i32 s40, s40, s26
	s_waitcnt vmcnt(3)
	ds_store_b128 v9, v[10:13]
	s_waitcnt vmcnt(2)
	ds_store_2addr_b64 v26, v[14:15], v[16:17] offset1:1
	s_cmp_ge_u32 s40, s24
	v_add_nc_u32_e32 v10, s9, v9
	s_cselect_b32 s42, -1, 0
	v_add_nc_u32_e32 v9, s20, v9
	s_and_not1_b32 s41, s41, exec_lo
	s_and_b32 s42, s42, exec_lo
	s_waitcnt vmcnt(1)
	ds_store_2addr_b32 v27, v18, v19 offset1:1
	ds_store_2addr_b32 v27, v20, v21 offset0:2 offset1:3
	s_or_b32 s41, s41, s42
	s_waitcnt vmcnt(0)
	ds_store_2addr_b64 v10, v[22:23], v[24:25] offset1:1
	s_branch .LBB112_21
.LBB112_24:                             ;   in Loop: Header=BB112_17 Depth=2
	s_or_b32 exec_lo, exec_lo, s5
.LBB112_25:                             ;   in Loop: Header=BB112_17 Depth=2
	s_waitcnt lgkmcnt(0)
	s_barrier
	buffer_gl0_inv
	s_and_saveexec_b32 s2, s1
	s_cbranch_execz .LBB112_16
.LBB112_26:                             ;   in Loop: Header=BB112_17 Depth=2
	v_dual_mov_b32 v66, 0 :: v_dual_add_nc_u32 v103, s4, v82
	v_dual_mov_b32 v67, 0 :: v_dual_mov_b32 v68, 0
	s_waitcnt lgkmcnt(4)
	v_dual_mov_b32 v33, 0 :: v_dual_mov_b32 v34, 0
	s_delay_alu instid0(VALU_DEP_3) | instskip(SKIP_2) | instid1(VALU_DEP_3)
	v_min_u32_e32 v70, s27, v103
	v_dual_mov_b32 v65, 0 :: v_dual_add_nc_u32 v104, 0x100, v103
	v_dual_mov_b32 v35, 0 :: v_dual_mov_b32 v36, 0
	v_lshlrev_b64 v[5:6], 1, v[70:71]
	s_delay_alu instid0(VALU_DEP_3) | instskip(SKIP_2) | instid1(VALU_DEP_4)
	v_min_u32_e32 v70, s27, v104
	v_dual_mov_b32 v61, 0 :: v_dual_mov_b32 v62, 0
	v_dual_mov_b32 v63, 0 :: v_dual_mov_b32 v64, 0
	v_add_co_u32 v13, vcc_lo, s10, v5
	v_add_co_ci_u32_e32 v14, vcc_lo, s11, v6, vcc_lo
	v_lshlrev_b64 v[5:6], 1, v[70:71]
	s_delay_alu instid0(VALU_DEP_3) | instskip(NEXT) | instid1(VALU_DEP_3)
	v_add_co_u32 v7, vcc_lo, v13, v73
	v_add_co_ci_u32_e32 v8, vcc_lo, v14, v74, vcc_lo
	v_add_co_u32 v9, vcc_lo, v13, v75
	v_add_co_ci_u32_e32 v10, vcc_lo, v14, v76, vcc_lo
	s_waitcnt lgkmcnt(2)
	v_add_co_u32 v11, vcc_lo, v13, v77
	v_add_co_ci_u32_e32 v12, vcc_lo, v14, v78, vcc_lo
	v_add_co_u32 v15, vcc_lo, s10, v5
	v_add_co_ci_u32_e32 v16, vcc_lo, s11, v6, vcc_lo
	;; [unrolled: 2-line block ×3, first 2 shown]
	s_clause 0x1
	global_load_b128 v[49:52], v[7:8], off slc dlc
	global_load_b128 v[41:44], v[9:10], off slc dlc
	v_add_co_u32 v7, vcc_lo, v15, v73
	v_add_co_ci_u32_e32 v8, vcc_lo, v16, v74, vcc_lo
	v_add_co_u32 v9, vcc_lo, v15, v75
	v_add_co_ci_u32_e32 v10, vcc_lo, v16, v76, vcc_lo
	v_add_co_u32 v21, vcc_lo, v15, v77
	v_add_co_ci_u32_e32 v22, vcc_lo, v16, v78, vcc_lo
	v_add_co_u32 v23, vcc_lo, v15, v79
	v_add_co_ci_u32_e32 v24, vcc_lo, v16, v80, vcc_lo
	s_clause 0x1
	global_load_b128 v[45:48], v[11:12], off slc dlc
	global_load_b128 v[37:40], v[5:6], off slc dlc
	s_waitcnt lgkmcnt(0)
	s_clause 0x3
	global_load_b128 v[17:20], v[7:8], off slc dlc
	global_load_b128 v[13:16], v[9:10], off slc dlc
	;; [unrolled: 1-line block ×4, first 2 shown]
	v_cmp_gt_u32_e32 vcc_lo, s16, v103
	v_dual_mov_b32 v29, 0 :: v_dual_mov_b32 v30, 0
	v_dual_mov_b32 v31, 0 :: v_dual_mov_b32 v32, 0
	;; [unrolled: 1-line block ×6, first 2 shown]
	s_waitcnt vmcnt(22)
	v_dual_mov_b32 v53, 0 :: v_dual_mov_b32 v54, 0
	v_dual_mov_b32 v55, 0 :: v_dual_mov_b32 v56, 0
	;; [unrolled: 1-line block ×4, first 2 shown]
	s_and_saveexec_b32 s5, vcc_lo
	s_cbranch_execz .LBB112_15
; %bb.27:                               ;   in Loop: Header=BB112_17 Depth=2
	v_subrev_nc_u32_e32 v21, s3, v103
	v_cmp_gt_u32_e32 vcc_lo, s16, v104
	v_dual_mov_b32 v28, 0 :: v_dual_mov_b32 v27, 0
	v_dual_mov_b32 v26, 0 :: v_dual_mov_b32 v25, 0
	s_delay_alu instid0(VALU_DEP_4) | instskip(SKIP_1) | instid1(VALU_DEP_2)
	v_dual_mov_b32 v23, 0 :: v_dual_lshlrev_b32 v106, 1, v21
	v_dual_mov_b32 v32, 0 :: v_dual_mov_b32 v31, 0
	v_dual_mov_b32 v24, 0 :: v_dual_add_nc_u32 v105, s39, v106
	v_dual_mov_b32 v30, 0 :: v_dual_mov_b32 v29, 0
	v_dual_mov_b32 v36, 0 :: v_dual_mov_b32 v35, 0
	s_delay_alu instid0(VALU_DEP_3) | instskip(SKIP_1) | instid1(VALU_DEP_2)
	v_dual_mov_b32 v22, 0 :: v_dual_add_nc_u32 v103, s39, v105
	v_dual_mov_b32 v34, 0 :: v_dual_mov_b32 v33, 0
	v_dual_mov_b32 v21, 0 :: v_dual_add_nc_u32 v70, s39, v103
	ds_load_b128 v[65:68], v106
	ds_load_b128 v[61:64], v105
	;; [unrolled: 1-line block ×4, first 2 shown]
	s_and_saveexec_b32 s40, vcc_lo
	s_cbranch_execz .LBB112_14
; %bb.28:                               ;   in Loop: Header=BB112_17 Depth=2
	ds_load_b128 v[33:36], v106 offset:512
	ds_load_b128 v[29:32], v105 offset:512
	;; [unrolled: 1-line block ×4, first 2 shown]
	s_branch .LBB112_14
.LBB112_29:                             ;   in Loop: Header=BB112_12 Depth=1
	s_mov_b32 s1, exec_lo
	v_cmpx_le_u32_e64 s19, v69
	s_xor_b32 s1, exec_lo, s1
; %bb.30:                               ;   in Loop: Header=BB112_12 Depth=1
	v_add_nc_u32_e32 v69, s29, v69
                                        ; implicit-def: $vgpr102
                                        ; implicit-def: $vgpr101
                                        ; implicit-def: $vgpr100
                                        ; implicit-def: $vgpr99
                                        ; implicit-def: $vgpr98
                                        ; implicit-def: $vgpr97
                                        ; implicit-def: $vgpr93
                                        ; implicit-def: $vgpr92
                                        ; implicit-def: $vgpr87
                                        ; implicit-def: $vgpr88
                                        ; implicit-def: $vgpr89
                                        ; implicit-def: $vgpr90
                                        ; implicit-def: $vgpr91
                                        ; implicit-def: $vgpr95
                                        ; implicit-def: $vgpr96
                                        ; implicit-def: $vgpr94
; %bb.31:                               ;   in Loop: Header=BB112_12 Depth=1
	s_and_not1_saveexec_b32 s40, s1
	s_cbranch_execz .LBB112_11
; %bb.32:                               ;   in Loop: Header=BB112_12 Depth=1
	v_cvt_i32_f32_e32 v5, v102
	v_xor_b32_e32 v6, 16, v81
	v_cvt_i32_f32_e32 v10, v98
	s_waitcnt lgkmcnt(2)
	v_cvt_i32_f32_e32 v11, v97
	v_cvt_i32_f32_e32 v7, v101
	v_cvt_f32_i32_dpp v5, v5 row_shr:8 row_mask:0xf bank_mask:0xf bound_ctrl:1
	v_cmp_gt_i32_e32 vcc_lo, 32, v6
	v_cvt_f32_i32_dpp v10, v10 row_shr:8 row_mask:0xf bank_mask:0xf bound_ctrl:1
	v_cvt_f32_i32_dpp v11, v11 row_shr:8 row_mask:0xf bank_mask:0xf bound_ctrl:1
	v_cvt_i32_f32_e32 v8, v100
	v_dual_add_f32 v5, v102, v5 :: v_dual_cndmask_b32 v6, v81, v6
	s_delay_alu instid0(VALU_DEP_3) | instskip(SKIP_1) | instid1(VALU_DEP_3)
	v_dual_add_f32 v10, v98, v10 :: v_dual_add_f32 v11, v97, v11
	v_cvt_i32_f32_e32 v9, v99
	v_cvt_i32_f32_e32 v12, v5
	v_cvt_f32_i32_dpp v7, v7 row_shr:8 row_mask:0xf bank_mask:0xf bound_ctrl:1
	s_delay_alu instid0(VALU_DEP_4)
	v_cvt_i32_f32_e32 v15, v10
	v_cvt_f32_i32_dpp v8, v8 row_shr:8 row_mask:0xf bank_mask:0xf bound_ctrl:1
	v_cvt_f32_i32_dpp v9, v9 row_shr:8 row_mask:0xf bank_mask:0xf bound_ctrl:1
	;; [unrolled: 1-line block ×3, first 2 shown]
	v_cvt_i32_f32_e32 v16, v11
	v_cvt_f32_i32_dpp v15, v15 row_shr:4 row_mask:0xf bank_mask:0xf bound_ctrl:1
	v_dual_add_f32 v7, v101, v7 :: v_dual_lshlrev_b32 v6, 2, v6
	s_delay_alu instid0(VALU_DEP_4) | instskip(SKIP_3) | instid1(VALU_DEP_4)
	v_add_f32_e32 v5, v5, v12
	v_dual_add_f32 v8, v100, v8 :: v_dual_add_f32 v9, v99, v9
	v_cvt_f32_i32_dpp v16, v16 row_shr:4 row_mask:0xf bank_mask:0xf bound_ctrl:1
	v_add_f32_e32 v10, v10, v15
	v_cvt_i32_f32_e32 v17, v5
	v_cvt_i32_f32_e32 v13, v7
	v_cvt_i32_f32_e32 v12, v8
	v_cvt_i32_f32_e32 v14, v9
	v_add_f32_e32 v11, v11, v16
	v_cvt_f32_i32_dpp v17, v17 row_shr:2 row_mask:0xf bank_mask:0xf bound_ctrl:1
	v_cvt_f32_i32_dpp v13, v13 row_shr:4 row_mask:0xf bank_mask:0xf bound_ctrl:1
	;; [unrolled: 1-line block ×4, first 2 shown]
	v_cvt_i32_f32_e32 v16, v10
	v_add_f32_e32 v5, v5, v17
	v_cvt_i32_f32_e32 v17, v11
	v_dual_add_f32 v7, v7, v13 :: v_dual_add_f32 v8, v8, v12
	s_delay_alu instid0(VALU_DEP_4) | instskip(NEXT) | instid1(VALU_DEP_3)
	v_cvt_f32_i32_dpp v16, v16 row_shr:2 row_mask:0xf bank_mask:0xf bound_ctrl:1
	v_cvt_f32_i32_dpp v17, v17 row_shr:2 row_mask:0xf bank_mask:0xf bound_ctrl:1
	v_add_f32_e32 v9, v9, v14
	s_delay_alu instid0(VALU_DEP_4) | instskip(SKIP_2) | instid1(VALU_DEP_4)
	v_cvt_i32_f32_e32 v12, v7
	v_cvt_i32_f32_e32 v13, v8
	;; [unrolled: 1-line block ×4, first 2 shown]
	s_delay_alu instid0(VALU_DEP_4) | instskip(NEXT) | instid1(VALU_DEP_4)
	v_cvt_f32_i32_dpp v12, v12 row_shr:2 row_mask:0xf bank_mask:0xf bound_ctrl:1
	v_cvt_f32_i32_dpp v13, v13 row_shr:2 row_mask:0xf bank_mask:0xf bound_ctrl:1
	s_delay_alu instid0(VALU_DEP_4) | instskip(NEXT) | instid1(VALU_DEP_4)
	v_cvt_f32_i32_dpp v14, v14 row_shr:1 row_mask:0xf bank_mask:0xf bound_ctrl:1
	v_cvt_f32_i32_dpp v15, v15 row_shr:2 row_mask:0xf bank_mask:0xf bound_ctrl:1
	s_delay_alu instid0(VALU_DEP_2) | instskip(SKIP_1) | instid1(VALU_DEP_3)
	v_add_f32_e32 v37, v5, v14
	v_add_f32_e32 v5, v7, v12
	v_dual_add_f32 v7, v8, v13 :: v_dual_add_f32 v8, v9, v15
	v_dual_add_f32 v9, v10, v16 :: v_dual_add_f32 v10, v11, v17
	s_delay_alu instid0(VALU_DEP_2) | instskip(NEXT) | instid1(VALU_DEP_2)
	v_cvt_i32_f32_e32 v13, v8
	v_cvt_i32_f32_e32 v14, v9
	s_delay_alu instid0(VALU_DEP_3) | instskip(NEXT) | instid1(VALU_DEP_3)
	v_cvt_i32_f32_e32 v15, v10
	v_cvt_f32_i32_dpp v13, v13 row_shr:1 row_mask:0xf bank_mask:0xf bound_ctrl:1
	s_delay_alu instid0(VALU_DEP_3) | instskip(NEXT) | instid1(VALU_DEP_3)
	v_cvt_f32_i32_dpp v14, v14 row_shr:1 row_mask:0xf bank_mask:0xf bound_ctrl:1
	v_cvt_f32_i32_dpp v15, v15 row_shr:1 row_mask:0xf bank_mask:0xf bound_ctrl:1
	s_delay_alu instid0(VALU_DEP_2) | instskip(SKIP_2) | instid1(VALU_DEP_4)
	v_add_f32_e32 v14, v9, v14
	v_cvt_i32_f32_e32 v9, v94
	v_cvt_i32_f32_e32 v11, v5
	v_add_f32_e32 v10, v10, v15
	ds_bpermute_b32 v17, v6, v14
	v_cvt_f32_i32_dpp v9, v9 row_shr:8 row_mask:0xf bank_mask:0xf bound_ctrl:1
	v_cvt_f32_i32_dpp v11, v11 row_shr:1 row_mask:0xf bank_mask:0xf bound_ctrl:1
	s_delay_alu instid0(VALU_DEP_1)
	v_dual_add_f32 v9, v94, v9 :: v_dual_add_f32 v32, v5, v11
	v_cvt_i32_f32_e32 v12, v7
	v_cvt_i32_f32_e32 v5, v93
	;; [unrolled: 1-line block ×3, first 2 shown]
	s_waitcnt lgkmcnt(1)
	v_cvt_i32_f32_e32 v18, v9
	ds_bpermute_b32 v35, v6, v32
	v_cvt_f32_i32_dpp v12, v12 row_shr:1 row_mask:0xf bank_mask:0xf bound_ctrl:1
	v_cvt_f32_i32_dpp v5, v5 row_shr:8 row_mask:0xf bank_mask:0xf bound_ctrl:1
	;; [unrolled: 1-line block ×4, first 2 shown]
	s_delay_alu instid0(VALU_DEP_1) | instskip(NEXT) | instid1(VALU_DEP_1)
	v_add_f32_e32 v9, v9, v18
	v_cvt_i32_f32_e32 v18, v9
	s_delay_alu instid0(VALU_DEP_1) | instskip(NEXT) | instid1(VALU_DEP_1)
	v_cvt_f32_i32_dpp v18, v18 row_shr:2 row_mask:0xf bank_mask:0xf bound_ctrl:1
	v_add_f32_e32 v9, v9, v18
	s_delay_alu instid0(VALU_DEP_1) | instskip(NEXT) | instid1(VALU_DEP_1)
	v_cvt_i32_f32_e32 v18, v9
	v_cvt_f32_i32_dpp v18, v18 row_shr:1 row_mask:0xf bank_mask:0xf bound_ctrl:1
	v_add_f32_e32 v7, v7, v12
	v_cvt_i32_f32_e32 v12, v95
	s_delay_alu instid0(VALU_DEP_1)
	v_cvt_f32_i32_dpp v12, v12 row_shr:8 row_mask:0xf bank_mask:0xf bound_ctrl:1
	v_add_f32_e32 v21, v8, v13
	v_cvt_i32_f32_e32 v8, v92
	ds_bpermute_b32 v13, v6, v10
	v_add_f32_e32 v12, v95, v12
	ds_bpermute_b32 v24, v6, v21
	v_cvt_f32_i32_dpp v8, v8 row_shr:8 row_mask:0xf bank_mask:0xf bound_ctrl:1
	v_cvt_i32_f32_e32 v20, v12
	s_delay_alu instid0(VALU_DEP_2) | instskip(SKIP_3) | instid1(VALU_DEP_2)
	v_add_f32_e32 v8, v92, v8
	ds_bpermute_b32 v38, v6, v37
	v_cvt_f32_i32_dpp v20, v20 row_shr:4 row_mask:0xf bank_mask:0xf bound_ctrl:1
	v_cvt_i32_f32_e32 v16, v8
	v_add_f32_e32 v12, v12, v20
	s_delay_alu instid0(VALU_DEP_2) | instskip(SKIP_1) | instid1(VALU_DEP_3)
	v_cvt_f32_i32_dpp v16, v16 row_shr:4 row_mask:0xf bank_mask:0xf bound_ctrl:1
	v_add_f32_e32 v5, v93, v5
	v_cvt_i32_f32_e32 v20, v12
	s_delay_alu instid0(VALU_DEP_3) | instskip(NEXT) | instid1(VALU_DEP_3)
	v_add_f32_e32 v8, v8, v16
	v_cvt_i32_f32_e32 v15, v5
	s_delay_alu instid0(VALU_DEP_3) | instskip(NEXT) | instid1(VALU_DEP_3)
	v_cvt_f32_i32_dpp v20, v20 row_shr:2 row_mask:0xf bank_mask:0xf bound_ctrl:1
	v_cvt_i32_f32_e32 v16, v8
	s_delay_alu instid0(VALU_DEP_3) | instskip(NEXT) | instid1(VALU_DEP_3)
	v_cvt_f32_i32_dpp v15, v15 row_shr:4 row_mask:0xf bank_mask:0xf bound_ctrl:1
	v_add_f32_e32 v12, v12, v20
	s_delay_alu instid0(VALU_DEP_3) | instskip(NEXT) | instid1(VALU_DEP_3)
	v_cvt_f32_i32_dpp v16, v16 row_shr:2 row_mask:0xf bank_mask:0xf bound_ctrl:1
	v_add_f32_e32 v5, v5, v15
	s_delay_alu instid0(VALU_DEP_3) | instskip(NEXT) | instid1(VALU_DEP_3)
	v_cvt_i32_f32_e32 v20, v12
	v_add_f32_e32 v8, v8, v16
	s_delay_alu instid0(VALU_DEP_3) | instskip(NEXT) | instid1(VALU_DEP_3)
	v_cvt_i32_f32_e32 v15, v5
	v_cvt_f32_i32_dpp v22, v20 row_shr:1 row_mask:0xf bank_mask:0xf bound_ctrl:1
	v_add_f32_e32 v20, v9, v18
	v_cvt_i32_f32_e32 v18, v87
	s_delay_alu instid0(VALU_DEP_4)
	v_cvt_f32_i32_dpp v15, v15 row_shr:2 row_mask:0xf bank_mask:0xf bound_ctrl:1
	v_cvt_i32_f32_e32 v16, v8
	ds_bpermute_b32 v29, v6, v7
	ds_bpermute_b32 v23, v6, v20
	v_cvt_f32_i32_dpp v18, v18 row_shr:8 row_mask:0xf bank_mask:0xf bound_ctrl:1
	v_add_f32_e32 v5, v5, v15
	v_cvt_f32_i32_dpp v16, v16 row_shr:1 row_mask:0xf bank_mask:0xf bound_ctrl:1
	s_delay_alu instid0(VALU_DEP_3) | instskip(NEXT) | instid1(VALU_DEP_3)
	v_add_f32_e32 v18, v87, v18
	v_cvt_i32_f32_e32 v15, v5
	s_delay_alu instid0(VALU_DEP_2) | instskip(NEXT) | instid1(VALU_DEP_2)
	v_cvt_i32_f32_e32 v31, v18
	v_cvt_f32_i32_dpp v15, v15 row_shr:1 row_mask:0xf bank_mask:0xf bound_ctrl:1
	s_delay_alu instid0(VALU_DEP_2) | instskip(NEXT) | instid1(VALU_DEP_1)
	v_cvt_f32_i32_dpp v31, v31 row_shr:4 row_mask:0xf bank_mask:0xf bound_ctrl:1
	v_add_f32_e32 v18, v18, v31
	s_delay_alu instid0(VALU_DEP_1) | instskip(NEXT) | instid1(VALU_DEP_1)
	v_cvt_i32_f32_e32 v31, v18
	v_cvt_f32_i32_dpp v31, v31 row_shr:2 row_mask:0xf bank_mask:0xf bound_ctrl:1
	v_add_f32_e32 v27, v8, v16
	v_cvt_i32_f32_e32 v8, v90
	s_delay_alu instid0(VALU_DEP_3) | instskip(SKIP_4) | instid1(VALU_DEP_3)
	v_add_f32_e32 v18, v18, v31
	ds_bpermute_b32 v30, v6, v27
	v_cvt_f32_i32_dpp v8, v8 row_shr:8 row_mask:0xf bank_mask:0xf bound_ctrl:1
	v_add_f32_e32 v11, v96, v11
	v_cvt_i32_f32_e32 v31, v18
	v_add_f32_e32 v8, v90, v8
	s_delay_alu instid0(VALU_DEP_3) | instskip(SKIP_1) | instid1(VALU_DEP_3)
	v_cvt_i32_f32_e32 v19, v11
	s_waitcnt vmcnt(0)
	v_cvt_f32_i32_dpp v39, v31 row_shr:1 row_mask:0xf bank_mask:0xf bound_ctrl:1
	v_add_f32_e32 v9, v12, v22
	v_cvt_i32_f32_e32 v25, v8
	v_cvt_f32_i32_dpp v19, v19 row_shr:4 row_mask:0xf bank_mask:0xf bound_ctrl:1
	s_delay_alu instid0(VALU_DEP_2) | instskip(NEXT) | instid1(VALU_DEP_1)
	v_cvt_f32_i32_dpp v25, v25 row_shr:4 row_mask:0xf bank_mask:0xf bound_ctrl:1
	v_dual_add_f32 v11, v11, v19 :: v_dual_add_f32 v8, v8, v25
	s_delay_alu instid0(VALU_DEP_1) | instskip(NEXT) | instid1(VALU_DEP_2)
	v_cvt_i32_f32_e32 v19, v11
	v_cvt_i32_f32_e32 v25, v8
	s_delay_alu instid0(VALU_DEP_2) | instskip(NEXT) | instid1(VALU_DEP_2)
	v_cvt_f32_i32_dpp v19, v19 row_shr:2 row_mask:0xf bank_mask:0xf bound_ctrl:1
	v_cvt_f32_i32_dpp v25, v25 row_shr:2 row_mask:0xf bank_mask:0xf bound_ctrl:1
	s_delay_alu instid0(VALU_DEP_1) | instskip(NEXT) | instid1(VALU_DEP_1)
	v_dual_add_f32 v11, v11, v19 :: v_dual_add_f32 v8, v8, v25
	v_cvt_i32_f32_e32 v19, v11
	s_delay_alu instid0(VALU_DEP_2) | instskip(NEXT) | instid1(VALU_DEP_2)
	v_cvt_i32_f32_e32 v25, v8
	v_cvt_f32_i32_dpp v19, v19 row_shr:1 row_mask:0xf bank_mask:0xf bound_ctrl:1
	s_delay_alu instid0(VALU_DEP_2) | instskip(SKIP_1) | instid1(VALU_DEP_3)
	v_cvt_f32_i32_dpp v25, v25 row_shr:1 row_mask:0xf bank_mask:0xf bound_ctrl:1
	v_add_f32_e32 v33, v5, v15
	v_add_f32_e32 v16, v11, v19
	v_cvt_i32_f32_e32 v5, v91
	v_cvt_i32_f32_e32 v11, v89
	v_cvt_i32_f32_e32 v15, v88
	ds_bpermute_b32 v19, v6, v16
	v_cvt_f32_i32_dpp v5, v5 row_shr:8 row_mask:0xf bank_mask:0xf bound_ctrl:1
	v_cvt_f32_i32_dpp v11, v11 row_shr:8 row_mask:0xf bank_mask:0xf bound_ctrl:1
	;; [unrolled: 1-line block ×3, first 2 shown]
	s_delay_alu instid0(VALU_DEP_3) | instskip(NEXT) | instid1(VALU_DEP_3)
	v_add_f32_e32 v5, v91, v5
	v_add_f32_e32 v11, v89, v11
	s_delay_alu instid0(VALU_DEP_2) | instskip(NEXT) | instid1(VALU_DEP_2)
	v_cvt_i32_f32_e32 v22, v5
	v_cvt_i32_f32_e32 v26, v11
	s_delay_alu instid0(VALU_DEP_2) | instskip(NEXT) | instid1(VALU_DEP_2)
	v_cvt_f32_i32_dpp v22, v22 row_shr:4 row_mask:0xf bank_mask:0xf bound_ctrl:1
	v_cvt_f32_i32_dpp v26, v26 row_shr:4 row_mask:0xf bank_mask:0xf bound_ctrl:1
	s_delay_alu instid0(VALU_DEP_2) | instskip(NEXT) | instid1(VALU_DEP_2)
	v_add_f32_e32 v5, v5, v22
	v_add_f32_e32 v11, v11, v26
	s_delay_alu instid0(VALU_DEP_2) | instskip(NEXT) | instid1(VALU_DEP_2)
	v_cvt_i32_f32_e32 v22, v5
	v_cvt_i32_f32_e32 v26, v11
	s_delay_alu instid0(VALU_DEP_2) | instskip(NEXT) | instid1(VALU_DEP_2)
	v_cvt_f32_i32_dpp v22, v22 row_shr:2 row_mask:0xf bank_mask:0xf bound_ctrl:1
	v_cvt_f32_i32_dpp v26, v26 row_shr:2 row_mask:0xf bank_mask:0xf bound_ctrl:1
	s_delay_alu instid0(VALU_DEP_2) | instskip(NEXT) | instid1(VALU_DEP_2)
	v_add_f32_e32 v5, v5, v22
	v_add_f32_e32 v11, v11, v26
	s_delay_alu instid0(VALU_DEP_2) | instskip(NEXT) | instid1(VALU_DEP_2)
	v_cvt_i32_f32_e32 v22, v5
	v_cvt_i32_f32_e32 v26, v11
	s_delay_alu instid0(VALU_DEP_2) | instskip(NEXT) | instid1(VALU_DEP_2)
	v_cvt_f32_i32_dpp v22, v22 row_shr:1 row_mask:0xf bank_mask:0xf bound_ctrl:1
	v_cvt_f32_i32_dpp v34, v26 row_shr:1 row_mask:0xf bank_mask:0xf bound_ctrl:1
	v_add_f32_e32 v26, v8, v25
	v_add_f32_e32 v15, v88, v15
	s_delay_alu instid0(VALU_DEP_4) | instskip(NEXT) | instid1(VALU_DEP_4)
	v_dual_add_f32 v8, v18, v39 :: v_dual_add_f32 v31, v5, v22
	v_add_f32_e32 v22, v11, v34
	ds_bpermute_b32 v36, v6, v33
	v_cvt_i32_f32_e32 v28, v15
	ds_bpermute_b32 v12, v6, v9
	ds_bpermute_b32 v34, v6, v31
	;; [unrolled: 1-line block ×4, first 2 shown]
	v_cvt_f32_i32_dpp v28, v28 row_shr:4 row_mask:0xf bank_mask:0xf bound_ctrl:1
	s_delay_alu instid0(VALU_DEP_1) | instskip(NEXT) | instid1(VALU_DEP_1)
	v_add_f32_e32 v15, v15, v28
	v_cvt_i32_f32_e32 v28, v15
	s_delay_alu instid0(VALU_DEP_1) | instskip(NEXT) | instid1(VALU_DEP_1)
	v_cvt_f32_i32_dpp v28, v28 row_shr:2 row_mask:0xf bank_mask:0xf bound_ctrl:1
	v_add_f32_e32 v15, v15, v28
	s_delay_alu instid0(VALU_DEP_1) | instskip(NEXT) | instid1(VALU_DEP_1)
	v_cvt_i32_f32_e32 v28, v15
	v_cvt_f32_i32_dpp v28, v28 row_shr:1 row_mask:0xf bank_mask:0xf bound_ctrl:1
	s_delay_alu instid0(VALU_DEP_1)
	v_add_f32_e32 v15, v15, v28
	ds_bpermute_b32 v28, v6, v26
	ds_bpermute_b32 v18, v6, v15
	s_and_saveexec_b32 s5, s0
	s_cbranch_execz .LBB112_52
; %bb.33:                               ;   in Loop: Header=BB112_12 Depth=1
	v_dual_mov_b32 v54, 0 :: v_dual_add_nc_u32 v5, 3, v69
	v_dual_mov_b32 v53, 0 :: v_dual_add_nc_u32 v6, 2, v69
	v_dual_mov_b32 v52, 0 :: v_dual_mov_b32 v51, 0
	v_dual_mov_b32 v50, 0 :: v_dual_mov_b32 v49, 0
	;; [unrolled: 1-line block ×7, first 2 shown]
	s_and_not1_b32 vcc_lo, exec_lo, s30
	s_cbranch_vccnz .LBB112_35
; %bb.34:                               ;   in Loop: Header=BB112_12 Depth=1
	v_mul_hi_u32 v39, v69, v86
	v_mul_hi_u32 v40, v6, v86
	v_add_nc_u32_e32 v41, 1, v69
	v_mul_hi_u32 v42, v5, v86
	v_mov_b32_e32 v64, v71
	v_mov_b32_e32 v56, v71
	;; [unrolled: 1-line block ×4, first 2 shown]
	v_mul_lo_u32 v39, v39, s8
	v_mul_lo_u32 v44, v40, s8
	v_mov_b32_e32 v40, v71
	v_mul_hi_u32 v43, v41, v86
	v_mul_lo_u32 v45, v42, s8
	v_mov_b32_e32 v58, v71
	v_sub_nc_u32_e32 v39, v69, v39
	v_sub_nc_u32_e32 v46, v6, v44
	v_mul_lo_u32 v43, v43, s8
	v_sub_nc_u32_e32 v45, v5, v45
	s_delay_alu instid0(VALU_DEP_4) | instskip(SKIP_1) | instid1(VALU_DEP_3)
	v_subrev_nc_u32_e32 v47, s8, v39
	v_cmp_le_u32_e32 vcc_lo, s8, v39
	v_subrev_nc_u32_e32 v48, s8, v45
	v_sub_nc_u32_e32 v41, v41, v43
	v_subrev_nc_u32_e32 v43, s8, v46
	v_cndmask_b32_e32 v39, v39, v47, vcc_lo
	v_cmp_le_u32_e32 vcc_lo, s8, v46
	v_mov_b32_e32 v42, v71
	v_subrev_nc_u32_e32 v47, s8, v41
	v_cndmask_b32_e32 v43, v46, v43, vcc_lo
	v_cmp_le_u32_e32 vcc_lo, s8, v45
	v_mov_b32_e32 v44, v71
	v_subrev_nc_u32_e32 v46, s8, v39
	v_cndmask_b32_e32 v45, v45, v48, vcc_lo
	v_cmp_le_u32_e32 vcc_lo, s8, v41
	s_delay_alu instid0(VALU_DEP_2)
	v_subrev_nc_u32_e32 v48, s8, v45
	v_cndmask_b32_e32 v47, v41, v47, vcc_lo
	v_cmp_le_u32_e32 vcc_lo, s8, v39
	v_subrev_nc_u32_e32 v41, s8, v43
	v_cndmask_b32_e32 v70, v39, v46, vcc_lo
	v_cmp_le_u32_e32 vcc_lo, s8, v43
	v_subrev_nc_u32_e32 v39, s8, v47
	s_delay_alu instid0(VALU_DEP_3) | instskip(SKIP_2) | instid1(VALU_DEP_3)
	v_add_nc_u32_e32 v61, s34, v70
	v_cndmask_b32_e32 v41, v43, v41, vcc_lo
	v_cmp_le_u32_e32 vcc_lo, s8, v45
	v_lshlrev_b64 v[61:62], 1, v[61:62]
	v_cndmask_b32_e32 v43, v45, v48, vcc_lo
	v_cmp_le_u32_e32 vcc_lo, s8, v47
	v_lshlrev_b64 v[45:46], 1, v[70:71]
	s_delay_alu instid0(VALU_DEP_3)
	v_lshlrev_b64 v[49:50], 1, v[43:44]
	v_add_nc_u32_e32 v44, s33, v70
	v_dual_cndmask_b32 v39, v47, v39 :: v_dual_add_nc_u32 v70, s38, v70
	v_lshlrev_b64 v[47:48], 1, v[41:42]
	v_add_co_u32 v53, vcc_lo, s14, v45
	v_mov_b32_e32 v45, v71
	s_delay_alu instid0(VALU_DEP_4) | instskip(SKIP_2) | instid1(VALU_DEP_4)
	v_lshlrev_b64 v[51:52], 1, v[39:40]
	v_add_co_ci_u32_e32 v54, vcc_lo, s15, v46, vcc_lo
	v_add_nc_u32_e32 v55, s33, v39
	v_lshlrev_b64 v[44:45], 1, v[44:45]
	v_add_nc_u32_e32 v57, s33, v41
	v_add_co_u32 v51, vcc_lo, s14, v51
	v_add_co_ci_u32_e32 v52, vcc_lo, s15, v52, vcc_lo
	v_add_co_u32 v46, vcc_lo, s14, v47
	v_add_co_ci_u32_e32 v47, vcc_lo, s15, v48, vcc_lo
	v_add_co_u32 v48, vcc_lo, s14, v49
	v_lshlrev_b64 v[55:56], 1, v[55:56]
	v_add_nc_u32_e32 v59, s33, v43
	v_add_co_ci_u32_e32 v49, vcc_lo, s15, v50, vcc_lo
	v_add_co_u32 v44, vcc_lo, s14, v44
	v_lshlrev_b64 v[57:58], 1, v[57:58]
	v_add_co_ci_u32_e32 v45, vcc_lo, s15, v45, vcc_lo
	v_add_co_u32 v55, vcc_lo, s14, v55
	v_lshlrev_b64 v[59:60], 1, v[59:60]
	v_add_co_ci_u32_e32 v56, vcc_lo, s15, v56, vcc_lo
	v_add_co_u32 v57, vcc_lo, s14, v57
	v_add_co_ci_u32_e32 v58, vcc_lo, s15, v58, vcc_lo
	v_add_nc_u32_e32 v63, s34, v39
	v_add_co_u32 v59, vcc_lo, s14, v59
	v_add_co_ci_u32_e32 v60, vcc_lo, s15, v60, vcc_lo
	s_clause 0x7
	global_load_u16 v54, v[53:54], off
	global_load_u16 v53, v[51:52], off
	;; [unrolled: 1-line block ×8, first 2 shown]
	v_dual_mov_b32 v58, v71 :: v_dual_add_nc_u32 v57, s34, v41
	v_add_co_u32 v59, vcc_lo, s14, v61
	v_lshlrev_b64 v[55:56], 1, v[63:64]
	v_add_co_ci_u32_e32 v60, vcc_lo, s15, v62, vcc_lo
	v_dual_mov_b32 v62, v71 :: v_dual_add_nc_u32 v61, s34, v43
	v_lshlrev_b64 v[57:58], 1, v[57:58]
	s_delay_alu instid0(VALU_DEP_4) | instskip(SKIP_1) | instid1(VALU_DEP_4)
	v_add_co_u32 v55, vcc_lo, s14, v55
	v_add_co_ci_u32_e32 v56, vcc_lo, s15, v56, vcc_lo
	v_lshlrev_b64 v[61:62], 1, v[61:62]
	s_delay_alu instid0(VALU_DEP_4)
	v_add_co_u32 v57, vcc_lo, s14, v57
	v_lshlrev_b64 v[63:64], 1, v[70:71]
	v_add_nc_u32_e32 v70, s38, v39
	v_add_co_ci_u32_e32 v58, vcc_lo, s15, v58, vcc_lo
	v_add_co_u32 v39, vcc_lo, s14, v61
	v_add_co_ci_u32_e32 v40, vcc_lo, s15, v62, vcc_lo
	s_delay_alu instid0(VALU_DEP_4) | instskip(SKIP_3) | instid1(VALU_DEP_3)
	v_lshlrev_b64 v[61:62], 1, v[70:71]
	v_add_nc_u32_e32 v70, s38, v41
	v_add_co_u32 v41, vcc_lo, s14, v63
	v_add_co_ci_u32_e32 v42, vcc_lo, s15, v64, vcc_lo
	v_lshlrev_b64 v[63:64], 1, v[70:71]
	v_add_nc_u32_e32 v70, s38, v43
	v_add_co_u32 v61, vcc_lo, s14, v61
	v_add_co_ci_u32_e32 v62, vcc_lo, s15, v62, vcc_lo
	s_delay_alu instid0(VALU_DEP_3) | instskip(SKIP_2) | instid1(VALU_DEP_3)
	v_lshlrev_b64 v[65:66], 1, v[70:71]
	v_add_co_u32 v63, vcc_lo, s14, v63
	v_add_co_ci_u32_e32 v64, vcc_lo, s15, v64, vcc_lo
	v_add_co_u32 v65, vcc_lo, s14, v65
	s_delay_alu instid0(VALU_DEP_4)
	v_add_co_ci_u32_e32 v66, vcc_lo, s15, v66, vcc_lo
	s_clause 0x7
	global_load_u16 v49, v[59:60], off
	global_load_u16 v47, v[55:56], off
	;; [unrolled: 1-line block ×8, first 2 shown]
.LBB112_35:                             ;   in Loop: Header=BB112_12 Depth=1
	v_cmp_ne_u32_e32 vcc_lo, 0, v1
	s_and_saveexec_b32 s2, vcc_lo
	s_cbranch_execnz .LBB112_57
; %bb.36:                               ;   in Loop: Header=BB112_12 Depth=1
	s_or_b32 exec_lo, exec_lo, s2
	v_cmp_ne_u32_e64 s1, 0, v2
	s_delay_alu instid0(VALU_DEP_1)
	s_and_saveexec_b32 s3, s1
	s_cbranch_execnz .LBB112_58
.LBB112_37:                             ;   in Loop: Header=BB112_12 Depth=1
	s_or_b32 exec_lo, exec_lo, s3
	v_cmp_ne_u32_e64 s2, 0, v3
	s_delay_alu instid0(VALU_DEP_1)
	s_and_saveexec_b32 s4, s2
	s_cbranch_execnz .LBB112_59
.LBB112_38:                             ;   in Loop: Header=BB112_12 Depth=1
	s_or_b32 exec_lo, exec_lo, s4
	v_cmp_ne_u32_e64 s3, 0, v4
	s_delay_alu instid0(VALU_DEP_1)
	s_and_saveexec_b32 s41, s3
	s_cbranch_execnz .LBB112_60
.LBB112_39:                             ;   in Loop: Header=BB112_12 Depth=1
	s_or_b32 exec_lo, exec_lo, s41
	v_add_nc_u32_e32 v70, s19, v69
	s_and_saveexec_b32 s41, vcc_lo
	s_cbranch_execnz .LBB112_61
.LBB112_40:                             ;   in Loop: Header=BB112_12 Depth=1
	s_or_b32 exec_lo, exec_lo, s41
	s_and_saveexec_b32 s41, s1
	s_cbranch_execnz .LBB112_62
.LBB112_41:                             ;   in Loop: Header=BB112_12 Depth=1
	s_or_b32 exec_lo, exec_lo, s41
	s_and_saveexec_b32 s41, s2
	s_cbranch_execnz .LBB112_63
.LBB112_42:                             ;   in Loop: Header=BB112_12 Depth=1
	s_or_b32 exec_lo, exec_lo, s41
	s_and_saveexec_b32 s41, s3
	s_cbranch_execnz .LBB112_64
.LBB112_43:                             ;   in Loop: Header=BB112_12 Depth=1
	s_or_b32 exec_lo, exec_lo, s41
	v_add_nc_u32_e32 v70, s19, v70
	s_and_saveexec_b32 s41, vcc_lo
	s_cbranch_execnz .LBB112_65
.LBB112_44:                             ;   in Loop: Header=BB112_12 Depth=1
	s_or_b32 exec_lo, exec_lo, s41
	s_and_saveexec_b32 s41, s1
	s_cbranch_execnz .LBB112_66
.LBB112_45:                             ;   in Loop: Header=BB112_12 Depth=1
	s_or_b32 exec_lo, exec_lo, s41
	s_and_saveexec_b32 s41, s2
	s_cbranch_execnz .LBB112_67
.LBB112_46:                             ;   in Loop: Header=BB112_12 Depth=1
	s_or_b32 exec_lo, exec_lo, s41
	s_and_saveexec_b32 s41, s3
	s_cbranch_execnz .LBB112_68
.LBB112_47:                             ;   in Loop: Header=BB112_12 Depth=1
	s_or_b32 exec_lo, exec_lo, s41
	v_add_nc_u32_e32 v70, s19, v70
	s_and_saveexec_b32 s4, vcc_lo
	s_cbranch_execnz .LBB112_69
.LBB112_48:                             ;   in Loop: Header=BB112_12 Depth=1
	s_or_b32 exec_lo, exec_lo, s4
	s_and_saveexec_b32 s4, s1
	s_cbranch_execnz .LBB112_70
.LBB112_49:                             ;   in Loop: Header=BB112_12 Depth=1
	s_or_b32 exec_lo, exec_lo, s4
	s_and_saveexec_b32 s1, s2
	s_cbranch_execnz .LBB112_71
.LBB112_50:                             ;   in Loop: Header=BB112_12 Depth=1
	s_or_b32 exec_lo, exec_lo, s1
	s_delay_alu instid0(SALU_CYCLE_1)
	s_and_b32 exec_lo, exec_lo, s3
	s_cbranch_execz .LBB112_52
.LBB112_51:                             ;   in Loop: Header=BB112_12 Depth=1
	s_waitcnt lgkmcnt(2)
	v_dual_add_f32 v5, v8, v11 :: v_dual_add_nc_u32 v70, 3, v70
	s_waitcnt vmcnt(0)
	v_cvt_f32_f16_e32 v6, v39
	s_delay_alu instid0(VALU_DEP_1) | instskip(NEXT) | instid1(VALU_DEP_3)
	v_add_f32_e32 v7, v5, v6
	v_lshlrev_b64 v[5:6], 1, v[70:71]
	s_delay_alu instid0(VALU_DEP_2) | instskip(NEXT) | instid1(VALU_DEP_2)
	v_cvt_f16_f32_e32 v7, v7
	v_add_co_u32 v5, vcc_lo, s6, v5
	s_delay_alu instid0(VALU_DEP_3)
	v_add_co_ci_u32_e32 v6, vcc_lo, s7, v6, vcc_lo
	global_store_b16 v[5:6], v7, off
.LBB112_52:                             ;   in Loop: Header=BB112_12 Depth=1
	s_or_b32 exec_lo, exec_lo, s5
	v_add_nc_u32_e32 v69, s29, v69
	s_delay_alu instid0(VALU_DEP_1) | instskip(SKIP_1) | instid1(VALU_DEP_2)
	v_add_nc_u32_e32 v5, 4, v69
	v_cmp_gt_u32_e32 vcc_lo, s19, v69
	v_cmp_le_u32_e64 s1, s19, v5
	s_delay_alu instid0(VALU_DEP_1) | instskip(NEXT) | instid1(SALU_CYCLE_1)
	s_and_b32 s1, vcc_lo, s1
	s_and_saveexec_b32 s41, s1
	s_cbranch_execz .LBB112_10
; %bb.53:                               ;   in Loop: Header=BB112_12 Depth=1
	s_mov_b32 s42, exec_lo
	v_cmpx_ne_u32_e64 s31, v69
	s_cbranch_execz .LBB112_9
; %bb.54:                               ;   in Loop: Header=BB112_12 Depth=1
	v_subrev_nc_u32_e32 v5, s31, v69
	s_mov_b32 s43, 0
	s_mov_b64 s[4:5], 0
	s_delay_alu instid0(VALU_DEP_1)
	v_cmp_lt_u32_e32 vcc_lo, 1, v5
	v_cndmask_b32_e32 v5, 1, v5, vcc_lo
	.p2align	6
.LBB112_55:                             ;   Parent Loop BB112_12 Depth=1
                                        ; =>  This Inner Loop Header: Depth=2
	s_cmp_lg_u32 s4, 3
	s_cselect_b32 vcc_lo, -1, 0
	s_cmp_lg_u32 s4, 2
	v_cndmask_b32_e32 v4, 0, v4, vcc_lo
	s_cselect_b32 s1, -1, 0
	s_cmp_lg_u32 s4, 1
	v_cndmask_b32_e64 v3, 0, v3, s1
	s_cselect_b32 s2, -1, 0
	s_cmp_lg_u32 s4, 0
	v_cndmask_b32_e64 v2, 0, v2, s2
	s_cselect_b32 s3, -1, 0
	s_add_u32 s4, s4, 1
	v_cndmask_b32_e64 v1, 0, v1, s3
	v_cmp_eq_u32_e32 vcc_lo, s4, v5
	s_addc_u32 s5, s5, 0
	s_or_b32 s43, vcc_lo, s43
	s_delay_alu instid0(SALU_CYCLE_1)
	s_and_not1_b32 exec_lo, exec_lo, s43
	s_cbranch_execnz .LBB112_55
; %bb.56:                               ;   in Loop: Header=BB112_12 Depth=1
	s_or_b32 exec_lo, exec_lo, s43
	s_branch .LBB112_9
.LBB112_57:                             ;   in Loop: Header=BB112_12 Depth=1
	s_waitcnt lgkmcnt(11)
	v_dual_add_f32 v37, v37, v38 :: v_dual_mov_b32 v70, v71
	s_waitcnt vmcnt(15)
	v_cvt_f32_f16_e32 v38, v54
	s_delay_alu instid0(VALU_DEP_1) | instskip(NEXT) | instid1(VALU_DEP_3)
	v_add_f32_e32 v54, v37, v38
	v_lshlrev_b64 v[37:38], 1, v[69:70]
	s_delay_alu instid0(VALU_DEP_2) | instskip(NEXT) | instid1(VALU_DEP_2)
	v_cvt_f16_f32_e32 v54, v54
	v_add_co_u32 v37, s1, s6, v37
	s_delay_alu instid0(VALU_DEP_1) | instskip(SKIP_3) | instid1(VALU_DEP_1)
	v_add_co_ci_u32_e64 v38, s1, s7, v38, s1
	global_store_b16 v[37:38], v54, off
	s_or_b32 exec_lo, exec_lo, s2
	v_cmp_ne_u32_e64 s1, 0, v2
	s_and_saveexec_b32 s3, s1
	s_cbranch_execz .LBB112_37
.LBB112_58:                             ;   in Loop: Header=BB112_12 Depth=1
	v_mov_b32_e32 v70, v71
	s_waitcnt lgkmcnt(14)
	v_add_f32_e32 v32, v32, v35
	s_waitcnt vmcnt(14)
	v_cvt_f32_f16_e32 v35, v53
	s_waitcnt lgkmcnt(11)
	v_lshlrev_b64 v[37:38], 1, v[69:70]
	s_delay_alu instid0(VALU_DEP_2) | instskip(NEXT) | instid1(VALU_DEP_2)
	v_add_f32_e32 v32, v32, v35
	v_add_co_u32 v37, s2, s35, v37
	s_delay_alu instid0(VALU_DEP_2) | instskip(NEXT) | instid1(VALU_DEP_4)
	v_cvt_f16_f32_e32 v32, v32
	v_add_co_ci_u32_e64 v38, s2, s36, v38, s2
	global_store_b16 v[37:38], v32, off
	s_or_b32 exec_lo, exec_lo, s3
	v_cmp_ne_u32_e64 s2, 0, v3
	s_delay_alu instid0(VALU_DEP_1)
	s_and_saveexec_b32 s4, s2
	s_cbranch_execz .LBB112_38
.LBB112_59:                             ;   in Loop: Header=BB112_12 Depth=1
	s_waitcnt lgkmcnt(10)
	v_add_f32_e32 v29, v7, v29
	v_mov_b32_e32 v7, v71
	s_waitcnt vmcnt(13)
	v_cvt_f32_f16_e32 v32, v52
	s_delay_alu instid0(VALU_DEP_2) | instskip(NEXT) | instid1(VALU_DEP_2)
	v_lshlrev_b64 v[6:7], 1, v[6:7]
	v_add_f32_e32 v29, v29, v32
	s_delay_alu instid0(VALU_DEP_1) | instskip(NEXT) | instid1(VALU_DEP_3)
	v_cvt_f16_f32_e32 v29, v29
	v_add_co_u32 v6, s3, s6, v6
	s_delay_alu instid0(VALU_DEP_1) | instskip(SKIP_3) | instid1(VALU_DEP_1)
	v_add_co_ci_u32_e64 v7, s3, s7, v7, s3
	global_store_b16 v[6:7], v29, off
	s_or_b32 exec_lo, exec_lo, s4
	v_cmp_ne_u32_e64 s3, 0, v4
	s_and_saveexec_b32 s41, s3
	s_cbranch_execz .LBB112_39
.LBB112_60:                             ;   in Loop: Header=BB112_12 Depth=1
	s_waitcnt lgkmcnt(12)
	v_dual_add_f32 v7, v21, v24 :: v_dual_mov_b32 v6, v71
	s_waitcnt vmcnt(12)
	v_cvt_f32_f16_e32 v21, v51
	s_delay_alu instid0(VALU_DEP_2) | instskip(NEXT) | instid1(VALU_DEP_2)
	v_lshlrev_b64 v[5:6], 1, v[5:6]
	v_add_f32_e32 v7, v7, v21
	s_delay_alu instid0(VALU_DEP_1) | instskip(NEXT) | instid1(VALU_DEP_3)
	v_cvt_f16_f32_e32 v7, v7
	v_add_co_u32 v5, s4, s6, v5
	s_delay_alu instid0(VALU_DEP_1)
	v_add_co_ci_u32_e64 v6, s4, s7, v6, s4
	global_store_b16 v[5:6], v7, off
	s_or_b32 exec_lo, exec_lo, s41
	v_add_nc_u32_e32 v70, s19, v69
	s_and_saveexec_b32 s41, vcc_lo
	s_cbranch_execz .LBB112_40
.LBB112_61:                             ;   in Loop: Header=BB112_12 Depth=1
	s_waitcnt lgkmcnt(15)
	v_add_f32_e32 v5, v14, v17
	s_waitcnt vmcnt(11)
	v_cvt_f32_f16_e32 v6, v50
	s_delay_alu instid0(VALU_DEP_1) | instskip(SKIP_1) | instid1(VALU_DEP_2)
	v_add_f32_e32 v7, v5, v6
	v_lshlrev_b64 v[5:6], 1, v[70:71]
	v_cvt_f16_f32_e32 v7, v7
	s_delay_alu instid0(VALU_DEP_2) | instskip(NEXT) | instid1(VALU_DEP_1)
	v_add_co_u32 v5, s4, s6, v5
	v_add_co_ci_u32_e64 v6, s4, s7, v6, s4
	global_store_b16 v[5:6], v7, off
	s_or_b32 exec_lo, exec_lo, s41
	s_and_saveexec_b32 s41, s1
	s_cbranch_execz .LBB112_41
.LBB112_62:                             ;   in Loop: Header=BB112_12 Depth=1
	s_waitcnt lgkmcnt(13)
	v_dual_add_f32 v7, v10, v13 :: v_dual_mov_b32 v6, v71
	v_add_nc_u32_e32 v5, 1, v70
	s_waitcnt vmcnt(10)
	v_cvt_f32_f16_e32 v10, v48
	s_delay_alu instid0(VALU_DEP_2) | instskip(NEXT) | instid1(VALU_DEP_2)
	v_lshlrev_b64 v[5:6], 1, v[5:6]
	v_add_f32_e32 v7, v7, v10
	s_delay_alu instid0(VALU_DEP_1) | instskip(NEXT) | instid1(VALU_DEP_3)
	v_cvt_f16_f32_e32 v7, v7
	v_add_co_u32 v5, s4, s6, v5
	s_delay_alu instid0(VALU_DEP_1)
	v_add_co_ci_u32_e64 v6, s4, s7, v6, s4
	global_store_b16 v[5:6], v7, off
	s_or_b32 exec_lo, exec_lo, s41
	s_and_saveexec_b32 s41, s2
	s_cbranch_execz .LBB112_42
.LBB112_63:                             ;   in Loop: Header=BB112_12 Depth=1
	s_waitcnt lgkmcnt(6)
	v_dual_add_f32 v7, v33, v36 :: v_dual_mov_b32 v6, v71
	v_add_nc_u32_e32 v5, 2, v70
	s_waitcnt vmcnt(9)
	v_cvt_f32_f16_e32 v10, v46
	s_delay_alu instid0(VALU_DEP_2) | instskip(NEXT) | instid1(VALU_DEP_2)
	v_lshlrev_b64 v[5:6], 1, v[5:6]
	v_add_f32_e32 v7, v7, v10
	s_delay_alu instid0(VALU_DEP_1) | instskip(NEXT) | instid1(VALU_DEP_3)
	v_cvt_f16_f32_e32 v7, v7
	v_add_co_u32 v5, s4, s6, v5
	s_delay_alu instid0(VALU_DEP_1)
	v_add_co_ci_u32_e64 v6, s4, s7, v6, s4
	global_store_b16 v[5:6], v7, off
	s_or_b32 exec_lo, exec_lo, s41
	s_and_saveexec_b32 s41, s3
	s_cbranch_execz .LBB112_43
.LBB112_64:                             ;   in Loop: Header=BB112_12 Depth=1
	v_dual_mov_b32 v6, v71 :: v_dual_add_nc_u32 v5, 3, v70
	s_waitcnt lgkmcnt(8)
	v_add_f32_e32 v7, v27, v30
	s_waitcnt vmcnt(8)
	v_cvt_f32_f16_e32 v10, v44
	v_lshlrev_b64 v[5:6], 1, v[5:6]
	s_delay_alu instid0(VALU_DEP_2) | instskip(NEXT) | instid1(VALU_DEP_2)
	v_add_f32_e32 v7, v7, v10
	v_add_co_u32 v5, s4, s6, v5
	s_delay_alu instid0(VALU_DEP_2) | instskip(NEXT) | instid1(VALU_DEP_4)
	v_cvt_f16_f32_e32 v7, v7
	v_add_co_ci_u32_e64 v6, s4, s7, v6, s4
	global_store_b16 v[5:6], v7, off
	s_or_b32 exec_lo, exec_lo, s41
	v_add_nc_u32_e32 v70, s19, v70
	s_and_saveexec_b32 s41, vcc_lo
	s_cbranch_execz .LBB112_44
.LBB112_65:                             ;   in Loop: Header=BB112_12 Depth=1
	s_waitcnt lgkmcnt(9)
	v_add_f32_e32 v5, v20, v23
	s_waitcnt vmcnt(7)
	v_cvt_f32_f16_e32 v6, v49
	s_delay_alu instid0(VALU_DEP_1) | instskip(SKIP_1) | instid1(VALU_DEP_2)
	v_add_f32_e32 v7, v5, v6
	v_lshlrev_b64 v[5:6], 1, v[70:71]
	v_cvt_f16_f32_e32 v7, v7
	s_delay_alu instid0(VALU_DEP_2) | instskip(NEXT) | instid1(VALU_DEP_1)
	v_add_co_u32 v5, s4, s6, v5
	v_add_co_ci_u32_e64 v6, s4, s7, v6, s4
	global_store_b16 v[5:6], v7, off
	s_or_b32 exec_lo, exec_lo, s41
	s_and_saveexec_b32 s41, s1
	s_cbranch_execz .LBB112_45
.LBB112_66:                             ;   in Loop: Header=BB112_12 Depth=1
	s_waitcnt lgkmcnt(7)
	v_dual_add_f32 v7, v16, v19 :: v_dual_mov_b32 v6, v71
	v_add_nc_u32_e32 v5, 1, v70
	s_waitcnt vmcnt(6)
	v_cvt_f32_f16_e32 v10, v47
	s_delay_alu instid0(VALU_DEP_2) | instskip(NEXT) | instid1(VALU_DEP_2)
	v_lshlrev_b64 v[5:6], 1, v[5:6]
	v_add_f32_e32 v7, v7, v10
	s_delay_alu instid0(VALU_DEP_1) | instskip(NEXT) | instid1(VALU_DEP_3)
	v_cvt_f16_f32_e32 v7, v7
	v_add_co_u32 v5, s4, s6, v5
	s_delay_alu instid0(VALU_DEP_1)
	v_add_co_ci_u32_e64 v6, s4, s7, v6, s4
	global_store_b16 v[5:6], v7, off
	s_or_b32 exec_lo, exec_lo, s41
	s_and_saveexec_b32 s41, s2
	s_cbranch_execz .LBB112_46
.LBB112_67:                             ;   in Loop: Header=BB112_12 Depth=1
	s_waitcnt lgkmcnt(5)
	v_dual_add_f32 v7, v9, v12 :: v_dual_mov_b32 v6, v71
	v_add_nc_u32_e32 v5, 2, v70
	s_waitcnt vmcnt(5)
	v_cvt_f32_f16_e32 v9, v45
	s_delay_alu instid0(VALU_DEP_2) | instskip(NEXT) | instid1(VALU_DEP_2)
	v_lshlrev_b64 v[5:6], 1, v[5:6]
	v_add_f32_e32 v7, v7, v9
	s_delay_alu instid0(VALU_DEP_1) | instskip(NEXT) | instid1(VALU_DEP_3)
	v_cvt_f16_f32_e32 v7, v7
	v_add_co_u32 v5, s4, s6, v5
	s_delay_alu instid0(VALU_DEP_1)
	v_add_co_ci_u32_e64 v6, s4, s7, v6, s4
	global_store_b16 v[5:6], v7, off
	s_or_b32 exec_lo, exec_lo, s41
	s_and_saveexec_b32 s41, s3
	s_cbranch_execz .LBB112_47
.LBB112_68:                             ;   in Loop: Header=BB112_12 Depth=1
	v_dual_mov_b32 v6, v71 :: v_dual_add_nc_u32 v5, 3, v70
	s_waitcnt lgkmcnt(4)
	v_add_f32_e32 v7, v31, v34
	s_waitcnt vmcnt(4)
	v_cvt_f32_f16_e32 v9, v43
	v_lshlrev_b64 v[5:6], 1, v[5:6]
	s_delay_alu instid0(VALU_DEP_2) | instskip(NEXT) | instid1(VALU_DEP_2)
	v_add_f32_e32 v7, v7, v9
	v_add_co_u32 v5, s4, s6, v5
	s_delay_alu instid0(VALU_DEP_2) | instskip(NEXT) | instid1(VALU_DEP_4)
	v_cvt_f16_f32_e32 v7, v7
	v_add_co_ci_u32_e64 v6, s4, s7, v6, s4
	global_store_b16 v[5:6], v7, off
	s_or_b32 exec_lo, exec_lo, s41
	v_add_nc_u32_e32 v70, s19, v70
	s_and_saveexec_b32 s4, vcc_lo
	s_cbranch_execz .LBB112_48
.LBB112_69:                             ;   in Loop: Header=BB112_12 Depth=1
	s_waitcnt lgkmcnt(1)
	v_add_f32_e32 v5, v26, v28
	s_waitcnt vmcnt(3)
	v_cvt_f32_f16_e32 v6, v42
	s_delay_alu instid0(VALU_DEP_1) | instskip(SKIP_1) | instid1(VALU_DEP_2)
	v_add_f32_e32 v7, v5, v6
	v_lshlrev_b64 v[5:6], 1, v[70:71]
	v_cvt_f16_f32_e32 v7, v7
	s_delay_alu instid0(VALU_DEP_2) | instskip(NEXT) | instid1(VALU_DEP_3)
	v_add_co_u32 v5, vcc_lo, s6, v5
	v_add_co_ci_u32_e32 v6, vcc_lo, s7, v6, vcc_lo
	global_store_b16 v[5:6], v7, off
	s_or_b32 exec_lo, exec_lo, s4
	s_and_saveexec_b32 s4, s1
	s_cbranch_execz .LBB112_49
.LBB112_70:                             ;   in Loop: Header=BB112_12 Depth=1
	s_waitcnt lgkmcnt(3)
	v_dual_add_f32 v7, v22, v25 :: v_dual_mov_b32 v6, v71
	v_add_nc_u32_e32 v5, 1, v70
	s_waitcnt vmcnt(2)
	v_cvt_f32_f16_e32 v9, v41
	s_delay_alu instid0(VALU_DEP_2) | instskip(NEXT) | instid1(VALU_DEP_2)
	v_lshlrev_b64 v[5:6], 1, v[5:6]
	v_add_f32_e32 v7, v7, v9
	s_delay_alu instid0(VALU_DEP_1) | instskip(NEXT) | instid1(VALU_DEP_3)
	v_cvt_f16_f32_e32 v7, v7
	v_add_co_u32 v5, vcc_lo, s6, v5
	s_delay_alu instid0(VALU_DEP_4)
	v_add_co_ci_u32_e32 v6, vcc_lo, s7, v6, vcc_lo
	global_store_b16 v[5:6], v7, off
	s_or_b32 exec_lo, exec_lo, s4
	s_and_saveexec_b32 s1, s2
	s_cbranch_execz .LBB112_50
.LBB112_71:                             ;   in Loop: Header=BB112_12 Depth=1
	v_dual_mov_b32 v6, v71 :: v_dual_add_nc_u32 v5, 2, v70
	s_waitcnt lgkmcnt(0)
	v_add_f32_e32 v7, v15, v18
	s_waitcnt vmcnt(1)
	v_cvt_f32_f16_e32 v9, v40
	v_lshlrev_b64 v[5:6], 1, v[5:6]
	s_delay_alu instid0(VALU_DEP_2) | instskip(NEXT) | instid1(VALU_DEP_2)
	v_add_f32_e32 v7, v7, v9
	v_add_co_u32 v5, vcc_lo, s6, v5
	s_delay_alu instid0(VALU_DEP_2) | instskip(NEXT) | instid1(VALU_DEP_4)
	v_cvt_f16_f32_e32 v7, v7
	v_add_co_ci_u32_e32 v6, vcc_lo, s7, v6, vcc_lo
	global_store_b16 v[5:6], v7, off
	s_or_b32 exec_lo, exec_lo, s1
	s_delay_alu instid0(SALU_CYCLE_1)
	s_and_b32 exec_lo, exec_lo, s3
	s_cbranch_execnz .LBB112_51
	s_branch .LBB112_52
.LBB112_72:
	s_nop 0
	s_sendmsg sendmsg(MSG_DEALLOC_VGPRS)
	s_endpgm
	.section	.rodata,"a",@progbits
	.p2align	6, 0x0
	.amdhsa_kernel _Z16wvSplitK_hf_big_I6__halfLi32ELi4ELi16ELi8ELi2ELi4EEviiiiiiPKT_S3_S3_PS1_ii
		.amdhsa_group_segment_fixed_size 65536
		.amdhsa_private_segment_fixed_size 0
		.amdhsa_kernarg_size 64
		.amdhsa_user_sgpr_count 15
		.amdhsa_user_sgpr_dispatch_ptr 0
		.amdhsa_user_sgpr_queue_ptr 0
		.amdhsa_user_sgpr_kernarg_segment_ptr 1
		.amdhsa_user_sgpr_dispatch_id 0
		.amdhsa_user_sgpr_private_segment_size 0
		.amdhsa_wavefront_size32 1
		.amdhsa_uses_dynamic_stack 0
		.amdhsa_enable_private_segment 0
		.amdhsa_system_sgpr_workgroup_id_x 1
		.amdhsa_system_sgpr_workgroup_id_y 0
		.amdhsa_system_sgpr_workgroup_id_z 0
		.amdhsa_system_sgpr_workgroup_info 0
		.amdhsa_system_vgpr_workitem_id 1
		.amdhsa_next_free_vgpr 107
		.amdhsa_next_free_sgpr 44
		.amdhsa_reserve_vcc 1
		.amdhsa_float_round_mode_32 0
		.amdhsa_float_round_mode_16_64 0
		.amdhsa_float_denorm_mode_32 3
		.amdhsa_float_denorm_mode_16_64 3
		.amdhsa_dx10_clamp 1
		.amdhsa_ieee_mode 1
		.amdhsa_fp16_overflow 0
		.amdhsa_workgroup_processor_mode 1
		.amdhsa_memory_ordered 1
		.amdhsa_forward_progress 0
		.amdhsa_shared_vgpr_count 0
		.amdhsa_exception_fp_ieee_invalid_op 0
		.amdhsa_exception_fp_denorm_src 0
		.amdhsa_exception_fp_ieee_div_zero 0
		.amdhsa_exception_fp_ieee_overflow 0
		.amdhsa_exception_fp_ieee_underflow 0
		.amdhsa_exception_fp_ieee_inexact 0
		.amdhsa_exception_int_div_zero 0
	.end_amdhsa_kernel
	.section	.text._Z16wvSplitK_hf_big_I6__halfLi32ELi4ELi16ELi8ELi2ELi4EEviiiiiiPKT_S3_S3_PS1_ii,"axG",@progbits,_Z16wvSplitK_hf_big_I6__halfLi32ELi4ELi16ELi8ELi2ELi4EEviiiiiiPKT_S3_S3_PS1_ii,comdat
.Lfunc_end112:
	.size	_Z16wvSplitK_hf_big_I6__halfLi32ELi4ELi16ELi8ELi2ELi4EEviiiiiiPKT_S3_S3_PS1_ii, .Lfunc_end112-_Z16wvSplitK_hf_big_I6__halfLi32ELi4ELi16ELi8ELi2ELi4EEviiiiiiPKT_S3_S3_PS1_ii
                                        ; -- End function
	.section	.AMDGPU.csdata,"",@progbits
; Kernel info:
; codeLenInByte = 8912
; NumSgprs: 46
; NumVgprs: 107
; ScratchSize: 0
; MemoryBound: 0
; FloatMode: 240
; IeeeMode: 1
; LDSByteSize: 65536 bytes/workgroup (compile time only)
; SGPRBlocks: 5
; VGPRBlocks: 13
; NumSGPRsForWavesPerEU: 46
; NumVGPRsForWavesPerEU: 107
; Occupancy: 8
; WaveLimiterHint : 0
; COMPUTE_PGM_RSRC2:SCRATCH_EN: 0
; COMPUTE_PGM_RSRC2:USER_SGPR: 15
; COMPUTE_PGM_RSRC2:TRAP_HANDLER: 0
; COMPUTE_PGM_RSRC2:TGID_X_EN: 1
; COMPUTE_PGM_RSRC2:TGID_Y_EN: 0
; COMPUTE_PGM_RSRC2:TGID_Z_EN: 0
; COMPUTE_PGM_RSRC2:TIDIG_COMP_CNT: 1
	.section	.text._Z16wvSplitK_hf_sml_I6__halfLi64ELi1ELi16ELi8ELi4ELi4EEviiiiiiPKT_S3_S3_PS1_ii,"axG",@progbits,_Z16wvSplitK_hf_sml_I6__halfLi64ELi1ELi16ELi8ELi4ELi4EEviiiiiiPKT_S3_S3_PS1_ii,comdat
	.protected	_Z16wvSplitK_hf_sml_I6__halfLi64ELi1ELi16ELi8ELi4ELi4EEviiiiiiPKT_S3_S3_PS1_ii ; -- Begin function _Z16wvSplitK_hf_sml_I6__halfLi64ELi1ELi16ELi8ELi4ELi4EEviiiiiiPKT_S3_S3_PS1_ii
	.globl	_Z16wvSplitK_hf_sml_I6__halfLi64ELi1ELi16ELi8ELi4ELi4EEviiiiiiPKT_S3_S3_PS1_ii
	.p2align	8
	.type	_Z16wvSplitK_hf_sml_I6__halfLi64ELi1ELi16ELi8ELi4ELi4EEviiiiiiPKT_S3_S3_PS1_ii,@function
_Z16wvSplitK_hf_sml_I6__halfLi64ELi1ELi16ELi8ELi4ELi4EEviiiiiiPKT_S3_S3_PS1_ii: ; @_Z16wvSplitK_hf_sml_I6__halfLi64ELi1ELi16ELi8ELi4ELi4EEviiiiiiPKT_S3_S3_PS1_ii
; %bb.0:
	s_clause 0x2
	s_load_b128 s[4:7], s[0:1], 0x0
	s_load_b64 s[8:9], s[0:1], 0x10
	s_load_b64 s[10:11], s[0:1], 0x28
	v_and_b32_e32 v3, 0x3ff, v0
	v_bfe_u32 v0, v0, 10, 10
	s_mov_b32 s12, exec_lo
	s_delay_alu instid0(VALU_DEP_2) | instskip(NEXT) | instid1(VALU_DEP_1)
	v_lshlrev_b32_e32 v82, 3, v3
	v_lshl_add_u32 v4, v0, 9, v82
	s_waitcnt lgkmcnt(0)
	s_lshl_b32 s14, s6, 2
	s_delay_alu instid0(SALU_CYCLE_1)
	s_min_u32 s3, s14, 0x8000
	s_delay_alu instid0(VALU_DEP_1) | instid1(SALU_CYCLE_1)
	v_cmpx_gt_u32_e64 s3, v4
	s_cbranch_execz .LBB113_3
; %bb.1:
	s_load_b64 s[16:17], s[0:1], 0x20
	v_lshlrev_b32_e32 v5, 10, v0
	v_lshlrev_b32_e32 v6, 4, v3
	s_mov_b32 s13, 0
	s_delay_alu instid0(VALU_DEP_1) | instskip(NEXT) | instid1(VALU_DEP_1)
	v_add_co_u32 v1, s2, v5, v6
	v_add_co_ci_u32_e64 v2, null, 0, 0, s2
	v_add_nc_u32_e32 v5, v5, v6
	s_waitcnt lgkmcnt(0)
	s_delay_alu instid0(VALU_DEP_3) | instskip(NEXT) | instid1(VALU_DEP_3)
	v_add_co_u32 v1, vcc_lo, s16, v1
	v_add_co_ci_u32_e32 v2, vcc_lo, s17, v2, vcc_lo
	.p2align	6
.LBB113_2:                              ; =>This Inner Loop Header: Depth=1
	global_load_b128 v[6:9], v[1:2], off
	v_add_nc_u32_e32 v4, 0x2000, v4
	v_add_co_u32 v1, vcc_lo, 0x4000, v1
	v_add_co_ci_u32_e32 v2, vcc_lo, 0, v2, vcc_lo
	s_delay_alu instid0(VALU_DEP_3) | instskip(NEXT) | instid1(VALU_DEP_1)
	v_cmp_le_u32_e64 s2, s3, v4
	s_or_b32 s13, s2, s13
	s_waitcnt vmcnt(0)
	ds_store_b128 v5, v[6:9]
	v_add_nc_u32_e32 v5, 0x4000, v5
	s_and_not1_b32 exec_lo, exec_lo, s13
	s_cbranch_execnz .LBB113_2
.LBB113_3:
	s_or_b32 exec_lo, exec_lo, s12
	s_load_b64 s[16:17], s[0:1], 0x38
	s_waitcnt lgkmcnt(0)
	s_barrier
	buffer_gl0_inv
	s_mov_b32 s2, exec_lo
	v_cmpx_gt_u32_e64 s16, v0
	s_cbranch_execz .LBB113_24
; %bb.4:
	v_mad_u64_u32 v[64:65], null, s15, s16, v[0:1]
	s_delay_alu instid0(VALU_DEP_1)
	v_cmp_gt_u32_e32 vcc_lo, s7, v64
	s_and_b32 exec_lo, exec_lo, vcc_lo
	s_cbranch_execz .LBB113_24
; %bb.5:
	s_cmp_lg_u32 s4, 0
	v_cvt_f32_u32_e32 v1, s8
	s_cselect_b32 s15, -1, 0
	s_add_i32 s18, s4, -8
	s_add_i32 s19, s7, -1
	s_cmp_lg_u64 s[10:11], 0
	v_rcp_iflag_f32_e32 v1, v1
	s_cselect_b32 s20, -1, 0
	s_abs_i32 s21, s9
	s_sub_i32 s23, 0, s8
	v_cvt_f32_u32_e32 v0, s21
	s_sub_i32 s22, 0, s21
	s_sub_i32 s24, 1, s21
	s_clause 0x1
	s_load_b64 s[2:3], s[0:1], 0x18
	s_load_b64 s[12:13], s[0:1], 0x30
	v_cmp_eq_u32_e64 s0, 63, v3
	v_rcp_iflag_f32_e32 v0, v0
	v_mbcnt_lo_u32_b32 v84, -1, 0
	s_mov_b32 s1, 0
	v_mov_b32_e32 v67, 0
	s_waitcnt_depctr 0xfff
	v_dual_mul_f32 v0, 0x4f7ffffe, v0 :: v_dual_lshlrev_b32 v83, 4, v3
	s_delay_alu instid0(VALU_DEP_1) | instskip(NEXT) | instid1(VALU_DEP_1)
	v_cvt_u32_f32_e32 v0, v0
	v_readfirstlane_b32 s9, v0
	v_mul_f32_e32 v0, 0x4f7ffffe, v1
	s_delay_alu instid0(VALU_DEP_2) | instskip(NEXT) | instid1(VALU_DEP_1)
	s_mul_i32 s22, s22, s9
	v_cvt_u32_f32_e32 v0, v0
	s_mul_hi_u32 s22, s9, s22
	s_delay_alu instid0(SALU_CYCLE_1)
	s_add_i32 s22, s9, s22
	s_cmp_lt_u32 s21, 2
	s_mul_i32 s9, s17, s16
	s_cselect_b32 s24, s24, 1
	v_mul_lo_u32 v1, s23, v0
	s_sub_i32 s16, s24, s21
	s_cmp_ge_u32 s24, s21
	s_cselect_b32 s17, s16, s24
	s_lshr_b32 s16, s22, 31
	s_mul_hi_u32 s22, s22, 3
	s_mul_i32 s23, s16, s21
	s_mul_i32 s22, s22, s21
	s_sub_i32 s23, 2, s23
	v_mul_hi_u32 v1, v0, v1
	s_sub_i32 s24, s23, s21
	s_cmp_ge_u32 s23, s21
	s_mul_i32 s16, s6, 6
	s_cselect_b32 s23, s24, s23
	s_mul_i32 s17, s17, s8
	s_sub_i32 s24, s23, s21
	s_cmp_ge_u32 s23, s21
	v_add_nc_u32_e32 v85, v0, v1
	s_cselect_b32 s23, s24, s23
	s_sub_i32 s22, 3, s22
	s_delay_alu instid0(SALU_CYCLE_1) | instskip(SKIP_2) | instid1(SALU_CYCLE_1)
	s_sub_i32 s24, s22, s21
	s_cmp_ge_u32 s22, s21
	s_cselect_b32 s22, s24, s22
	s_sub_i32 s24, s22, s21
	s_cmp_ge_u32 s22, s21
	s_mul_i32 s21, s23, s8
	s_cselect_b32 s22, s24, s22
	s_lshl_b32 s6, s6, 1
	s_mul_i32 s22, s22, s8
	s_branch .LBB113_8
.LBB113_6:                              ;   in Loop: Header=BB113_8 Depth=1
	s_waitcnt lgkmcnt(0)
	v_add_f32_e32 v2, v2, v4
	v_add_f32_e32 v4, v3, v5
	;; [unrolled: 1-line block ×3, first 2 shown]
	s_waitcnt vmcnt(3)
	v_cvt_f32_f16_e32 v7, v11
	s_waitcnt vmcnt(2)
	v_cvt_f32_f16_e32 v3, v10
	v_add_nc_u32_e32 v66, s7, v64
	s_waitcnt vmcnt(0)
	v_cvt_f32_f16_e32 v8, v8
	v_add_f32_e32 v5, v6, v7
	v_add_f32_e32 v7, v2, v3
	v_lshlrev_b64 v[2:3], 1, v[66:67]
	v_add_nc_u32_e32 v66, s7, v66
	v_add_f32_e32 v6, v0, v1
	v_cvt_f16_f32_e32 v10, v5
	v_cvt_f32_f16_e32 v5, v9
	v_lshlrev_b64 v[0:1], 1, v[64:65]
	v_cvt_f16_f32_e32 v9, v7
	s_delay_alu instid0(VALU_DEP_3)
	v_dual_add_f32 v8, v6, v8 :: v_dual_add_f32 v7, v4, v5
	v_lshlrev_b64 v[4:5], 1, v[66:67]
	v_add_nc_u32_e32 v66, s7, v66
	v_add_co_u32 v0, vcc_lo, s12, v0
	v_add_co_ci_u32_e32 v1, vcc_lo, s13, v1, vcc_lo
	v_add_co_u32 v2, vcc_lo, s12, v2
	v_cvt_f16_f32_e32 v11, v7
	v_lshlrev_b64 v[6:7], 1, v[66:67]
	v_add_co_ci_u32_e32 v3, vcc_lo, s13, v3, vcc_lo
	v_add_co_u32 v4, vcc_lo, s12, v4
	v_add_co_ci_u32_e32 v5, vcc_lo, s13, v5, vcc_lo
	s_delay_alu instid0(VALU_DEP_4)
	v_add_co_u32 v6, vcc_lo, s12, v6
	v_cvt_f16_f32_e32 v8, v8
	v_add_co_ci_u32_e32 v7, vcc_lo, s13, v7, vcc_lo
	s_clause 0x3
	global_store_b16 v[0:1], v10, off
	global_store_b16 v[2:3], v9, off
	;; [unrolled: 1-line block ×4, first 2 shown]
.LBB113_7:                              ;   in Loop: Header=BB113_8 Depth=1
	s_or_b32 exec_lo, exec_lo, s23
	v_add_nc_u32_e32 v64, s9, v64
	s_delay_alu instid0(VALU_DEP_1) | instskip(SKIP_1) | instid1(SALU_CYCLE_1)
	v_cmp_le_u32_e32 vcc_lo, s7, v64
	s_or_b32 s1, vcc_lo, s1
	s_and_not1_b32 exec_lo, exec_lo, s1
	s_cbranch_execz .LBB113_24
.LBB113_8:                              ; =>This Loop Header: Depth=1
                                        ;     Child Loop BB113_14 Depth 2
	v_mov_b32_e32 v89, v67
	v_mov_b32_e32 v88, v67
	;; [unrolled: 1-line block ×4, first 2 shown]
	s_and_not1_b32 vcc_lo, exec_lo, s15
	s_cbranch_vccnz .LBB113_19
; %bb.9:                                ;   in Loop: Header=BB113_8 Depth=1
	v_min_u32_e32 v0, s19, v64
	v_dual_mov_b32 v86, 0 :: v_dual_mov_b32 v87, 0
	v_dual_mov_b32 v90, v83 :: v_dual_mov_b32 v89, 0
	s_delay_alu instid0(VALU_DEP_3) | instskip(SKIP_3) | instid1(VALU_DEP_2)
	v_mul_lo_u32 v66, v0, s5
	v_mov_b32_e32 v88, 0
	s_mov_b32 s23, 0
	s_waitcnt lgkmcnt(0)
	v_lshlrev_b64 v[0:1], 1, v[66:67]
	s_waitcnt lgkmcnt(0)
	s_delay_alu instid0(VALU_DEP_1) | instskip(NEXT) | instid1(VALU_DEP_2)
	v_add_co_u32 v91, vcc_lo, s2, v0
	v_add_co_ci_u32_e32 v92, vcc_lo, s3, v1, vcc_lo
	s_branch .LBB113_14
.LBB113_10:                             ;   in Loop: Header=BB113_14 Depth=2
	s_or_b32 exec_lo, exec_lo, s27
.LBB113_11:                             ;   in Loop: Header=BB113_14 Depth=2
	s_delay_alu instid0(SALU_CYCLE_1)
	s_or_b32 exec_lo, exec_lo, s26
.LBB113_12:                             ;   in Loop: Header=BB113_14 Depth=2
	s_delay_alu instid0(SALU_CYCLE_1)
	s_or_b32 exec_lo, exec_lo, s25
.LBB113_13:                             ;   in Loop: Header=BB113_14 Depth=2
	s_delay_alu instid0(SALU_CYCLE_1)
	s_or_b32 exec_lo, exec_lo, s24
	s_waitcnt vmcnt(3) lgkmcnt(4)
	;;#ASMSTART
	v_dot2_f32_f16 v89, v28, v16, v89
	;;#ASMEND
	s_waitcnt lgkmcnt(3)
	;;#ASMSTART
	v_dot2_f32_f16 v88, v32, v16, v88
	;;#ASMEND
	s_waitcnt lgkmcnt(2)
	;; [unrolled: 4-line block ×3, first 2 shown]
	;;#ASMSTART
	v_dot2_f32_f16 v86, v60, v16, v86
	;;#ASMEND
	;;#ASMSTART
	v_dot2_f32_f16 v89, v29, v17, v89
	;;#ASMEND
	;; [unrolled: 3-line block ×13, first 2 shown]
	s_waitcnt vmcnt(2)
	;;#ASMSTART
	v_dot2_f32_f16 v89, v52, v8, v89
	;;#ASMEND
	;;#ASMSTART
	v_dot2_f32_f16 v88, v48, v8, v88
	;;#ASMEND
	;; [unrolled: 3-line block ×16, first 2 shown]
	s_waitcnt vmcnt(1)
	;;#ASMSTART
	v_dot2_f32_f16 v89, v56, v4, v89
	;;#ASMEND
	;;#ASMSTART
	v_dot2_f32_f16 v88, v40, v4, v88
	;;#ASMEND
	;;#ASMSTART
	v_dot2_f32_f16 v87, v72, v4, v87
	;;#ASMEND
	;;#ASMSTART
	v_dot2_f32_f16 v86, v20, v4, v86
	;;#ASMEND
	;;#ASMSTART
	v_dot2_f32_f16 v89, v57, v5, v89
	;;#ASMEND
	;;#ASMSTART
	v_dot2_f32_f16 v88, v41, v5, v88
	;;#ASMEND
	;;#ASMSTART
	v_dot2_f32_f16 v87, v73, v5, v87
	;;#ASMEND
	;;#ASMSTART
	v_dot2_f32_f16 v86, v21, v5, v86
	;;#ASMEND
	;;#ASMSTART
	v_dot2_f32_f16 v89, v58, v6, v89
	;;#ASMEND
	;;#ASMSTART
	v_dot2_f32_f16 v88, v42, v6, v88
	;;#ASMEND
	;;#ASMSTART
	v_dot2_f32_f16 v87, v70, v6, v87
	;;#ASMEND
	;;#ASMSTART
	v_dot2_f32_f16 v86, v22, v6, v86
	;;#ASMEND
	v_add_nc_u32_e32 v90, 0x1000, v90
	;;#ASMSTART
	v_dot2_f32_f16 v89, v59, v7, v89
	;;#ASMEND
	;;#ASMSTART
	v_dot2_f32_f16 v88, v43, v7, v88
	;;#ASMEND
	;; [unrolled: 3-line block ×4, first 2 shown]
	s_addk_i32 s23, 0x800
	s_waitcnt vmcnt(0)
	;;#ASMSTART
	v_dot2_f32_f16 v89, v44, v0, v89
	;;#ASMEND
	;;#ASMSTART
	v_dot2_f32_f16 v88, v24, v0, v88
	;;#ASMEND
	;;#ASMSTART
	v_dot2_f32_f16 v87, v68, v0, v87
	;;#ASMEND
	;;#ASMSTART
	v_dot2_f32_f16 v86, v12, v0, v86
	;;#ASMEND
	;;#ASMSTART
	v_dot2_f32_f16 v89, v45, v1, v89
	;;#ASMEND
	;;#ASMSTART
	v_dot2_f32_f16 v88, v25, v1, v88
	;;#ASMEND
	;;#ASMSTART
	v_dot2_f32_f16 v87, v69, v1, v87
	;;#ASMEND
	;;#ASMSTART
	v_dot2_f32_f16 v86, v13, v1, v86
	;;#ASMEND
	s_cmp_ge_u32 s23, s4
	;;#ASMSTART
	v_dot2_f32_f16 v89, v46, v2, v89
	;;#ASMEND
	;;#ASMSTART
	v_dot2_f32_f16 v88, v26, v2, v88
	;;#ASMEND
	;;#ASMSTART
	v_dot2_f32_f16 v87, v65, v2, v87
	;;#ASMEND
	;;#ASMSTART
	v_dot2_f32_f16 v86, v14, v2, v86
	;;#ASMEND
	;;#ASMSTART
	v_dot2_f32_f16 v89, v47, v3, v89
	;;#ASMEND
	;;#ASMSTART
	v_dot2_f32_f16 v88, v27, v3, v88
	;;#ASMEND
	;;#ASMSTART
	v_dot2_f32_f16 v87, v66, v3, v87
	;;#ASMEND
	;;#ASMSTART
	v_dot2_f32_f16 v86, v15, v3, v86
	;;#ASMEND
	s_cbranch_scc1 .LBB113_19
.LBB113_14:                             ;   Parent Loop BB113_8 Depth=1
                                        ; =>  This Inner Loop Header: Depth=2
	v_dual_mov_b32 v29, 0 :: v_dual_add_nc_u32 v14, s23, v82
	v_dual_mov_b32 v30, 0 :: v_dual_mov_b32 v55, 0
	v_dual_mov_b32 v52, 0 :: v_dual_mov_b32 v57, 0
	s_delay_alu instid0(VALU_DEP_3) | instskip(SKIP_2) | instid1(VALU_DEP_3)
	v_min_u32_e32 v66, s18, v14
	v_dual_mov_b32 v31, 0 :: v_dual_add_nc_u32 v98, 0x200, v14
	v_dual_mov_b32 v53, 0 :: v_dual_add_nc_u32 v94, 0x400, v14
	v_lshlrev_b64 v[0:1], 1, v[66:67]
	s_delay_alu instid0(VALU_DEP_3) | instskip(SKIP_2) | instid1(VALU_DEP_3)
	v_min_u32_e32 v66, s18, v98
	v_dual_mov_b32 v28, 0 :: v_dual_add_nc_u32 v93, 0x600, v14
	v_dual_mov_b32 v54, 0 :: v_dual_mov_b32 v59, 0
	v_lshlrev_b64 v[2:3], 1, v[66:67]
	v_min_u32_e32 v66, s18, v94
	v_add_co_u32 v0, vcc_lo, v91, v0
	v_add_co_ci_u32_e32 v1, vcc_lo, v92, v1, vcc_lo
	s_delay_alu instid0(VALU_DEP_3) | instskip(SKIP_3) | instid1(VALU_DEP_3)
	v_lshlrev_b64 v[4:5], 1, v[66:67]
	v_min_u32_e32 v66, s18, v93
	v_add_co_u32 v2, vcc_lo, v91, v2
	v_add_co_ci_u32_e32 v3, vcc_lo, v92, v3, vcc_lo
	v_lshlrev_b64 v[6:7], 1, v[66:67]
	v_add_co_u32 v4, vcc_lo, v91, v4
	v_add_co_ci_u32_e32 v5, vcc_lo, v92, v5, vcc_lo
	v_dual_mov_b32 v56, 0 :: v_dual_mov_b32 v45, 0
	s_delay_alu instid0(VALU_DEP_4)
	v_add_co_u32 v12, vcc_lo, v91, v6
	v_add_co_ci_u32_e32 v13, vcc_lo, v92, v7, vcc_lo
	s_clause 0x3
	global_load_b128 v[16:19], v[0:1], off slc dlc
	global_load_b128 v[8:11], v[2:3], off slc dlc
	;; [unrolled: 1-line block ×4, first 2 shown]
	v_cmp_gt_u32_e32 vcc_lo, s4, v14
	v_dual_mov_b32 v58, 0 :: v_dual_mov_b32 v47, 0
	v_dual_mov_b32 v44, 0 :: v_dual_mov_b32 v33, 0
	;; [unrolled: 1-line block ×25, first 2 shown]
	v_mov_b32_e32 v12, 0
	v_mov_b32_e32 v14, 0
	s_and_saveexec_b32 s24, vcc_lo
	s_cbranch_execz .LBB113_13
; %bb.15:                               ;   in Loop: Header=BB113_14 Depth=2
	v_dual_mov_b32 v14, 0 :: v_dual_add_nc_u32 v95, s6, v90
	v_dual_mov_b32 v12, 0 :: v_dual_add_nc_u32 v97, s14, v90
	;; [unrolled: 1-line block ×3, first 2 shown]
	ds_load_b128 v[28:31], v90
	ds_load_b128 v[32:35], v95
	ds_load_2addr_b32 v[80:81], v97 offset1:1
	ds_load_2addr_b32 v[78:79], v97 offset0:2 offset1:3
	ds_load_b128 v[60:63], v96
	v_cmp_gt_u32_e32 vcc_lo, s4, v98
	v_dual_mov_b32 v13, 0 :: v_dual_mov_b32 v22, 0
	v_dual_mov_b32 v23, 0 :: v_dual_mov_b32 v20, 0
	;; [unrolled: 1-line block ×22, first 2 shown]
	v_mov_b32_e32 v53, 0
	s_and_saveexec_b32 s25, vcc_lo
	s_cbranch_execz .LBB113_12
; %bb.16:                               ;   in Loop: Header=BB113_14 Depth=2
	v_dual_mov_b32 v15, 0 :: v_dual_add_nc_u32 v12, 0x400, v97
	v_dual_mov_b32 v14, 0 :: v_dual_add_nc_u32 v13, 0x408, v97
	ds_load_b128 v[52:55], v90 offset:1024
	ds_load_2addr_b32 v[76:77], v12 offset1:1
	ds_load_2addr_b32 v[74:75], v13 offset1:1
	ds_load_b128 v[48:51], v95 offset:1024
	ds_load_b128 v[36:39], v96 offset:1024
	v_cmp_gt_u32_e32 vcc_lo, s4, v94
	v_dual_mov_b32 v13, 0 :: v_dual_mov_b32 v12, 0
	v_dual_mov_b32 v23, 0 :: v_dual_mov_b32 v22, 0
	;; [unrolled: 1-line block ×15, first 2 shown]
	s_and_saveexec_b32 s26, vcc_lo
	s_cbranch_execz .LBB113_11
; %bb.17:                               ;   in Loop: Header=BB113_14 Depth=2
	v_dual_mov_b32 v15, 0 :: v_dual_add_nc_u32 v12, 0x800, v97
	v_dual_mov_b32 v14, 0 :: v_dual_add_nc_u32 v13, 0x808, v97
	ds_load_b128 v[56:59], v90 offset:2048
	ds_load_2addr_b32 v[72:73], v12 offset1:1
	ds_load_2addr_b32 v[70:71], v13 offset1:1
	ds_load_b128 v[40:43], v95 offset:2048
	ds_load_b128 v[20:23], v96 offset:2048
	v_dual_mov_b32 v13, 0 :: v_dual_mov_b32 v12, 0
	v_dual_mov_b32 v66, 0 :: v_dual_mov_b32 v65, 0
	;; [unrolled: 1-line block ×7, first 2 shown]
	s_mov_b32 s27, exec_lo
	v_cmpx_gt_u32_e64 s4, v93
	s_cbranch_execz .LBB113_10
; %bb.18:                               ;   in Loop: Header=BB113_14 Depth=2
	v_add_nc_u32_e32 v12, 0xc00, v97
	v_add_nc_u32_e32 v13, 0xc08, v97
	ds_load_b128 v[44:47], v90 offset:3072
	ds_load_2addr_b32 v[68:69], v12 offset1:1
	ds_load_2addr_b32 v[65:66], v13 offset1:1
	ds_load_b128 v[24:27], v95 offset:3072
	ds_load_b128 v[12:15], v96 offset:3072
	s_branch .LBB113_10
.LBB113_19:                             ;   in Loop: Header=BB113_8 Depth=1
	; sched_barrier mask(0x00000000)
	v_cvt_i32_f32_e32 v0, v89
	s_waitcnt lgkmcnt(0)
	v_cvt_i32_f32_e32 v1, v88
	v_cvt_i32_f32_e32 v2, v87
	;; [unrolled: 1-line block ×3, first 2 shown]
	v_cvt_f32_i32_dpp v0, v0 row_shr:8 row_mask:0xf bank_mask:0xf bound_ctrl:1
	s_delay_alu instid0(VALU_DEP_4) | instskip(NEXT) | instid1(VALU_DEP_4)
	v_cvt_f32_i32_dpp v1, v1 row_shr:8 row_mask:0xf bank_mask:0xf bound_ctrl:1
	v_cvt_f32_i32_dpp v2, v2 row_shr:8 row_mask:0xf bank_mask:0xf bound_ctrl:1
	s_delay_alu instid0(VALU_DEP_4) | instskip(NEXT) | instid1(VALU_DEP_3)
	v_cvt_f32_i32_dpp v3, v3 row_shr:8 row_mask:0xf bank_mask:0xf bound_ctrl:1
	v_dual_add_f32 v0, v89, v0 :: v_dual_add_f32 v1, v88, v1
	s_delay_alu instid0(VALU_DEP_2) | instskip(NEXT) | instid1(VALU_DEP_2)
	v_dual_add_f32 v2, v87, v2 :: v_dual_add_f32 v3, v86, v3
	v_cvt_i32_f32_e32 v4, v0
	s_delay_alu instid0(VALU_DEP_3) | instskip(NEXT) | instid1(VALU_DEP_3)
	v_cvt_i32_f32_e32 v5, v1
	v_cvt_i32_f32_e32 v6, v2
	s_delay_alu instid0(VALU_DEP_4) | instskip(NEXT) | instid1(VALU_DEP_4)
	v_cvt_i32_f32_e32 v7, v3
	v_cvt_f32_i32_dpp v4, v4 row_shr:4 row_mask:0xf bank_mask:0xf bound_ctrl:1
	s_delay_alu instid0(VALU_DEP_4) | instskip(NEXT) | instid1(VALU_DEP_4)
	v_cvt_f32_i32_dpp v5, v5 row_shr:4 row_mask:0xf bank_mask:0xf bound_ctrl:1
	v_cvt_f32_i32_dpp v6, v6 row_shr:4 row_mask:0xf bank_mask:0xf bound_ctrl:1
	s_delay_alu instid0(VALU_DEP_4) | instskip(NEXT) | instid1(VALU_DEP_3)
	v_cvt_f32_i32_dpp v7, v7 row_shr:4 row_mask:0xf bank_mask:0xf bound_ctrl:1
	v_dual_add_f32 v0, v0, v4 :: v_dual_add_f32 v1, v1, v5
	s_delay_alu instid0(VALU_DEP_2) | instskip(NEXT) | instid1(VALU_DEP_2)
	v_dual_add_f32 v2, v2, v6 :: v_dual_add_f32 v3, v3, v7
	v_cvt_i32_f32_e32 v4, v0
	s_delay_alu instid0(VALU_DEP_3) | instskip(NEXT) | instid1(VALU_DEP_3)
	v_cvt_i32_f32_e32 v5, v1
	v_cvt_i32_f32_e32 v6, v2
	s_delay_alu instid0(VALU_DEP_4) | instskip(NEXT) | instid1(VALU_DEP_4)
	v_cvt_i32_f32_e32 v7, v3
	v_cvt_f32_i32_dpp v4, v4 row_shr:2 row_mask:0xf bank_mask:0xf bound_ctrl:1
	s_delay_alu instid0(VALU_DEP_4) | instskip(NEXT) | instid1(VALU_DEP_4)
	v_cvt_f32_i32_dpp v5, v5 row_shr:2 row_mask:0xf bank_mask:0xf bound_ctrl:1
	v_cvt_f32_i32_dpp v6, v6 row_shr:2 row_mask:0xf bank_mask:0xf bound_ctrl:1
	s_delay_alu instid0(VALU_DEP_4) | instskip(NEXT) | instid1(VALU_DEP_3)
	v_cvt_f32_i32_dpp v7, v7 row_shr:2 row_mask:0xf bank_mask:0xf bound_ctrl:1
	v_dual_add_f32 v0, v0, v4 :: v_dual_add_f32 v1, v1, v5
	s_delay_alu instid0(VALU_DEP_2) | instskip(SKIP_1) | instid1(VALU_DEP_3)
	v_dual_add_f32 v4, v2, v6 :: v_dual_add_f32 v5, v3, v7
	v_xor_b32_e32 v2, 16, v84
	v_cvt_i32_f32_e32 v3, v0
	s_delay_alu instid0(VALU_DEP_4) | instskip(NEXT) | instid1(VALU_DEP_4)
	v_cvt_i32_f32_e32 v6, v1
	v_cvt_i32_f32_e32 v7, v4
	;; [unrolled: 1-line block ×3, first 2 shown]
	v_cmp_gt_i32_e32 vcc_lo, 32, v2
	v_cvt_f32_i32_dpp v3, v3 row_shr:1 row_mask:0xf bank_mask:0xf bound_ctrl:1
	v_cvt_f32_i32_dpp v9, v6 row_shr:1 row_mask:0xf bank_mask:0xf bound_ctrl:1
	;; [unrolled: 1-line block ×4, first 2 shown]
	v_cndmask_b32_e32 v2, v84, v2, vcc_lo
	v_add_f32_e32 v6, v0, v3
	s_delay_alu instid0(VALU_DEP_3) | instskip(NEXT) | instid1(VALU_DEP_3)
	v_dual_add_f32 v3, v4, v7 :: v_dual_add_f32 v0, v5, v8
	v_lshlrev_b32_e32 v10, 2, v2
	v_add_f32_e32 v2, v1, v9
	ds_bpermute_b32 v7, v10, v6
	ds_bpermute_b32 v4, v10, v2
	ds_bpermute_b32 v5, v10, v3
	ds_bpermute_b32 v1, v10, v0
	s_and_saveexec_b32 s23, s0
	s_cbranch_execz .LBB113_7
; %bb.20:                               ;   in Loop: Header=BB113_8 Depth=1
	s_and_b32 vcc_lo, exec_lo, s20
	s_cbranch_vccz .LBB113_22
; %bb.21:                               ;   in Loop: Header=BB113_8 Depth=1
	v_mul_hi_u32 v8, v64, v85
	v_mov_b32_e32 v11, v67
	v_mov_b32_e32 v65, v67
	s_delay_alu instid0(VALU_DEP_3) | instskip(NEXT) | instid1(VALU_DEP_1)
	v_mul_lo_u32 v8, v8, s8
	v_sub_nc_u32_e32 v8, v64, v8
	s_delay_alu instid0(VALU_DEP_1) | instskip(SKIP_1) | instid1(VALU_DEP_2)
	v_subrev_nc_u32_e32 v9, s8, v8
	v_cmp_le_u32_e32 vcc_lo, s8, v8
	v_cndmask_b32_e32 v8, v8, v9, vcc_lo
	s_delay_alu instid0(VALU_DEP_1) | instskip(SKIP_1) | instid1(VALU_DEP_2)
	v_subrev_nc_u32_e32 v9, s8, v8
	v_cmp_le_u32_e32 vcc_lo, s8, v8
	v_dual_cndmask_b32 v66, v8, v9 :: v_dual_mov_b32 v9, v67
	s_delay_alu instid0(VALU_DEP_1) | instskip(SKIP_3) | instid1(VALU_DEP_4)
	v_add_nc_u32_e32 v8, s17, v66
	v_lshlrev_b64 v[12:13], 1, v[66:67]
	v_add_nc_u32_e32 v10, s21, v66
	v_add_nc_u32_e32 v66, s22, v66
	v_lshlrev_b64 v[8:9], 1, v[8:9]
	s_delay_alu instid0(VALU_DEP_3)
	v_lshlrev_b64 v[10:11], 1, v[10:11]
	v_add_co_u32 v12, vcc_lo, s10, v12
	v_add_co_ci_u32_e32 v13, vcc_lo, s11, v13, vcc_lo
	v_lshlrev_b64 v[14:15], 1, v[66:67]
	v_add_co_u32 v8, vcc_lo, s10, v8
	v_add_co_ci_u32_e32 v9, vcc_lo, s11, v9, vcc_lo
	v_add_co_u32 v16, vcc_lo, s10, v10
	v_add_co_ci_u32_e32 v17, vcc_lo, s11, v11, vcc_lo
	;; [unrolled: 2-line block ×3, first 2 shown]
	s_clause 0x3
	global_load_u16 v11, v[12:13], off
	global_load_u16 v10, v[8:9], off
	;; [unrolled: 1-line block ×4, first 2 shown]
	s_cbranch_execnz .LBB113_6
	s_branch .LBB113_23
.LBB113_22:                             ;   in Loop: Header=BB113_8 Depth=1
                                        ; implicit-def: $vgpr11
                                        ; implicit-def: $vgpr10
                                        ; implicit-def: $vgpr9
                                        ; implicit-def: $vgpr8
.LBB113_23:                             ;   in Loop: Header=BB113_8 Depth=1
	s_waitcnt vmcnt(0)
	v_dual_mov_b32 v65, v67 :: v_dual_mov_b32 v8, 0
	v_dual_mov_b32 v9, 0 :: v_dual_mov_b32 v10, 0
	v_mov_b32_e32 v11, 0
	s_branch .LBB113_6
.LBB113_24:
	s_nop 0
	s_sendmsg sendmsg(MSG_DEALLOC_VGPRS)
	s_endpgm
	.section	.rodata,"a",@progbits
	.p2align	6, 0x0
	.amdhsa_kernel _Z16wvSplitK_hf_sml_I6__halfLi64ELi1ELi16ELi8ELi4ELi4EEviiiiiiPKT_S3_S3_PS1_ii
		.amdhsa_group_segment_fixed_size 65536
		.amdhsa_private_segment_fixed_size 0
		.amdhsa_kernarg_size 64
		.amdhsa_user_sgpr_count 15
		.amdhsa_user_sgpr_dispatch_ptr 0
		.amdhsa_user_sgpr_queue_ptr 0
		.amdhsa_user_sgpr_kernarg_segment_ptr 1
		.amdhsa_user_sgpr_dispatch_id 0
		.amdhsa_user_sgpr_private_segment_size 0
		.amdhsa_wavefront_size32 1
		.amdhsa_uses_dynamic_stack 0
		.amdhsa_enable_private_segment 0
		.amdhsa_system_sgpr_workgroup_id_x 1
		.amdhsa_system_sgpr_workgroup_id_y 0
		.amdhsa_system_sgpr_workgroup_id_z 0
		.amdhsa_system_sgpr_workgroup_info 0
		.amdhsa_system_vgpr_workitem_id 1
		.amdhsa_next_free_vgpr 99
		.amdhsa_next_free_sgpr 28
		.amdhsa_reserve_vcc 1
		.amdhsa_float_round_mode_32 0
		.amdhsa_float_round_mode_16_64 0
		.amdhsa_float_denorm_mode_32 3
		.amdhsa_float_denorm_mode_16_64 3
		.amdhsa_dx10_clamp 1
		.amdhsa_ieee_mode 1
		.amdhsa_fp16_overflow 0
		.amdhsa_workgroup_processor_mode 1
		.amdhsa_memory_ordered 1
		.amdhsa_forward_progress 0
		.amdhsa_shared_vgpr_count 0
		.amdhsa_exception_fp_ieee_invalid_op 0
		.amdhsa_exception_fp_denorm_src 0
		.amdhsa_exception_fp_ieee_div_zero 0
		.amdhsa_exception_fp_ieee_overflow 0
		.amdhsa_exception_fp_ieee_underflow 0
		.amdhsa_exception_fp_ieee_inexact 0
		.amdhsa_exception_int_div_zero 0
	.end_amdhsa_kernel
	.section	.text._Z16wvSplitK_hf_sml_I6__halfLi64ELi1ELi16ELi8ELi4ELi4EEviiiiiiPKT_S3_S3_PS1_ii,"axG",@progbits,_Z16wvSplitK_hf_sml_I6__halfLi64ELi1ELi16ELi8ELi4ELi4EEviiiiiiPKT_S3_S3_PS1_ii,comdat
.Lfunc_end113:
	.size	_Z16wvSplitK_hf_sml_I6__halfLi64ELi1ELi16ELi8ELi4ELi4EEviiiiiiPKT_S3_S3_PS1_ii, .Lfunc_end113-_Z16wvSplitK_hf_sml_I6__halfLi64ELi1ELi16ELi8ELi4ELi4EEviiiiiiPKT_S3_S3_PS1_ii
                                        ; -- End function
	.section	.AMDGPU.csdata,"",@progbits
; Kernel info:
; codeLenInByte = 4040
; NumSgprs: 30
; NumVgprs: 99
; ScratchSize: 0
; MemoryBound: 0
; FloatMode: 240
; IeeeMode: 1
; LDSByteSize: 65536 bytes/workgroup (compile time only)
; SGPRBlocks: 3
; VGPRBlocks: 12
; NumSGPRsForWavesPerEU: 30
; NumVGPRsForWavesPerEU: 99
; Occupancy: 12
; WaveLimiterHint : 0
; COMPUTE_PGM_RSRC2:SCRATCH_EN: 0
; COMPUTE_PGM_RSRC2:USER_SGPR: 15
; COMPUTE_PGM_RSRC2:TRAP_HANDLER: 0
; COMPUTE_PGM_RSRC2:TGID_X_EN: 1
; COMPUTE_PGM_RSRC2:TGID_Y_EN: 0
; COMPUTE_PGM_RSRC2:TGID_Z_EN: 0
; COMPUTE_PGM_RSRC2:TIDIG_COMP_CNT: 1
	.section	.text._Z12wvSplitK_hf_I6__halfLi64ELi1ELi16ELi8ELi4ELi4EEviiiiiiPKT_S3_S3_PS1_ii,"axG",@progbits,_Z12wvSplitK_hf_I6__halfLi64ELi1ELi16ELi8ELi4ELi4EEviiiiiiPKT_S3_S3_PS1_ii,comdat
	.protected	_Z12wvSplitK_hf_I6__halfLi64ELi1ELi16ELi8ELi4ELi4EEviiiiiiPKT_S3_S3_PS1_ii ; -- Begin function _Z12wvSplitK_hf_I6__halfLi64ELi1ELi16ELi8ELi4ELi4EEviiiiiiPKT_S3_S3_PS1_ii
	.globl	_Z12wvSplitK_hf_I6__halfLi64ELi1ELi16ELi8ELi4ELi4EEviiiiiiPKT_S3_S3_PS1_ii
	.p2align	8
	.type	_Z12wvSplitK_hf_I6__halfLi64ELi1ELi16ELi8ELi4ELi4EEviiiiiiPKT_S3_S3_PS1_ii,@function
_Z12wvSplitK_hf_I6__halfLi64ELi1ELi16ELi8ELi4ELi4EEviiiiiiPKT_S3_S3_PS1_ii: ; @_Z12wvSplitK_hf_I6__halfLi64ELi1ELi16ELi8ELi4ELi4EEviiiiiiPKT_S3_S3_PS1_ii
; %bb.0:
	s_clause 0x1
	s_load_b64 s[18:19], s[0:1], 0x38
	s_load_b128 s[4:7], s[0:1], 0x0
	v_bfe_u32 v1, v0, 10, 10
	s_clause 0x1
	s_load_b64 s[8:9], s[0:1], 0x20
	s_load_b64 s[10:11], s[0:1], 0x10
	v_mov_b32_e32 v95, 1
	s_waitcnt lgkmcnt(0)
	v_mad_u64_u32 v[80:81], null, s15, s18, v[1:2]
	s_delay_alu instid0(VALU_DEP_1) | instskip(SKIP_1) | instid1(VALU_DEP_2)
	v_add_nc_u32_e32 v2, 1, v80
	v_cmp_gt_u32_e32 vcc_lo, s7, v80
	v_cmp_le_u32_e64 s2, s7, v2
	s_delay_alu instid0(VALU_DEP_1) | instskip(NEXT) | instid1(SALU_CYCLE_1)
	s_and_b32 s3, vcc_lo, s2
	s_and_saveexec_b32 s2, s3
; %bb.1:
	v_subrev_nc_u32_e32 v2, s7, v80
	s_add_i32 s3, s7, -1
	s_delay_alu instid0(SALU_CYCLE_1) | instskip(NEXT) | instid1(VALU_DEP_2)
	v_mov_b32_e32 v80, s3
	v_cmp_eq_u32_e32 vcc_lo, -1, v2
	v_cndmask_b32_e64 v95, 0, 1, vcc_lo
; %bb.2:
	s_or_b32 exec_lo, exec_lo, s2
	s_load_b64 s[12:13], s[0:1], 0x28
	v_and_b32_e32 v0, 0x3ff, v0
	s_lshl_b32 s3, s6, 2
	s_mov_b32 s15, exec_lo
	s_min_u32 s14, s3, 0x8000
	s_delay_alu instid0(VALU_DEP_1) | instskip(NEXT) | instid1(VALU_DEP_1)
	v_lshlrev_b32_e32 v82, 3, v0
	v_lshl_add_u32 v4, v1, 9, v82
	s_delay_alu instid0(VALU_DEP_1)
	v_cmpx_gt_u32_e64 s14, v4
	s_cbranch_execz .LBB114_5
; %bb.3:
	v_lshlrev_b32_e32 v5, 10, v1
	v_lshlrev_b32_e32 v6, 4, v0
	s_mov_b32 s16, 0
	s_delay_alu instid0(VALU_DEP_1) | instskip(NEXT) | instid1(VALU_DEP_1)
	v_add_co_u32 v2, s2, v5, v6
	v_add_co_ci_u32_e64 v3, null, 0, 0, s2
	v_add_nc_u32_e32 v5, v5, v6
	s_delay_alu instid0(VALU_DEP_3) | instskip(NEXT) | instid1(VALU_DEP_3)
	v_add_co_u32 v2, vcc_lo, s8, v2
	v_add_co_ci_u32_e32 v3, vcc_lo, s9, v3, vcc_lo
	.p2align	6
.LBB114_4:                              ; =>This Inner Loop Header: Depth=1
	global_load_b128 v[6:9], v[2:3], off
	v_add_nc_u32_e32 v4, 0x2000, v4
	v_add_co_u32 v2, vcc_lo, 0x4000, v2
	v_add_co_ci_u32_e32 v3, vcc_lo, 0, v3, vcc_lo
	s_delay_alu instid0(VALU_DEP_3) | instskip(NEXT) | instid1(VALU_DEP_1)
	v_cmp_le_u32_e64 s2, s14, v4
	s_or_b32 s16, s2, s16
	s_waitcnt vmcnt(0)
	ds_store_b128 v5, v[6:9]
	v_add_nc_u32_e32 v5, 0x4000, v5
	s_and_not1_b32 exec_lo, exec_lo, s16
	s_cbranch_execnz .LBB114_4
.LBB114_5:
	s_or_b32 exec_lo, exec_lo, s15
	v_cmp_gt_u32_e32 vcc_lo, s18, v1
	v_cmp_gt_u32_e64 s2, s7, v80
	s_waitcnt lgkmcnt(0)
	s_barrier
	buffer_gl0_inv
	s_and_b32 s2, vcc_lo, s2
	s_delay_alu instid0(SALU_CYCLE_1)
	s_and_saveexec_b32 s14, s2
	s_cbranch_execz .LBB114_88
; %bb.6:
	s_cmp_lg_u32 s4, 0
	v_cvt_f32_u32_e32 v2, s10
	s_cselect_b32 s20, -1, 0
	s_add_i32 s21, s4, -8
	s_add_i32 s22, s7, -1
	s_cmp_lg_u64 s[12:13], 0
	v_rcp_iflag_f32_e32 v2, v2
	s_cselect_b32 s23, -1, 0
	s_abs_i32 s2, s11
	s_clause 0x1
	s_load_b64 s[14:15], s[0:1], 0x18
	s_load_b64 s[16:17], s[0:1], 0x30
	v_cvt_f32_u32_e32 v1, s2
	s_sub_i32 s26, 0, s2
	s_mul_i32 s18, s19, s18
	s_lshl_b32 s19, s6, 1
	s_sub_i32 s24, s18, s7
	v_rcp_iflag_f32_e32 v1, v1
	s_sub_i32 s25, 0, s10
	s_add_i32 s24, s24, 2
	s_sub_i32 s27, 1, s2
	v_cmp_eq_u32_e64 s0, 63, v0
	v_mad_u64_u32 v[85:86], null, s6, 3, v[82:83]
	v_dual_mov_b32 v84, 0 :: v_dual_add_nc_u32 v97, s6, v82
	v_mbcnt_lo_u32_b32 v98, -1, 0
	s_waitcnt_depctr 0xfff
	v_mul_f32_e32 v1, 0x4f7ffffe, v1
	v_add_nc_u32_e32 v99, s19, v82
	s_mov_b32 s11, 0
	s_mul_i32 s6, s6, 6
	v_lshlrev_b32_e32 v96, 4, v0
	v_cvt_u32_f32_e32 v1, v1
	s_delay_alu instid0(VALU_DEP_1) | instskip(SKIP_1) | instid1(VALU_DEP_2)
	v_readfirstlane_b32 s1, v1
	v_mul_f32_e32 v1, 0x4f7ffffe, v2
	s_mul_i32 s26, s26, s1
	s_delay_alu instid0(VALU_DEP_1) | instskip(SKIP_1) | instid1(SALU_CYCLE_1)
	v_cvt_u32_f32_e32 v1, v1
	s_mul_hi_u32 s26, s1, s26
	s_add_i32 s1, s1, s26
	s_cmp_lt_u32 s2, 2
	s_delay_alu instid0(VALU_DEP_1) | instskip(SKIP_1) | instid1(SALU_CYCLE_1)
	v_mul_lo_u32 v0, s25, v1
	s_cselect_b32 s26, s27, 1
	s_sub_i32 s27, s26, s2
	s_cmp_ge_u32 s26, s2
	s_cselect_b32 s25, s27, s26
	s_lshr_b32 s26, s1, 31
	s_mul_hi_u32 s1, s1, 3
	s_mul_i32 s26, s26, s2
	s_mul_i32 s1, s1, s2
	s_sub_i32 s26, 2, s26
	v_mul_hi_u32 v0, v1, v0
	s_sub_i32 s27, s26, s2
	s_cmp_ge_u32 s26, s2
	s_mul_i32 s25, s25, s10
	s_cselect_b32 s26, s27, s26
	s_delay_alu instid0(SALU_CYCLE_1) | instskip(SKIP_1) | instid1(VALU_DEP_1)
	s_sub_i32 s27, s26, s2
	s_cmp_ge_u32 s26, s2
	v_add_nc_u32_e32 v100, v1, v0
	s_cselect_b32 s26, s27, s26
	s_sub_i32 s1, 3, s1
	s_mul_i32 s26, s26, s10
	s_sub_i32 s27, s1, s2
	s_cmp_ge_u32 s1, s2
	s_cselect_b32 s1, s27, s1
	s_delay_alu instid0(SALU_CYCLE_1) | instskip(SKIP_2) | instid1(SALU_CYCLE_1)
	s_sub_i32 s27, s1, s2
	s_cmp_ge_u32 s1, s2
	s_cselect_b32 s27, s27, s1
	s_mul_i32 s27, s27, s10
	s_branch .LBB114_8
.LBB114_7:                              ;   in Loop: Header=BB114_8 Depth=1
	s_or_b32 exec_lo, exec_lo, s1
	v_add_nc_u32_e32 v0, s18, v80
	s_waitcnt lgkmcnt(0)
	s_delay_alu instid0(VALU_DEP_1) | instskip(SKIP_1) | instid1(VALU_DEP_2)
	v_add_nc_u32_e32 v1, 1, v0
	v_cmp_le_u32_e32 vcc_lo, s7, v0
	v_cmp_gt_u32_e64 s1, s7, v1
	v_add_nc_u32_e32 v1, s24, v80
	s_delay_alu instid0(VALU_DEP_2) | instskip(NEXT) | instid1(VALU_DEP_1)
	s_or_b32 vcc_lo, vcc_lo, s1
	v_cmp_eq_u32_e64 s1, 1, v1
	v_cndmask_b32_e32 v80, s22, v0, vcc_lo
	s_delay_alu instid0(VALU_DEP_2) | instskip(NEXT) | instid1(VALU_DEP_1)
	s_or_b32 vcc_lo, vcc_lo, s1
	v_cmp_le_u32_e64 s2, s7, v80
	v_cndmask_b32_e32 v95, 0, v95, vcc_lo
	s_delay_alu instid0(VALU_DEP_2) | instskip(NEXT) | instid1(SALU_CYCLE_1)
	s_or_b32 s11, s2, s11
	s_and_not1_b32 exec_lo, exec_lo, s11
	s_cbranch_execz .LBB114_88
.LBB114_8:                              ; =>This Loop Header: Depth=1
                                        ;     Child Loop BB114_15 Depth 2
	v_mov_b32_e32 v103, v84
	v_mov_b32_e32 v102, v84
	;; [unrolled: 1-line block ×4, first 2 shown]
	s_and_not1_b32 vcc_lo, exec_lo, s20
	s_cbranch_vccnz .LBB114_83
; %bb.9:                                ;   in Loop: Header=BB114_8 Depth=1
	v_min_u32_e32 v0, s22, v80
	v_dual_mov_b32 v81, 0 :: v_dual_mov_b32 v104, v96
	v_dual_mov_b32 v101, 0 :: v_dual_mov_b32 v102, 0
	s_delay_alu instid0(VALU_DEP_3) | instskip(SKIP_2) | instid1(VALU_DEP_2)
	v_mul_lo_u32 v83, v0, s5
	v_mov_b32_e32 v103, 0
	s_mov_b32 s1, 0
	v_lshlrev_b64 v[0:1], 1, v[83:84]
	s_waitcnt lgkmcnt(0)
	s_delay_alu instid0(VALU_DEP_1) | instskip(NEXT) | instid1(VALU_DEP_2)
	v_add_co_u32 v105, vcc_lo, s14, v0
	v_add_co_ci_u32_e32 v106, vcc_lo, s15, v1, vcc_lo
	s_branch .LBB114_15
.LBB114_10:                             ;   in Loop: Header=BB114_15 Depth=2
	s_or_b32 exec_lo, exec_lo, s31
.LBB114_11:                             ;   in Loop: Header=BB114_15 Depth=2
	s_delay_alu instid0(SALU_CYCLE_1)
	s_or_b32 exec_lo, exec_lo, s30
.LBB114_12:                             ;   in Loop: Header=BB114_15 Depth=2
	s_delay_alu instid0(SALU_CYCLE_1)
	s_or_b32 exec_lo, exec_lo, s29
.LBB114_13:                             ;   in Loop: Header=BB114_15 Depth=2
	s_delay_alu instid0(SALU_CYCLE_1)
	s_or_b32 exec_lo, exec_lo, s28
.LBB114_14:                             ;   in Loop: Header=BB114_15 Depth=2
	s_delay_alu instid0(SALU_CYCLE_1)
	s_or_b32 exec_lo, exec_lo, s2
	s_waitcnt vmcnt(0) lgkmcnt(0)
	;;#ASMSTART
	v_dot2_f32_f16 v103, v24, v12, v103
	;;#ASMEND
	;;#ASMSTART
	v_dot2_f32_f16 v102, v20, v12, v102
	;;#ASMEND
	;; [unrolled: 3-line block ×44, first 2 shown]
	v_add_nc_u32_e32 v104, 0x1000, v104
	;;#ASMSTART
	v_dot2_f32_f16 v103, v63, v7, v103
	;;#ASMEND
	;;#ASMSTART
	v_dot2_f32_f16 v102, v59, v7, v102
	;;#ASMEND
	;; [unrolled: 3-line block ×4, first 2 shown]
	s_addk_i32 s1, 0x800
	;;#ASMSTART
	v_dot2_f32_f16 v103, v76, v0, v103
	;;#ASMEND
	;;#ASMSTART
	v_dot2_f32_f16 v102, v72, v0, v102
	;;#ASMEND
	;;#ASMSTART
	v_dot2_f32_f16 v101, v68, v0, v101
	;;#ASMEND
	;;#ASMSTART
	v_dot2_f32_f16 v81, v64, v0, v81
	;;#ASMEND
	;;#ASMSTART
	v_dot2_f32_f16 v103, v77, v1, v103
	;;#ASMEND
	;;#ASMSTART
	v_dot2_f32_f16 v102, v73, v1, v102
	;;#ASMEND
	;;#ASMSTART
	v_dot2_f32_f16 v101, v69, v1, v101
	;;#ASMEND
	;;#ASMSTART
	v_dot2_f32_f16 v81, v65, v1, v81
	;;#ASMEND
	s_cmp_ge_u32 s1, s4
	;;#ASMSTART
	v_dot2_f32_f16 v103, v78, v2, v103
	;;#ASMEND
	;;#ASMSTART
	v_dot2_f32_f16 v102, v74, v2, v102
	;;#ASMEND
	;; [unrolled: 3-line block ×8, first 2 shown]
	s_cbranch_scc1 .LBB114_83
.LBB114_15:                             ;   Parent Loop BB114_8 Depth=1
                                        ; =>  This Inner Loop Header: Depth=2
	v_dual_mov_b32 v66, 0 :: v_dual_add_nc_u32 v87, s1, v82
	v_dual_mov_b32 v51, 0 :: v_dual_mov_b32 v50, 0
	v_dual_mov_b32 v49, 0 :: v_dual_mov_b32 v48, 0
	s_delay_alu instid0(VALU_DEP_3) | instskip(SKIP_2) | instid1(VALU_DEP_3)
	v_min_u32_e32 v83, s21, v87
	v_dual_mov_b32 v64, 0 :: v_dual_add_nc_u32 v93, 0x200, v87
	v_dual_mov_b32 v67, 0 :: v_dual_add_nc_u32 v92, 0x400, v87
	v_lshlrev_b64 v[0:1], 1, v[83:84]
	s_delay_alu instid0(VALU_DEP_3) | instskip(SKIP_2) | instid1(VALU_DEP_3)
	v_min_u32_e32 v83, s21, v93
	v_dual_mov_b32 v65, 0 :: v_dual_add_nc_u32 v86, 0x600, v87
	v_dual_mov_b32 v35, 0 :: v_dual_mov_b32 v34, 0
	v_lshlrev_b64 v[2:3], 1, v[83:84]
	v_min_u32_e32 v83, s21, v92
	v_add_co_u32 v0, vcc_lo, v105, v0
	v_add_co_ci_u32_e32 v1, vcc_lo, v106, v1, vcc_lo
	s_delay_alu instid0(VALU_DEP_3) | instskip(SKIP_3) | instid1(VALU_DEP_3)
	v_lshlrev_b64 v[4:5], 1, v[83:84]
	v_min_u32_e32 v83, s21, v86
	v_add_co_u32 v2, vcc_lo, v105, v2
	v_add_co_ci_u32_e32 v3, vcc_lo, v106, v3, vcc_lo
	v_lshlrev_b64 v[6:7], 1, v[83:84]
	v_add_co_u32 v4, vcc_lo, v105, v4
	v_add_co_ci_u32_e32 v5, vcc_lo, v106, v5, vcc_lo
	v_dual_mov_b32 v33, 0 :: v_dual_mov_b32 v32, 0
	s_delay_alu instid0(VALU_DEP_4)
	v_add_co_u32 v16, vcc_lo, v105, v6
	v_add_co_ci_u32_e32 v17, vcc_lo, v106, v7, vcc_lo
	s_clause 0x3
	global_load_b128 v[12:15], v[0:1], off slc dlc
	global_load_b128 v[8:11], v[2:3], off slc dlc
	;; [unrolled: 1-line block ×4, first 2 shown]
	v_cmp_gt_u32_e32 vcc_lo, s4, v87
	v_dual_mov_b32 v31, 0 :: v_dual_mov_b32 v30, 0
	v_dual_mov_b32 v29, 0 :: v_dual_mov_b32 v28, 0
	;; [unrolled: 1-line block ×26, first 2 shown]
	s_and_saveexec_b32 s2, vcc_lo
	s_cbranch_execz .LBB114_14
; %bb.16:                               ;   in Loop: Header=BB114_15 Depth=2
	s_mov_b32 s28, exec_lo
                                        ; implicit-def: $vgpr27
	v_cmpx_lt_u32_e32 0x7fff, v87
	s_xor_b32 s28, exec_lo, s28
	s_cbranch_execz .LBB114_18
; %bb.17:                               ;   in Loop: Header=BB114_15 Depth=2
	v_mov_b32_e32 v88, v84
	s_delay_alu instid0(VALU_DEP_1) | instskip(NEXT) | instid1(VALU_DEP_1)
	v_lshlrev_b64 v[16:17], 1, v[87:88]
	v_add_co_u32 v16, vcc_lo, s8, v16
	s_delay_alu instid0(VALU_DEP_2)
	v_add_co_ci_u32_e32 v17, vcc_lo, s9, v17, vcc_lo
	global_load_b128 v[24:27], v[16:17], off
.LBB114_18:                             ;   in Loop: Header=BB114_15 Depth=2
	s_and_not1_saveexec_b32 s28, s28
	s_cbranch_execz .LBB114_20
; %bb.19:                               ;   in Loop: Header=BB114_15 Depth=2
	s_waitcnt vmcnt(0)
	ds_load_b128 v[24:27], v104
.LBB114_20:                             ;   in Loop: Header=BB114_15 Depth=2
	s_or_b32 exec_lo, exec_lo, s28
	v_add_nc_u32_e32 v83, s1, v97
	s_mov_b32 s28, exec_lo
                                        ; implicit-def: $vgpr23
	s_delay_alu instid0(VALU_DEP_1)
	v_cmpx_lt_u32_e32 0x7fff, v83
	s_xor_b32 s28, exec_lo, s28
	s_cbranch_execz .LBB114_22
; %bb.21:                               ;   in Loop: Header=BB114_15 Depth=2
	v_lshlrev_b64 v[16:17], 1, v[83:84]
	s_delay_alu instid0(VALU_DEP_1) | instskip(NEXT) | instid1(VALU_DEP_2)
	v_add_co_u32 v16, vcc_lo, s8, v16
	v_add_co_ci_u32_e32 v17, vcc_lo, s9, v17, vcc_lo
	global_load_b128 v[20:23], v[16:17], off
.LBB114_22:                             ;   in Loop: Header=BB114_15 Depth=2
	s_and_not1_saveexec_b32 s28, s28
	s_cbranch_execz .LBB114_24
; %bb.23:                               ;   in Loop: Header=BB114_15 Depth=2
	v_add_nc_u32_e32 v16, s19, v104
	s_waitcnt vmcnt(0)
	ds_load_b128 v[20:23], v16
.LBB114_24:                             ;   in Loop: Header=BB114_15 Depth=2
	s_or_b32 exec_lo, exec_lo, s28
	v_add_nc_u32_e32 v90, s1, v99
	s_mov_b32 s28, exec_lo
                                        ; implicit-def: $vgpr19
	s_delay_alu instid0(VALU_DEP_1)
	v_cmpx_lt_u32_e32 0x7fff, v90
	s_xor_b32 s28, exec_lo, s28
	s_cbranch_execz .LBB114_26
; %bb.25:                               ;   in Loop: Header=BB114_15 Depth=2
	v_mov_b32_e32 v91, v84
	s_delay_alu instid0(VALU_DEP_1) | instskip(NEXT) | instid1(VALU_DEP_1)
	v_lshlrev_b64 v[16:17], 1, v[90:91]
	v_add_co_u32 v16, vcc_lo, s8, v16
	s_delay_alu instid0(VALU_DEP_2)
	v_add_co_ci_u32_e32 v17, vcc_lo, s9, v17, vcc_lo
	global_load_b128 v[16:19], v[16:17], off
.LBB114_26:                             ;   in Loop: Header=BB114_15 Depth=2
	s_and_not1_saveexec_b32 s28, s28
	s_cbranch_execz .LBB114_28
; %bb.27:                               ;   in Loop: Header=BB114_15 Depth=2
	s_waitcnt vmcnt(0)
	v_add_nc_u32_e32 v18, s3, v104
	ds_load_2addr_b32 v[16:17], v18 offset1:1
	ds_load_2addr_b32 v[18:19], v18 offset0:2 offset1:3
.LBB114_28:                             ;   in Loop: Header=BB114_15 Depth=2
	s_or_b32 exec_lo, exec_lo, s28
	v_add_nc_u32_e32 v88, s1, v85
	s_mov_b32 s28, exec_lo
                                        ; implicit-def: $vgpr31
	s_delay_alu instid0(VALU_DEP_1)
	v_cmpx_lt_u32_e32 0x7fff, v88
	s_xor_b32 s28, exec_lo, s28
	s_cbranch_execz .LBB114_30
; %bb.29:                               ;   in Loop: Header=BB114_15 Depth=2
	v_mov_b32_e32 v89, v84
	s_delay_alu instid0(VALU_DEP_1) | instskip(NEXT) | instid1(VALU_DEP_1)
	v_lshlrev_b64 v[28:29], 1, v[88:89]
	v_add_co_u32 v28, vcc_lo, s8, v28
	s_delay_alu instid0(VALU_DEP_2)
	v_add_co_ci_u32_e32 v29, vcc_lo, s9, v29, vcc_lo
	global_load_b128 v[28:31], v[28:29], off
.LBB114_30:                             ;   in Loop: Header=BB114_15 Depth=2
	s_and_not1_saveexec_b32 s28, s28
	s_cbranch_execz .LBB114_32
; %bb.31:                               ;   in Loop: Header=BB114_15 Depth=2
	s_waitcnt vmcnt(0)
	v_add_nc_u32_e32 v28, s6, v104
	ds_load_b128 v[28:31], v28
.LBB114_32:                             ;   in Loop: Header=BB114_15 Depth=2
	s_or_b32 exec_lo, exec_lo, s28
	v_cmp_gt_u32_e32 vcc_lo, s4, v93
	v_dual_mov_b32 v67, 0 :: v_dual_mov_b32 v66, 0
	v_dual_mov_b32 v65, 0 :: v_dual_mov_b32 v64, 0
	;; [unrolled: 1-line block ×24, first 2 shown]
	s_and_saveexec_b32 s28, vcc_lo
	s_cbranch_execz .LBB114_13
; %bb.33:                               ;   in Loop: Header=BB114_15 Depth=2
	s_mov_b32 s29, exec_lo
                                        ; implicit-def: $vgpr47
	v_cmpx_lt_u32_e32 0x7fff, v93
	s_xor_b32 s29, exec_lo, s29
	s_cbranch_execz .LBB114_35
; %bb.34:                               ;   in Loop: Header=BB114_15 Depth=2
	v_mov_b32_e32 v94, v84
	s_delay_alu instid0(VALU_DEP_1) | instskip(NEXT) | instid1(VALU_DEP_1)
	v_lshlrev_b64 v[32:33], 1, v[93:94]
	v_add_co_u32 v32, vcc_lo, s8, v32
	s_delay_alu instid0(VALU_DEP_2)
	v_add_co_ci_u32_e32 v33, vcc_lo, s9, v33, vcc_lo
	global_load_b128 v[44:47], v[32:33], off
.LBB114_35:                             ;   in Loop: Header=BB114_15 Depth=2
	s_and_not1_saveexec_b32 s29, s29
	s_cbranch_execz .LBB114_37
; %bb.36:                               ;   in Loop: Header=BB114_15 Depth=2
	s_waitcnt vmcnt(0)
	ds_load_b128 v[44:47], v104 offset:1024
.LBB114_37:                             ;   in Loop: Header=BB114_15 Depth=2
	s_or_b32 exec_lo, exec_lo, s29
	v_add_nc_u32_e32 v32, 0x200, v83
	s_mov_b32 s29, exec_lo
                                        ; implicit-def: $vgpr43
	s_delay_alu instid0(VALU_DEP_1)
	v_cmpx_lt_u32_e32 0x7fff, v32
	s_xor_b32 s29, exec_lo, s29
	s_cbranch_execz .LBB114_39
; %bb.38:                               ;   in Loop: Header=BB114_15 Depth=2
	v_mov_b32_e32 v33, v84
	s_delay_alu instid0(VALU_DEP_1) | instskip(NEXT) | instid1(VALU_DEP_1)
	v_lshlrev_b64 v[32:33], 1, v[32:33]
	v_add_co_u32 v32, vcc_lo, s8, v32
	s_delay_alu instid0(VALU_DEP_2)
	v_add_co_ci_u32_e32 v33, vcc_lo, s9, v33, vcc_lo
	global_load_b128 v[40:43], v[32:33], off
.LBB114_39:                             ;   in Loop: Header=BB114_15 Depth=2
	s_and_not1_saveexec_b32 s29, s29
	s_cbranch_execz .LBB114_41
; %bb.40:                               ;   in Loop: Header=BB114_15 Depth=2
	v_add_nc_u32_e32 v32, s19, v104
	s_waitcnt vmcnt(0)
	ds_load_b128 v[40:43], v32 offset:1024
.LBB114_41:                             ;   in Loop: Header=BB114_15 Depth=2
	s_or_b32 exec_lo, exec_lo, s29
	v_add_nc_u32_e32 v32, 0x200, v90
	s_mov_b32 s29, exec_lo
                                        ; implicit-def: $vgpr39
	s_delay_alu instid0(VALU_DEP_1)
	v_cmpx_lt_u32_e32 0x7fff, v32
	s_xor_b32 s29, exec_lo, s29
	s_cbranch_execz .LBB114_43
; %bb.42:                               ;   in Loop: Header=BB114_15 Depth=2
	v_mov_b32_e32 v33, v84
	s_delay_alu instid0(VALU_DEP_1) | instskip(NEXT) | instid1(VALU_DEP_1)
	v_lshlrev_b64 v[32:33], 1, v[32:33]
	v_add_co_u32 v32, vcc_lo, s8, v32
	s_delay_alu instid0(VALU_DEP_2)
	v_add_co_ci_u32_e32 v33, vcc_lo, s9, v33, vcc_lo
	global_load_b128 v[36:39], v[32:33], off
.LBB114_43:                             ;   in Loop: Header=BB114_15 Depth=2
	s_and_not1_saveexec_b32 s29, s29
	s_cbranch_execz .LBB114_45
; %bb.44:                               ;   in Loop: Header=BB114_15 Depth=2
	v_add_nc_u32_e32 v32, s3, v104
	s_delay_alu instid0(VALU_DEP_1)
	v_add_nc_u32_e32 v33, 0x400, v32
	v_add_nc_u32_e32 v32, 0x408, v32
	s_waitcnt vmcnt(0)
	ds_load_2addr_b32 v[36:37], v33 offset1:1
	ds_load_2addr_b32 v[38:39], v32 offset1:1
.LBB114_45:                             ;   in Loop: Header=BB114_15 Depth=2
	s_or_b32 exec_lo, exec_lo, s29
	v_add_nc_u32_e32 v32, 0x200, v88
	s_mov_b32 s29, exec_lo
                                        ; implicit-def: $vgpr35
	s_delay_alu instid0(VALU_DEP_1)
	v_cmpx_lt_u32_e32 0x7fff, v32
	s_xor_b32 s29, exec_lo, s29
	s_cbranch_execz .LBB114_47
; %bb.46:                               ;   in Loop: Header=BB114_15 Depth=2
	v_mov_b32_e32 v33, v84
	s_delay_alu instid0(VALU_DEP_1) | instskip(NEXT) | instid1(VALU_DEP_1)
	v_lshlrev_b64 v[32:33], 1, v[32:33]
	v_add_co_u32 v32, vcc_lo, s8, v32
	s_delay_alu instid0(VALU_DEP_2)
	v_add_co_ci_u32_e32 v33, vcc_lo, s9, v33, vcc_lo
	global_load_b128 v[32:35], v[32:33], off
.LBB114_47:                             ;   in Loop: Header=BB114_15 Depth=2
	s_and_not1_saveexec_b32 s29, s29
	s_cbranch_execz .LBB114_49
; %bb.48:                               ;   in Loop: Header=BB114_15 Depth=2
	s_waitcnt vmcnt(0)
	v_add_nc_u32_e32 v32, s6, v104
	ds_load_b128 v[32:35], v32 offset:1024
.LBB114_49:                             ;   in Loop: Header=BB114_15 Depth=2
	s_or_b32 exec_lo, exec_lo, s29
	v_cmp_gt_u32_e32 vcc_lo, s4, v92
	v_dual_mov_b32 v67, 0 :: v_dual_mov_b32 v66, 0
	v_dual_mov_b32 v65, 0 :: v_dual_mov_b32 v64, 0
	v_dual_mov_b32 v51, 0 :: v_dual_mov_b32 v50, 0
	v_dual_mov_b32 v49, 0 :: v_dual_mov_b32 v48, 0
	v_dual_mov_b32 v71, 0 :: v_dual_mov_b32 v70, 0
	v_dual_mov_b32 v69, 0 :: v_dual_mov_b32 v68, 0
	v_dual_mov_b32 v55, 0 :: v_dual_mov_b32 v54, 0
	v_dual_mov_b32 v53, 0 :: v_dual_mov_b32 v52, 0
	v_dual_mov_b32 v75, 0 :: v_dual_mov_b32 v74, 0
	v_dual_mov_b32 v73, 0 :: v_dual_mov_b32 v72, 0
	v_dual_mov_b32 v59, 0 :: v_dual_mov_b32 v58, 0
	v_dual_mov_b32 v57, 0 :: v_dual_mov_b32 v56, 0
	v_dual_mov_b32 v79, 0 :: v_dual_mov_b32 v78, 0
	v_dual_mov_b32 v77, 0 :: v_dual_mov_b32 v76, 0
	v_dual_mov_b32 v63, 0 :: v_dual_mov_b32 v62, 0
	v_dual_mov_b32 v61, 0 :: v_dual_mov_b32 v60, 0
	s_and_saveexec_b32 s29, vcc_lo
	s_cbranch_execz .LBB114_12
; %bb.50:                               ;   in Loop: Header=BB114_15 Depth=2
	s_mov_b32 s30, exec_lo
                                        ; implicit-def: $vgpr63
	v_cmpx_lt_u32_e32 0x7fff, v92
	s_xor_b32 s30, exec_lo, s30
	s_cbranch_execz .LBB114_52
; %bb.51:                               ;   in Loop: Header=BB114_15 Depth=2
	v_mov_b32_e32 v93, v84
	s_delay_alu instid0(VALU_DEP_1) | instskip(NEXT) | instid1(VALU_DEP_1)
	v_lshlrev_b64 v[48:49], 1, v[92:93]
	v_add_co_u32 v48, vcc_lo, s8, v48
	s_delay_alu instid0(VALU_DEP_2)
	v_add_co_ci_u32_e32 v49, vcc_lo, s9, v49, vcc_lo
	global_load_b128 v[60:63], v[48:49], off
.LBB114_52:                             ;   in Loop: Header=BB114_15 Depth=2
	s_and_not1_saveexec_b32 s30, s30
	s_cbranch_execz .LBB114_54
; %bb.53:                               ;   in Loop: Header=BB114_15 Depth=2
	s_waitcnt vmcnt(0)
	ds_load_b128 v[60:63], v104 offset:2048
.LBB114_54:                             ;   in Loop: Header=BB114_15 Depth=2
	s_or_b32 exec_lo, exec_lo, s30
	v_add_nc_u32_e32 v48, 0x400, v83
	s_mov_b32 s30, exec_lo
                                        ; implicit-def: $vgpr59
	s_delay_alu instid0(VALU_DEP_1)
	v_cmpx_lt_u32_e32 0x7fff, v48
	s_xor_b32 s30, exec_lo, s30
	s_cbranch_execz .LBB114_56
; %bb.55:                               ;   in Loop: Header=BB114_15 Depth=2
	v_mov_b32_e32 v49, v84
	s_delay_alu instid0(VALU_DEP_1) | instskip(NEXT) | instid1(VALU_DEP_1)
	v_lshlrev_b64 v[48:49], 1, v[48:49]
	v_add_co_u32 v48, vcc_lo, s8, v48
	s_delay_alu instid0(VALU_DEP_2)
	v_add_co_ci_u32_e32 v49, vcc_lo, s9, v49, vcc_lo
	global_load_b128 v[56:59], v[48:49], off
.LBB114_56:                             ;   in Loop: Header=BB114_15 Depth=2
	s_and_not1_saveexec_b32 s30, s30
	s_cbranch_execz .LBB114_58
; %bb.57:                               ;   in Loop: Header=BB114_15 Depth=2
	v_add_nc_u32_e32 v48, s19, v104
	s_waitcnt vmcnt(0)
	ds_load_b128 v[56:59], v48 offset:2048
.LBB114_58:                             ;   in Loop: Header=BB114_15 Depth=2
	s_or_b32 exec_lo, exec_lo, s30
	v_add_nc_u32_e32 v48, 0x400, v90
	s_mov_b32 s30, exec_lo
                                        ; implicit-def: $vgpr55
	s_delay_alu instid0(VALU_DEP_1)
	v_cmpx_lt_u32_e32 0x7fff, v48
	s_xor_b32 s30, exec_lo, s30
	s_cbranch_execz .LBB114_60
; %bb.59:                               ;   in Loop: Header=BB114_15 Depth=2
	v_mov_b32_e32 v49, v84
	s_delay_alu instid0(VALU_DEP_1) | instskip(NEXT) | instid1(VALU_DEP_1)
	v_lshlrev_b64 v[48:49], 1, v[48:49]
	v_add_co_u32 v48, vcc_lo, s8, v48
	s_delay_alu instid0(VALU_DEP_2)
	v_add_co_ci_u32_e32 v49, vcc_lo, s9, v49, vcc_lo
	global_load_b128 v[52:55], v[48:49], off
.LBB114_60:                             ;   in Loop: Header=BB114_15 Depth=2
	s_and_not1_saveexec_b32 s30, s30
	s_cbranch_execz .LBB114_62
; %bb.61:                               ;   in Loop: Header=BB114_15 Depth=2
	v_add_nc_u32_e32 v48, s3, v104
	s_delay_alu instid0(VALU_DEP_1)
	v_add_nc_u32_e32 v49, 0x800, v48
	v_add_nc_u32_e32 v48, 0x808, v48
	s_waitcnt vmcnt(0)
	ds_load_2addr_b32 v[52:53], v49 offset1:1
	ds_load_2addr_b32 v[54:55], v48 offset1:1
.LBB114_62:                             ;   in Loop: Header=BB114_15 Depth=2
	s_or_b32 exec_lo, exec_lo, s30
	v_add_nc_u32_e32 v48, 0x400, v88
	s_mov_b32 s30, exec_lo
                                        ; implicit-def: $vgpr51
	s_delay_alu instid0(VALU_DEP_1)
	v_cmpx_lt_u32_e32 0x7fff, v48
	s_xor_b32 s30, exec_lo, s30
	s_cbranch_execz .LBB114_64
; %bb.63:                               ;   in Loop: Header=BB114_15 Depth=2
	v_mov_b32_e32 v49, v84
	s_delay_alu instid0(VALU_DEP_1) | instskip(NEXT) | instid1(VALU_DEP_1)
	v_lshlrev_b64 v[48:49], 1, v[48:49]
	v_add_co_u32 v48, vcc_lo, s8, v48
	s_delay_alu instid0(VALU_DEP_2)
	v_add_co_ci_u32_e32 v49, vcc_lo, s9, v49, vcc_lo
	global_load_b128 v[48:51], v[48:49], off
.LBB114_64:                             ;   in Loop: Header=BB114_15 Depth=2
	s_and_not1_saveexec_b32 s30, s30
	s_cbranch_execz .LBB114_66
; %bb.65:                               ;   in Loop: Header=BB114_15 Depth=2
	s_waitcnt vmcnt(0)
	v_add_nc_u32_e32 v48, s6, v104
	ds_load_b128 v[48:51], v48 offset:2048
.LBB114_66:                             ;   in Loop: Header=BB114_15 Depth=2
	s_or_b32 exec_lo, exec_lo, s30
	v_dual_mov_b32 v67, 0 :: v_dual_mov_b32 v66, 0
	v_dual_mov_b32 v65, 0 :: v_dual_mov_b32 v64, 0
	;; [unrolled: 1-line block ×8, first 2 shown]
	s_mov_b32 s30, exec_lo
	v_cmpx_gt_u32_e64 s4, v86
	s_cbranch_execz .LBB114_11
; %bb.67:                               ;   in Loop: Header=BB114_15 Depth=2
	s_mov_b32 s31, exec_lo
                                        ; implicit-def: $vgpr79
	v_cmpx_lt_u32_e32 0x7fff, v86
	s_xor_b32 s31, exec_lo, s31
	s_cbranch_execz .LBB114_69
; %bb.68:                               ;   in Loop: Header=BB114_15 Depth=2
	v_mov_b32_e32 v87, v84
	s_delay_alu instid0(VALU_DEP_1) | instskip(NEXT) | instid1(VALU_DEP_1)
	v_lshlrev_b64 v[64:65], 1, v[86:87]
	v_add_co_u32 v64, vcc_lo, s8, v64
	s_delay_alu instid0(VALU_DEP_2)
	v_add_co_ci_u32_e32 v65, vcc_lo, s9, v65, vcc_lo
	global_load_b128 v[76:79], v[64:65], off
.LBB114_69:                             ;   in Loop: Header=BB114_15 Depth=2
	s_and_not1_saveexec_b32 s31, s31
	s_cbranch_execz .LBB114_71
; %bb.70:                               ;   in Loop: Header=BB114_15 Depth=2
	s_waitcnt vmcnt(0)
	ds_load_b128 v[76:79], v104 offset:3072
.LBB114_71:                             ;   in Loop: Header=BB114_15 Depth=2
	s_or_b32 exec_lo, exec_lo, s31
	v_add_nc_u32_e32 v83, 0x600, v83
	s_mov_b32 s31, exec_lo
                                        ; implicit-def: $vgpr75
	s_delay_alu instid0(VALU_DEP_1)
	v_cmpx_lt_u32_e32 0x7fff, v83
	s_xor_b32 s31, exec_lo, s31
	s_cbranch_execz .LBB114_73
; %bb.72:                               ;   in Loop: Header=BB114_15 Depth=2
	v_lshlrev_b64 v[64:65], 1, v[83:84]
	s_delay_alu instid0(VALU_DEP_1) | instskip(NEXT) | instid1(VALU_DEP_2)
	v_add_co_u32 v64, vcc_lo, s8, v64
	v_add_co_ci_u32_e32 v65, vcc_lo, s9, v65, vcc_lo
	global_load_b128 v[72:75], v[64:65], off
.LBB114_73:                             ;   in Loop: Header=BB114_15 Depth=2
	s_and_not1_saveexec_b32 s31, s31
	s_cbranch_execz .LBB114_75
; %bb.74:                               ;   in Loop: Header=BB114_15 Depth=2
	v_add_nc_u32_e32 v64, s19, v104
	s_waitcnt vmcnt(0)
	ds_load_b128 v[72:75], v64 offset:3072
.LBB114_75:                             ;   in Loop: Header=BB114_15 Depth=2
	s_or_b32 exec_lo, exec_lo, s31
	v_add_nc_u32_e32 v83, 0x600, v90
	s_mov_b32 s31, exec_lo
                                        ; implicit-def: $vgpr71
	s_delay_alu instid0(VALU_DEP_1)
	v_cmpx_lt_u32_e32 0x7fff, v83
	s_xor_b32 s31, exec_lo, s31
	s_cbranch_execz .LBB114_77
; %bb.76:                               ;   in Loop: Header=BB114_15 Depth=2
	v_lshlrev_b64 v[64:65], 1, v[83:84]
	s_delay_alu instid0(VALU_DEP_1) | instskip(NEXT) | instid1(VALU_DEP_2)
	v_add_co_u32 v64, vcc_lo, s8, v64
	v_add_co_ci_u32_e32 v65, vcc_lo, s9, v65, vcc_lo
	global_load_b128 v[68:71], v[64:65], off
.LBB114_77:                             ;   in Loop: Header=BB114_15 Depth=2
	s_and_not1_saveexec_b32 s31, s31
	s_cbranch_execz .LBB114_79
; %bb.78:                               ;   in Loop: Header=BB114_15 Depth=2
	v_add_nc_u32_e32 v64, s3, v104
	s_delay_alu instid0(VALU_DEP_1)
	v_add_nc_u32_e32 v65, 0xc00, v64
	v_add_nc_u32_e32 v64, 0xc08, v64
	s_waitcnt vmcnt(0)
	ds_load_2addr_b32 v[68:69], v65 offset1:1
	ds_load_2addr_b32 v[70:71], v64 offset1:1
.LBB114_79:                             ;   in Loop: Header=BB114_15 Depth=2
	s_or_b32 exec_lo, exec_lo, s31
	v_add_nc_u32_e32 v83, 0x600, v88
	s_mov_b32 s31, exec_lo
                                        ; implicit-def: $vgpr67
	s_delay_alu instid0(VALU_DEP_1)
	v_cmpx_lt_u32_e32 0x7fff, v83
	s_xor_b32 s31, exec_lo, s31
	s_cbranch_execz .LBB114_81
; %bb.80:                               ;   in Loop: Header=BB114_15 Depth=2
	v_lshlrev_b64 v[64:65], 1, v[83:84]
	s_delay_alu instid0(VALU_DEP_1) | instskip(NEXT) | instid1(VALU_DEP_2)
	v_add_co_u32 v64, vcc_lo, s8, v64
	v_add_co_ci_u32_e32 v65, vcc_lo, s9, v65, vcc_lo
	global_load_b128 v[64:67], v[64:65], off
.LBB114_81:                             ;   in Loop: Header=BB114_15 Depth=2
	s_and_not1_saveexec_b32 s31, s31
	s_cbranch_execz .LBB114_10
; %bb.82:                               ;   in Loop: Header=BB114_15 Depth=2
	s_waitcnt vmcnt(0)
	v_add_nc_u32_e32 v64, s6, v104
	ds_load_b128 v[64:67], v64 offset:3072
	s_branch .LBB114_10
.LBB114_83:                             ;   in Loop: Header=BB114_8 Depth=1
	v_cvt_i32_f32_e32 v0, v103
	v_cvt_i32_f32_e32 v1, v102
	;; [unrolled: 1-line block ×4, first 2 shown]
	s_delay_alu instid0(VALU_DEP_4) | instskip(NEXT) | instid1(VALU_DEP_4)
	v_cvt_f32_i32_dpp v0, v0 row_shr:8 row_mask:0xf bank_mask:0xf bound_ctrl:1
	v_cvt_f32_i32_dpp v1, v1 row_shr:8 row_mask:0xf bank_mask:0xf bound_ctrl:1
	s_delay_alu instid0(VALU_DEP_4) | instskip(NEXT) | instid1(VALU_DEP_4)
	v_cvt_f32_i32_dpp v3, v3 row_shr:8 row_mask:0xf bank_mask:0xf bound_ctrl:1
	v_cvt_f32_i32_dpp v2, v2 row_shr:8 row_mask:0xf bank_mask:0xf bound_ctrl:1
	s_delay_alu instid0(VALU_DEP_3) | instskip(NEXT) | instid1(VALU_DEP_1)
	v_dual_add_f32 v0, v103, v0 :: v_dual_add_f32 v1, v102, v1
	v_cvt_i32_f32_e32 v4, v0
	s_delay_alu instid0(VALU_DEP_2) | instskip(NEXT) | instid1(VALU_DEP_2)
	v_cvt_i32_f32_e32 v5, v1
	v_cvt_f32_i32_dpp v4, v4 row_shr:4 row_mask:0xf bank_mask:0xf bound_ctrl:1
	v_add_f32_e32 v3, v81, v3
	s_delay_alu instid0(VALU_DEP_3) | instskip(NEXT) | instid1(VALU_DEP_3)
	v_cvt_f32_i32_dpp v5, v5 row_shr:4 row_mask:0xf bank_mask:0xf bound_ctrl:1
	v_add_f32_e32 v0, v0, v4
	s_delay_alu instid0(VALU_DEP_3) | instskip(NEXT) | instid1(VALU_DEP_2)
	v_cvt_i32_f32_e32 v7, v3
	v_cvt_i32_f32_e32 v4, v0
	s_delay_alu instid0(VALU_DEP_2) | instskip(SKIP_1) | instid1(VALU_DEP_3)
	v_cvt_f32_i32_dpp v7, v7 row_shr:4 row_mask:0xf bank_mask:0xf bound_ctrl:1
	v_add_f32_e32 v2, v101, v2
	v_cvt_f32_i32_dpp v4, v4 row_shr:2 row_mask:0xf bank_mask:0xf bound_ctrl:1
	s_delay_alu instid0(VALU_DEP_3) | instskip(NEXT) | instid1(VALU_DEP_3)
	v_add_f32_e32 v3, v3, v7
	v_cvt_i32_f32_e32 v6, v2
	s_delay_alu instid0(VALU_DEP_2) | instskip(NEXT) | instid1(VALU_DEP_2)
	v_cvt_i32_f32_e32 v7, v3
	v_cvt_f32_i32_dpp v6, v6 row_shr:4 row_mask:0xf bank_mask:0xf bound_ctrl:1
	v_add_f32_e32 v1, v1, v5
	s_delay_alu instid0(VALU_DEP_3) | instskip(NEXT) | instid1(VALU_DEP_3)
	v_cvt_f32_i32_dpp v7, v7 row_shr:2 row_mask:0xf bank_mask:0xf bound_ctrl:1
	v_add_f32_e32 v2, v2, v6
	s_delay_alu instid0(VALU_DEP_3) | instskip(NEXT) | instid1(VALU_DEP_2)
	v_cvt_i32_f32_e32 v5, v1
	v_cvt_i32_f32_e32 v6, v2
	s_delay_alu instid0(VALU_DEP_2) | instskip(SKIP_1) | instid1(VALU_DEP_3)
	v_cvt_f32_i32_dpp v5, v5 row_shr:2 row_mask:0xf bank_mask:0xf bound_ctrl:1
	v_add_f32_e32 v0, v0, v4
	v_cvt_f32_i32_dpp v6, v6 row_shr:2 row_mask:0xf bank_mask:0xf bound_ctrl:1
	s_delay_alu instid0(VALU_DEP_3) | instskip(SKIP_1) | instid1(VALU_DEP_4)
	v_add_f32_e32 v1, v1, v5
	v_add_f32_e32 v5, v3, v7
	v_cvt_i32_f32_e32 v3, v0
	s_delay_alu instid0(VALU_DEP_4)
	v_add_f32_e32 v4, v2, v6
	v_xor_b32_e32 v2, 16, v98
	v_cvt_i32_f32_e32 v6, v1
	s_waitcnt vmcnt(0)
	v_cvt_i32_f32_e32 v8, v5
	v_cvt_f32_i32_dpp v3, v3 row_shr:1 row_mask:0xf bank_mask:0xf bound_ctrl:1
	v_cvt_i32_f32_e32 v7, v4
	v_cmp_gt_i32_e32 vcc_lo, 32, v2
	v_cvt_f32_i32_dpp v9, v6 row_shr:1 row_mask:0xf bank_mask:0xf bound_ctrl:1
	v_cvt_f32_i32_dpp v8, v8 row_shr:1 row_mask:0xf bank_mask:0xf bound_ctrl:1
	v_add_f32_e32 v6, v0, v3
	v_cvt_f32_i32_dpp v7, v7 row_shr:1 row_mask:0xf bank_mask:0xf bound_ctrl:1
	v_cndmask_b32_e32 v2, v98, v2, vcc_lo
	s_delay_alu instid0(VALU_DEP_2) | instskip(NEXT) | instid1(VALU_DEP_2)
	v_dual_add_f32 v0, v5, v8 :: v_dual_add_f32 v3, v4, v7
	v_lshlrev_b32_e32 v10, 2, v2
	v_add_f32_e32 v2, v1, v9
	ds_bpermute_b32 v7, v10, v6
	ds_bpermute_b32 v4, v10, v2
	;; [unrolled: 1-line block ×4, first 2 shown]
	s_and_saveexec_b32 s1, s0
	s_cbranch_execz .LBB114_7
; %bb.84:                               ;   in Loop: Header=BB114_8 Depth=1
	v_dual_mov_b32 v8, 0 :: v_dual_mov_b32 v9, 0
	v_dual_mov_b32 v10, 0 :: v_dual_mov_b32 v11, 0
	s_and_not1_b32 vcc_lo, exec_lo, s23
	s_cbranch_vccnz .LBB114_86
; %bb.85:                               ;   in Loop: Header=BB114_8 Depth=1
	v_mul_hi_u32 v8, v80, v100
	s_delay_alu instid0(VALU_DEP_1) | instskip(NEXT) | instid1(VALU_DEP_1)
	v_mul_lo_u32 v8, v8, s10
	v_sub_nc_u32_e32 v8, v80, v8
	s_delay_alu instid0(VALU_DEP_1) | instskip(SKIP_1) | instid1(VALU_DEP_2)
	v_subrev_nc_u32_e32 v9, s10, v8
	v_cmp_le_u32_e32 vcc_lo, s10, v8
	v_cndmask_b32_e32 v8, v8, v9, vcc_lo
	s_delay_alu instid0(VALU_DEP_1) | instskip(SKIP_1) | instid1(VALU_DEP_2)
	v_subrev_nc_u32_e32 v9, s10, v8
	v_cmp_le_u32_e32 vcc_lo, s10, v8
	v_cndmask_b32_e32 v83, v8, v9, vcc_lo
	v_mov_b32_e32 v9, v84
	s_delay_alu instid0(VALU_DEP_2) | instskip(SKIP_3) | instid1(VALU_DEP_4)
	v_dual_mov_b32 v11, v84 :: v_dual_add_nc_u32 v10, s26, v83
	v_add_nc_u32_e32 v8, s25, v83
	v_lshlrev_b64 v[12:13], 1, v[83:84]
	v_add_nc_u32_e32 v83, s27, v83
	v_lshlrev_b64 v[10:11], 1, v[10:11]
	s_delay_alu instid0(VALU_DEP_4) | instskip(NEXT) | instid1(VALU_DEP_4)
	v_lshlrev_b64 v[8:9], 1, v[8:9]
	v_add_co_u32 v12, vcc_lo, s12, v12
	v_add_co_ci_u32_e32 v13, vcc_lo, s13, v13, vcc_lo
	v_lshlrev_b64 v[14:15], 1, v[83:84]
	s_delay_alu instid0(VALU_DEP_4)
	v_add_co_u32 v8, vcc_lo, s12, v8
	v_add_co_ci_u32_e32 v9, vcc_lo, s13, v9, vcc_lo
	v_add_co_u32 v16, vcc_lo, s12, v10
	v_add_co_ci_u32_e32 v17, vcc_lo, s13, v11, vcc_lo
	;; [unrolled: 2-line block ×3, first 2 shown]
	s_clause 0x3
	global_load_u16 v11, v[12:13], off
	global_load_u16 v10, v[8:9], off
	;; [unrolled: 1-line block ×4, first 2 shown]
.LBB114_86:                             ;   in Loop: Header=BB114_8 Depth=1
	v_cmp_ne_u32_e32 vcc_lo, 0, v95
	s_and_b32 exec_lo, exec_lo, vcc_lo
	s_cbranch_execz .LBB114_7
; %bb.87:                               ;   in Loop: Header=BB114_8 Depth=1
	s_waitcnt lgkmcnt(0)
	v_dual_add_f32 v6, v6, v7 :: v_dual_mov_b32 v81, v84
	s_waitcnt vmcnt(3)
	v_cvt_f32_f16_e32 v7, v11
	v_add_nc_u32_e32 v83, s7, v80
	v_add_f32_e32 v2, v2, v4
	v_add_f32_e32 v4, v3, v5
	s_waitcnt vmcnt(2)
	v_cvt_f32_f16_e32 v5, v10
	v_dual_add_f32 v3, v6, v7 :: v_dual_add_f32 v6, v0, v1
	s_waitcnt vmcnt(1)
	v_cvt_f32_f16_e32 v7, v9
	v_lshlrev_b64 v[0:1], 1, v[80:81]
	v_add_f32_e32 v5, v2, v5
	v_cvt_f16_f32_e32 v10, v3
	v_lshlrev_b64 v[2:3], 1, v[83:84]
	v_add_nc_u32_e32 v83, s7, v83
	s_waitcnt vmcnt(0)
	v_cvt_f32_f16_e32 v8, v8
	v_cvt_f16_f32_e32 v9, v5
	v_add_f32_e32 v7, v4, v7
	v_add_co_u32 v0, vcc_lo, s16, v0
	s_delay_alu instid0(VALU_DEP_4)
	v_add_f32_e32 v8, v6, v8
	v_lshlrev_b64 v[4:5], 1, v[83:84]
	v_add_nc_u32_e32 v83, s7, v83
	v_add_co_ci_u32_e32 v1, vcc_lo, s17, v1, vcc_lo
	v_add_co_u32 v2, vcc_lo, s16, v2
	v_cvt_f16_f32_e32 v11, v7
	s_delay_alu instid0(VALU_DEP_4) | instskip(SKIP_3) | instid1(VALU_DEP_4)
	v_lshlrev_b64 v[6:7], 1, v[83:84]
	v_add_co_ci_u32_e32 v3, vcc_lo, s17, v3, vcc_lo
	v_add_co_u32 v4, vcc_lo, s16, v4
	v_add_co_ci_u32_e32 v5, vcc_lo, s17, v5, vcc_lo
	v_add_co_u32 v6, vcc_lo, s16, v6
	v_cvt_f16_f32_e32 v8, v8
	v_add_co_ci_u32_e32 v7, vcc_lo, s17, v7, vcc_lo
	s_clause 0x3
	global_store_b16 v[0:1], v10, off
	global_store_b16 v[2:3], v9, off
	global_store_b16 v[4:5], v11, off
	global_store_b16 v[6:7], v8, off
	s_branch .LBB114_7
.LBB114_88:
	s_nop 0
	s_sendmsg sendmsg(MSG_DEALLOC_VGPRS)
	s_endpgm
	.section	.rodata,"a",@progbits
	.p2align	6, 0x0
	.amdhsa_kernel _Z12wvSplitK_hf_I6__halfLi64ELi1ELi16ELi8ELi4ELi4EEviiiiiiPKT_S3_S3_PS1_ii
		.amdhsa_group_segment_fixed_size 65536
		.amdhsa_private_segment_fixed_size 0
		.amdhsa_kernarg_size 64
		.amdhsa_user_sgpr_count 15
		.amdhsa_user_sgpr_dispatch_ptr 0
		.amdhsa_user_sgpr_queue_ptr 0
		.amdhsa_user_sgpr_kernarg_segment_ptr 1
		.amdhsa_user_sgpr_dispatch_id 0
		.amdhsa_user_sgpr_private_segment_size 0
		.amdhsa_wavefront_size32 1
		.amdhsa_uses_dynamic_stack 0
		.amdhsa_enable_private_segment 0
		.amdhsa_system_sgpr_workgroup_id_x 1
		.amdhsa_system_sgpr_workgroup_id_y 0
		.amdhsa_system_sgpr_workgroup_id_z 0
		.amdhsa_system_sgpr_workgroup_info 0
		.amdhsa_system_vgpr_workitem_id 1
		.amdhsa_next_free_vgpr 107
		.amdhsa_next_free_sgpr 32
		.amdhsa_reserve_vcc 1
		.amdhsa_float_round_mode_32 0
		.amdhsa_float_round_mode_16_64 0
		.amdhsa_float_denorm_mode_32 3
		.amdhsa_float_denorm_mode_16_64 3
		.amdhsa_dx10_clamp 1
		.amdhsa_ieee_mode 1
		.amdhsa_fp16_overflow 0
		.amdhsa_workgroup_processor_mode 1
		.amdhsa_memory_ordered 1
		.amdhsa_forward_progress 0
		.amdhsa_shared_vgpr_count 0
		.amdhsa_exception_fp_ieee_invalid_op 0
		.amdhsa_exception_fp_denorm_src 0
		.amdhsa_exception_fp_ieee_div_zero 0
		.amdhsa_exception_fp_ieee_overflow 0
		.amdhsa_exception_fp_ieee_underflow 0
		.amdhsa_exception_fp_ieee_inexact 0
		.amdhsa_exception_int_div_zero 0
	.end_amdhsa_kernel
	.section	.text._Z12wvSplitK_hf_I6__halfLi64ELi1ELi16ELi8ELi4ELi4EEviiiiiiPKT_S3_S3_PS1_ii,"axG",@progbits,_Z12wvSplitK_hf_I6__halfLi64ELi1ELi16ELi8ELi4ELi4EEviiiiiiPKT_S3_S3_PS1_ii,comdat
.Lfunc_end114:
	.size	_Z12wvSplitK_hf_I6__halfLi64ELi1ELi16ELi8ELi4ELi4EEviiiiiiPKT_S3_S3_PS1_ii, .Lfunc_end114-_Z12wvSplitK_hf_I6__halfLi64ELi1ELi16ELi8ELi4ELi4EEviiiiiiPKT_S3_S3_PS1_ii
                                        ; -- End function
	.section	.AMDGPU.csdata,"",@progbits
; Kernel info:
; codeLenInByte = 5536
; NumSgprs: 34
; NumVgprs: 107
; ScratchSize: 0
; MemoryBound: 0
; FloatMode: 240
; IeeeMode: 1
; LDSByteSize: 65536 bytes/workgroup (compile time only)
; SGPRBlocks: 4
; VGPRBlocks: 13
; NumSGPRsForWavesPerEU: 34
; NumVGPRsForWavesPerEU: 107
; Occupancy: 12
; WaveLimiterHint : 0
; COMPUTE_PGM_RSRC2:SCRATCH_EN: 0
; COMPUTE_PGM_RSRC2:USER_SGPR: 15
; COMPUTE_PGM_RSRC2:TRAP_HANDLER: 0
; COMPUTE_PGM_RSRC2:TGID_X_EN: 1
; COMPUTE_PGM_RSRC2:TGID_Y_EN: 0
; COMPUTE_PGM_RSRC2:TGID_Z_EN: 0
; COMPUTE_PGM_RSRC2:TIDIG_COMP_CNT: 1
	.section	.text._Z16wvSplitK_hf_big_I6__halfLi64ELi1ELi16ELi8ELi4ELi4EEviiiiiiPKT_S3_S3_PS1_ii,"axG",@progbits,_Z16wvSplitK_hf_big_I6__halfLi64ELi1ELi16ELi8ELi4ELi4EEviiiiiiPKT_S3_S3_PS1_ii,comdat
	.protected	_Z16wvSplitK_hf_big_I6__halfLi64ELi1ELi16ELi8ELi4ELi4EEviiiiiiPKT_S3_S3_PS1_ii ; -- Begin function _Z16wvSplitK_hf_big_I6__halfLi64ELi1ELi16ELi8ELi4ELi4EEviiiiiiPKT_S3_S3_PS1_ii
	.globl	_Z16wvSplitK_hf_big_I6__halfLi64ELi1ELi16ELi8ELi4ELi4EEviiiiiiPKT_S3_S3_PS1_ii
	.p2align	8
	.type	_Z16wvSplitK_hf_big_I6__halfLi64ELi1ELi16ELi8ELi4ELi4EEviiiiiiPKT_S3_S3_PS1_ii,@function
_Z16wvSplitK_hf_big_I6__halfLi64ELi1ELi16ELi8ELi4ELi4EEviiiiiiPKT_S3_S3_PS1_ii: ; @_Z16wvSplitK_hf_big_I6__halfLi64ELi1ELi16ELi8ELi4ELi4EEviiiiiiPKT_S3_S3_PS1_ii
; %bb.0:
	s_load_b64 s[20:21], s[0:1], 0x38
	v_bfe_u32 v1, v0, 10, 10
	s_mov_b32 s2, exec_lo
	s_waitcnt lgkmcnt(0)
	s_delay_alu instid0(VALU_DEP_1)
	v_cmpx_gt_u32_e64 s20, v1
	s_cbranch_execz .LBB115_38
; %bb.1:
	s_load_b128 s[16:19], s[0:1], 0x0
	v_mad_u64_u32 v[80:81], null, s15, s20, v[1:2]
	s_delay_alu instid0(VALU_DEP_1) | instskip(SKIP_2) | instid1(VALU_DEP_2)
	v_dual_mov_b32 v87, 1 :: v_dual_add_nc_u32 v2, 1, v80
	s_waitcnt lgkmcnt(0)
	v_cmp_gt_u32_e32 vcc_lo, s19, v80
	v_cmp_le_u32_e64 s2, s19, v2
	s_delay_alu instid0(VALU_DEP_1) | instskip(NEXT) | instid1(SALU_CYCLE_1)
	s_and_b32 s3, vcc_lo, s2
	s_and_saveexec_b32 s2, s3
; %bb.2:
	v_subrev_nc_u32_e32 v2, s19, v80
	s_add_i32 s3, s19, -1
	s_delay_alu instid0(SALU_CYCLE_1) | instskip(NEXT) | instid1(VALU_DEP_2)
	v_mov_b32_e32 v80, s3
	v_cmp_eq_u32_e32 vcc_lo, -1, v2
	v_cndmask_b32_e64 v87, 0, 1, vcc_lo
; %bb.3:
	s_or_b32 exec_lo, exec_lo, s2
	s_abs_i32 s2, s20
	s_abs_i32 s5, s19
	v_cvt_f32_u32_e32 v2, s2
	s_sub_i32 s4, 0, s2
	s_mov_b32 s14, 0
	s_delay_alu instid0(VALU_DEP_1) | instskip(SKIP_2) | instid1(VALU_DEP_1)
	v_rcp_iflag_f32_e32 v2, v2
	s_waitcnt_depctr 0xfff
	v_mul_f32_e32 v2, 0x4f7ffffe, v2
	v_cvt_u32_f32_e32 v2, v2
	s_delay_alu instid0(VALU_DEP_1) | instskip(NEXT) | instid1(VALU_DEP_1)
	v_readfirstlane_b32 s3, v2
	s_mul_i32 s4, s4, s3
	s_delay_alu instid0(SALU_CYCLE_1) | instskip(NEXT) | instid1(SALU_CYCLE_1)
	s_mul_hi_u32 s4, s3, s4
	s_add_i32 s3, s3, s4
	s_ashr_i32 s4, s19, 31
	s_mul_hi_u32 s3, s5, s3
	s_delay_alu instid0(SALU_CYCLE_1) | instskip(NEXT) | instid1(SALU_CYCLE_1)
	s_mul_i32 s3, s3, s2
	s_sub_i32 s3, s5, s3
	s_delay_alu instid0(SALU_CYCLE_1) | instskip(SKIP_2) | instid1(SALU_CYCLE_1)
	s_sub_i32 s5, s3, s2
	s_cmp_ge_u32 s3, s2
	s_cselect_b32 s3, s5, s3
	s_sub_i32 s5, s3, s2
	s_cmp_ge_u32 s3, s2
	s_cselect_b32 s2, s5, s3
	s_add_i32 s3, s20, s19
	s_xor_b32 s2, s2, s4
	s_delay_alu instid0(SALU_CYCLE_1) | instskip(NEXT) | instid1(SALU_CYCLE_1)
	s_sub_i32 s2, s2, s4
	s_sub_i32 s3, s3, s2
	s_cmp_eq_u32 s2, 0
	s_cselect_b32 s3, s19, s3
	s_delay_alu instid0(SALU_CYCLE_1)
	v_cmp_gt_u32_e32 vcc_lo, s3, v80
	s_and_b32 exec_lo, exec_lo, vcc_lo
	s_cbranch_execz .LBB115_38
; %bb.4:
	s_load_b256 s[4:11], s[0:1], 0x10
	s_min_u32 s15, s18, 0x2000
	s_cmp_lg_u32 s16, 0
	v_dual_mov_b32 v83, 0 :: v_dual_and_b32 v0, 0x3ff, v0
	s_cselect_b32 s22, -1, 0
	s_cmp_lg_u32 s18, 0
	s_load_b64 s[12:13], s[0:1], 0x30
	s_cselect_b32 s23, -1, 0
	s_lshl_b32 s24, s20, 9
	s_add_i32 s25, s16, -8
	s_add_i32 s26, s19, -1
	v_cmp_eq_u32_e64 s0, 63, v0
	v_mbcnt_lo_u32_b32 v88, -1, 0
	v_lshlrev_b32_e32 v89, 3, v0
	v_lshlrev_b32_e32 v0, 4, v0
	s_delay_alu instid0(VALU_DEP_2)
	v_lshl_add_u32 v84, v1, 9, v89
	s_waitcnt lgkmcnt(0)
	s_cmp_lg_u64 s[10:11], 0
	v_cvt_f32_u32_e32 v3, s4
	s_cselect_b32 s27, -1, 0
	s_abs_i32 s2, s5
	s_mul_i32 s5, s21, s20
	v_cvt_f32_u32_e32 v2, s2
	v_rcp_iflag_f32_e32 v3, v3
	s_sub_i32 s30, 0, s2
	s_sub_i32 s28, s5, s19
	;; [unrolled: 1-line block ×3, first 2 shown]
	v_rcp_iflag_f32_e32 v2, v2
	s_add_i32 s28, s28, 2
	s_sub_i32 s31, 1, s2
	v_lshl_add_u32 v90, v1, 10, v0
	s_mul_i32 s21, s15, 6
	v_mad_u64_u32 v[85:86], null, s18, 3, v[84:85]
	v_lshl_add_u32 v91, s18, 1, v84
	v_add_nc_u32_e32 v86, s18, v84
	s_waitcnt_depctr 0xfff
	v_mul_f32_e32 v2, 0x4f7ffffe, v2
	s_delay_alu instid0(VALU_DEP_1) | instskip(NEXT) | instid1(VALU_DEP_1)
	v_cvt_u32_f32_e32 v2, v2
	v_readfirstlane_b32 s1, v2
	v_mul_f32_e32 v2, 0x4f7ffffe, v3
	s_delay_alu instid0(VALU_DEP_2) | instskip(NEXT) | instid1(VALU_DEP_1)
	s_mul_i32 s30, s30, s1
	v_cvt_u32_f32_e32 v0, v2
	s_mul_hi_u32 s30, s1, s30
	s_delay_alu instid0(SALU_CYCLE_1) | instskip(SKIP_1) | instid1(VALU_DEP_1)
	s_add_i32 s1, s1, s30
	s_cmp_lt_u32 s2, 2
	v_mul_lo_u32 v1, s29, v0
	s_cselect_b32 s30, s31, 1
	s_delay_alu instid0(SALU_CYCLE_1)
	s_sub_i32 s31, s30, s2
	s_cmp_ge_u32 s30, s2
	s_cselect_b32 s30, s31, s30
	s_lshr_b32 s31, s1, 31
	s_mul_hi_u32 s1, s1, 3
	s_mul_i32 s31, s31, s2
	s_mul_i32 s1, s1, s2
	s_sub_i32 s29, 2, s31
	v_mul_hi_u32 v1, v0, v1
	s_sub_i32 s31, s29, s2
	s_cmp_ge_u32 s29, s2
	s_cselect_b32 s29, s31, s29
	s_delay_alu instid0(SALU_CYCLE_1) | instskip(SKIP_1) | instid1(VALU_DEP_1)
	s_sub_i32 s31, s29, s2
	s_cmp_ge_u32 s29, s2
	v_add_nc_u32_e32 v92, v0, v1
	s_cselect_b32 s31, s31, s29
	s_sub_i32 s1, 3, s1
	s_delay_alu instid0(SALU_CYCLE_1)
	s_sub_i32 s29, s1, s2
	s_cmp_ge_u32 s1, s2
	s_cselect_b32 s1, s29, s1
	s_mul_i32 s29, s30, s4
	s_sub_i32 s33, s1, s2
	s_cmp_ge_u32 s1, s2
	s_mul_i32 s30, s31, s4
	s_cselect_b32 s33, s33, s1
	s_lshl_b32 s20, s20, 10
	s_lshl_b32 s31, s15, 2
	s_mul_i32 s33, s33, s4
	s_lshl_b32 s34, s15, 1
	s_branch .LBB115_7
.LBB115_5:                              ;   in Loop: Header=BB115_7 Depth=1
	s_or_b32 exec_lo, exec_lo, s1
.LBB115_6:                              ;   in Loop: Header=BB115_7 Depth=1
	s_delay_alu instid0(SALU_CYCLE_1) | instskip(NEXT) | instid1(VALU_DEP_1)
	s_or_b32 exec_lo, exec_lo, s2
	v_cmp_le_u32_e32 vcc_lo, s3, v0
	v_mov_b32_e32 v80, v0
	s_or_b32 s14, vcc_lo, s14
	s_delay_alu instid0(SALU_CYCLE_1)
	s_and_not1_b32 exec_lo, exec_lo, s14
	s_cbranch_execz .LBB115_38
.LBB115_7:                              ; =>This Loop Header: Depth=1
                                        ;     Child Loop BB115_14 Depth 2
                                        ;       Child Loop BB115_19 Depth 3
	v_mov_b32_e32 v95, v83
	v_mov_b32_e32 v94, v83
	;; [unrolled: 1-line block ×4, first 2 shown]
	s_and_not1_b32 vcc_lo, exec_lo, s22
	s_mov_b32 s35, 0
	s_cbranch_vccnz .LBB115_28
; %bb.8:                                ;   in Loop: Header=BB115_7 Depth=1
	v_min_u32_e32 v0, s26, v80
	v_cmp_gt_u32_e64 s1, s19, v80
	v_dual_mov_b32 v81, 0 :: v_dual_mov_b32 v94, 0
	v_mov_b32_e32 v93, 0
	s_delay_alu instid0(VALU_DEP_4) | instskip(SKIP_2) | instid1(VALU_DEP_2)
	v_mul_lo_u32 v82, v0, s17
	v_mov_b32_e32 v95, 0
	s_mov_b32 s36, 0
	v_lshlrev_b64 v[0:1], 1, v[82:83]
	s_delay_alu instid0(VALU_DEP_1) | instskip(NEXT) | instid1(VALU_DEP_2)
	v_add_co_u32 v96, vcc_lo, s6, v0
	v_add_co_ci_u32_e32 v97, vcc_lo, s7, v1, vcc_lo
	s_branch .LBB115_14
.LBB115_9:                              ;   in Loop: Header=BB115_14 Depth=2
	s_or_b32 exec_lo, exec_lo, s40
.LBB115_10:                             ;   in Loop: Header=BB115_14 Depth=2
	s_delay_alu instid0(SALU_CYCLE_1)
	s_or_b32 exec_lo, exec_lo, s39
.LBB115_11:                             ;   in Loop: Header=BB115_14 Depth=2
	s_delay_alu instid0(SALU_CYCLE_1)
	s_or_b32 exec_lo, exec_lo, s38
.LBB115_12:                             ;   in Loop: Header=BB115_14 Depth=2
	s_delay_alu instid0(SALU_CYCLE_1)
	s_or_b32 exec_lo, exec_lo, s37
	s_waitcnt vmcnt(3) lgkmcnt(3)
	;;#ASMSTART
	v_dot2_f32_f16 v95, v72, v40, v95
	;;#ASMEND
	s_waitcnt lgkmcnt(2)
	;;#ASMSTART
	v_dot2_f32_f16 v94, v64, v40, v94
	;;#ASMEND
	s_waitcnt lgkmcnt(1)
	;; [unrolled: 4-line block ×3, first 2 shown]
	;;#ASMSTART
	v_dot2_f32_f16 v81, v76, v40, v81
	;;#ASMEND
	;;#ASMSTART
	v_dot2_f32_f16 v95, v73, v41, v95
	;;#ASMEND
	;;#ASMSTART
	v_dot2_f32_f16 v94, v65, v41, v94
	;;#ASMEND
	;;#ASMSTART
	v_dot2_f32_f16 v93, v69, v41, v93
	;;#ASMEND
	;;#ASMSTART
	v_dot2_f32_f16 v81, v77, v41, v81
	;;#ASMEND
	;;#ASMSTART
	v_dot2_f32_f16 v95, v74, v42, v95
	;;#ASMEND
	;;#ASMSTART
	v_dot2_f32_f16 v94, v66, v42, v94
	;;#ASMEND
	;;#ASMSTART
	v_dot2_f32_f16 v93, v70, v42, v93
	;;#ASMEND
	;;#ASMSTART
	v_dot2_f32_f16 v81, v78, v42, v81
	;;#ASMEND
	;;#ASMSTART
	v_dot2_f32_f16 v95, v75, v43, v95
	;;#ASMEND
	;;#ASMSTART
	v_dot2_f32_f16 v94, v67, v43, v94
	;;#ASMEND
	;;#ASMSTART
	v_dot2_f32_f16 v93, v71, v43, v93
	;;#ASMEND
	;;#ASMSTART
	v_dot2_f32_f16 v81, v79, v43, v81
	;;#ASMEND
	s_waitcnt vmcnt(2)
	;;#ASMSTART
	v_dot2_f32_f16 v95, v60, v16, v95
	;;#ASMEND
	;;#ASMSTART
	v_dot2_f32_f16 v94, v56, v16, v94
	;;#ASMEND
	;;#ASMSTART
	v_dot2_f32_f16 v93, v52, v16, v93
	;;#ASMEND
	;;#ASMSTART
	v_dot2_f32_f16 v81, v44, v16, v81
	;;#ASMEND
	;;#ASMSTART
	v_dot2_f32_f16 v95, v61, v17, v95
	;;#ASMEND
	;;#ASMSTART
	v_dot2_f32_f16 v94, v57, v17, v94
	;;#ASMEND
	;;#ASMSTART
	v_dot2_f32_f16 v93, v53, v17, v93
	;;#ASMEND
	;;#ASMSTART
	v_dot2_f32_f16 v81, v45, v17, v81
	;;#ASMEND
	;;#ASMSTART
	v_dot2_f32_f16 v95, v62, v18, v95
	;;#ASMEND
	;;#ASMSTART
	v_dot2_f32_f16 v94, v58, v18, v94
	;;#ASMEND
	;;#ASMSTART
	v_dot2_f32_f16 v93, v54, v18, v93
	;;#ASMEND
	;;#ASMSTART
	v_dot2_f32_f16 v81, v46, v18, v81
	;;#ASMEND
	;;#ASMSTART
	v_dot2_f32_f16 v95, v63, v19, v95
	;;#ASMEND
	;;#ASMSTART
	v_dot2_f32_f16 v94, v59, v19, v94
	;;#ASMEND
	;;#ASMSTART
	v_dot2_f32_f16 v93, v55, v19, v93
	;;#ASMEND
	;;#ASMSTART
	v_dot2_f32_f16 v81, v47, v19, v81
	;;#ASMEND
	s_waitcnt vmcnt(1)
	;;#ASMSTART
	v_dot2_f32_f16 v95, v48, v4, v95
	;;#ASMEND
	;;#ASMSTART
	v_dot2_f32_f16 v94, v36, v4, v94
	;;#ASMEND
	;;#ASMSTART
	v_dot2_f32_f16 v93, v32, v4, v93
	;;#ASMEND
	;; [unrolled: 49-line block ×3, first 2 shown]
	;;#ASMSTART
	v_dot2_f32_f16 v81, v8, v0, v81
	;;#ASMEND
	;;#ASMSTART
	v_dot2_f32_f16 v95, v29, v1, v95
	;;#ASMEND
	;; [unrolled: 3-line block ×13, first 2 shown]
.LBB115_13:                             ;   in Loop: Header=BB115_14 Depth=2
	s_or_b32 exec_lo, exec_lo, s2
	s_addk_i32 s36, 0x800
	s_delay_alu instid0(SALU_CYCLE_1)
	s_cmp_ge_u32 s36, s16
	s_cbranch_scc1 .LBB115_28
.LBB115_14:                             ;   Parent Loop BB115_7 Depth=1
                                        ; =>  This Loop Header: Depth=2
                                        ;       Child Loop BB115_19 Depth 3
	s_cmp_eq_u32 s36, 0
	s_cselect_b32 s37, -1, 0
	s_add_i32 s2, s35, s15
	s_delay_alu instid0(SALU_CYCLE_1) | instskip(SKIP_1) | instid1(SALU_CYCLE_1)
	s_cmp_eq_u32 s36, s2
	s_cselect_b32 s38, -1, 0
	s_or_b32 s38, s37, s38
	s_delay_alu instid0(SALU_CYCLE_1)
	s_and_not1_b32 vcc_lo, exec_lo, s38
	s_cbranch_vccz .LBB115_16
; %bb.15:                               ;   in Loop: Header=BB115_14 Depth=2
	s_and_saveexec_b32 s2, s1
	s_cbranch_execz .LBB115_13
	s_branch .LBB115_23
.LBB115_16:                             ;   in Loop: Header=BB115_14 Depth=2
	s_and_b32 s37, s37, exec_lo
	s_cselect_b32 s35, s35, s2
	s_and_not1_b32 vcc_lo, exec_lo, s23
	s_waitcnt vmcnt(0)
	s_waitcnt_vscnt null, 0x0
	s_barrier
	buffer_gl0_inv
	s_cbranch_vccnz .LBB115_22
; %bb.17:                               ;   in Loop: Header=BB115_14 Depth=2
	v_add_nc_u32_e32 v0, s35, v91
	v_dual_mov_b32 v4, v90 :: v_dual_add_nc_u32 v1, s35, v85
	v_add_nc_u32_e32 v2, s35, v86
	v_add_nc_u32_e32 v3, s35, v84
	s_mov_b32 s37, 0
	s_mov_b32 s38, 0
                                        ; implicit-def: $sgpr39
	s_branch .LBB115_19
.LBB115_18:                             ;   in Loop: Header=BB115_19 Depth=3
	s_or_b32 exec_lo, exec_lo, s2
	s_delay_alu instid0(SALU_CYCLE_1) | instskip(NEXT) | instid1(SALU_CYCLE_1)
	s_and_b32 s2, exec_lo, s39
	s_or_b32 s37, s2, s37
	s_delay_alu instid0(SALU_CYCLE_1)
	s_and_not1_b32 exec_lo, exec_lo, s37
	s_cbranch_execz .LBB115_21
.LBB115_19:                             ;   Parent Loop BB115_7 Depth=1
                                        ;     Parent Loop BB115_14 Depth=2
                                        ; =>    This Inner Loop Header: Depth=3
	s_delay_alu instid0(VALU_DEP_1) | instskip(SKIP_2) | instid1(VALU_DEP_2)
	v_add_nc_u32_e32 v82, s38, v3
	v_add_nc_u32_e32 v5, s38, v84
	s_or_b32 s39, s39, exec_lo
	v_cmp_gt_u32_e32 vcc_lo, s18, v82
	s_delay_alu instid0(VALU_DEP_2) | instskip(NEXT) | instid1(VALU_DEP_1)
	v_cmp_gt_u32_e64 s2, s15, v5
	s_and_b32 s40, s2, vcc_lo
	s_delay_alu instid0(SALU_CYCLE_1)
	s_and_saveexec_b32 s2, s40
	s_cbranch_execz .LBB115_18
; %bb.20:                               ;   in Loop: Header=BB115_19 Depth=3
	v_lshlrev_b64 v[5:6], 1, v[82:83]
	v_add_nc_u32_e32 v82, s38, v2
	v_add_nc_u32_e32 v21, s34, v4
	;; [unrolled: 1-line block ×3, first 2 shown]
	s_delay_alu instid0(VALU_DEP_3) | instskip(SKIP_3) | instid1(VALU_DEP_3)
	v_lshlrev_b64 v[7:8], 1, v[82:83]
	v_add_nc_u32_e32 v82, s38, v0
	v_add_co_u32 v5, vcc_lo, s8, v5
	v_add_co_ci_u32_e32 v6, vcc_lo, s9, v6, vcc_lo
	v_lshlrev_b64 v[13:14], 1, v[82:83]
	v_add_nc_u32_e32 v82, s38, v1
	v_add_co_u32 v9, vcc_lo, s8, v7
	v_add_co_ci_u32_e32 v10, vcc_lo, s9, v8, vcc_lo
	s_delay_alu instid0(VALU_DEP_3)
	v_lshlrev_b64 v[15:16], 1, v[82:83]
	v_add_co_u32 v13, vcc_lo, s8, v13
	v_add_co_ci_u32_e32 v14, vcc_lo, s9, v14, vcc_lo
	s_clause 0x1
	global_load_b128 v[5:8], v[5:6], off
	global_load_b128 v[9:12], v[9:10], off
	v_add_co_u32 v17, vcc_lo, s8, v15
	v_add_co_ci_u32_e32 v18, vcc_lo, s9, v16, vcc_lo
	s_clause 0x1
	global_load_b128 v[13:16], v[13:14], off
	global_load_b128 v[17:20], v[17:18], off
	s_add_i32 s38, s38, s24
	s_waitcnt vmcnt(3)
	ds_store_b128 v4, v[5:8]
	s_waitcnt vmcnt(2)
	ds_store_2addr_b64 v21, v[9:10], v[11:12] offset1:1
	s_cmp_ge_u32 s38, s15
	v_add_nc_u32_e32 v5, s21, v4
	s_cselect_b32 s40, -1, 0
	v_add_nc_u32_e32 v4, s20, v4
	s_and_not1_b32 s39, s39, exec_lo
	s_and_b32 s40, s40, exec_lo
	s_waitcnt vmcnt(1)
	ds_store_2addr_b32 v22, v13, v14 offset1:1
	ds_store_2addr_b32 v22, v15, v16 offset0:2 offset1:3
	s_or_b32 s39, s39, s40
	s_waitcnt vmcnt(0)
	ds_store_2addr_b64 v5, v[17:18], v[19:20] offset1:1
	s_branch .LBB115_18
.LBB115_21:                             ;   in Loop: Header=BB115_14 Depth=2
	s_or_b32 exec_lo, exec_lo, s37
.LBB115_22:                             ;   in Loop: Header=BB115_14 Depth=2
	s_waitcnt lgkmcnt(0)
	s_barrier
	buffer_gl0_inv
	s_and_saveexec_b32 s2, s1
	s_cbranch_execz .LBB115_13
.LBB115_23:                             ;   in Loop: Header=BB115_14 Depth=2
	v_dual_mov_b32 v73, 0 :: v_dual_add_nc_u32 v100, s36, v89
	v_dual_mov_b32 v60, 0 :: v_dual_mov_b32 v61, 0
	v_dual_mov_b32 v62, 0 :: v_dual_mov_b32 v63, 0
	s_delay_alu instid0(VALU_DEP_3) | instskip(SKIP_2) | instid1(VALU_DEP_3)
	v_min_u32_e32 v82, s25, v100
	v_dual_mov_b32 v72, 0 :: v_dual_add_nc_u32 v101, 0x200, v100
	v_dual_mov_b32 v74, 0 :: v_dual_add_nc_u32 v99, 0x400, v100
	v_lshlrev_b64 v[0:1], 1, v[82:83]
	s_delay_alu instid0(VALU_DEP_3) | instskip(SKIP_2) | instid1(VALU_DEP_3)
	v_min_u32_e32 v82, s25, v101
	v_dual_mov_b32 v75, 0 :: v_dual_add_nc_u32 v98, 0x600, v100
	v_dual_mov_b32 v48, 0 :: v_dual_mov_b32 v49, 0
	v_lshlrev_b64 v[2:3], 1, v[82:83]
	v_min_u32_e32 v82, s25, v99
	v_add_co_u32 v0, vcc_lo, v96, v0
	v_add_co_ci_u32_e32 v1, vcc_lo, v97, v1, vcc_lo
	s_delay_alu instid0(VALU_DEP_3) | instskip(SKIP_3) | instid1(VALU_DEP_3)
	v_lshlrev_b64 v[4:5], 1, v[82:83]
	v_min_u32_e32 v82, s25, v98
	v_add_co_u32 v2, vcc_lo, v96, v2
	v_add_co_ci_u32_e32 v3, vcc_lo, v97, v3, vcc_lo
	v_lshlrev_b64 v[6:7], 1, v[82:83]
	v_add_co_u32 v4, vcc_lo, v96, v4
	v_add_co_ci_u32_e32 v5, vcc_lo, v97, v5, vcc_lo
	v_dual_mov_b32 v50, 0 :: v_dual_mov_b32 v51, 0
	s_waitcnt vmcnt(0)
	s_delay_alu instid0(VALU_DEP_4)
	v_add_co_u32 v8, vcc_lo, v96, v6
	v_add_co_ci_u32_e32 v9, vcc_lo, v97, v7, vcc_lo
	s_clause 0x3
	global_load_b128 v[40:43], v[0:1], off slc dlc
	global_load_b128 v[16:19], v[2:3], off slc dlc
	;; [unrolled: 1-line block ×4, first 2 shown]
	v_cmp_gt_u32_e32 vcc_lo, s16, v100
	v_dual_mov_b32 v28, 0 :: v_dual_mov_b32 v29, 0
	v_dual_mov_b32 v30, 0 :: v_dual_mov_b32 v31, 0
	;; [unrolled: 1-line block ×26, first 2 shown]
	s_and_saveexec_b32 s37, vcc_lo
	s_cbranch_execz .LBB115_12
; %bb.24:                               ;   in Loop: Header=BB115_14 Depth=2
	v_subrev_nc_u32_e32 v8, s35, v100
	v_mov_b32_e32 v9, 0
	v_cmp_gt_u32_e32 vcc_lo, s16, v101
	v_dual_mov_b32 v11, 0 :: v_dual_mov_b32 v10, 0
	s_delay_alu instid0(VALU_DEP_4) | instskip(SKIP_2) | instid1(VALU_DEP_3)
	v_lshlrev_b32_e32 v82, 1, v8
	v_dual_mov_b32 v8, 0 :: v_dual_mov_b32 v27, 0
	v_dual_mov_b32 v26, 0 :: v_dual_mov_b32 v25, 0
	v_dual_mov_b32 v47, 0 :: v_dual_add_nc_u32 v100, s34, v82
	v_mov_b32_e32 v46, 0
	v_dual_mov_b32 v24, 0 :: v_dual_mov_b32 v45, 0
	s_delay_alu instid0(VALU_DEP_3) | instskip(SKIP_1) | instid1(VALU_DEP_2)
	v_dual_mov_b32 v44, 0 :: v_dual_add_nc_u32 v101, s34, v100
	v_dual_mov_b32 v15, 0 :: v_dual_mov_b32 v14, 0
	v_dual_mov_b32 v13, 0 :: v_dual_add_nc_u32 v102, s34, v101
	v_mov_b32_e32 v35, 0
	ds_load_b128 v[72:75], v82
	ds_load_b128 v[64:67], v100
	;; [unrolled: 1-line block ×4, first 2 shown]
	v_dual_mov_b32 v12, 0 :: v_dual_mov_b32 v33, 0
	v_dual_mov_b32 v34, 0 :: v_dual_mov_b32 v55, 0
	;; [unrolled: 1-line block ×15, first 2 shown]
	v_mov_b32_e32 v62, 0
	v_mov_b32_e32 v60, 0
	s_and_saveexec_b32 s38, vcc_lo
	s_cbranch_execz .LBB115_11
; %bb.25:                               ;   in Loop: Header=BB115_14 Depth=2
	ds_load_b128 v[60:63], v82 offset:1024
	ds_load_b128 v[56:59], v100 offset:1024
	;; [unrolled: 1-line block ×4, first 2 shown]
	v_cmp_gt_u32_e32 vcc_lo, s16, v99
	v_dual_mov_b32 v11, 0 :: v_dual_mov_b32 v10, 0
	v_dual_mov_b32 v9, 0 :: v_dual_mov_b32 v8, 0
	;; [unrolled: 1-line block ×16, first 2 shown]
	s_and_saveexec_b32 s39, vcc_lo
	s_cbranch_execz .LBB115_10
; %bb.26:                               ;   in Loop: Header=BB115_14 Depth=2
	ds_load_b128 v[48:51], v82 offset:2048
	ds_load_b128 v[36:39], v100 offset:2048
	;; [unrolled: 1-line block ×4, first 2 shown]
	v_dual_mov_b32 v11, 0 :: v_dual_mov_b32 v10, 0
	v_dual_mov_b32 v9, 0 :: v_dual_mov_b32 v8, 0
	;; [unrolled: 1-line block ×8, first 2 shown]
	s_mov_b32 s40, exec_lo
	v_cmpx_gt_u32_e64 s16, v98
	s_cbranch_execz .LBB115_9
; %bb.27:                               ;   in Loop: Header=BB115_14 Depth=2
	ds_load_b128 v[28:31], v82 offset:3072
	ds_load_b128 v[20:23], v100 offset:3072
	;; [unrolled: 1-line block ×4, first 2 shown]
	s_branch .LBB115_9
.LBB115_28:                             ;   in Loop: Header=BB115_7 Depth=1
	s_mov_b32 s1, exec_lo
                                        ; implicit-def: $vgpr0
	v_cmpx_le_u32_e64 s19, v80
	s_xor_b32 s1, exec_lo, s1
; %bb.29:                               ;   in Loop: Header=BB115_7 Depth=1
	v_add_nc_u32_e32 v0, s5, v80
                                        ; implicit-def: $vgpr80
                                        ; implicit-def: $vgpr95
                                        ; implicit-def: $vgpr94
                                        ; implicit-def: $vgpr93
                                        ; implicit-def: $vgpr81
; %bb.30:                               ;   in Loop: Header=BB115_7 Depth=1
	s_and_not1_saveexec_b32 s2, s1
	s_cbranch_execz .LBB115_6
; %bb.31:                               ;   in Loop: Header=BB115_7 Depth=1
	v_cvt_i32_f32_e32 v0, v95
	v_cvt_i32_f32_e32 v1, v94
	;; [unrolled: 1-line block ×4, first 2 shown]
	s_delay_alu instid0(VALU_DEP_4) | instskip(NEXT) | instid1(VALU_DEP_4)
	v_cvt_f32_i32_dpp v0, v0 row_shr:8 row_mask:0xf bank_mask:0xf bound_ctrl:1
	v_cvt_f32_i32_dpp v1, v1 row_shr:8 row_mask:0xf bank_mask:0xf bound_ctrl:1
	s_delay_alu instid0(VALU_DEP_4) | instskip(NEXT) | instid1(VALU_DEP_4)
	v_cvt_f32_i32_dpp v3, v3 row_shr:8 row_mask:0xf bank_mask:0xf bound_ctrl:1
	v_cvt_f32_i32_dpp v2, v2 row_shr:8 row_mask:0xf bank_mask:0xf bound_ctrl:1
	s_delay_alu instid0(VALU_DEP_3) | instskip(NEXT) | instid1(VALU_DEP_1)
	v_dual_add_f32 v0, v95, v0 :: v_dual_add_f32 v1, v94, v1
	v_cvt_i32_f32_e32 v4, v0
	s_delay_alu instid0(VALU_DEP_2) | instskip(NEXT) | instid1(VALU_DEP_2)
	v_cvt_i32_f32_e32 v5, v1
	v_cvt_f32_i32_dpp v4, v4 row_shr:4 row_mask:0xf bank_mask:0xf bound_ctrl:1
	v_add_f32_e32 v3, v81, v3
	s_delay_alu instid0(VALU_DEP_3) | instskip(NEXT) | instid1(VALU_DEP_3)
	v_cvt_f32_i32_dpp v5, v5 row_shr:4 row_mask:0xf bank_mask:0xf bound_ctrl:1
	v_add_f32_e32 v0, v0, v4
	s_delay_alu instid0(VALU_DEP_3) | instskip(NEXT) | instid1(VALU_DEP_2)
	v_cvt_i32_f32_e32 v7, v3
	v_cvt_i32_f32_e32 v4, v0
	s_delay_alu instid0(VALU_DEP_2) | instskip(SKIP_1) | instid1(VALU_DEP_3)
	v_cvt_f32_i32_dpp v7, v7 row_shr:4 row_mask:0xf bank_mask:0xf bound_ctrl:1
	v_add_f32_e32 v2, v93, v2
	v_cvt_f32_i32_dpp v4, v4 row_shr:2 row_mask:0xf bank_mask:0xf bound_ctrl:1
	s_delay_alu instid0(VALU_DEP_3) | instskip(NEXT) | instid1(VALU_DEP_3)
	v_add_f32_e32 v3, v3, v7
	v_cvt_i32_f32_e32 v6, v2
	s_delay_alu instid0(VALU_DEP_2) | instskip(NEXT) | instid1(VALU_DEP_2)
	v_cvt_i32_f32_e32 v7, v3
	v_cvt_f32_i32_dpp v6, v6 row_shr:4 row_mask:0xf bank_mask:0xf bound_ctrl:1
	v_add_f32_e32 v1, v1, v5
	s_delay_alu instid0(VALU_DEP_3) | instskip(NEXT) | instid1(VALU_DEP_3)
	v_cvt_f32_i32_dpp v7, v7 row_shr:2 row_mask:0xf bank_mask:0xf bound_ctrl:1
	v_add_f32_e32 v2, v2, v6
	s_delay_alu instid0(VALU_DEP_3) | instskip(NEXT) | instid1(VALU_DEP_2)
	v_cvt_i32_f32_e32 v5, v1
	v_cvt_i32_f32_e32 v6, v2
	s_delay_alu instid0(VALU_DEP_2) | instskip(SKIP_1) | instid1(VALU_DEP_3)
	v_cvt_f32_i32_dpp v5, v5 row_shr:2 row_mask:0xf bank_mask:0xf bound_ctrl:1
	v_add_f32_e32 v0, v0, v4
	v_cvt_f32_i32_dpp v6, v6 row_shr:2 row_mask:0xf bank_mask:0xf bound_ctrl:1
	s_delay_alu instid0(VALU_DEP_3) | instskip(SKIP_1) | instid1(VALU_DEP_4)
	v_add_f32_e32 v1, v1, v5
	v_add_f32_e32 v5, v3, v7
	v_cvt_i32_f32_e32 v3, v0
	s_delay_alu instid0(VALU_DEP_4)
	v_add_f32_e32 v4, v2, v6
	v_xor_b32_e32 v2, 16, v88
	v_cvt_i32_f32_e32 v6, v1
	s_waitcnt vmcnt(0)
	v_cvt_i32_f32_e32 v8, v5
	v_cvt_f32_i32_dpp v3, v3 row_shr:1 row_mask:0xf bank_mask:0xf bound_ctrl:1
	v_cvt_i32_f32_e32 v7, v4
	v_cmp_gt_i32_e32 vcc_lo, 32, v2
	v_cvt_f32_i32_dpp v9, v6 row_shr:1 row_mask:0xf bank_mask:0xf bound_ctrl:1
	v_cvt_f32_i32_dpp v8, v8 row_shr:1 row_mask:0xf bank_mask:0xf bound_ctrl:1
	v_add_f32_e32 v6, v0, v3
	v_cvt_f32_i32_dpp v7, v7 row_shr:1 row_mask:0xf bank_mask:0xf bound_ctrl:1
	v_cndmask_b32_e32 v2, v88, v2, vcc_lo
	s_delay_alu instid0(VALU_DEP_2) | instskip(NEXT) | instid1(VALU_DEP_2)
	v_dual_add_f32 v0, v5, v8 :: v_dual_add_f32 v3, v4, v7
	v_lshlrev_b32_e32 v10, 2, v2
	v_add_f32_e32 v2, v1, v9
	ds_bpermute_b32 v7, v10, v6
	ds_bpermute_b32 v4, v10, v2
	;; [unrolled: 1-line block ×4, first 2 shown]
	s_and_saveexec_b32 s1, s0
	s_cbranch_execz .LBB115_36
; %bb.32:                               ;   in Loop: Header=BB115_7 Depth=1
	v_dual_mov_b32 v8, 0 :: v_dual_mov_b32 v9, 0
	v_dual_mov_b32 v10, 0 :: v_dual_mov_b32 v11, 0
	s_and_not1_b32 vcc_lo, exec_lo, s27
	s_cbranch_vccnz .LBB115_34
; %bb.33:                               ;   in Loop: Header=BB115_7 Depth=1
	v_mul_hi_u32 v8, v80, v92
	v_mov_b32_e32 v11, v83
	s_delay_alu instid0(VALU_DEP_2) | instskip(NEXT) | instid1(VALU_DEP_1)
	v_mul_lo_u32 v8, v8, s4
	v_sub_nc_u32_e32 v8, v80, v8
	s_delay_alu instid0(VALU_DEP_1) | instskip(SKIP_1) | instid1(VALU_DEP_2)
	v_subrev_nc_u32_e32 v9, s4, v8
	v_cmp_le_u32_e32 vcc_lo, s4, v8
	v_cndmask_b32_e32 v8, v8, v9, vcc_lo
	s_delay_alu instid0(VALU_DEP_1) | instskip(SKIP_1) | instid1(VALU_DEP_2)
	v_subrev_nc_u32_e32 v9, s4, v8
	v_cmp_le_u32_e32 vcc_lo, s4, v8
	v_dual_cndmask_b32 v82, v8, v9 :: v_dual_mov_b32 v9, v83
	s_delay_alu instid0(VALU_DEP_1) | instskip(SKIP_3) | instid1(VALU_DEP_4)
	v_add_nc_u32_e32 v8, s29, v82
	v_lshlrev_b64 v[12:13], 1, v[82:83]
	v_add_nc_u32_e32 v10, s30, v82
	v_add_nc_u32_e32 v82, s33, v82
	v_lshlrev_b64 v[8:9], 1, v[8:9]
	s_delay_alu instid0(VALU_DEP_3)
	v_lshlrev_b64 v[10:11], 1, v[10:11]
	v_add_co_u32 v12, vcc_lo, s10, v12
	v_add_co_ci_u32_e32 v13, vcc_lo, s11, v13, vcc_lo
	v_lshlrev_b64 v[14:15], 1, v[82:83]
	v_add_co_u32 v8, vcc_lo, s10, v8
	v_add_co_ci_u32_e32 v9, vcc_lo, s11, v9, vcc_lo
	v_add_co_u32 v16, vcc_lo, s10, v10
	v_add_co_ci_u32_e32 v17, vcc_lo, s11, v11, vcc_lo
	;; [unrolled: 2-line block ×3, first 2 shown]
	s_clause 0x3
	global_load_u16 v11, v[12:13], off
	global_load_u16 v10, v[8:9], off
	;; [unrolled: 1-line block ×4, first 2 shown]
.LBB115_34:                             ;   in Loop: Header=BB115_7 Depth=1
	v_cmp_ne_u32_e32 vcc_lo, 0, v87
	s_and_b32 exec_lo, exec_lo, vcc_lo
	s_cbranch_execz .LBB115_36
; %bb.35:                               ;   in Loop: Header=BB115_7 Depth=1
	s_waitcnt lgkmcnt(3)
	v_dual_add_f32 v6, v6, v7 :: v_dual_mov_b32 v81, v83
	s_waitcnt vmcnt(3)
	v_cvt_f32_f16_e32 v7, v11
	s_waitcnt lgkmcnt(2)
	v_add_f32_e32 v2, v2, v4
	s_waitcnt lgkmcnt(1)
	v_add_f32_e32 v4, v3, v5
	s_waitcnt vmcnt(2)
	v_cvt_f32_f16_e32 v5, v10
	s_waitcnt vmcnt(0)
	v_cvt_f32_f16_e32 v8, v8
	v_add_f32_e32 v3, v6, v7
	v_cvt_f32_f16_e32 v7, v9
	s_waitcnt lgkmcnt(0)
	v_add_f32_e32 v6, v0, v1
	v_lshlrev_b64 v[0:1], 1, v[80:81]
	v_cvt_f16_f32_e32 v10, v3
	v_dual_add_f32 v7, v4, v7 :: v_dual_add_nc_u32 v82, s19, v80
	v_add_f32_e32 v5, v2, v5
	s_delay_alu instid0(VALU_DEP_4) | instskip(SKIP_1) | instid1(VALU_DEP_4)
	v_add_co_u32 v0, vcc_lo, s12, v0
	v_add_co_ci_u32_e32 v1, vcc_lo, s13, v1, vcc_lo
	v_lshlrev_b64 v[2:3], 1, v[82:83]
	v_add_nc_u32_e32 v82, s19, v82
	v_cvt_f16_f32_e32 v9, v5
	v_cvt_f16_f32_e32 v11, v7
	v_add_f32_e32 v8, v6, v8
	s_delay_alu instid0(VALU_DEP_4) | instskip(SKIP_3) | instid1(VALU_DEP_3)
	v_lshlrev_b64 v[4:5], 1, v[82:83]
	v_add_nc_u32_e32 v82, s19, v82
	v_add_co_u32 v2, vcc_lo, s12, v2
	v_add_co_ci_u32_e32 v3, vcc_lo, s13, v3, vcc_lo
	v_lshlrev_b64 v[6:7], 1, v[82:83]
	v_add_co_u32 v4, vcc_lo, s12, v4
	v_add_co_ci_u32_e32 v5, vcc_lo, s13, v5, vcc_lo
	v_cvt_f16_f32_e32 v8, v8
	s_delay_alu instid0(VALU_DEP_4)
	v_add_co_u32 v6, vcc_lo, s12, v6
	v_add_co_ci_u32_e32 v7, vcc_lo, s13, v7, vcc_lo
	s_clause 0x3
	global_store_b16 v[0:1], v10, off
	global_store_b16 v[2:3], v9, off
	;; [unrolled: 1-line block ×4, first 2 shown]
.LBB115_36:                             ;   in Loop: Header=BB115_7 Depth=1
	s_or_b32 exec_lo, exec_lo, s1
	v_add_nc_u32_e32 v0, s5, v80
	s_waitcnt lgkmcnt(0)
	s_delay_alu instid0(VALU_DEP_1) | instskip(SKIP_1) | instid1(VALU_DEP_2)
	v_add_nc_u32_e32 v1, 1, v0
	v_cmp_gt_u32_e32 vcc_lo, s19, v0
	v_cmp_le_u32_e64 s1, s19, v1
	s_delay_alu instid0(VALU_DEP_1) | instskip(NEXT) | instid1(SALU_CYCLE_1)
	s_and_b32 s35, vcc_lo, s1
	s_and_saveexec_b32 s1, s35
	s_cbranch_execz .LBB115_5
; %bb.37:                               ;   in Loop: Header=BB115_7 Depth=1
	v_add_nc_u32_e32 v0, s28, v80
	s_delay_alu instid0(VALU_DEP_1)
	v_cmp_eq_u32_e32 vcc_lo, 1, v0
	v_dual_mov_b32 v0, s26 :: v_dual_cndmask_b32 v87, 0, v87
	s_branch .LBB115_5
.LBB115_38:
	s_nop 0
	s_sendmsg sendmsg(MSG_DEALLOC_VGPRS)
	s_endpgm
	.section	.rodata,"a",@progbits
	.p2align	6, 0x0
	.amdhsa_kernel _Z16wvSplitK_hf_big_I6__halfLi64ELi1ELi16ELi8ELi4ELi4EEviiiiiiPKT_S3_S3_PS1_ii
		.amdhsa_group_segment_fixed_size 65536
		.amdhsa_private_segment_fixed_size 0
		.amdhsa_kernarg_size 64
		.amdhsa_user_sgpr_count 15
		.amdhsa_user_sgpr_dispatch_ptr 0
		.amdhsa_user_sgpr_queue_ptr 0
		.amdhsa_user_sgpr_kernarg_segment_ptr 1
		.amdhsa_user_sgpr_dispatch_id 0
		.amdhsa_user_sgpr_private_segment_size 0
		.amdhsa_wavefront_size32 1
		.amdhsa_uses_dynamic_stack 0
		.amdhsa_enable_private_segment 0
		.amdhsa_system_sgpr_workgroup_id_x 1
		.amdhsa_system_sgpr_workgroup_id_y 0
		.amdhsa_system_sgpr_workgroup_id_z 0
		.amdhsa_system_sgpr_workgroup_info 0
		.amdhsa_system_vgpr_workitem_id 1
		.amdhsa_next_free_vgpr 103
		.amdhsa_next_free_sgpr 41
		.amdhsa_reserve_vcc 1
		.amdhsa_float_round_mode_32 0
		.amdhsa_float_round_mode_16_64 0
		.amdhsa_float_denorm_mode_32 3
		.amdhsa_float_denorm_mode_16_64 3
		.amdhsa_dx10_clamp 1
		.amdhsa_ieee_mode 1
		.amdhsa_fp16_overflow 0
		.amdhsa_workgroup_processor_mode 1
		.amdhsa_memory_ordered 1
		.amdhsa_forward_progress 0
		.amdhsa_shared_vgpr_count 0
		.amdhsa_exception_fp_ieee_invalid_op 0
		.amdhsa_exception_fp_denorm_src 0
		.amdhsa_exception_fp_ieee_div_zero 0
		.amdhsa_exception_fp_ieee_overflow 0
		.amdhsa_exception_fp_ieee_underflow 0
		.amdhsa_exception_fp_ieee_inexact 0
		.amdhsa_exception_int_div_zero 0
	.end_amdhsa_kernel
	.section	.text._Z16wvSplitK_hf_big_I6__halfLi64ELi1ELi16ELi8ELi4ELi4EEviiiiiiPKT_S3_S3_PS1_ii,"axG",@progbits,_Z16wvSplitK_hf_big_I6__halfLi64ELi1ELi16ELi8ELi4ELi4EEviiiiiiPKT_S3_S3_PS1_ii,comdat
.Lfunc_end115:
	.size	_Z16wvSplitK_hf_big_I6__halfLi64ELi1ELi16ELi8ELi4ELi4EEviiiiiiPKT_S3_S3_PS1_ii, .Lfunc_end115-_Z16wvSplitK_hf_big_I6__halfLi64ELi1ELi16ELi8ELi4ELi4EEviiiiiiPKT_S3_S3_PS1_ii
                                        ; -- End function
	.section	.AMDGPU.csdata,"",@progbits
; Kernel info:
; codeLenInByte = 4632
; NumSgprs: 43
; NumVgprs: 103
; ScratchSize: 0
; MemoryBound: 0
; FloatMode: 240
; IeeeMode: 1
; LDSByteSize: 65536 bytes/workgroup (compile time only)
; SGPRBlocks: 5
; VGPRBlocks: 12
; NumSGPRsForWavesPerEU: 43
; NumVGPRsForWavesPerEU: 103
; Occupancy: 12
; WaveLimiterHint : 0
; COMPUTE_PGM_RSRC2:SCRATCH_EN: 0
; COMPUTE_PGM_RSRC2:USER_SGPR: 15
; COMPUTE_PGM_RSRC2:TRAP_HANDLER: 0
; COMPUTE_PGM_RSRC2:TGID_X_EN: 1
; COMPUTE_PGM_RSRC2:TGID_Y_EN: 0
; COMPUTE_PGM_RSRC2:TGID_Z_EN: 0
; COMPUTE_PGM_RSRC2:TIDIG_COMP_CNT: 1
	.section	.text._Z16wvSplitK_hf_sml_I6__halfLi64ELi2ELi16ELi8ELi2ELi4EEviiiiiiPKT_S3_S3_PS1_ii,"axG",@progbits,_Z16wvSplitK_hf_sml_I6__halfLi64ELi2ELi16ELi8ELi2ELi4EEviiiiiiPKT_S3_S3_PS1_ii,comdat
	.protected	_Z16wvSplitK_hf_sml_I6__halfLi64ELi2ELi16ELi8ELi2ELi4EEviiiiiiPKT_S3_S3_PS1_ii ; -- Begin function _Z16wvSplitK_hf_sml_I6__halfLi64ELi2ELi16ELi8ELi2ELi4EEviiiiiiPKT_S3_S3_PS1_ii
	.globl	_Z16wvSplitK_hf_sml_I6__halfLi64ELi2ELi16ELi8ELi2ELi4EEviiiiiiPKT_S3_S3_PS1_ii
	.p2align	8
	.type	_Z16wvSplitK_hf_sml_I6__halfLi64ELi2ELi16ELi8ELi2ELi4EEviiiiiiPKT_S3_S3_PS1_ii,@function
_Z16wvSplitK_hf_sml_I6__halfLi64ELi2ELi16ELi8ELi2ELi4EEviiiiiiPKT_S3_S3_PS1_ii: ; @_Z16wvSplitK_hf_sml_I6__halfLi64ELi2ELi16ELi8ELi2ELi4EEviiiiiiPKT_S3_S3_PS1_ii
; %bb.0:
	s_clause 0x2
	s_load_b128 s[4:7], s[0:1], 0x0
	s_load_b64 s[8:9], s[0:1], 0x10
	s_load_b64 s[10:11], s[0:1], 0x28
	v_and_b32_e32 v2, 0x3ff, v0
	v_bfe_u32 v3, v0, 10, 10
	s_mov_b32 s12, exec_lo
	s_delay_alu instid0(VALU_DEP_2) | instskip(NEXT) | instid1(VALU_DEP_1)
	v_lshlrev_b32_e32 v55, 3, v2
	v_lshl_add_u32 v4, v3, 9, v55
	s_waitcnt lgkmcnt(0)
	s_lshl_b32 s14, s6, 2
	s_delay_alu instid0(SALU_CYCLE_1)
	s_min_u32 s3, s14, 0x8000
	s_delay_alu instid0(VALU_DEP_1) | instid1(SALU_CYCLE_1)
	v_cmpx_gt_u32_e64 s3, v4
	s_cbranch_execz .LBB116_3
; %bb.1:
	s_load_b64 s[16:17], s[0:1], 0x20
	v_lshlrev_b32_e32 v5, 10, v3
	v_lshlrev_b32_e32 v6, 4, v2
	s_mov_b32 s13, 0
	s_delay_alu instid0(VALU_DEP_1) | instskip(NEXT) | instid1(VALU_DEP_1)
	v_add_co_u32 v0, s2, v5, v6
	v_add_co_ci_u32_e64 v1, null, 0, 0, s2
	v_add_nc_u32_e32 v5, v5, v6
	s_waitcnt lgkmcnt(0)
	s_delay_alu instid0(VALU_DEP_3) | instskip(NEXT) | instid1(VALU_DEP_3)
	v_add_co_u32 v0, vcc_lo, s16, v0
	v_add_co_ci_u32_e32 v1, vcc_lo, s17, v1, vcc_lo
	.p2align	6
.LBB116_2:                              ; =>This Inner Loop Header: Depth=1
	global_load_b128 v[6:9], v[0:1], off
	v_add_nc_u32_e32 v4, 0x2000, v4
	v_add_co_u32 v0, vcc_lo, 0x4000, v0
	v_add_co_ci_u32_e32 v1, vcc_lo, 0, v1, vcc_lo
	s_delay_alu instid0(VALU_DEP_3) | instskip(NEXT) | instid1(VALU_DEP_1)
	v_cmp_le_u32_e64 s2, s3, v4
	s_or_b32 s13, s2, s13
	s_waitcnt vmcnt(0)
	ds_store_b128 v5, v[6:9]
	v_add_nc_u32_e32 v5, 0x4000, v5
	s_and_not1_b32 exec_lo, exec_lo, s13
	s_cbranch_execnz .LBB116_2
.LBB116_3:
	s_or_b32 exec_lo, exec_lo, s12
	s_load_b64 s[16:17], s[0:1], 0x38
	s_waitcnt lgkmcnt(0)
	s_barrier
	buffer_gl0_inv
	s_mov_b32 s2, exec_lo
	v_cmpx_gt_u32_e64 s16, v3
	s_cbranch_execz .LBB116_20
; %bb.4:
	s_mul_i32 s15, s15, s16
	s_delay_alu instid0(SALU_CYCLE_1) | instskip(NEXT) | instid1(VALU_DEP_1)
	v_add_lshl_u32 v40, s15, v3, 1
	v_cmp_gt_u32_e32 vcc_lo, s7, v40
	s_and_b32 exec_lo, exec_lo, vcc_lo
	s_cbranch_execz .LBB116_20
; %bb.5:
	s_cmp_lg_u32 s4, 0
	v_cvt_f32_u32_e32 v1, s8
	s_cselect_b32 s15, -1, 0
	s_add_i32 s18, s4, -8
	s_add_i32 s19, s7, -1
	s_cmp_lg_u64 s[10:11], 0
	v_rcp_iflag_f32_e32 v1, v1
	s_cselect_b32 s20, -1, 0
	s_abs_i32 s21, s9
	s_clause 0x1
	s_load_b64 s[2:3], s[0:1], 0x18
	s_load_b64 s[12:13], s[0:1], 0x30
	v_cvt_f32_u32_e32 v0, s21
	s_mul_i32 s0, s16, s17
	s_sub_i32 s17, 0, s8
	s_lshl_b32 s9, s0, 1
	s_sub_i32 s0, 0, s21
	v_rcp_iflag_f32_e32 v0, v0
	s_sub_i32 s22, 1, s21
	v_mov_b32_e32 v42, 0
	v_lshlrev_b32_e32 v56, 4, v2
	v_mbcnt_lo_u32_b32 v57, -1, 0
	s_mov_b32 s1, 0
	s_waitcnt_depctr 0xfff
	v_mul_f32_e32 v0, 0x4f7ffffe, v0
	s_delay_alu instid0(VALU_DEP_1) | instskip(NEXT) | instid1(VALU_DEP_1)
	v_cvt_u32_f32_e32 v0, v0
	v_readfirstlane_b32 s16, v0
	v_mul_f32_e32 v0, 0x4f7ffffe, v1
	s_delay_alu instid0(VALU_DEP_2) | instskip(NEXT) | instid1(VALU_DEP_1)
	s_mul_i32 s0, s0, s16
	v_cvt_u32_f32_e32 v0, v0
	s_mul_hi_u32 s0, s16, s0
	s_delay_alu instid0(SALU_CYCLE_1) | instskip(SKIP_1) | instid1(VALU_DEP_1)
	s_add_i32 s23, s16, s0
	s_cmp_lt_u32 s21, 2
	v_mul_lo_u32 v1, s17, v0
	s_cselect_b32 s16, s22, 1
	v_cmp_eq_u32_e64 s0, 63, v2
	s_sub_i32 s22, s16, s21
	s_cmp_ge_u32 s16, s21
	s_cselect_b32 s17, s22, s16
	s_lshr_b32 s16, s23, 31
	s_mul_hi_u32 s23, s23, 3
	s_mul_i32 s22, s16, s21
	s_mul_i32 s23, s23, s21
	s_sub_i32 s22, 2, s22
	v_mul_hi_u32 v1, v0, v1
	s_sub_i32 s24, s22, s21
	s_cmp_ge_u32 s22, s21
	s_mul_i32 s16, s6, 6
	s_cselect_b32 s22, s24, s22
	s_mul_i32 s17, s17, s8
	s_sub_i32 s24, s22, s21
	s_cmp_ge_u32 s22, s21
	v_add_nc_u32_e32 v58, v0, v1
	s_cselect_b32 s22, s24, s22
	s_sub_i32 s23, 3, s23
	s_delay_alu instid0(SALU_CYCLE_1) | instskip(SKIP_2) | instid1(SALU_CYCLE_1)
	s_sub_i32 s24, s23, s21
	s_cmp_ge_u32 s23, s21
	s_cselect_b32 s23, s24, s23
	s_sub_i32 s24, s23, s21
	s_cmp_ge_u32 s23, s21
	s_mul_i32 s21, s22, s8
	s_cselect_b32 s23, s24, s23
	s_lshl_b32 s6, s6, 1
	s_mul_i32 s22, s23, s8
	s_branch .LBB116_8
.LBB116_6:                              ;   in Loop: Header=BB116_8 Depth=1
	s_waitcnt lgkmcnt(0)
	v_dual_add_f32 v2, v2, v4 :: v_dual_add_f32 v3, v3, v5
	s_waitcnt vmcnt(7)
	v_cvt_f32_f16_e32 v4, v23
	s_waitcnt vmcnt(6)
	v_cvt_f32_f16_e32 v5, v22
	v_add_f32_e32 v12, v12, v15
	v_add_f32_e32 v22, v0, v1
	v_lshlrev_b64 v[0:1], 1, v[40:41]
	v_add_nc_u32_e32 v41, s7, v40
	v_dual_add_f32 v2, v2, v4 :: v_dual_add_f32 v7, v7, v9
	v_add_f32_e32 v3, v3, v5
	s_waitcnt vmcnt(5)
	v_cvt_f32_f16_e32 v5, v21
	v_add_co_u32 v0, vcc_lo, s12, v0
	v_cvt_f16_f32_e32 v2, v2
	v_cvt_f16_f32_e32 v3, v3
	v_add_f32_e32 v4, v10, v13
	v_dual_add_f32 v10, v11, v14 :: v_dual_add_f32 v5, v22, v5
	v_add_co_ci_u32_e32 v1, vcc_lo, s13, v1, vcc_lo
	s_delay_alu instid0(VALU_DEP_4)
	v_pack_b32_f16 v11, v2, v3
	v_lshlrev_b64 v[2:3], 1, v[41:42]
	s_waitcnt vmcnt(2)
	v_cvt_f32_f16_e32 v9, v18
	s_waitcnt vmcnt(0)
	v_cvt_f32_f16_e32 v14, v16
	global_store_b32 v[0:1], v11, off
	v_cvt_f16_f32_e32 v11, v5
	v_cvt_f32_f16_e32 v5, v20
	v_add_co_u32 v0, vcc_lo, s12, v2
	v_add_f32_e32 v8, v6, v8
	v_add_nc_u32_e32 v2, 1, v41
	s_delay_alu instid0(VALU_DEP_4) | instskip(SKIP_3) | instid1(VALU_DEP_3)
	v_add_f32_e32 v5, v12, v5
	v_cvt_f32_f16_e32 v6, v19
	v_add_nc_u32_e32 v41, s7, v41
	v_add_co_ci_u32_e32 v1, vcc_lo, s13, v3, vcc_lo
	v_dual_mov_b32 v3, v42 :: v_dual_add_f32 v6, v4, v6
	v_cvt_f16_f32_e32 v12, v5
	s_delay_alu instid0(VALU_DEP_4)
	v_lshlrev_b64 v[4:5], 1, v[41:42]
	v_add_f32_e32 v9, v10, v9
	v_dual_add_f32 v14, v8, v14 :: v_dual_add_nc_u32 v41, s7, v41
	v_cvt_f32_f16_e32 v10, v17
	v_lshlrev_b64 v[2:3], 1, v[2:3]
	v_cvt_f16_f32_e32 v13, v6
	s_delay_alu instid0(VALU_DEP_4) | instskip(NEXT) | instid1(VALU_DEP_4)
	v_cvt_f16_f32_e32 v14, v14
	v_add_f32_e32 v10, v7, v10
	v_cvt_f16_f32_e32 v9, v9
	v_lshlrev_b64 v[6:7], 1, v[41:42]
	v_add_nc_u32_e32 v41, 1, v41
	v_add_co_u32 v2, vcc_lo, s12, v2
	v_add_co_ci_u32_e32 v3, vcc_lo, s13, v3, vcc_lo
	v_add_co_u32 v4, vcc_lo, s12, v4
	v_pack_b32_f16 v13, v13, v9
	v_lshlrev_b64 v[8:9], 1, v[41:42]
	v_add_co_ci_u32_e32 v5, vcc_lo, s13, v5, vcc_lo
	v_add_co_u32 v6, vcc_lo, s12, v6
	v_add_co_ci_u32_e32 v7, vcc_lo, s13, v7, vcc_lo
	s_delay_alu instid0(VALU_DEP_4)
	v_add_co_u32 v8, vcc_lo, s12, v8
	v_cvt_f16_f32_e32 v10, v10
	v_add_co_ci_u32_e32 v9, vcc_lo, s13, v9, vcc_lo
	s_clause 0x4
	global_store_b16 v[0:1], v11, off
	global_store_b16 v[2:3], v12, off
	global_store_b32 v[4:5], v13, off
	global_store_b16 v[6:7], v10, off
	global_store_b16 v[8:9], v14, off
.LBB116_7:                              ;   in Loop: Header=BB116_8 Depth=1
	s_or_b32 exec_lo, exec_lo, s23
	v_add_nc_u32_e32 v40, s9, v40
	s_delay_alu instid0(VALU_DEP_1) | instskip(SKIP_1) | instid1(SALU_CYCLE_1)
	v_cmp_le_u32_e32 vcc_lo, s7, v40
	s_or_b32 s1, vcc_lo, s1
	s_and_not1_b32 exec_lo, exec_lo, s1
	s_cbranch_execz .LBB116_20
.LBB116_8:                              ; =>This Loop Header: Depth=1
                                        ;     Child Loop BB116_12 Depth 2
	v_mov_b32_e32 v66, v42
	v_mov_b32_e32 v65, v42
	;; [unrolled: 1-line block ×8, first 2 shown]
	s_and_not1_b32 vcc_lo, exec_lo, s15
	s_cbranch_vccnz .LBB116_15
; %bb.9:                                ;   in Loop: Header=BB116_8 Depth=1
	v_or_b32_e32 v0, 1, v40
	v_min_u32_e32 v2, s19, v40
	s_waitcnt lgkmcnt(0)
	v_dual_mov_b32 v1, v42 :: v_dual_mov_b32 v60, 0
	v_dual_mov_b32 v67, v56 :: v_dual_mov_b32 v62, 0
	v_min_u32_e32 v0, s19, v0
	v_mul_lo_u32 v41, v2, s5
	v_dual_mov_b32 v61, 0 :: v_dual_mov_b32 v64, 0
	v_dual_mov_b32 v59, 0 :: v_dual_mov_b32 v66, 0
	s_delay_alu instid0(VALU_DEP_4) | instskip(SKIP_4) | instid1(VALU_DEP_4)
	v_mul_lo_u32 v0, v0, s5
	v_mov_b32_e32 v63, 0
	v_mov_b32_e32 v65, 0
	v_lshlrev_b64 v[43:44], 1, v[41:42]
	s_mov_b32 s23, 0
	v_lshlrev_b64 v[45:46], 1, v[0:1]
	s_branch .LBB116_12
.LBB116_10:                             ;   in Loop: Header=BB116_12 Depth=2
	s_or_b32 exec_lo, exec_lo, s25
.LBB116_11:                             ;   in Loop: Header=BB116_12 Depth=2
	s_delay_alu instid0(SALU_CYCLE_1)
	s_or_b32 exec_lo, exec_lo, s24
	s_waitcnt vmcnt(3) lgkmcnt(4)
	;;#ASMSTART
	v_dot2_f32_f16 v66, v36, v20, v66
	;;#ASMEND
	s_waitcnt vmcnt(2)
	;;#ASMSTART
	v_dot2_f32_f16 v65, v36, v12, v65
	;;#ASMEND
	s_waitcnt lgkmcnt(3)
	;;#ASMSTART
	v_dot2_f32_f16 v64, v32, v20, v64
	;;#ASMEND
	;;#ASMSTART
	v_dot2_f32_f16 v63, v32, v12, v63
	;;#ASMEND
	s_waitcnt lgkmcnt(2)
	;;#ASMSTART
	v_dot2_f32_f16 v60, v53, v20, v60
	;;#ASMEND
	;; [unrolled: 7-line block ×3, first 2 shown]
	;;#ASMSTART
	v_dot2_f32_f16 v59, v28, v12, v59
	;;#ASMEND
	;;#ASMSTART
	v_dot2_f32_f16 v66, v37, v21, v66
	;;#ASMEND
	;; [unrolled: 3-line block ×17, first 2 shown]
	v_add_nc_u32_e32 v67, 0x800, v67
	;;#ASMSTART
	v_dot2_f32_f16 v66, v39, v23, v66
	;;#ASMEND
	;;#ASMSTART
	v_dot2_f32_f16 v65, v39, v15, v65
	;;#ASMEND
	;; [unrolled: 3-line block ×8, first 2 shown]
	s_addk_i32 s23, 0x400
	s_waitcnt vmcnt(1)
	;;#ASMSTART
	v_dot2_f32_f16 v66, v24, v4, v66
	;;#ASMEND
	s_waitcnt vmcnt(0)
	;;#ASMSTART
	v_dot2_f32_f16 v65, v24, v0, v65
	;;#ASMEND
	;;#ASMSTART
	v_dot2_f32_f16 v64, v16, v4, v64
	;;#ASMEND
	;; [unrolled: 3-line block ×15, first 2 shown]
	s_cmp_ge_u32 s23, s4
	;;#ASMSTART
	v_dot2_f32_f16 v66, v26, v6, v66
	;;#ASMEND
	;;#ASMSTART
	v_dot2_f32_f16 v65, v26, v2, v65
	;;#ASMEND
	;; [unrolled: 3-line block ×16, first 2 shown]
	s_cbranch_scc1 .LBB116_15
.LBB116_12:                             ;   Parent Loop BB116_8 Depth=1
                                        ; =>  This Inner Loop Header: Depth=2
	v_dual_mov_b32 v37, 0 :: v_dual_add_nc_u32 v10, s23, v55
	v_dual_mov_b32 v36, 0 :: v_dual_mov_b32 v25, 0
	v_dual_mov_b32 v38, 0 :: v_dual_mov_b32 v27, 0
	s_delay_alu instid0(VALU_DEP_3) | instskip(SKIP_2) | instid1(VALU_DEP_3)
	v_min_u32_e32 v41, s18, v10
	v_dual_mov_b32 v39, 0 :: v_dual_add_nc_u32 v68, 0x200, v10
	v_dual_mov_b32 v24, 0 :: v_dual_mov_b32 v33, 0
	v_lshlrev_b64 v[0:1], 1, v[41:42]
	s_delay_alu instid0(VALU_DEP_3) | instskip(SKIP_3) | instid1(VALU_DEP_4)
	v_min_u32_e32 v41, s18, v68
	v_dual_mov_b32 v26, 0 :: v_dual_mov_b32 v35, 0
	v_dual_mov_b32 v32, 0 :: v_dual_mov_b32 v17, 0
	s_waitcnt lgkmcnt(0)
	v_add_co_u32 v4, vcc_lo, s2, v0
	v_add_co_ci_u32_e32 v5, vcc_lo, s3, v1, vcc_lo
	v_lshlrev_b64 v[0:1], 1, v[41:42]
	s_delay_alu instid0(VALU_DEP_3) | instskip(NEXT) | instid1(VALU_DEP_3)
	v_add_co_u32 v2, vcc_lo, v4, v43
	v_add_co_ci_u32_e32 v3, vcc_lo, v5, v44, vcc_lo
	v_dual_mov_b32 v34, 0 :: v_dual_mov_b32 v19, 0
	s_delay_alu instid0(VALU_DEP_4) | instskip(SKIP_3) | instid1(VALU_DEP_4)
	v_add_co_u32 v6, vcc_lo, s2, v0
	v_add_co_ci_u32_e32 v7, vcc_lo, s3, v1, vcc_lo
	v_add_co_u32 v0, vcc_lo, v4, v45
	v_add_co_ci_u32_e32 v1, vcc_lo, v5, v46, vcc_lo
	v_add_co_u32 v4, vcc_lo, v6, v43
	s_delay_alu instid0(VALU_DEP_4)
	v_add_co_ci_u32_e32 v5, vcc_lo, v7, v44, vcc_lo
	v_add_co_u32 v8, vcc_lo, v6, v45
	v_add_co_ci_u32_e32 v9, vcc_lo, v7, v46, vcc_lo
	s_clause 0x3
	global_load_b128 v[20:23], v[2:3], off slc dlc
	global_load_b128 v[12:15], v[0:1], off slc dlc
	;; [unrolled: 1-line block ×4, first 2 shown]
	v_cmp_gt_u32_e32 vcc_lo, s4, v10
	v_dual_mov_b32 v16, 0 :: v_dual_mov_b32 v53, 0
	v_dual_mov_b32 v18, 0 :: v_dual_mov_b32 v51, 0
	;; [unrolled: 1-line block ×8, first 2 shown]
	v_mov_b32_e32 v8, 0
	v_mov_b32_e32 v10, 0
	s_and_saveexec_b32 s24, vcc_lo
	s_cbranch_execz .LBB116_11
; %bb.13:                               ;   in Loop: Header=BB116_12 Depth=2
	v_dual_mov_b32 v10, 0 :: v_dual_add_nc_u32 v41, s6, v67
	v_dual_mov_b32 v11, 0 :: v_dual_add_nc_u32 v70, s14, v67
	;; [unrolled: 1-line block ×3, first 2 shown]
	ds_load_b128 v[36:39], v67
	ds_load_b128 v[32:35], v41
	ds_load_2addr_b32 v[53:54], v70 offset1:1
	ds_load_2addr_b32 v[51:52], v70 offset0:2 offset1:3
	ds_load_b128 v[28:31], v69
	v_dual_mov_b32 v9, 0 :: v_dual_mov_b32 v48, 0
	v_dual_mov_b32 v47, 0 :: v_dual_mov_b32 v50, 0
	v_dual_mov_b32 v49, 0 :: v_dual_mov_b32 v18, 0
	v_dual_mov_b32 v19, 0 :: v_dual_mov_b32 v16, 0
	v_dual_mov_b32 v17, 0 :: v_dual_mov_b32 v26, 0
	v_dual_mov_b32 v27, 0 :: v_dual_mov_b32 v24, 0
	v_mov_b32_e32 v25, 0
	s_mov_b32 s25, exec_lo
	v_cmpx_gt_u32_e64 s4, v68
	s_cbranch_execz .LBB116_10
; %bb.14:                               ;   in Loop: Header=BB116_12 Depth=2
	v_add_nc_u32_e32 v8, 0x400, v70
	v_add_nc_u32_e32 v9, 0x408, v70
	ds_load_b128 v[24:27], v67 offset:1024
	ds_load_2addr_b32 v[49:50], v8 offset1:1
	ds_load_2addr_b32 v[47:48], v9 offset1:1
	ds_load_b128 v[16:19], v41 offset:1024
	ds_load_b128 v[8:11], v69 offset:1024
	s_branch .LBB116_10
.LBB116_15:                             ;   in Loop: Header=BB116_8 Depth=1
	; sched_barrier mask(0x00000000)
	v_cvt_i32_f32_e32 v0, v66
	s_waitcnt lgkmcnt(0)
	v_cvt_i32_f32_e32 v1, v65
	v_cvt_i32_f32_e32 v2, v64
	v_xor_b32_e32 v3, 16, v57
	v_cvt_i32_f32_e32 v10, v61
	v_cvt_f32_i32_dpp v0, v0 row_shr:8 row_mask:0xf bank_mask:0xf bound_ctrl:1
	v_cvt_f32_i32_dpp v1, v1 row_shr:8 row_mask:0xf bank_mask:0xf bound_ctrl:1
	;; [unrolled: 1-line block ×3, first 2 shown]
	v_cmp_gt_i32_e32 vcc_lo, 32, v3
	v_cvt_f32_i32_dpp v10, v10 row_shr:8 row_mask:0xf bank_mask:0xf bound_ctrl:1
	s_delay_alu instid0(VALU_DEP_4) | instskip(NEXT) | instid1(VALU_DEP_4)
	v_dual_add_f32 v0, v66, v0 :: v_dual_add_f32 v1, v65, v1
	v_dual_add_f32 v2, v64, v2 :: v_dual_cndmask_b32 v3, v57, v3
	s_delay_alu instid0(VALU_DEP_3) | instskip(NEXT) | instid1(VALU_DEP_3)
	v_add_f32_e32 v10, v61, v10
	v_cvt_i32_f32_e32 v7, v0
	s_delay_alu instid0(VALU_DEP_4) | instskip(NEXT) | instid1(VALU_DEP_4)
	v_cvt_i32_f32_e32 v8, v1
	v_cvt_i32_f32_e32 v9, v2
	;; [unrolled: 1-line block ×4, first 2 shown]
	v_cvt_f32_i32_dpp v7, v7 row_shr:4 row_mask:0xf bank_mask:0xf bound_ctrl:1
	v_cvt_f32_i32_dpp v8, v8 row_shr:4 row_mask:0xf bank_mask:0xf bound_ctrl:1
	;; [unrolled: 1-line block ×3, first 2 shown]
	v_cvt_i32_f32_e32 v5, v60
	v_cvt_f32_i32_dpp v4, v4 row_shr:8 row_mask:0xf bank_mask:0xf bound_ctrl:1
	s_delay_alu instid0(VALU_DEP_4) | instskip(SKIP_1) | instid1(VALU_DEP_4)
	v_dual_add_f32 v0, v0, v7 :: v_dual_add_f32 v1, v1, v8
	v_cvt_f32_i32_dpp v14, v14 row_shr:4 row_mask:0xf bank_mask:0xf bound_ctrl:1
	v_cvt_f32_i32_dpp v5, v5 row_shr:8 row_mask:0xf bank_mask:0xf bound_ctrl:1
	v_cvt_i32_f32_e32 v6, v62
	s_delay_alu instid0(VALU_DEP_4) | instskip(SKIP_2) | instid1(VALU_DEP_4)
	v_cvt_i32_f32_e32 v7, v0
	v_cvt_i32_f32_e32 v8, v1
	;; [unrolled: 1-line block ×3, first 2 shown]
	v_cvt_f32_i32_dpp v6, v6 row_shr:8 row_mask:0xf bank_mask:0xf bound_ctrl:1
	s_delay_alu instid0(VALU_DEP_4) | instskip(NEXT) | instid1(VALU_DEP_4)
	v_cvt_f32_i32_dpp v7, v7 row_shr:2 row_mask:0xf bank_mask:0xf bound_ctrl:1
	v_cvt_f32_i32_dpp v8, v8 row_shr:2 row_mask:0xf bank_mask:0xf bound_ctrl:1
	v_add_f32_e32 v2, v2, v9
	v_cvt_f32_i32_dpp v11, v11 row_shr:8 row_mask:0xf bank_mask:0xf bound_ctrl:1
	v_add_f32_e32 v6, v62, v6
	s_delay_alu instid0(VALU_DEP_4) | instskip(NEXT) | instid1(VALU_DEP_4)
	v_dual_add_f32 v0, v0, v7 :: v_dual_add_f32 v1, v1, v8
	v_cvt_i32_f32_e32 v9, v2
	v_add_f32_e32 v8, v63, v4
	v_add_f32_e32 v11, v59, v11
	v_cvt_i32_f32_e32 v13, v6
	s_delay_alu instid0(VALU_DEP_4) | instskip(SKIP_2) | instid1(VALU_DEP_4)
	v_cvt_f32_i32_dpp v9, v9 row_shr:2 row_mask:0xf bank_mask:0xf bound_ctrl:1
	v_lshlrev_b32_e32 v16, 2, v3
	v_cvt_i32_f32_e32 v3, v1
	v_cvt_f32_i32_dpp v13, v13 row_shr:4 row_mask:0xf bank_mask:0xf bound_ctrl:1
	v_cvt_i32_f32_e32 v15, v11
	v_add_f32_e32 v7, v2, v9
	v_cvt_i32_f32_e32 v2, v0
	v_add_f32_e32 v9, v60, v5
	v_cvt_f32_i32_dpp v3, v3 row_shr:1 row_mask:0xf bank_mask:0xf bound_ctrl:1
	v_cvt_i32_f32_e32 v12, v8
	v_cvt_i32_f32_e32 v4, v7
	v_cvt_f32_i32_dpp v2, v2 row_shr:1 row_mask:0xf bank_mask:0xf bound_ctrl:1
	v_cvt_f32_i32_dpp v15, v15 row_shr:4 row_mask:0xf bank_mask:0xf bound_ctrl:1
	v_add_f32_e32 v3, v1, v3
	v_cvt_f32_i32_dpp v12, v12 row_shr:4 row_mask:0xf bank_mask:0xf bound_ctrl:1
	v_cvt_f32_i32_dpp v4, v4 row_shr:1 row_mask:0xf bank_mask:0xf bound_ctrl:1
	v_add_f32_e32 v2, v0, v2
	ds_bpermute_b32 v5, v16, v3
	v_add_f32_e32 v8, v8, v12
	v_add_f32_e32 v0, v7, v4
	v_cvt_i32_f32_e32 v7, v9
	ds_bpermute_b32 v4, v16, v2
	v_cvt_f32_i32_dpp v7, v7 row_shr:4 row_mask:0xf bank_mask:0xf bound_ctrl:1
	s_delay_alu instid0(VALU_DEP_1) | instskip(SKIP_2) | instid1(VALU_DEP_1)
	v_add_f32_e32 v7, v9, v7
	ds_bpermute_b32 v1, v16, v0
	v_cvt_i32_f32_e32 v12, v7
	v_cvt_f32_i32_dpp v12, v12 row_shr:2 row_mask:0xf bank_mask:0xf bound_ctrl:1
	s_delay_alu instid0(VALU_DEP_1) | instskip(SKIP_1) | instid1(VALU_DEP_1)
	v_add_f32_e32 v7, v7, v12
	v_add_f32_e32 v9, v10, v14
	v_cvt_i32_f32_e32 v14, v9
	s_delay_alu instid0(VALU_DEP_1) | instskip(NEXT) | instid1(VALU_DEP_1)
	v_cvt_f32_i32_dpp v14, v14 row_shr:2 row_mask:0xf bank_mask:0xf bound_ctrl:1
	v_add_f32_e32 v9, v9, v14
	s_delay_alu instid0(VALU_DEP_1) | instskip(NEXT) | instid1(VALU_DEP_1)
	v_cvt_i32_f32_e32 v14, v9
	v_cvt_f32_i32_dpp v14, v14 row_shr:1 row_mask:0xf bank_mask:0xf bound_ctrl:1
	v_add_f32_e32 v6, v6, v13
	s_delay_alu instid0(VALU_DEP_1) | instskip(NEXT) | instid1(VALU_DEP_1)
	v_cvt_i32_f32_e32 v13, v6
	v_cvt_f32_i32_dpp v13, v13 row_shr:2 row_mask:0xf bank_mask:0xf bound_ctrl:1
	s_delay_alu instid0(VALU_DEP_1) | instskip(NEXT) | instid1(VALU_DEP_1)
	v_add_f32_e32 v6, v6, v13
	v_cvt_i32_f32_e32 v12, v6
	s_delay_alu instid0(VALU_DEP_1) | instskip(SKIP_2) | instid1(VALU_DEP_2)
	v_cvt_f32_i32_dpp v17, v12 row_shr:1 row_mask:0xf bank_mask:0xf bound_ctrl:1
	v_add_f32_e32 v10, v11, v15
	v_cvt_i32_f32_e32 v11, v8
	v_cvt_i32_f32_e32 v15, v10
	s_delay_alu instid0(VALU_DEP_2) | instskip(NEXT) | instid1(VALU_DEP_2)
	v_cvt_f32_i32_dpp v11, v11 row_shr:2 row_mask:0xf bank_mask:0xf bound_ctrl:1
	v_cvt_f32_i32_dpp v15, v15 row_shr:2 row_mask:0xf bank_mask:0xf bound_ctrl:1
	s_delay_alu instid0(VALU_DEP_2) | instskip(SKIP_1) | instid1(VALU_DEP_3)
	v_add_f32_e32 v8, v8, v11
	v_cvt_i32_f32_e32 v11, v7
	v_add_f32_e32 v13, v10, v15
	s_delay_alu instid0(VALU_DEP_3) | instskip(NEXT) | instid1(VALU_DEP_3)
	v_cvt_i32_f32_e32 v10, v8
	v_cvt_f32_i32_dpp v11, v11 row_shr:1 row_mask:0xf bank_mask:0xf bound_ctrl:1
	s_delay_alu instid0(VALU_DEP_2) | instskip(NEXT) | instid1(VALU_DEP_1)
	v_cvt_f32_i32_dpp v10, v10 row_shr:1 row_mask:0xf bank_mask:0xf bound_ctrl:1
	v_add_f32_e32 v12, v8, v10
	v_cvt_i32_f32_e32 v15, v13
	s_delay_alu instid0(VALU_DEP_4) | instskip(SKIP_1) | instid1(VALU_DEP_3)
	v_dual_add_f32 v10, v7, v11 :: v_dual_add_f32 v11, v6, v17
	v_add_f32_e32 v7, v9, v14
	v_cvt_f32_i32_dpp v15, v15 row_shr:1 row_mask:0xf bank_mask:0xf bound_ctrl:1
	ds_bpermute_b32 v14, v16, v11
	ds_bpermute_b32 v9, v16, v7
	v_add_f32_e32 v6, v13, v15
	ds_bpermute_b32 v15, v16, v12
	ds_bpermute_b32 v13, v16, v10
	;; [unrolled: 1-line block ×3, first 2 shown]
	s_and_saveexec_b32 s23, s0
	s_cbranch_execz .LBB116_7
; %bb.16:                               ;   in Loop: Header=BB116_8 Depth=1
	s_and_b32 vcc_lo, exec_lo, s20
	s_cbranch_vccz .LBB116_18
; %bb.17:                               ;   in Loop: Header=BB116_8 Depth=1
	v_or_b32_e32 v16, 1, v40
	v_mul_hi_u32 v17, v40, v58
	s_delay_alu instid0(VALU_DEP_2) | instskip(NEXT) | instid1(VALU_DEP_2)
	v_mul_hi_u32 v18, v16, v58
	v_mul_lo_u32 v17, v17, s8
	s_delay_alu instid0(VALU_DEP_2) | instskip(NEXT) | instid1(VALU_DEP_2)
	v_mul_lo_u32 v18, v18, s8
	v_sub_nc_u32_e32 v17, v40, v17
	s_delay_alu instid0(VALU_DEP_2) | instskip(NEXT) | instid1(VALU_DEP_2)
	v_sub_nc_u32_e32 v16, v16, v18
	v_subrev_nc_u32_e32 v18, s8, v17
	v_cmp_le_u32_e32 vcc_lo, s8, v17
	s_delay_alu instid0(VALU_DEP_3) | instskip(NEXT) | instid1(VALU_DEP_3)
	v_subrev_nc_u32_e32 v19, s8, v16
	v_dual_cndmask_b32 v18, v17, v18 :: v_dual_mov_b32 v17, v42
	v_cmp_le_u32_e32 vcc_lo, s8, v16
	s_delay_alu instid0(VALU_DEP_2) | instskip(NEXT) | instid1(VALU_DEP_4)
	v_subrev_nc_u32_e32 v21, s8, v18
	v_dual_cndmask_b32 v16, v16, v19 :: v_dual_mov_b32 v19, v42
	v_cmp_le_u32_e32 vcc_lo, s8, v18
	s_delay_alu instid0(VALU_DEP_2) | instskip(NEXT) | instid1(VALU_DEP_4)
	v_subrev_nc_u32_e32 v24, s8, v16
	v_cndmask_b32_e32 v41, v18, v21, vcc_lo
	v_cmp_le_u32_e32 vcc_lo, s8, v16
	s_delay_alu instid0(VALU_DEP_3) | instskip(NEXT) | instid1(VALU_DEP_3)
	v_cndmask_b32_e32 v16, v16, v24, vcc_lo
	v_lshlrev_b64 v[24:25], 1, v[41:42]
	v_dual_mov_b32 v23, v42 :: v_dual_add_nc_u32 v18, s17, v41
	v_dual_mov_b32 v20, v42 :: v_dual_add_nc_u32 v21, s21, v41
	s_delay_alu instid0(VALU_DEP_4) | instskip(SKIP_1) | instid1(VALU_DEP_4)
	v_lshlrev_b64 v[26:27], 1, v[16:17]
	v_dual_mov_b32 v22, v42 :: v_dual_add_nc_u32 v41, s22, v41
	v_lshlrev_b64 v[17:18], 1, v[18:19]
	v_add_co_u32 v24, vcc_lo, s10, v24
	v_add_nc_u32_e32 v19, s17, v16
	v_add_co_ci_u32_e32 v25, vcc_lo, s11, v25, vcc_lo
	v_lshlrev_b64 v[28:29], 1, v[21:22]
	v_add_co_u32 v26, vcc_lo, s10, v26
	v_add_nc_u32_e32 v22, s21, v16
	v_add_co_ci_u32_e32 v27, vcc_lo, s11, v27, vcc_lo
	v_lshlrev_b64 v[30:31], 1, v[41:42]
	v_add_nc_u32_e32 v41, s22, v16
	v_lshlrev_b64 v[19:20], 1, v[19:20]
	v_add_co_u32 v16, vcc_lo, s10, v17
	v_add_co_ci_u32_e32 v17, vcc_lo, s11, v18, vcc_lo
	v_lshlrev_b64 v[21:22], 1, v[22:23]
	v_add_co_u32 v28, vcc_lo, s10, v28
	v_add_co_ci_u32_e32 v29, vcc_lo, s11, v29, vcc_lo
	v_add_co_u32 v18, vcc_lo, s10, v19
	v_add_co_ci_u32_e32 v19, vcc_lo, s11, v20, vcc_lo
	v_add_co_u32 v32, vcc_lo, s10, v21
	v_lshlrev_b64 v[20:21], 1, v[41:42]
	v_mov_b32_e32 v41, v42
	v_add_co_ci_u32_e32 v33, vcc_lo, s11, v22, vcc_lo
	v_add_co_u32 v30, vcc_lo, s10, v30
	v_add_co_ci_u32_e32 v31, vcc_lo, s11, v31, vcc_lo
	v_add_co_u32 v34, vcc_lo, s10, v20
	v_add_co_ci_u32_e32 v35, vcc_lo, s11, v21, vcc_lo
	s_clause 0x7
	global_load_u16 v23, v[24:25], off
	global_load_u16 v22, v[26:27], off
	;; [unrolled: 1-line block ×8, first 2 shown]
	s_cbranch_execnz .LBB116_6
	s_branch .LBB116_19
.LBB116_18:                             ;   in Loop: Header=BB116_8 Depth=1
                                        ; implicit-def: $vgpr16
                                        ; implicit-def: $vgpr17
                                        ; implicit-def: $vgpr18
                                        ; implicit-def: $vgpr19
                                        ; implicit-def: $vgpr20
                                        ; implicit-def: $vgpr21
                                        ; implicit-def: $vgpr22
                                        ; implicit-def: $vgpr23
.LBB116_19:                             ;   in Loop: Header=BB116_8 Depth=1
	s_waitcnt vmcnt(6)
	v_dual_mov_b32 v41, v42 :: v_dual_mov_b32 v22, 0
	s_waitcnt vmcnt(4)
	v_dual_mov_b32 v23, 0 :: v_dual_mov_b32 v20, 0
	;; [unrolled: 2-line block ×4, first 2 shown]
	v_mov_b32_e32 v17, 0
	s_branch .LBB116_6
.LBB116_20:
	s_nop 0
	s_sendmsg sendmsg(MSG_DEALLOC_VGPRS)
	s_endpgm
	.section	.rodata,"a",@progbits
	.p2align	6, 0x0
	.amdhsa_kernel _Z16wvSplitK_hf_sml_I6__halfLi64ELi2ELi16ELi8ELi2ELi4EEviiiiiiPKT_S3_S3_PS1_ii
		.amdhsa_group_segment_fixed_size 65536
		.amdhsa_private_segment_fixed_size 0
		.amdhsa_kernarg_size 64
		.amdhsa_user_sgpr_count 15
		.amdhsa_user_sgpr_dispatch_ptr 0
		.amdhsa_user_sgpr_queue_ptr 0
		.amdhsa_user_sgpr_kernarg_segment_ptr 1
		.amdhsa_user_sgpr_dispatch_id 0
		.amdhsa_user_sgpr_private_segment_size 0
		.amdhsa_wavefront_size32 1
		.amdhsa_uses_dynamic_stack 0
		.amdhsa_enable_private_segment 0
		.amdhsa_system_sgpr_workgroup_id_x 1
		.amdhsa_system_sgpr_workgroup_id_y 0
		.amdhsa_system_sgpr_workgroup_id_z 0
		.amdhsa_system_sgpr_workgroup_info 0
		.amdhsa_system_vgpr_workitem_id 1
		.amdhsa_next_free_vgpr 71
		.amdhsa_next_free_sgpr 26
		.amdhsa_reserve_vcc 1
		.amdhsa_float_round_mode_32 0
		.amdhsa_float_round_mode_16_64 0
		.amdhsa_float_denorm_mode_32 3
		.amdhsa_float_denorm_mode_16_64 3
		.amdhsa_dx10_clamp 1
		.amdhsa_ieee_mode 1
		.amdhsa_fp16_overflow 0
		.amdhsa_workgroup_processor_mode 1
		.amdhsa_memory_ordered 1
		.amdhsa_forward_progress 0
		.amdhsa_shared_vgpr_count 0
		.amdhsa_exception_fp_ieee_invalid_op 0
		.amdhsa_exception_fp_denorm_src 0
		.amdhsa_exception_fp_ieee_div_zero 0
		.amdhsa_exception_fp_ieee_overflow 0
		.amdhsa_exception_fp_ieee_underflow 0
		.amdhsa_exception_fp_ieee_inexact 0
		.amdhsa_exception_int_div_zero 0
	.end_amdhsa_kernel
	.section	.text._Z16wvSplitK_hf_sml_I6__halfLi64ELi2ELi16ELi8ELi2ELi4EEviiiiiiPKT_S3_S3_PS1_ii,"axG",@progbits,_Z16wvSplitK_hf_sml_I6__halfLi64ELi2ELi16ELi8ELi2ELi4EEviiiiiiPKT_S3_S3_PS1_ii,comdat
.Lfunc_end116:
	.size	_Z16wvSplitK_hf_sml_I6__halfLi64ELi2ELi16ELi8ELi2ELi4EEviiiiiiPKT_S3_S3_PS1_ii, .Lfunc_end116-_Z16wvSplitK_hf_sml_I6__halfLi64ELi2ELi16ELi8ELi2ELi4EEviiiiiiPKT_S3_S3_PS1_ii
                                        ; -- End function
	.section	.AMDGPU.csdata,"",@progbits
; Kernel info:
; codeLenInByte = 4180
; NumSgprs: 28
; NumVgprs: 71
; ScratchSize: 0
; MemoryBound: 0
; FloatMode: 240
; IeeeMode: 1
; LDSByteSize: 65536 bytes/workgroup (compile time only)
; SGPRBlocks: 3
; VGPRBlocks: 8
; NumSGPRsForWavesPerEU: 28
; NumVGPRsForWavesPerEU: 71
; Occupancy: 16
; WaveLimiterHint : 0
; COMPUTE_PGM_RSRC2:SCRATCH_EN: 0
; COMPUTE_PGM_RSRC2:USER_SGPR: 15
; COMPUTE_PGM_RSRC2:TRAP_HANDLER: 0
; COMPUTE_PGM_RSRC2:TGID_X_EN: 1
; COMPUTE_PGM_RSRC2:TGID_Y_EN: 0
; COMPUTE_PGM_RSRC2:TGID_Z_EN: 0
; COMPUTE_PGM_RSRC2:TIDIG_COMP_CNT: 1
	.section	.text._Z12wvSplitK_hf_I6__halfLi64ELi2ELi16ELi8ELi2ELi4EEviiiiiiPKT_S3_S3_PS1_ii,"axG",@progbits,_Z12wvSplitK_hf_I6__halfLi64ELi2ELi16ELi8ELi2ELi4EEviiiiiiPKT_S3_S3_PS1_ii,comdat
	.protected	_Z12wvSplitK_hf_I6__halfLi64ELi2ELi16ELi8ELi2ELi4EEviiiiiiPKT_S3_S3_PS1_ii ; -- Begin function _Z12wvSplitK_hf_I6__halfLi64ELi2ELi16ELi8ELi2ELi4EEviiiiiiPKT_S3_S3_PS1_ii
	.globl	_Z12wvSplitK_hf_I6__halfLi64ELi2ELi16ELi8ELi2ELi4EEviiiiiiPKT_S3_S3_PS1_ii
	.p2align	8
	.type	_Z12wvSplitK_hf_I6__halfLi64ELi2ELi16ELi8ELi2ELi4EEviiiiiiPKT_S3_S3_PS1_ii,@function
_Z12wvSplitK_hf_I6__halfLi64ELi2ELi16ELi8ELi2ELi4EEviiiiiiPKT_S3_S3_PS1_ii: ; @_Z12wvSplitK_hf_I6__halfLi64ELi2ELi16ELi8ELi2ELi4EEviiiiiiPKT_S3_S3_PS1_ii
; %bb.0:
	s_clause 0x1
	s_load_b64 s[18:19], s[0:1], 0x38
	s_load_b128 s[4:7], s[0:1], 0x0
	v_bfe_u32 v2, v0, 10, 10
	s_clause 0x1
	s_load_b64 s[8:9], s[0:1], 0x20
	s_load_b64 s[10:11], s[0:1], 0x10
	s_mov_b32 s12, 1
	s_delay_alu instid0(SALU_CYCLE_1) | instskip(NEXT) | instid1(SALU_CYCLE_1)
	s_mov_b32 s13, s12
	v_dual_mov_b32 v49, s13 :: v_dual_mov_b32 v48, s12
	s_waitcnt lgkmcnt(0)
	s_mul_i32 s15, s15, s18
	s_delay_alu instid0(SALU_CYCLE_1) | instskip(NEXT) | instid1(VALU_DEP_1)
	v_add_lshl_u32 v50, s15, v2, 1
	v_add_nc_u32_e32 v1, 2, v50
	v_cmp_gt_u32_e32 vcc_lo, s7, v50
	s_delay_alu instid0(VALU_DEP_2) | instskip(NEXT) | instid1(VALU_DEP_1)
	v_cmp_le_u32_e64 s2, s7, v1
	s_and_b32 s2, vcc_lo, s2
	s_delay_alu instid0(SALU_CYCLE_1)
	s_and_saveexec_b32 s14, s2
	s_cbranch_execz .LBB117_6
; %bb.1:
	v_dual_mov_b32 v49, s13 :: v_dual_mov_b32 v48, s12
	s_add_i32 s15, s7, -2
	s_mov_b32 s16, exec_lo
	v_cmpx_ne_u32_e64 s15, v50
	s_cbranch_execz .LBB117_5
; %bb.2:
	v_subrev_nc_u32_e32 v1, s15, v50
	s_mov_b32 s2, 1
	s_mov_b32 s17, 0
	s_mov_b64 s[12:13], 0
	s_mov_b32 s3, s2
	v_cmp_lt_u32_e32 vcc_lo, 1, v1
	v_cndmask_b32_e32 v1, 1, v1, vcc_lo
.LBB117_3:                              ; =>This Inner Loop Header: Depth=1
	s_cmp_lg_u32 s12, 1
	s_cselect_b32 s3, s3, 0
	s_cmp_lg_u32 s12, 0
	s_cselect_b32 s2, s2, 0
	s_add_u32 s12, s12, 1
	v_dual_mov_b32 v49, s3 :: v_dual_mov_b32 v48, s2
	v_cmp_eq_u32_e32 vcc_lo, s12, v1
	s_addc_u32 s13, s13, 0
	s_or_b32 s17, vcc_lo, s17
	s_delay_alu instid0(SALU_CYCLE_1)
	s_and_not1_b32 exec_lo, exec_lo, s17
	s_cbranch_execnz .LBB117_3
; %bb.4:
	s_or_b32 exec_lo, exec_lo, s17
	v_mov_b32_e32 v50, s15
.LBB117_5:
	s_or_b32 exec_lo, exec_lo, s16
.LBB117_6:
	s_delay_alu instid0(SALU_CYCLE_1)
	s_or_b32 exec_lo, exec_lo, s14
	s_load_b64 s[12:13], s[0:1], 0x28
	v_and_b32_e32 v3, 0x3ff, v0
	s_lshl_b32 s3, s6, 2
	s_mov_b32 s15, exec_lo
	s_min_u32 s14, s3, 0x8000
	s_delay_alu instid0(VALU_DEP_1) | instskip(NEXT) | instid1(VALU_DEP_1)
	v_lshlrev_b32_e32 v52, 3, v3
	v_lshl_add_u32 v4, v2, 9, v52
	s_delay_alu instid0(VALU_DEP_1)
	v_cmpx_gt_u32_e64 s14, v4
	s_cbranch_execz .LBB117_9
; %bb.7:
	v_lshlrev_b32_e32 v5, 10, v2
	v_lshlrev_b32_e32 v6, 4, v3
	s_mov_b32 s16, 0
	s_delay_alu instid0(VALU_DEP_1) | instskip(NEXT) | instid1(VALU_DEP_1)
	v_add_co_u32 v0, s2, v5, v6
	v_add_co_ci_u32_e64 v1, null, 0, 0, s2
	v_add_nc_u32_e32 v5, v5, v6
	s_delay_alu instid0(VALU_DEP_3) | instskip(NEXT) | instid1(VALU_DEP_3)
	v_add_co_u32 v0, vcc_lo, s8, v0
	v_add_co_ci_u32_e32 v1, vcc_lo, s9, v1, vcc_lo
	.p2align	6
.LBB117_8:                              ; =>This Inner Loop Header: Depth=1
	global_load_b128 v[6:9], v[0:1], off
	v_add_nc_u32_e32 v4, 0x2000, v4
	v_add_co_u32 v0, vcc_lo, 0x4000, v0
	v_add_co_ci_u32_e32 v1, vcc_lo, 0, v1, vcc_lo
	s_delay_alu instid0(VALU_DEP_3) | instskip(NEXT) | instid1(VALU_DEP_1)
	v_cmp_le_u32_e64 s2, s14, v4
	s_or_b32 s16, s2, s16
	s_waitcnt vmcnt(0)
	ds_store_b128 v5, v[6:9]
	v_add_nc_u32_e32 v5, 0x4000, v5
	s_and_not1_b32 exec_lo, exec_lo, s16
	s_cbranch_execnz .LBB117_8
.LBB117_9:
	s_or_b32 exec_lo, exec_lo, s15
	v_cmp_gt_u32_e32 vcc_lo, s18, v2
	v_cmp_gt_u32_e64 s2, s7, v50
	s_waitcnt lgkmcnt(0)
	s_barrier
	buffer_gl0_inv
	s_and_b32 s2, vcc_lo, s2
	s_delay_alu instid0(SALU_CYCLE_1)
	s_and_saveexec_b32 s14, s2
	s_cbranch_execz .LBB117_76
; %bb.10:
	s_cmp_lg_u32 s4, 0
	s_clause 0x1
	s_load_b64 s[14:15], s[0:1], 0x18
	s_load_b64 s[16:17], s[0:1], 0x30
	s_cselect_b32 s20, -1, 0
	s_add_i32 s21, s4, -8
	s_add_i32 s22, s7, -1
	s_cmp_lg_u64 s[12:13], 0
	s_mul_i32 s0, s18, s19
	s_cselect_b32 s23, -1, 0
	s_abs_i32 s2, s11
	v_cvt_f32_u32_e32 v1, s10
	v_cvt_f32_u32_e32 v0, s2
	s_lshl_b32 s24, s0, 1
	s_sub_i32 s0, 0, s2
	s_add_i32 s25, s7, -2
	s_sub_i32 s18, 0, s10
	v_rcp_iflag_f32_e32 v0, v0
	s_sub_i32 s19, 1, s2
	v_mad_u64_u32 v[55:56], null, s6, 3, v[52:53]
	v_add_nc_u32_e32 v68, s6, v52
	v_mbcnt_lo_u32_b32 v71, -1, 0
	s_mov_b32 s11, 0
	s_waitcnt_depctr 0xfff
	v_dual_mul_f32 v0, 0x4f7ffffe, v0 :: v_dual_lshlrev_b32 v67, 4, v3
	s_delay_alu instid0(VALU_DEP_1) | instskip(NEXT) | instid1(VALU_DEP_1)
	v_cvt_u32_f32_e32 v0, v0
	v_readfirstlane_b32 s1, v0
	v_rcp_iflag_f32_e32 v0, v1
	s_delay_alu instid0(VALU_DEP_1) | instskip(NEXT) | instid1(SALU_CYCLE_1)
	s_mul_i32 s0, s0, s1
	s_mul_hi_u32 s0, s1, s0
	s_delay_alu instid0(SALU_CYCLE_1)
	s_add_i32 s1, s1, s0
	s_cmp_lt_u32 s2, 2
	s_waitcnt_depctr 0xfff
	v_mul_f32_e32 v0, 0x4f7ffffe, v0
	s_cselect_b32 s19, s19, 1
	v_cmp_eq_u32_e64 s0, 63, v3
	s_sub_i32 s26, s19, s2
	s_cmp_ge_u32 s19, s2
	v_cvt_u32_f32_e32 v0, v0
	s_cselect_b32 s27, s26, s19
	s_lshr_b32 s19, s1, 31
	s_mul_hi_u32 s1, s1, 3
	s_mul_i32 s19, s19, s2
	v_mul_lo_u32 v1, s18, v0
	s_sub_i32 s19, 2, s19
	s_mul_i32 s1, s1, s2
	s_sub_i32 s26, s19, s2
	s_cmp_ge_u32 s19, s2
	s_mul_i32 s27, s27, s10
	s_cselect_b32 s18, s26, s19
	s_delay_alu instid0(SALU_CYCLE_1)
	s_sub_i32 s19, s18, s2
	s_cmp_ge_u32 s18, s2
	v_mul_hi_u32 v1, v0, v1
	s_cselect_b32 s28, s19, s18
	s_sub_i32 s1, 3, s1
	v_mov_b32_e32 v54, 0
	s_sub_i32 s18, s1, s2
	s_cmp_ge_u32 s1, s2
	s_mul_i32 s28, s28, s10
	s_cselect_b32 s1, s18, s1
	v_add_nc_u32_e32 v69, v0, v1
	s_sub_i32 s18, s1, s2
	s_cmp_ge_u32 s1, s2
	s_cselect_b32 s29, s18, s1
	s_lshl_b32 s26, s6, 1
	s_mul_i32 s29, s29, s10
	v_add_nc_u32_e32 v70, s26, v52
	s_mul_i32 s6, s6, 6
	s_branch .LBB117_13
.LBB117_11:                             ;   in Loop: Header=BB117_13 Depth=1
	s_or_b32 exec_lo, exec_lo, s31
	v_mov_b32_e32 v50, s25
.LBB117_12:                             ;   in Loop: Header=BB117_13 Depth=1
	s_or_b32 exec_lo, exec_lo, s30
	s_delay_alu instid0(VALU_DEP_1) | instskip(SKIP_1) | instid1(SALU_CYCLE_1)
	v_cmp_le_u32_e32 vcc_lo, s7, v50
	s_or_b32 s11, vcc_lo, s11
	s_and_not1_b32 exec_lo, exec_lo, s11
	s_cbranch_execz .LBB117_76
.LBB117_13:                             ; =>This Loop Header: Depth=1
                                        ;     Child Loop BB117_18 Depth 2
                                        ;     Child Loop BB117_67 Depth 2
	v_dual_mov_b32 v77, v54 :: v_dual_add_nc_u32 v56, 1, v50
	v_mov_b32_e32 v78, v54
	v_mov_b32_e32 v76, v54
	;; [unrolled: 1-line block ×7, first 2 shown]
	s_and_not1_b32 vcc_lo, exec_lo, s20
	s_cbranch_vccnz .LBB117_52
; %bb.14:                               ;   in Loop: Header=BB117_13 Depth=1
	v_min_u32_e32 v0, s22, v50
	v_min_u32_e32 v2, s22, v56
	s_waitcnt lgkmcnt(0)
	v_dual_mov_b32 v1, v54 :: v_dual_mov_b32 v72, 0
	v_dual_mov_b32 v79, v67 :: v_dual_mov_b32 v74, 0
	v_mul_lo_u32 v53, v0, s5
	v_mul_lo_u32 v0, v2, s5
	v_dual_mov_b32 v73, 0 :: v_dual_mov_b32 v76, 0
	v_dual_mov_b32 v51, 0 :: v_dual_mov_b32 v78, 0
	v_mov_b32_e32 v75, 0
	v_mov_b32_e32 v77, 0
	v_lshlrev_b64 v[57:58], 1, v[53:54]
	v_lshlrev_b64 v[59:60], 1, v[0:1]
	s_mov_b32 s1, 0
	s_branch .LBB117_18
.LBB117_15:                             ;   in Loop: Header=BB117_18 Depth=2
	s_or_b32 exec_lo, exec_lo, s19
.LBB117_16:                             ;   in Loop: Header=BB117_18 Depth=2
	s_delay_alu instid0(SALU_CYCLE_1)
	s_or_b32 exec_lo, exec_lo, s18
.LBB117_17:                             ;   in Loop: Header=BB117_18 Depth=2
	s_delay_alu instid0(SALU_CYCLE_1)
	s_or_b32 exec_lo, exec_lo, s2
	s_waitcnt vmcnt(0) lgkmcnt(0)
	;;#ASMSTART
	v_dot2_f32_f16 v78, v24, v12, v78
	;;#ASMEND
	;;#ASMSTART
	v_dot2_f32_f16 v77, v24, v8, v77
	;;#ASMEND
	;; [unrolled: 3-line block ×24, first 2 shown]
	v_add_nc_u32_e32 v79, 0x800, v79
	;;#ASMSTART
	v_dot2_f32_f16 v78, v27, v15, v78
	;;#ASMEND
	;;#ASMSTART
	v_dot2_f32_f16 v77, v27, v11, v77
	;;#ASMEND
	;;#ASMSTART
	v_dot2_f32_f16 v76, v19, v15, v76
	;;#ASMEND
	;;#ASMSTART
	v_dot2_f32_f16 v75, v19, v11, v75
	;;#ASMEND
	;;#ASMSTART
	v_dot2_f32_f16 v72, v23, v15, v72
	;;#ASMEND
	;;#ASMSTART
	v_dot2_f32_f16 v74, v23, v11, v74
	;;#ASMEND
	;;#ASMSTART
	v_dot2_f32_f16 v73, v31, v15, v73
	;;#ASMEND
	;;#ASMSTART
	v_dot2_f32_f16 v51, v31, v11, v51
	;;#ASMEND
	s_addk_i32 s1, 0x400
	;;#ASMSTART
	v_dot2_f32_f16 v78, v44, v4, v78
	;;#ASMEND
	;;#ASMSTART
	v_dot2_f32_f16 v77, v44, v0, v77
	;;#ASMEND
	;; [unrolled: 3-line block ×16, first 2 shown]
	s_cmp_ge_u32 s1, s4
	;;#ASMSTART
	v_dot2_f32_f16 v78, v46, v6, v78
	;;#ASMEND
	;;#ASMSTART
	v_dot2_f32_f16 v77, v46, v2, v77
	;;#ASMEND
	;; [unrolled: 3-line block ×16, first 2 shown]
	s_cbranch_scc1 .LBB117_52
.LBB117_18:                             ;   Parent Loop BB117_13 Depth=1
                                        ; =>  This Inner Loop Header: Depth=2
	v_dual_mov_b32 v39, 0 :: v_dual_add_nc_u32 v62, s1, v52
	v_dual_mov_b32 v37, 0 :: v_dual_mov_b32 v36, 0
	v_dual_mov_b32 v31, 0 :: v_dual_mov_b32 v30, 0
	s_delay_alu instid0(VALU_DEP_3) | instskip(SKIP_2) | instid1(VALU_DEP_3)
	v_min_u32_e32 v53, s21, v62
	v_dual_mov_b32 v38, 0 :: v_dual_add_nc_u32 v61, 0x200, v62
	v_dual_mov_b32 v29, 0 :: v_dual_mov_b32 v28, 0
	v_lshlrev_b64 v[0:1], 1, v[53:54]
	s_delay_alu instid0(VALU_DEP_3) | instskip(SKIP_3) | instid1(VALU_DEP_4)
	v_min_u32_e32 v53, s21, v61
	v_dual_mov_b32 v43, 0 :: v_dual_mov_b32 v42, 0
	v_dual_mov_b32 v41, 0 :: v_dual_mov_b32 v40, 0
	s_waitcnt lgkmcnt(0)
	v_add_co_u32 v4, vcc_lo, s14, v0
	v_add_co_ci_u32_e32 v5, vcc_lo, s15, v1, vcc_lo
	v_lshlrev_b64 v[0:1], 1, v[53:54]
	s_delay_alu instid0(VALU_DEP_3) | instskip(NEXT) | instid1(VALU_DEP_3)
	v_add_co_u32 v2, vcc_lo, v4, v57
	v_add_co_ci_u32_e32 v3, vcc_lo, v5, v58, vcc_lo
	s_waitcnt vmcnt(6)
	v_dual_mov_b32 v23, 0 :: v_dual_mov_b32 v22, 0
	s_delay_alu instid0(VALU_DEP_4) | instskip(SKIP_3) | instid1(VALU_DEP_4)
	v_add_co_u32 v6, vcc_lo, s14, v0
	v_add_co_ci_u32_e32 v7, vcc_lo, s15, v1, vcc_lo
	v_add_co_u32 v0, vcc_lo, v4, v59
	v_add_co_ci_u32_e32 v1, vcc_lo, v5, v60, vcc_lo
	v_add_co_u32 v4, vcc_lo, v6, v57
	s_delay_alu instid0(VALU_DEP_4)
	v_add_co_ci_u32_e32 v5, vcc_lo, v7, v58, vcc_lo
	s_waitcnt vmcnt(0)
	v_add_co_u32 v16, vcc_lo, v6, v59
	v_add_co_ci_u32_e32 v17, vcc_lo, v7, v60, vcc_lo
	s_clause 0x3
	global_load_b128 v[12:15], v[2:3], off slc dlc
	global_load_b128 v[8:11], v[0:1], off slc dlc
	;; [unrolled: 1-line block ×4, first 2 shown]
	v_cmp_gt_u32_e32 vcc_lo, s4, v62
	v_dual_mov_b32 v21, 0 :: v_dual_mov_b32 v20, 0
	v_dual_mov_b32 v35, 0 :: v_dual_mov_b32 v34, 0
	;; [unrolled: 1-line block ×9, first 2 shown]
	s_and_saveexec_b32 s2, vcc_lo
	s_cbranch_execz .LBB117_17
; %bb.19:                               ;   in Loop: Header=BB117_18 Depth=2
	s_mov_b32 s18, exec_lo
                                        ; implicit-def: $vgpr27
	v_cmpx_lt_u32_e32 0x7fff, v62
	s_xor_b32 s18, exec_lo, s18
	s_cbranch_execz .LBB117_21
; %bb.20:                               ;   in Loop: Header=BB117_18 Depth=2
	v_mov_b32_e32 v63, v54
	s_delay_alu instid0(VALU_DEP_1) | instskip(NEXT) | instid1(VALU_DEP_1)
	v_lshlrev_b64 v[16:17], 1, v[62:63]
	v_add_co_u32 v16, vcc_lo, s8, v16
	s_delay_alu instid0(VALU_DEP_2)
	v_add_co_ci_u32_e32 v17, vcc_lo, s9, v17, vcc_lo
	global_load_b128 v[24:27], v[16:17], off
.LBB117_21:                             ;   in Loop: Header=BB117_18 Depth=2
	s_and_not1_saveexec_b32 s18, s18
	s_cbranch_execz .LBB117_23
; %bb.22:                               ;   in Loop: Header=BB117_18 Depth=2
	s_waitcnt vmcnt(0)
	ds_load_b128 v[24:27], v79
.LBB117_23:                             ;   in Loop: Header=BB117_18 Depth=2
	s_or_b32 exec_lo, exec_lo, s18
	v_add_nc_u32_e32 v53, s1, v68
	s_mov_b32 s18, exec_lo
                                        ; implicit-def: $vgpr19
	s_delay_alu instid0(VALU_DEP_1)
	v_cmpx_lt_u32_e32 0x7fff, v53
	s_xor_b32 s18, exec_lo, s18
	s_cbranch_execz .LBB117_25
; %bb.24:                               ;   in Loop: Header=BB117_18 Depth=2
	v_lshlrev_b64 v[16:17], 1, v[53:54]
	s_delay_alu instid0(VALU_DEP_1) | instskip(NEXT) | instid1(VALU_DEP_2)
	v_add_co_u32 v16, vcc_lo, s8, v16
	v_add_co_ci_u32_e32 v17, vcc_lo, s9, v17, vcc_lo
	global_load_b128 v[16:19], v[16:17], off
.LBB117_25:                             ;   in Loop: Header=BB117_18 Depth=2
	s_and_not1_saveexec_b32 s18, s18
	s_cbranch_execz .LBB117_27
; %bb.26:                               ;   in Loop: Header=BB117_18 Depth=2
	s_waitcnt vmcnt(0)
	v_add_nc_u32_e32 v16, s26, v79
	ds_load_b128 v[16:19], v16
.LBB117_27:                             ;   in Loop: Header=BB117_18 Depth=2
	s_or_b32 exec_lo, exec_lo, s18
	v_add_nc_u32_e32 v65, s1, v70
	s_mov_b32 s18, exec_lo
                                        ; implicit-def: $vgpr23
	s_delay_alu instid0(VALU_DEP_1)
	v_cmpx_lt_u32_e32 0x7fff, v65
	s_xor_b32 s18, exec_lo, s18
	s_cbranch_execz .LBB117_29
; %bb.28:                               ;   in Loop: Header=BB117_18 Depth=2
	v_mov_b32_e32 v66, v54
	s_delay_alu instid0(VALU_DEP_1) | instskip(NEXT) | instid1(VALU_DEP_1)
	v_lshlrev_b64 v[20:21], 1, v[65:66]
	v_add_co_u32 v20, vcc_lo, s8, v20
	s_delay_alu instid0(VALU_DEP_2)
	v_add_co_ci_u32_e32 v21, vcc_lo, s9, v21, vcc_lo
	global_load_b128 v[20:23], v[20:21], off
.LBB117_29:                             ;   in Loop: Header=BB117_18 Depth=2
	s_and_not1_saveexec_b32 s18, s18
	s_cbranch_execz .LBB117_31
; %bb.30:                               ;   in Loop: Header=BB117_18 Depth=2
	s_waitcnt vmcnt(0)
	v_add_nc_u32_e32 v22, s3, v79
	ds_load_2addr_b32 v[20:21], v22 offset1:1
	ds_load_2addr_b32 v[22:23], v22 offset0:2 offset1:3
.LBB117_31:                             ;   in Loop: Header=BB117_18 Depth=2
	s_or_b32 exec_lo, exec_lo, s18
	v_add_nc_u32_e32 v63, s1, v55
	s_mov_b32 s18, exec_lo
                                        ; implicit-def: $vgpr31
	s_delay_alu instid0(VALU_DEP_1)
	v_cmpx_lt_u32_e32 0x7fff, v63
	s_xor_b32 s18, exec_lo, s18
	s_cbranch_execz .LBB117_33
; %bb.32:                               ;   in Loop: Header=BB117_18 Depth=2
	v_mov_b32_e32 v64, v54
	s_delay_alu instid0(VALU_DEP_1) | instskip(NEXT) | instid1(VALU_DEP_1)
	v_lshlrev_b64 v[28:29], 1, v[63:64]
	v_add_co_u32 v28, vcc_lo, s8, v28
	s_delay_alu instid0(VALU_DEP_2)
	v_add_co_ci_u32_e32 v29, vcc_lo, s9, v29, vcc_lo
	global_load_b128 v[28:31], v[28:29], off
.LBB117_33:                             ;   in Loop: Header=BB117_18 Depth=2
	s_and_not1_saveexec_b32 s18, s18
	s_cbranch_execz .LBB117_35
; %bb.34:                               ;   in Loop: Header=BB117_18 Depth=2
	s_waitcnt vmcnt(0)
	v_add_nc_u32_e32 v28, s6, v79
	ds_load_b128 v[28:31], v28
.LBB117_35:                             ;   in Loop: Header=BB117_18 Depth=2
	s_or_b32 exec_lo, exec_lo, s18
	v_dual_mov_b32 v39, 0 :: v_dual_mov_b32 v38, 0
	v_dual_mov_b32 v37, 0 :: v_dual_mov_b32 v36, 0
	;; [unrolled: 1-line block ×8, first 2 shown]
	s_mov_b32 s18, exec_lo
	v_cmpx_gt_u32_e64 s4, v61
	s_cbranch_execz .LBB117_16
; %bb.36:                               ;   in Loop: Header=BB117_18 Depth=2
	s_mov_b32 s19, exec_lo
                                        ; implicit-def: $vgpr47
	v_cmpx_lt_u32_e32 0x7fff, v61
	s_xor_b32 s19, exec_lo, s19
	s_cbranch_execz .LBB117_38
; %bb.37:                               ;   in Loop: Header=BB117_18 Depth=2
	v_mov_b32_e32 v62, v54
	s_delay_alu instid0(VALU_DEP_1) | instskip(NEXT) | instid1(VALU_DEP_1)
	v_lshlrev_b64 v[32:33], 1, v[61:62]
	v_add_co_u32 v32, vcc_lo, s8, v32
	s_delay_alu instid0(VALU_DEP_2)
	v_add_co_ci_u32_e32 v33, vcc_lo, s9, v33, vcc_lo
	global_load_b128 v[44:47], v[32:33], off
.LBB117_38:                             ;   in Loop: Header=BB117_18 Depth=2
	s_and_not1_saveexec_b32 s19, s19
	s_cbranch_execz .LBB117_40
; %bb.39:                               ;   in Loop: Header=BB117_18 Depth=2
	s_waitcnt vmcnt(0)
	ds_load_b128 v[44:47], v79 offset:1024
.LBB117_40:                             ;   in Loop: Header=BB117_18 Depth=2
	s_or_b32 exec_lo, exec_lo, s19
	v_add_nc_u32_e32 v53, 0x200, v53
	s_mov_b32 s19, exec_lo
                                        ; implicit-def: $vgpr35
	s_delay_alu instid0(VALU_DEP_1)
	v_cmpx_lt_u32_e32 0x7fff, v53
	s_xor_b32 s19, exec_lo, s19
	s_cbranch_execz .LBB117_42
; %bb.41:                               ;   in Loop: Header=BB117_18 Depth=2
	v_lshlrev_b64 v[32:33], 1, v[53:54]
	s_delay_alu instid0(VALU_DEP_1) | instskip(NEXT) | instid1(VALU_DEP_2)
	v_add_co_u32 v32, vcc_lo, s8, v32
	v_add_co_ci_u32_e32 v33, vcc_lo, s9, v33, vcc_lo
	global_load_b128 v[32:35], v[32:33], off
.LBB117_42:                             ;   in Loop: Header=BB117_18 Depth=2
	s_and_not1_saveexec_b32 s19, s19
	s_cbranch_execz .LBB117_44
; %bb.43:                               ;   in Loop: Header=BB117_18 Depth=2
	s_waitcnt vmcnt(0)
	v_add_nc_u32_e32 v32, s26, v79
	ds_load_b128 v[32:35], v32 offset:1024
.LBB117_44:                             ;   in Loop: Header=BB117_18 Depth=2
	s_or_b32 exec_lo, exec_lo, s19
	v_add_nc_u32_e32 v53, 0x200, v65
	s_mov_b32 s19, exec_lo
                                        ; implicit-def: $vgpr43
	s_delay_alu instid0(VALU_DEP_1)
	v_cmpx_lt_u32_e32 0x7fff, v53
	s_xor_b32 s19, exec_lo, s19
	s_cbranch_execz .LBB117_46
; %bb.45:                               ;   in Loop: Header=BB117_18 Depth=2
	v_lshlrev_b64 v[36:37], 1, v[53:54]
	s_delay_alu instid0(VALU_DEP_1) | instskip(NEXT) | instid1(VALU_DEP_2)
	v_add_co_u32 v36, vcc_lo, s8, v36
	v_add_co_ci_u32_e32 v37, vcc_lo, s9, v37, vcc_lo
	global_load_b128 v[40:43], v[36:37], off
.LBB117_46:                             ;   in Loop: Header=BB117_18 Depth=2
	s_and_not1_saveexec_b32 s19, s19
	s_cbranch_execz .LBB117_48
; %bb.47:                               ;   in Loop: Header=BB117_18 Depth=2
	v_add_nc_u32_e32 v36, s3, v79
	s_delay_alu instid0(VALU_DEP_1)
	v_add_nc_u32_e32 v37, 0x400, v36
	v_add_nc_u32_e32 v36, 0x408, v36
	s_waitcnt vmcnt(0)
	ds_load_2addr_b32 v[40:41], v37 offset1:1
	ds_load_2addr_b32 v[42:43], v36 offset1:1
.LBB117_48:                             ;   in Loop: Header=BB117_18 Depth=2
	s_or_b32 exec_lo, exec_lo, s19
	v_add_nc_u32_e32 v53, 0x200, v63
	s_mov_b32 s19, exec_lo
                                        ; implicit-def: $vgpr39
	s_delay_alu instid0(VALU_DEP_1)
	v_cmpx_lt_u32_e32 0x7fff, v53
	s_xor_b32 s19, exec_lo, s19
	s_cbranch_execz .LBB117_50
; %bb.49:                               ;   in Loop: Header=BB117_18 Depth=2
	v_lshlrev_b64 v[36:37], 1, v[53:54]
	s_delay_alu instid0(VALU_DEP_1) | instskip(NEXT) | instid1(VALU_DEP_2)
	v_add_co_u32 v36, vcc_lo, s8, v36
	v_add_co_ci_u32_e32 v37, vcc_lo, s9, v37, vcc_lo
	global_load_b128 v[36:39], v[36:37], off
.LBB117_50:                             ;   in Loop: Header=BB117_18 Depth=2
	s_and_not1_saveexec_b32 s19, s19
	s_cbranch_execz .LBB117_15
; %bb.51:                               ;   in Loop: Header=BB117_18 Depth=2
	s_waitcnt vmcnt(0)
	v_add_nc_u32_e32 v36, s6, v79
	ds_load_b128 v[36:39], v36 offset:1024
	s_branch .LBB117_15
.LBB117_52:                             ;   in Loop: Header=BB117_13 Depth=1
	v_cvt_i32_f32_e32 v0, v78
	s_waitcnt lgkmcnt(0)
	v_cvt_i32_f32_e32 v1, v77
	v_cvt_i32_f32_e32 v2, v76
	v_xor_b32_e32 v3, 16, v71
	v_cvt_i32_f32_e32 v4, v75
	v_cvt_f32_i32_dpp v0, v0 row_shr:8 row_mask:0xf bank_mask:0xf bound_ctrl:1
	v_cvt_f32_i32_dpp v1, v1 row_shr:8 row_mask:0xf bank_mask:0xf bound_ctrl:1
	;; [unrolled: 1-line block ×3, first 2 shown]
	v_cmp_gt_i32_e32 vcc_lo, 32, v3
	v_cvt_i32_f32_e32 v11, v51
	s_delay_alu instid0(VALU_DEP_4) | instskip(NEXT) | instid1(VALU_DEP_4)
	v_dual_add_f32 v0, v78, v0 :: v_dual_add_f32 v1, v77, v1
	v_dual_add_f32 v2, v76, v2 :: v_dual_cndmask_b32 v3, v71, v3
	v_cvt_i32_f32_e32 v10, v73
	s_delay_alu instid0(VALU_DEP_3) | instskip(NEXT) | instid1(VALU_DEP_4)
	v_cvt_i32_f32_e32 v7, v0
	v_cvt_i32_f32_e32 v8, v1
	s_delay_alu instid0(VALU_DEP_4)
	v_cvt_i32_f32_e32 v9, v2
	v_cvt_f32_i32_dpp v4, v4 row_shr:8 row_mask:0xf bank_mask:0xf bound_ctrl:1
	v_cvt_f32_i32_dpp v11, v11 row_shr:8 row_mask:0xf bank_mask:0xf bound_ctrl:1
	;; [unrolled: 1-line block ×5, first 2 shown]
	v_cvt_i32_f32_e32 v5, v72
	v_cvt_i32_f32_e32 v6, v74
	s_delay_alu instid0(VALU_DEP_4) | instskip(SKIP_3) | instid1(VALU_DEP_3)
	v_dual_add_f32 v0, v0, v7 :: v_dual_add_f32 v1, v1, v8
	v_cvt_f32_i32_dpp v10, v10 row_shr:8 row_mask:0xf bank_mask:0xf bound_ctrl:1
	s_waitcnt vmcnt(0)
	v_dual_add_f32 v3, v75, v4 :: v_dual_lshlrev_b32 v16, 2, v3
	v_cvt_i32_f32_e32 v7, v0
	v_cvt_i32_f32_e32 v8, v1
	v_cvt_f32_i32_dpp v5, v5 row_shr:8 row_mask:0xf bank_mask:0xf bound_ctrl:1
	v_cvt_f32_i32_dpp v6, v6 row_shr:8 row_mask:0xf bank_mask:0xf bound_ctrl:1
	v_cvt_i32_f32_e32 v17, v3
	v_cvt_f32_i32_dpp v7, v7 row_shr:2 row_mask:0xf bank_mask:0xf bound_ctrl:1
	v_cvt_f32_i32_dpp v8, v8 row_shr:2 row_mask:0xf bank_mask:0xf bound_ctrl:1
	v_dual_add_f32 v2, v2, v9 :: v_dual_add_f32 v13, v73, v10
	v_add_f32_e32 v11, v51, v11
	s_delay_alu instid0(VALU_DEP_3) | instskip(NEXT) | instid1(VALU_DEP_3)
	v_dual_add_f32 v0, v0, v7 :: v_dual_add_f32 v1, v1, v8
	v_cvt_i32_f32_e32 v9, v2
	s_delay_alu instid0(VALU_DEP_2) | instskip(NEXT) | instid1(VALU_DEP_2)
	v_cvt_i32_f32_e32 v7, v1
	v_cvt_f32_i32_dpp v9, v9 row_shr:2 row_mask:0xf bank_mask:0xf bound_ctrl:1
	s_delay_alu instid0(VALU_DEP_2) | instskip(NEXT) | instid1(VALU_DEP_2)
	v_cvt_f32_i32_dpp v7, v7 row_shr:1 row_mask:0xf bank_mask:0xf bound_ctrl:1
	v_add_f32_e32 v2, v2, v9
	s_delay_alu instid0(VALU_DEP_2) | instskip(NEXT) | instid1(VALU_DEP_2)
	v_add_f32_e32 v10, v1, v7
	v_cvt_i32_f32_e32 v8, v2
	s_delay_alu instid0(VALU_DEP_1) | instskip(SKIP_2) | instid1(VALU_DEP_3)
	v_cvt_f32_i32_dpp v8, v8 row_shr:1 row_mask:0xf bank_mask:0xf bound_ctrl:1
	v_add_f32_e32 v4, v72, v5
	v_cvt_i32_f32_e32 v5, v0
	v_add_f32_e32 v7, v2, v8
	v_cvt_f32_i32_dpp v8, v17 row_shr:4 row_mask:0xf bank_mask:0xf bound_ctrl:1
	v_add_f32_e32 v6, v74, v6
	s_delay_alu instid0(VALU_DEP_4)
	v_cvt_f32_i32_dpp v5, v5 row_shr:1 row_mask:0xf bank_mask:0xf bound_ctrl:1
	v_cvt_i32_f32_e32 v2, v13
	ds_bpermute_b32 v9, v16, v7
	v_add_f32_e32 v3, v3, v8
	v_cvt_i32_f32_e32 v1, v6
	v_cvt_f32_i32_dpp v2, v2 row_shr:4 row_mask:0xf bank_mask:0xf bound_ctrl:1
	s_delay_alu instid0(VALU_DEP_2) | instskip(NEXT) | instid1(VALU_DEP_1)
	v_cvt_f32_i32_dpp v1, v1 row_shr:4 row_mask:0xf bank_mask:0xf bound_ctrl:1
	v_add_f32_e32 v1, v6, v1
	ds_bpermute_b32 v12, v16, v10
	v_cvt_i32_f32_e32 v8, v1
	s_delay_alu instid0(VALU_DEP_1) | instskip(SKIP_3) | instid1(VALU_DEP_4)
	v_cvt_f32_i32_dpp v8, v8 row_shr:2 row_mask:0xf bank_mask:0xf bound_ctrl:1
	v_add_f32_e32 v14, v0, v5
	v_cvt_i32_f32_e32 v0, v4
	v_cvt_i32_f32_e32 v5, v11
	v_add_f32_e32 v1, v1, v8
	ds_bpermute_b32 v15, v16, v14
	v_cvt_f32_i32_dpp v0, v0 row_shr:4 row_mask:0xf bank_mask:0xf bound_ctrl:1
	v_cvt_f32_i32_dpp v5, v5 row_shr:4 row_mask:0xf bank_mask:0xf bound_ctrl:1
	v_cvt_i32_f32_e32 v8, v1
	s_delay_alu instid0(VALU_DEP_3) | instskip(NEXT) | instid1(VALU_DEP_3)
	v_add_f32_e32 v0, v4, v0
	v_add_f32_e32 v4, v11, v5
	;; [unrolled: 1-line block ×3, first 2 shown]
	v_cvt_i32_f32_e32 v5, v3
	v_cvt_f32_i32_dpp v8, v8 row_shr:1 row_mask:0xf bank_mask:0xf bound_ctrl:1
	s_delay_alu instid0(VALU_DEP_4) | instskip(NEXT) | instid1(VALU_DEP_3)
	v_cvt_i32_f32_e32 v13, v4
	v_cvt_f32_i32_dpp v5, v5 row_shr:2 row_mask:0xf bank_mask:0xf bound_ctrl:1
	s_delay_alu instid0(VALU_DEP_2) | instskip(NEXT) | instid1(VALU_DEP_2)
	v_cvt_f32_i32_dpp v13, v13 row_shr:2 row_mask:0xf bank_mask:0xf bound_ctrl:1
	v_add_f32_e32 v3, v3, v5
	v_cvt_i32_f32_e32 v6, v0
	s_delay_alu instid0(VALU_DEP_3) | instskip(SKIP_1) | instid1(VALU_DEP_4)
	v_add_f32_e32 v5, v4, v13
	v_cvt_i32_f32_e32 v11, v2
	v_cvt_i32_f32_e32 v4, v3
	s_delay_alu instid0(VALU_DEP_4) | instskip(NEXT) | instid1(VALU_DEP_4)
	v_cvt_f32_i32_dpp v6, v6 row_shr:2 row_mask:0xf bank_mask:0xf bound_ctrl:1
	v_cvt_i32_f32_e32 v13, v5
	s_delay_alu instid0(VALU_DEP_4) | instskip(NEXT) | instid1(VALU_DEP_4)
	v_cvt_f32_i32_dpp v11, v11 row_shr:2 row_mask:0xf bank_mask:0xf bound_ctrl:1
	v_cvt_f32_i32_dpp v4, v4 row_shr:1 row_mask:0xf bank_mask:0xf bound_ctrl:1
	s_delay_alu instid0(VALU_DEP_4) | instskip(NEXT) | instid1(VALU_DEP_4)
	v_add_f32_e32 v0, v0, v6
	v_cvt_f32_i32_dpp v13, v13 row_shr:1 row_mask:0xf bank_mask:0xf bound_ctrl:1
	s_delay_alu instid0(VALU_DEP_4) | instskip(NEXT) | instid1(VALU_DEP_1)
	v_add_f32_e32 v2, v2, v11
	v_cvt_i32_f32_e32 v11, v2
	s_delay_alu instid0(VALU_DEP_1) | instskip(SKIP_3) | instid1(VALU_DEP_4)
	v_cvt_f32_i32_dpp v17, v11 row_shr:1 row_mask:0xf bank_mask:0xf bound_ctrl:1
	v_add_f32_e32 v11, v3, v4
	v_cvt_i32_f32_e32 v6, v0
	v_add_f32_e32 v4, v1, v8
	v_add_f32_e32 v2, v2, v17
	s_delay_alu instid0(VALU_DEP_3)
	v_cvt_f32_i32_dpp v6, v6 row_shr:1 row_mask:0xf bank_mask:0xf bound_ctrl:1
	ds_bpermute_b32 v3, v16, v2
	v_add_f32_e32 v6, v0, v6
	v_add_f32_e32 v0, v5, v13
	ds_bpermute_b32 v13, v16, v11
	ds_bpermute_b32 v5, v16, v4
	;; [unrolled: 1-line block ×4, first 2 shown]
	s_and_saveexec_b32 s18, s0
	s_cbranch_execz .LBB117_64
; %bb.53:                               ;   in Loop: Header=BB117_13 Depth=1
	v_dual_mov_b32 v23, 0 :: v_dual_mov_b32 v22, 0
	v_dual_mov_b32 v21, 0 :: v_dual_mov_b32 v20, 0
	;; [unrolled: 1-line block ×4, first 2 shown]
	s_and_not1_b32 vcc_lo, exec_lo, s23
	s_cbranch_vccnz .LBB117_55
; %bb.54:                               ;   in Loop: Header=BB117_13 Depth=1
	v_mul_hi_u32 v16, v50, v69
	v_mul_hi_u32 v17, v56, v69
	s_delay_alu instid0(VALU_DEP_2) | instskip(NEXT) | instid1(VALU_DEP_2)
	v_mul_lo_u32 v16, v16, s10
	v_mul_lo_u32 v17, v17, s10
	s_delay_alu instid0(VALU_DEP_2) | instskip(NEXT) | instid1(VALU_DEP_2)
	v_sub_nc_u32_e32 v16, v50, v16
	v_sub_nc_u32_e32 v17, v56, v17
	s_delay_alu instid0(VALU_DEP_2) | instskip(SKIP_1) | instid1(VALU_DEP_3)
	v_subrev_nc_u32_e32 v18, s10, v16
	v_cmp_le_u32_e32 vcc_lo, s10, v16
	v_subrev_nc_u32_e32 v19, s10, v17
	s_delay_alu instid0(VALU_DEP_3) | instskip(SKIP_1) | instid1(VALU_DEP_3)
	v_cndmask_b32_e32 v16, v16, v18, vcc_lo
	v_cmp_le_u32_e32 vcc_lo, s10, v17
	v_cndmask_b32_e32 v19, v17, v19, vcc_lo
	s_delay_alu instid0(VALU_DEP_3) | instskip(SKIP_2) | instid1(VALU_DEP_4)
	v_subrev_nc_u32_e32 v20, s10, v16
	v_cmp_le_u32_e32 vcc_lo, s10, v16
	v_mov_b32_e32 v18, v54
	v_subrev_nc_u32_e32 v21, s10, v19
	s_delay_alu instid0(VALU_DEP_4)
	v_cndmask_b32_e32 v53, v16, v20, vcc_lo
	v_cmp_le_u32_e32 vcc_lo, s10, v19
	v_mov_b32_e32 v17, v54
	v_mov_b32_e32 v20, v54
	v_mov_b32_e32 v24, v54
	v_lshlrev_b64 v[25:26], 1, v[53:54]
	v_cndmask_b32_e32 v16, v19, v21, vcc_lo
	v_dual_mov_b32 v22, v54 :: v_dual_add_nc_u32 v21, s28, v53
	s_delay_alu instid0(VALU_DEP_2) | instskip(SKIP_4) | instid1(VALU_DEP_3)
	v_add_nc_u32_e32 v19, s27, v16
	v_lshlrev_b64 v[27:28], 1, v[16:17]
	v_add_nc_u32_e32 v17, s27, v53
	v_add_co_u32 v25, vcc_lo, s12, v25
	v_add_co_ci_u32_e32 v26, vcc_lo, s13, v26, vcc_lo
	v_lshlrev_b64 v[17:18], 1, v[17:18]
	v_lshlrev_b64 v[19:20], 1, v[19:20]
	v_add_co_u32 v27, vcc_lo, s12, v27
	v_add_co_ci_u32_e32 v28, vcc_lo, s13, v28, vcc_lo
	v_add_nc_u32_e32 v23, s28, v16
	v_lshlrev_b64 v[21:22], 1, v[21:22]
	v_add_co_u32 v17, vcc_lo, s12, v17
	v_add_co_ci_u32_e32 v18, vcc_lo, s13, v18, vcc_lo
	v_add_nc_u32_e32 v53, s29, v53
	v_add_co_u32 v19, vcc_lo, s12, v19
	v_lshlrev_b64 v[23:24], 1, v[23:24]
	v_add_co_ci_u32_e32 v20, vcc_lo, s13, v20, vcc_lo
	v_add_co_u32 v29, vcc_lo, s12, v21
	v_add_co_ci_u32_e32 v30, vcc_lo, s13, v22, vcc_lo
	v_lshlrev_b64 v[21:22], 1, v[53:54]
	v_add_nc_u32_e32 v53, s29, v16
	v_add_co_u32 v31, vcc_lo, s12, v23
	v_add_co_ci_u32_e32 v32, vcc_lo, s13, v24, vcc_lo
	s_delay_alu instid0(VALU_DEP_3) | instskip(SKIP_2) | instid1(VALU_DEP_3)
	v_lshlrev_b64 v[23:24], 1, v[53:54]
	v_add_co_u32 v33, vcc_lo, s12, v21
	v_add_co_ci_u32_e32 v34, vcc_lo, s13, v22, vcc_lo
	v_add_co_u32 v35, vcc_lo, s12, v23
	s_delay_alu instid0(VALU_DEP_4)
	v_add_co_ci_u32_e32 v36, vcc_lo, s13, v24, vcc_lo
	s_clause 0x7
	global_load_u16 v23, v[25:26], off
	global_load_u16 v22, v[27:28], off
	;; [unrolled: 1-line block ×8, first 2 shown]
.LBB117_55:                             ;   in Loop: Header=BB117_13 Depth=1
	v_cmp_ne_u32_e32 vcc_lo, 0, v48
	s_and_saveexec_b32 s2, vcc_lo
	s_cbranch_execnz .LBB117_69
; %bb.56:                               ;   in Loop: Header=BB117_13 Depth=1
	s_or_b32 exec_lo, exec_lo, s2
	v_cmp_ne_u32_e64 s1, 0, v49
	s_delay_alu instid0(VALU_DEP_1)
	s_and_saveexec_b32 s19, s1
	s_cbranch_execnz .LBB117_70
.LBB117_57:                             ;   in Loop: Header=BB117_13 Depth=1
	s_or_b32 exec_lo, exec_lo, s19
	v_add_nc_u32_e32 v53, s7, v50
	s_and_saveexec_b32 s19, vcc_lo
	s_cbranch_execnz .LBB117_71
.LBB117_58:                             ;   in Loop: Header=BB117_13 Depth=1
	s_or_b32 exec_lo, exec_lo, s19
	s_and_saveexec_b32 s19, s1
	s_cbranch_execnz .LBB117_72
.LBB117_59:                             ;   in Loop: Header=BB117_13 Depth=1
	s_or_b32 exec_lo, exec_lo, s19
	v_add_nc_u32_e32 v53, s7, v53
	s_and_saveexec_b32 s19, vcc_lo
	s_cbranch_execnz .LBB117_73
.LBB117_60:                             ;   in Loop: Header=BB117_13 Depth=1
	s_or_b32 exec_lo, exec_lo, s19
	s_and_saveexec_b32 s19, s1
	s_cbranch_execnz .LBB117_74
.LBB117_61:                             ;   in Loop: Header=BB117_13 Depth=1
	s_or_b32 exec_lo, exec_lo, s19
	v_add_nc_u32_e32 v53, s7, v53
	s_and_saveexec_b32 s2, vcc_lo
	s_cbranch_execnz .LBB117_75
.LBB117_62:                             ;   in Loop: Header=BB117_13 Depth=1
	s_or_b32 exec_lo, exec_lo, s2
	s_delay_alu instid0(SALU_CYCLE_1)
	s_and_b32 exec_lo, exec_lo, s1
	s_cbranch_execz .LBB117_64
.LBB117_63:                             ;   in Loop: Header=BB117_13 Depth=1
	s_waitcnt lgkmcnt(0)
	v_add_f32_e32 v0, v0, v1
	s_waitcnt vmcnt(0)
	v_cvt_f32_f16_e32 v1, v16
	v_add_nc_u32_e32 v53, 1, v53
	s_delay_alu instid0(VALU_DEP_2) | instskip(NEXT) | instid1(VALU_DEP_2)
	v_add_f32_e32 v2, v0, v1
	v_lshlrev_b64 v[0:1], 1, v[53:54]
	s_delay_alu instid0(VALU_DEP_2) | instskip(NEXT) | instid1(VALU_DEP_2)
	v_cvt_f16_f32_e32 v2, v2
	v_add_co_u32 v0, vcc_lo, s16, v0
	s_delay_alu instid0(VALU_DEP_3)
	v_add_co_ci_u32_e32 v1, vcc_lo, s17, v1, vcc_lo
	global_store_b16 v[0:1], v2, off
.LBB117_64:                             ;   in Loop: Header=BB117_13 Depth=1
	s_or_b32 exec_lo, exec_lo, s18
	v_add_nc_u32_e32 v50, s24, v50
	s_delay_alu instid0(VALU_DEP_1) | instskip(SKIP_1) | instid1(VALU_DEP_2)
	v_add_nc_u32_e32 v0, 2, v50
	v_cmp_gt_u32_e32 vcc_lo, s7, v50
	v_cmp_le_u32_e64 s1, s7, v0
	s_delay_alu instid0(VALU_DEP_1) | instskip(NEXT) | instid1(SALU_CYCLE_1)
	s_and_b32 s1, vcc_lo, s1
	s_and_saveexec_b32 s30, s1
	s_cbranch_execz .LBB117_12
; %bb.65:                               ;   in Loop: Header=BB117_13 Depth=1
	s_mov_b32 s31, exec_lo
	v_cmpx_ne_u32_e64 s25, v50
	s_cbranch_execz .LBB117_11
; %bb.66:                               ;   in Loop: Header=BB117_13 Depth=1
	v_subrev_nc_u32_e32 v0, s25, v50
	s_mov_b32 s33, 0
	s_mov_b64 s[18:19], 0
	s_delay_alu instid0(VALU_DEP_1)
	v_cmp_lt_u32_e32 vcc_lo, 1, v0
	v_cndmask_b32_e32 v0, 1, v0, vcc_lo
.LBB117_67:                             ;   Parent Loop BB117_13 Depth=1
                                        ; =>  This Inner Loop Header: Depth=2
	s_cmp_lg_u32 s18, 1
	s_cselect_b32 vcc_lo, -1, 0
	s_cmp_lg_u32 s18, 0
	v_cndmask_b32_e32 v49, 0, v49, vcc_lo
	s_cselect_b32 s1, -1, 0
	s_add_u32 s18, s18, 1
	v_cndmask_b32_e64 v48, 0, v48, s1
	v_cmp_eq_u32_e64 s2, s18, v0
	s_addc_u32 s19, s19, 0
	s_delay_alu instid0(VALU_DEP_1) | instskip(NEXT) | instid1(SALU_CYCLE_1)
	s_or_b32 s33, s2, s33
	s_and_not1_b32 exec_lo, exec_lo, s33
	s_cbranch_execnz .LBB117_67
; %bb.68:                               ;   in Loop: Header=BB117_13 Depth=1
	s_or_b32 exec_lo, exec_lo, s33
	s_branch .LBB117_11
.LBB117_69:                             ;   in Loop: Header=BB117_13 Depth=1
	s_waitcnt lgkmcnt(0)
	v_add_f32_e32 v14, v14, v15
	s_waitcnt vmcnt(7)
	v_cvt_f32_f16_e32 v15, v23
	v_mov_b32_e32 v51, v54
	s_delay_alu instid0(VALU_DEP_2) | instskip(NEXT) | instid1(VALU_DEP_2)
	v_add_f32_e32 v23, v14, v15
	v_lshlrev_b64 v[14:15], 1, v[50:51]
	s_delay_alu instid0(VALU_DEP_2) | instskip(NEXT) | instid1(VALU_DEP_2)
	v_cvt_f16_f32_e32 v23, v23
	v_add_co_u32 v14, s1, s16, v14
	s_delay_alu instid0(VALU_DEP_1) | instskip(SKIP_3) | instid1(VALU_DEP_1)
	v_add_co_ci_u32_e64 v15, s1, s17, v15, s1
	global_store_b16 v[14:15], v23, off
	s_or_b32 exec_lo, exec_lo, s2
	v_cmp_ne_u32_e64 s1, 0, v49
	s_and_saveexec_b32 s19, s1
	s_cbranch_execz .LBB117_57
.LBB117_70:                             ;   in Loop: Header=BB117_13 Depth=1
	v_mov_b32_e32 v57, v54
	s_waitcnt lgkmcnt(0)
	v_add_f32_e32 v10, v10, v12
	s_waitcnt vmcnt(6)
	v_cvt_f32_f16_e32 v12, v22
	v_lshlrev_b64 v[14:15], 1, v[56:57]
	s_delay_alu instid0(VALU_DEP_2) | instskip(NEXT) | instid1(VALU_DEP_2)
	v_add_f32_e32 v10, v10, v12
	v_add_co_u32 v14, s2, s16, v14
	s_delay_alu instid0(VALU_DEP_2) | instskip(NEXT) | instid1(VALU_DEP_4)
	v_cvt_f16_f32_e32 v10, v10
	v_add_co_ci_u32_e64 v15, s2, s17, v15, s2
	global_store_b16 v[14:15], v10, off
	s_or_b32 exec_lo, exec_lo, s19
	v_add_nc_u32_e32 v53, s7, v50
	s_and_saveexec_b32 s19, vcc_lo
	s_cbranch_execz .LBB117_58
.LBB117_71:                             ;   in Loop: Header=BB117_13 Depth=1
	s_waitcnt lgkmcnt(0)
	v_add_f32_e32 v7, v7, v9
	s_waitcnt vmcnt(5)
	v_cvt_f32_f16_e32 v9, v21
	s_delay_alu instid0(VALU_DEP_1) | instskip(SKIP_1) | instid1(VALU_DEP_2)
	v_add_f32_e32 v7, v7, v9
	v_lshlrev_b64 v[9:10], 1, v[53:54]
	v_cvt_f16_f32_e32 v7, v7
	s_delay_alu instid0(VALU_DEP_2) | instskip(NEXT) | instid1(VALU_DEP_1)
	v_add_co_u32 v9, s2, s16, v9
	v_add_co_ci_u32_e64 v10, s2, s17, v10, s2
	global_store_b16 v[9:10], v7, off
	s_or_b32 exec_lo, exec_lo, s19
	s_and_saveexec_b32 s19, s1
	s_cbranch_execz .LBB117_59
.LBB117_72:                             ;   in Loop: Header=BB117_13 Depth=1
	s_waitcnt lgkmcnt(0)
	v_dual_add_f32 v7, v11, v13 :: v_dual_mov_b32 v10, v54
	v_add_nc_u32_e32 v9, 1, v53
	s_waitcnt vmcnt(4)
	v_cvt_f32_f16_e32 v11, v20
	s_delay_alu instid0(VALU_DEP_2) | instskip(NEXT) | instid1(VALU_DEP_2)
	v_lshlrev_b64 v[9:10], 1, v[9:10]
	v_add_f32_e32 v7, v7, v11
	s_delay_alu instid0(VALU_DEP_1) | instskip(NEXT) | instid1(VALU_DEP_3)
	v_cvt_f16_f32_e32 v7, v7
	v_add_co_u32 v9, s2, s16, v9
	s_delay_alu instid0(VALU_DEP_1)
	v_add_co_ci_u32_e64 v10, s2, s17, v10, s2
	global_store_b16 v[9:10], v7, off
	s_or_b32 exec_lo, exec_lo, s19
	v_add_nc_u32_e32 v53, s7, v53
	s_and_saveexec_b32 s19, vcc_lo
	s_cbranch_execz .LBB117_60
.LBB117_73:                             ;   in Loop: Header=BB117_13 Depth=1
	s_waitcnt lgkmcnt(0)
	v_add_f32_e32 v6, v6, v8
	s_waitcnt vmcnt(3)
	v_cvt_f32_f16_e32 v7, v19
	s_delay_alu instid0(VALU_DEP_1) | instskip(SKIP_1) | instid1(VALU_DEP_2)
	v_add_f32_e32 v8, v6, v7
	v_lshlrev_b64 v[6:7], 1, v[53:54]
	v_cvt_f16_f32_e32 v8, v8
	s_delay_alu instid0(VALU_DEP_2) | instskip(NEXT) | instid1(VALU_DEP_1)
	v_add_co_u32 v6, s2, s16, v6
	v_add_co_ci_u32_e64 v7, s2, s17, v7, s2
	global_store_b16 v[6:7], v8, off
	s_or_b32 exec_lo, exec_lo, s19
	s_and_saveexec_b32 s19, s1
	s_cbranch_execz .LBB117_61
.LBB117_74:                             ;   in Loop: Header=BB117_13 Depth=1
	s_waitcnt lgkmcnt(0)
	v_dual_add_f32 v6, v4, v5 :: v_dual_mov_b32 v5, v54
	v_add_nc_u32_e32 v4, 1, v53
	s_waitcnt vmcnt(2)
	v_cvt_f32_f16_e32 v7, v18
	s_delay_alu instid0(VALU_DEP_2) | instskip(NEXT) | instid1(VALU_DEP_2)
	v_lshlrev_b64 v[4:5], 1, v[4:5]
	v_add_f32_e32 v6, v6, v7
	s_delay_alu instid0(VALU_DEP_1) | instskip(NEXT) | instid1(VALU_DEP_3)
	v_cvt_f16_f32_e32 v6, v6
	v_add_co_u32 v4, s2, s16, v4
	s_delay_alu instid0(VALU_DEP_1)
	v_add_co_ci_u32_e64 v5, s2, s17, v5, s2
	global_store_b16 v[4:5], v6, off
	s_or_b32 exec_lo, exec_lo, s19
	v_add_nc_u32_e32 v53, s7, v53
	s_and_saveexec_b32 s2, vcc_lo
	s_cbranch_execz .LBB117_62
.LBB117_75:                             ;   in Loop: Header=BB117_13 Depth=1
	s_waitcnt lgkmcnt(0)
	v_add_f32_e32 v2, v2, v3
	s_waitcnt vmcnt(1)
	v_cvt_f32_f16_e32 v3, v17
	s_delay_alu instid0(VALU_DEP_1) | instskip(SKIP_1) | instid1(VALU_DEP_2)
	v_add_f32_e32 v4, v2, v3
	v_lshlrev_b64 v[2:3], 1, v[53:54]
	v_cvt_f16_f32_e32 v4, v4
	s_delay_alu instid0(VALU_DEP_2) | instskip(NEXT) | instid1(VALU_DEP_3)
	v_add_co_u32 v2, vcc_lo, s16, v2
	v_add_co_ci_u32_e32 v3, vcc_lo, s17, v3, vcc_lo
	global_store_b16 v[2:3], v4, off
	s_or_b32 exec_lo, exec_lo, s2
	s_delay_alu instid0(SALU_CYCLE_1)
	s_and_b32 exec_lo, exec_lo, s1
	s_cbranch_execnz .LBB117_63
	s_branch .LBB117_64
.LBB117_76:
	s_nop 0
	s_sendmsg sendmsg(MSG_DEALLOC_VGPRS)
	s_endpgm
	.section	.rodata,"a",@progbits
	.p2align	6, 0x0
	.amdhsa_kernel _Z12wvSplitK_hf_I6__halfLi64ELi2ELi16ELi8ELi2ELi4EEviiiiiiPKT_S3_S3_PS1_ii
		.amdhsa_group_segment_fixed_size 65536
		.amdhsa_private_segment_fixed_size 0
		.amdhsa_kernarg_size 64
		.amdhsa_user_sgpr_count 15
		.amdhsa_user_sgpr_dispatch_ptr 0
		.amdhsa_user_sgpr_queue_ptr 0
		.amdhsa_user_sgpr_kernarg_segment_ptr 1
		.amdhsa_user_sgpr_dispatch_id 0
		.amdhsa_user_sgpr_private_segment_size 0
		.amdhsa_wavefront_size32 1
		.amdhsa_uses_dynamic_stack 0
		.amdhsa_enable_private_segment 0
		.amdhsa_system_sgpr_workgroup_id_x 1
		.amdhsa_system_sgpr_workgroup_id_y 0
		.amdhsa_system_sgpr_workgroup_id_z 0
		.amdhsa_system_sgpr_workgroup_info 0
		.amdhsa_system_vgpr_workitem_id 1
		.amdhsa_next_free_vgpr 80
		.amdhsa_next_free_sgpr 34
		.amdhsa_reserve_vcc 1
		.amdhsa_float_round_mode_32 0
		.amdhsa_float_round_mode_16_64 0
		.amdhsa_float_denorm_mode_32 3
		.amdhsa_float_denorm_mode_16_64 3
		.amdhsa_dx10_clamp 1
		.amdhsa_ieee_mode 1
		.amdhsa_fp16_overflow 0
		.amdhsa_workgroup_processor_mode 1
		.amdhsa_memory_ordered 1
		.amdhsa_forward_progress 0
		.amdhsa_shared_vgpr_count 0
		.amdhsa_exception_fp_ieee_invalid_op 0
		.amdhsa_exception_fp_denorm_src 0
		.amdhsa_exception_fp_ieee_div_zero 0
		.amdhsa_exception_fp_ieee_overflow 0
		.amdhsa_exception_fp_ieee_underflow 0
		.amdhsa_exception_fp_ieee_inexact 0
		.amdhsa_exception_int_div_zero 0
	.end_amdhsa_kernel
	.section	.text._Z12wvSplitK_hf_I6__halfLi64ELi2ELi16ELi8ELi2ELi4EEviiiiiiPKT_S3_S3_PS1_ii,"axG",@progbits,_Z12wvSplitK_hf_I6__halfLi64ELi2ELi16ELi8ELi2ELi4EEviiiiiiPKT_S3_S3_PS1_ii,comdat
.Lfunc_end117:
	.size	_Z12wvSplitK_hf_I6__halfLi64ELi2ELi16ELi8ELi2ELi4EEviiiiiiPKT_S3_S3_PS1_ii, .Lfunc_end117-_Z12wvSplitK_hf_I6__halfLi64ELi2ELi16ELi8ELi2ELi4EEviiiiiiPKT_S3_S3_PS1_ii
                                        ; -- End function
	.section	.AMDGPU.csdata,"",@progbits
; Kernel info:
; codeLenInByte = 5552
; NumSgprs: 36
; NumVgprs: 80
; ScratchSize: 0
; MemoryBound: 0
; FloatMode: 240
; IeeeMode: 1
; LDSByteSize: 65536 bytes/workgroup (compile time only)
; SGPRBlocks: 4
; VGPRBlocks: 9
; NumSGPRsForWavesPerEU: 36
; NumVGPRsForWavesPerEU: 80
; Occupancy: 16
; WaveLimiterHint : 0
; COMPUTE_PGM_RSRC2:SCRATCH_EN: 0
; COMPUTE_PGM_RSRC2:USER_SGPR: 15
; COMPUTE_PGM_RSRC2:TRAP_HANDLER: 0
; COMPUTE_PGM_RSRC2:TGID_X_EN: 1
; COMPUTE_PGM_RSRC2:TGID_Y_EN: 0
; COMPUTE_PGM_RSRC2:TGID_Z_EN: 0
; COMPUTE_PGM_RSRC2:TIDIG_COMP_CNT: 1
	.section	.text._Z16wvSplitK_hf_big_I6__halfLi64ELi2ELi16ELi8ELi2ELi4EEviiiiiiPKT_S3_S3_PS1_ii,"axG",@progbits,_Z16wvSplitK_hf_big_I6__halfLi64ELi2ELi16ELi8ELi2ELi4EEviiiiiiPKT_S3_S3_PS1_ii,comdat
	.protected	_Z16wvSplitK_hf_big_I6__halfLi64ELi2ELi16ELi8ELi2ELi4EEviiiiiiPKT_S3_S3_PS1_ii ; -- Begin function _Z16wvSplitK_hf_big_I6__halfLi64ELi2ELi16ELi8ELi2ELi4EEviiiiiiPKT_S3_S3_PS1_ii
	.globl	_Z16wvSplitK_hf_big_I6__halfLi64ELi2ELi16ELi8ELi2ELi4EEviiiiiiPKT_S3_S3_PS1_ii
	.p2align	8
	.type	_Z16wvSplitK_hf_big_I6__halfLi64ELi2ELi16ELi8ELi2ELi4EEviiiiiiPKT_S3_S3_PS1_ii,@function
_Z16wvSplitK_hf_big_I6__halfLi64ELi2ELi16ELi8ELi2ELi4EEviiiiiiPKT_S3_S3_PS1_ii: ; @_Z16wvSplitK_hf_big_I6__halfLi64ELi2ELi16ELi8ELi2ELi4EEviiiiiiPKT_S3_S3_PS1_ii
; %bb.0:
	s_load_b64 s[20:21], s[0:1], 0x38
	v_bfe_u32 v1, v0, 10, 10
	s_mov_b32 s2, exec_lo
	s_waitcnt lgkmcnt(0)
	s_delay_alu instid0(VALU_DEP_1)
	v_cmpx_gt_u32_e64 s20, v1
	s_cbranch_execz .LBB118_56
; %bb.1:
	s_load_b128 s[16:19], s[0:1], 0x0
	s_mul_i32 s15, s15, s20
	s_mov_b32 s4, 1
	v_add_lshl_u32 v50, s15, v1, 1
	s_mov_b32 s5, s4
	s_delay_alu instid0(SALU_CYCLE_1) | instskip(NEXT) | instid1(VALU_DEP_2)
	v_dual_mov_b32 v49, s5 :: v_dual_mov_b32 v48, s4
	v_add_nc_u32_e32 v2, 2, v50
	s_waitcnt lgkmcnt(0)
	v_cmp_gt_u32_e32 vcc_lo, s19, v50
	s_delay_alu instid0(VALU_DEP_2) | instskip(NEXT) | instid1(VALU_DEP_1)
	v_cmp_le_u32_e64 s2, s19, v2
	s_and_b32 s2, vcc_lo, s2
	s_delay_alu instid0(SALU_CYCLE_1)
	s_and_saveexec_b32 s6, s2
	s_cbranch_execz .LBB118_7
; %bb.2:
	v_dual_mov_b32 v49, s5 :: v_dual_mov_b32 v48, s4
	s_add_i32 s7, s19, -2
	s_mov_b32 s8, exec_lo
	v_cmpx_ne_u32_e64 s7, v50
	s_cbranch_execz .LBB118_6
; %bb.3:
	v_subrev_nc_u32_e32 v2, s7, v50
	s_mov_b32 s2, 1
	s_mov_b32 s9, 0
	s_mov_b64 s[4:5], 0
	s_mov_b32 s3, s2
	v_cmp_lt_u32_e32 vcc_lo, 1, v2
	v_cndmask_b32_e32 v2, 1, v2, vcc_lo
.LBB118_4:                              ; =>This Inner Loop Header: Depth=1
	s_cmp_lg_u32 s4, 1
	s_cselect_b32 s3, s3, 0
	s_cmp_lg_u32 s4, 0
	s_cselect_b32 s2, s2, 0
	s_add_u32 s4, s4, 1
	v_dual_mov_b32 v49, s3 :: v_dual_mov_b32 v48, s2
	v_cmp_eq_u32_e32 vcc_lo, s4, v2
	s_addc_u32 s5, s5, 0
	s_or_b32 s9, vcc_lo, s9
	s_delay_alu instid0(SALU_CYCLE_1)
	s_and_not1_b32 exec_lo, exec_lo, s9
	s_cbranch_execnz .LBB118_4
; %bb.5:
	s_or_b32 exec_lo, exec_lo, s9
	v_mov_b32_e32 v50, s7
.LBB118_6:
	s_or_b32 exec_lo, exec_lo, s8
.LBB118_7:
	s_delay_alu instid0(SALU_CYCLE_1)
	s_or_b32 exec_lo, exec_lo, s6
	s_lshl_b32 s2, s20, 1
	s_abs_i32 s6, s19
	s_abs_i32 s3, s2
	s_mov_b32 s22, 0
	v_cvt_f32_u32_e32 v2, s3
	s_sub_i32 s5, 0, s3
	s_delay_alu instid0(VALU_DEP_1) | instskip(SKIP_2) | instid1(VALU_DEP_1)
	v_rcp_iflag_f32_e32 v2, v2
	s_waitcnt_depctr 0xfff
	v_mul_f32_e32 v2, 0x4f7ffffe, v2
	v_cvt_u32_f32_e32 v2, v2
	s_delay_alu instid0(VALU_DEP_1) | instskip(NEXT) | instid1(VALU_DEP_1)
	v_readfirstlane_b32 s4, v2
	s_mul_i32 s5, s5, s4
	s_delay_alu instid0(SALU_CYCLE_1) | instskip(NEXT) | instid1(SALU_CYCLE_1)
	s_mul_hi_u32 s5, s4, s5
	s_add_i32 s4, s4, s5
	s_ashr_i32 s5, s19, 31
	s_mul_hi_u32 s4, s6, s4
	s_delay_alu instid0(SALU_CYCLE_1) | instskip(NEXT) | instid1(SALU_CYCLE_1)
	s_mul_i32 s4, s4, s3
	s_sub_i32 s4, s6, s4
	s_delay_alu instid0(SALU_CYCLE_1) | instskip(SKIP_2) | instid1(SALU_CYCLE_1)
	s_sub_i32 s6, s4, s3
	s_cmp_ge_u32 s4, s3
	s_cselect_b32 s4, s6, s4
	s_sub_i32 s6, s4, s3
	s_cmp_ge_u32 s4, s3
	s_cselect_b32 s3, s6, s4
	s_add_i32 s2, s2, s19
	s_xor_b32 s3, s3, s5
	s_delay_alu instid0(SALU_CYCLE_1) | instskip(NEXT) | instid1(SALU_CYCLE_1)
	s_sub_i32 s3, s3, s5
	s_sub_i32 s2, s2, s3
	s_cmp_eq_u32 s3, 0
	s_cselect_b32 s3, s19, s2
	s_delay_alu instid0(SALU_CYCLE_1)
	v_cmp_gt_u32_e32 vcc_lo, s3, v50
	s_and_b32 exec_lo, exec_lo, vcc_lo
	s_cbranch_execz .LBB118_56
; %bb.8:
	s_load_b256 s[4:11], s[0:1], 0x10
	s_min_u32 s23, s18, 0x2000
	s_cmp_lg_u32 s16, 0
	s_mul_i32 s2, s21, s20
	s_cselect_b32 s24, -1, 0
	s_cmp_lg_u32 s18, 0
	s_load_b64 s[12:13], s[0:1], 0x30
	s_cselect_b32 s21, -1, 0
	s_lshl_b32 s25, s20, 9
	s_add_i32 s26, s16, -8
	s_add_i32 s27, s19, -1
	s_lshl_b32 s28, s2, 1
	v_and_b32_e32 v0, 0x3ff, v0
	v_mbcnt_lo_u32_b32 v59, -1, 0
	s_delay_alu instid0(VALU_DEP_2)
	v_lshlrev_b32_e32 v60, 3, v0
	v_cmp_eq_u32_e64 s0, 63, v0
	v_lshlrev_b32_e32 v0, 4, v0
	s_waitcnt lgkmcnt(0)
	s_cmp_lg_u64 s[10:11], 0
	v_cvt_f32_u32_e32 v3, s4
	s_cselect_b32 s29, -1, 0
	s_abs_i32 s2, s5
	s_add_i32 s30, s19, -2
	v_cvt_f32_u32_e32 v2, s2
	v_rcp_iflag_f32_e32 v3, v3
	s_sub_i32 s14, 0, s2
	s_sub_i32 s15, 0, s4
	s_sub_i32 s31, 1, s2
	v_rcp_iflag_f32_e32 v2, v2
	v_lshl_add_u32 v61, v1, 10, v0
	v_lshl_add_u32 v53, v1, 9, v60
	v_mov_b32_e32 v52, 0
	s_mul_i32 s5, s23, 6
	s_delay_alu instid0(VALU_DEP_2) | instskip(SKIP_4) | instid1(VALU_DEP_2)
	v_add_nc_u32_e32 v63, s18, v53
	v_mad_u64_u32 v[54:55], null, s18, 3, v[53:54]
	s_waitcnt_depctr 0xfff
	v_mul_f32_e32 v2, 0x4f7ffffe, v2
	v_lshl_add_u32 v62, s18, 1, v53
	v_cvt_u32_f32_e32 v2, v2
	s_delay_alu instid0(VALU_DEP_1) | instskip(SKIP_1) | instid1(VALU_DEP_2)
	v_readfirstlane_b32 s1, v2
	v_mul_f32_e32 v2, 0x4f7ffffe, v3
	s_mul_i32 s14, s14, s1
	s_delay_alu instid0(VALU_DEP_1) | instskip(SKIP_1) | instid1(SALU_CYCLE_1)
	v_cvt_u32_f32_e32 v0, v2
	s_mul_hi_u32 s14, s1, s14
	s_add_i32 s1, s1, s14
	s_cmp_lt_u32 s2, 2
	s_delay_alu instid0(VALU_DEP_1) | instskip(SKIP_1) | instid1(SALU_CYCLE_1)
	v_mul_lo_u32 v1, s15, v0
	s_cselect_b32 s14, s31, 1
	s_sub_i32 s31, s14, s2
	s_cmp_ge_u32 s14, s2
	s_cselect_b32 s31, s31, s14
	s_lshr_b32 s14, s1, 31
	s_mul_hi_u32 s1, s1, 3
	s_mul_i32 s14, s14, s2
	s_mul_i32 s1, s1, s2
	s_sub_i32 s14, 2, s14
	v_mul_hi_u32 v1, v0, v1
	s_sub_i32 s15, s14, s2
	s_cmp_ge_u32 s14, s2
	s_mul_i32 s31, s31, s4
	s_cselect_b32 s14, s15, s14
	s_delay_alu instid0(SALU_CYCLE_1) | instskip(SKIP_1) | instid1(VALU_DEP_1)
	s_sub_i32 s15, s14, s2
	s_cmp_ge_u32 s14, s2
	v_add_nc_u32_e32 v64, v0, v1
	s_cselect_b32 s33, s15, s14
	s_sub_i32 s1, 3, s1
	s_mul_i32 s33, s33, s4
	s_sub_i32 s14, s1, s2
	s_cmp_ge_u32 s1, s2
	s_cselect_b32 s1, s14, s1
	s_delay_alu instid0(SALU_CYCLE_1)
	s_sub_i32 s14, s1, s2
	s_cmp_ge_u32 s1, s2
	s_cselect_b32 s37, s14, s1
	s_add_u32 s34, s12, 2
	s_addc_u32 s35, s13, 0
	s_lshl_b32 s20, s20, 10
	s_lshl_b32 s36, s23, 2
	s_mul_i32 s37, s37, s4
	s_lshl_b32 s38, s23, 1
	s_branch .LBB118_12
.LBB118_9:                              ;   in Loop: Header=BB118_12 Depth=1
	s_or_b32 exec_lo, exec_lo, s41
	v_mov_b32_e32 v50, s30
.LBB118_10:                             ;   in Loop: Header=BB118_12 Depth=1
	s_or_b32 exec_lo, exec_lo, s40
.LBB118_11:                             ;   in Loop: Header=BB118_12 Depth=1
	s_delay_alu instid0(SALU_CYCLE_1) | instskip(NEXT) | instid1(VALU_DEP_1)
	s_or_b32 exec_lo, exec_lo, s39
	v_cmp_le_u32_e32 vcc_lo, s3, v50
	s_or_b32 s22, vcc_lo, s22
	s_delay_alu instid0(SALU_CYCLE_1)
	s_and_not1_b32 exec_lo, exec_lo, s22
	s_cbranch_execz .LBB118_56
.LBB118_12:                             ; =>This Loop Header: Depth=1
                                        ;     Child Loop BB118_17 Depth 2
                                        ;       Child Loop BB118_22 Depth 3
                                        ;     Child Loop BB118_47 Depth 2
	v_mov_b32_e32 v72, v52
	v_mov_b32_e32 v71, v52
	;; [unrolled: 1-line block ×8, first 2 shown]
	s_and_not1_b32 vcc_lo, exec_lo, s24
	s_mov_b32 s14, 0
	s_cbranch_vccnz .LBB118_29
; %bb.13:                               ;   in Loop: Header=BB118_12 Depth=1
	s_waitcnt lgkmcnt(0)
	v_dual_mov_b32 v1, v52 :: v_dual_add_nc_u32 v0, 1, v50
	v_min_u32_e32 v2, s27, v50
	v_cmp_gt_u32_e64 s1, s19, v50
	v_dual_mov_b32 v68, 0 :: v_dual_mov_b32 v67, 0
	s_delay_alu instid0(VALU_DEP_4) | instskip(NEXT) | instid1(VALU_DEP_4)
	v_min_u32_e32 v0, s27, v0
	v_mul_lo_u32 v51, v2, s17
	v_dual_mov_b32 v66, 0 :: v_dual_mov_b32 v65, 0
	v_dual_mov_b32 v69, 0 :: v_dual_mov_b32 v70, 0
	s_delay_alu instid0(VALU_DEP_4) | instskip(SKIP_3) | instid1(VALU_DEP_3)
	v_mul_lo_u32 v0, v0, s17
	v_dual_mov_b32 v71, 0 :: v_dual_mov_b32 v72, 0
	v_lshlrev_b64 v[55:56], 1, v[51:52]
	s_mov_b32 s15, 0
	v_lshlrev_b64 v[57:58], 1, v[0:1]
	s_branch .LBB118_17
.LBB118_14:                             ;   in Loop: Header=BB118_17 Depth=2
	s_or_b32 exec_lo, exec_lo, s40
.LBB118_15:                             ;   in Loop: Header=BB118_17 Depth=2
	s_delay_alu instid0(SALU_CYCLE_1)
	s_or_b32 exec_lo, exec_lo, s39
	s_waitcnt vmcnt(3) lgkmcnt(3)
	;;#ASMSTART
	v_dot2_f32_f16 v72, v44, v28, v72
	;;#ASMEND
	s_waitcnt vmcnt(2)
	;;#ASMSTART
	v_dot2_f32_f16 v71, v44, v20, v71
	;;#ASMEND
	s_waitcnt lgkmcnt(2)
	;;#ASMSTART
	v_dot2_f32_f16 v70, v40, v28, v70
	;;#ASMEND
	;;#ASMSTART
	v_dot2_f32_f16 v69, v40, v20, v69
	;;#ASMEND
	s_waitcnt lgkmcnt(1)
	;;#ASMSTART
	v_dot2_f32_f16 v68, v36, v28, v68
	;;#ASMEND
	;; [unrolled: 7-line block ×3, first 2 shown]
	;;#ASMSTART
	v_dot2_f32_f16 v65, v32, v20, v65
	;;#ASMEND
	;;#ASMSTART
	v_dot2_f32_f16 v72, v45, v29, v72
	;;#ASMEND
	;; [unrolled: 3-line block ×25, first 2 shown]
	s_waitcnt vmcnt(1)
	;;#ASMSTART
	v_dot2_f32_f16 v72, v24, v4, v72
	;;#ASMEND
	s_waitcnt vmcnt(0)
	;;#ASMSTART
	v_dot2_f32_f16 v71, v24, v0, v71
	;;#ASMEND
	;;#ASMSTART
	v_dot2_f32_f16 v70, v16, v4, v70
	;;#ASMEND
	;; [unrolled: 3-line block ×31, first 2 shown]
.LBB118_16:                             ;   in Loop: Header=BB118_17 Depth=2
	s_or_b32 exec_lo, exec_lo, s2
	s_addk_i32 s15, 0x400
	s_delay_alu instid0(SALU_CYCLE_1)
	s_cmp_ge_u32 s15, s16
	s_cbranch_scc1 .LBB118_29
.LBB118_17:                             ;   Parent Loop BB118_12 Depth=1
                                        ; =>  This Loop Header: Depth=2
                                        ;       Child Loop BB118_22 Depth 3
	s_cmp_eq_u32 s15, 0
	s_cselect_b32 s39, -1, 0
	s_add_i32 s2, s14, s23
	s_delay_alu instid0(SALU_CYCLE_1) | instskip(SKIP_1) | instid1(SALU_CYCLE_1)
	s_cmp_eq_u32 s15, s2
	s_cselect_b32 s40, -1, 0
	s_or_b32 s40, s39, s40
	s_delay_alu instid0(SALU_CYCLE_1)
	s_and_not1_b32 vcc_lo, exec_lo, s40
	s_cbranch_vccz .LBB118_19
; %bb.18:                               ;   in Loop: Header=BB118_17 Depth=2
	s_and_saveexec_b32 s2, s1
	s_cbranch_execz .LBB118_16
	s_branch .LBB118_26
.LBB118_19:                             ;   in Loop: Header=BB118_17 Depth=2
	s_and_b32 s39, s39, exec_lo
	s_cselect_b32 s14, s14, s2
	s_and_not1_b32 vcc_lo, exec_lo, s21
	s_waitcnt vmcnt(0)
	s_waitcnt_vscnt null, 0x0
	s_barrier
	buffer_gl0_inv
	s_cbranch_vccnz .LBB118_25
; %bb.20:                               ;   in Loop: Header=BB118_17 Depth=2
	v_add_nc_u32_e32 v0, s14, v62
	v_dual_mov_b32 v4, v61 :: v_dual_add_nc_u32 v1, s14, v54
	v_add_nc_u32_e32 v2, s14, v63
	v_add_nc_u32_e32 v3, s14, v53
	s_mov_b32 s39, 0
	s_mov_b32 s40, 0
                                        ; implicit-def: $sgpr41
	s_branch .LBB118_22
.LBB118_21:                             ;   in Loop: Header=BB118_22 Depth=3
	s_or_b32 exec_lo, exec_lo, s2
	s_delay_alu instid0(SALU_CYCLE_1) | instskip(NEXT) | instid1(SALU_CYCLE_1)
	s_and_b32 s2, exec_lo, s41
	s_or_b32 s39, s2, s39
	s_delay_alu instid0(SALU_CYCLE_1)
	s_and_not1_b32 exec_lo, exec_lo, s39
	s_cbranch_execz .LBB118_24
.LBB118_22:                             ;   Parent Loop BB118_12 Depth=1
                                        ;     Parent Loop BB118_17 Depth=2
                                        ; =>    This Inner Loop Header: Depth=3
	s_delay_alu instid0(VALU_DEP_1) | instskip(SKIP_2) | instid1(VALU_DEP_2)
	v_add_nc_u32_e32 v51, s40, v3
	v_add_nc_u32_e32 v5, s40, v53
	s_or_b32 s41, s41, exec_lo
	v_cmp_gt_u32_e32 vcc_lo, s18, v51
	s_delay_alu instid0(VALU_DEP_2) | instskip(NEXT) | instid1(VALU_DEP_1)
	v_cmp_gt_u32_e64 s2, s23, v5
	s_and_b32 s42, s2, vcc_lo
	s_delay_alu instid0(SALU_CYCLE_1)
	s_and_saveexec_b32 s2, s42
	s_cbranch_execz .LBB118_21
; %bb.23:                               ;   in Loop: Header=BB118_22 Depth=3
	v_lshlrev_b64 v[5:6], 1, v[51:52]
	v_add_nc_u32_e32 v51, s40, v2
	v_add_nc_u32_e32 v21, s38, v4
	;; [unrolled: 1-line block ×3, first 2 shown]
	s_delay_alu instid0(VALU_DEP_3) | instskip(SKIP_3) | instid1(VALU_DEP_3)
	v_lshlrev_b64 v[7:8], 1, v[51:52]
	v_add_nc_u32_e32 v51, s40, v0
	v_add_co_u32 v5, vcc_lo, s8, v5
	v_add_co_ci_u32_e32 v6, vcc_lo, s9, v6, vcc_lo
	v_lshlrev_b64 v[13:14], 1, v[51:52]
	v_add_nc_u32_e32 v51, s40, v1
	v_add_co_u32 v9, vcc_lo, s8, v7
	v_add_co_ci_u32_e32 v10, vcc_lo, s9, v8, vcc_lo
	s_delay_alu instid0(VALU_DEP_3)
	v_lshlrev_b64 v[15:16], 1, v[51:52]
	v_add_co_u32 v13, vcc_lo, s8, v13
	v_add_co_ci_u32_e32 v14, vcc_lo, s9, v14, vcc_lo
	s_clause 0x1
	global_load_b128 v[5:8], v[5:6], off
	global_load_b128 v[9:12], v[9:10], off
	v_add_co_u32 v17, vcc_lo, s8, v15
	v_add_co_ci_u32_e32 v18, vcc_lo, s9, v16, vcc_lo
	s_clause 0x1
	global_load_b128 v[13:16], v[13:14], off
	global_load_b128 v[17:20], v[17:18], off
	s_add_i32 s40, s40, s25
	s_waitcnt vmcnt(3)
	ds_store_b128 v4, v[5:8]
	s_waitcnt vmcnt(2)
	ds_store_2addr_b64 v21, v[9:10], v[11:12] offset1:1
	s_cmp_ge_u32 s40, s23
	v_add_nc_u32_e32 v5, s5, v4
	s_cselect_b32 s42, -1, 0
	v_add_nc_u32_e32 v4, s20, v4
	s_and_not1_b32 s41, s41, exec_lo
	s_and_b32 s42, s42, exec_lo
	s_waitcnt vmcnt(1)
	ds_store_2addr_b32 v22, v13, v14 offset1:1
	ds_store_2addr_b32 v22, v15, v16 offset0:2 offset1:3
	s_or_b32 s41, s41, s42
	s_waitcnt vmcnt(0)
	ds_store_2addr_b64 v5, v[17:18], v[19:20] offset1:1
	s_branch .LBB118_21
.LBB118_24:                             ;   in Loop: Header=BB118_17 Depth=2
	s_or_b32 exec_lo, exec_lo, s39
.LBB118_25:                             ;   in Loop: Header=BB118_17 Depth=2
	s_waitcnt lgkmcnt(0)
	s_barrier
	buffer_gl0_inv
	s_and_saveexec_b32 s2, s1
	s_cbranch_execz .LBB118_16
.LBB118_26:                             ;   in Loop: Header=BB118_17 Depth=2
	v_dual_mov_b32 v44, 0 :: v_dual_add_nc_u32 v73, s15, v60
	v_dual_mov_b32 v46, 0 :: v_dual_mov_b32 v47, 0
	v_dual_mov_b32 v24, 0 :: v_dual_mov_b32 v25, 0
	s_delay_alu instid0(VALU_DEP_3) | instskip(SKIP_2) | instid1(VALU_DEP_3)
	v_min_u32_e32 v51, s26, v73
	v_dual_mov_b32 v45, 0 :: v_dual_add_nc_u32 v74, 0x200, v73
	v_dual_mov_b32 v26, 0 :: v_dual_mov_b32 v27, 0
	v_lshlrev_b64 v[0:1], 1, v[51:52]
	s_delay_alu instid0(VALU_DEP_3) | instskip(SKIP_2) | instid1(VALU_DEP_4)
	v_min_u32_e32 v51, s26, v74
	v_dual_mov_b32 v40, 0 :: v_dual_mov_b32 v41, 0
	v_dual_mov_b32 v42, 0 :: v_dual_mov_b32 v43, 0
	v_add_co_u32 v4, vcc_lo, s6, v0
	v_add_co_ci_u32_e32 v5, vcc_lo, s7, v1, vcc_lo
	v_lshlrev_b64 v[0:1], 1, v[51:52]
	s_delay_alu instid0(VALU_DEP_3) | instskip(NEXT) | instid1(VALU_DEP_3)
	v_add_co_u32 v2, vcc_lo, v4, v55
	v_add_co_ci_u32_e32 v3, vcc_lo, v5, v56, vcc_lo
	s_waitcnt vmcnt(0)
	v_dual_mov_b32 v16, 0 :: v_dual_mov_b32 v17, 0
	s_delay_alu instid0(VALU_DEP_4) | instskip(SKIP_3) | instid1(VALU_DEP_4)
	v_add_co_u32 v6, vcc_lo, s6, v0
	v_add_co_ci_u32_e32 v7, vcc_lo, s7, v1, vcc_lo
	v_add_co_u32 v0, vcc_lo, v4, v57
	v_add_co_ci_u32_e32 v1, vcc_lo, v5, v58, vcc_lo
	v_add_co_u32 v4, vcc_lo, v6, v55
	s_delay_alu instid0(VALU_DEP_4)
	v_add_co_ci_u32_e32 v5, vcc_lo, v7, v56, vcc_lo
	v_add_co_u32 v8, vcc_lo, v6, v57
	v_add_co_ci_u32_e32 v9, vcc_lo, v7, v58, vcc_lo
	s_clause 0x3
	global_load_b128 v[28:31], v[2:3], off slc dlc
	global_load_b128 v[20:23], v[0:1], off slc dlc
	;; [unrolled: 1-line block ×4, first 2 shown]
	v_cmp_gt_u32_e32 vcc_lo, s16, v73
	v_dual_mov_b32 v18, 0 :: v_dual_mov_b32 v19, 0
	v_dual_mov_b32 v36, 0 :: v_dual_mov_b32 v37, 0
	;; [unrolled: 1-line block ×9, first 2 shown]
	s_and_saveexec_b32 s39, vcc_lo
	s_cbranch_execz .LBB118_15
; %bb.27:                               ;   in Loop: Header=BB118_17 Depth=2
	v_subrev_nc_u32_e32 v8, s14, v73
	v_cmp_gt_u32_e32 vcc_lo, s16, v74
	v_dual_mov_b32 v9, 0 :: v_dual_mov_b32 v12, 0
	v_dual_mov_b32 v15, 0 :: v_dual_mov_b32 v18, 0
	s_delay_alu instid0(VALU_DEP_4) | instskip(SKIP_1) | instid1(VALU_DEP_2)
	v_dual_mov_b32 v11, 0 :: v_dual_lshlrev_b32 v76, 1, v8
	v_dual_mov_b32 v13, 0 :: v_dual_mov_b32 v16, 0
	v_dual_mov_b32 v10, 0 :: v_dual_add_nc_u32 v75, s38, v76
	v_dual_mov_b32 v19, 0 :: v_dual_mov_b32 v26, 0
	v_dual_mov_b32 v17, 0 :: v_dual_mov_b32 v24, 0
	s_delay_alu instid0(VALU_DEP_3) | instskip(SKIP_2) | instid1(VALU_DEP_3)
	v_dual_mov_b32 v8, 0 :: v_dual_add_nc_u32 v73, s38, v75
	v_mov_b32_e32 v27, 0
	v_dual_mov_b32 v25, 0 :: v_dual_mov_b32 v14, 0
	v_add_nc_u32_e32 v51, s38, v73
	ds_load_b128 v[44:47], v76
	ds_load_b128 v[40:43], v75
	;; [unrolled: 1-line block ×4, first 2 shown]
	s_and_saveexec_b32 s40, vcc_lo
	s_cbranch_execz .LBB118_14
; %bb.28:                               ;   in Loop: Header=BB118_17 Depth=2
	ds_load_b128 v[24:27], v76 offset:1024
	ds_load_b128 v[16:19], v75 offset:1024
	;; [unrolled: 1-line block ×4, first 2 shown]
	s_branch .LBB118_14
.LBB118_29:                             ;   in Loop: Header=BB118_12 Depth=1
	s_mov_b32 s1, exec_lo
	v_cmpx_le_u32_e64 s19, v50
	s_xor_b32 s1, exec_lo, s1
; %bb.30:                               ;   in Loop: Header=BB118_12 Depth=1
	v_add_nc_u32_e32 v50, s28, v50
                                        ; implicit-def: $vgpr72
                                        ; implicit-def: $vgpr71
                                        ; implicit-def: $vgpr70
                                        ; implicit-def: $vgpr69
                                        ; implicit-def: $vgpr65
                                        ; implicit-def: $vgpr66
                                        ; implicit-def: $vgpr67
                                        ; implicit-def: $vgpr68
; %bb.31:                               ;   in Loop: Header=BB118_12 Depth=1
	s_and_not1_saveexec_b32 s39, s1
	s_cbranch_execz .LBB118_11
; %bb.32:                               ;   in Loop: Header=BB118_12 Depth=1
	v_cvt_i32_f32_e32 v0, v72
	s_waitcnt lgkmcnt(0)
	v_cvt_i32_f32_e32 v1, v71
	v_cvt_i32_f32_e32 v2, v70
	v_xor_b32_e32 v3, 16, v59
	v_cvt_i32_f32_e32 v11, v65
	v_cvt_f32_i32_dpp v0, v0 row_shr:8 row_mask:0xf bank_mask:0xf bound_ctrl:1
	v_cvt_f32_i32_dpp v1, v1 row_shr:8 row_mask:0xf bank_mask:0xf bound_ctrl:1
	;; [unrolled: 1-line block ×3, first 2 shown]
	v_cmp_gt_i32_e32 vcc_lo, 32, v3
	v_cvt_i32_f32_e32 v4, v69
	s_delay_alu instid0(VALU_DEP_4) | instskip(NEXT) | instid1(VALU_DEP_4)
	v_dual_add_f32 v0, v72, v0 :: v_dual_add_f32 v1, v71, v1
	v_dual_add_f32 v2, v70, v2 :: v_dual_cndmask_b32 v3, v59, v3
	v_cvt_i32_f32_e32 v5, v68
	s_delay_alu instid0(VALU_DEP_3) | instskip(NEXT) | instid1(VALU_DEP_4)
	v_cvt_i32_f32_e32 v7, v0
	v_cvt_i32_f32_e32 v8, v1
	s_delay_alu instid0(VALU_DEP_4)
	v_cvt_i32_f32_e32 v9, v2
	v_cvt_i32_f32_e32 v10, v66
	v_cvt_f32_i32_dpp v11, v11 row_shr:8 row_mask:0xf bank_mask:0xf bound_ctrl:1
	v_cvt_f32_i32_dpp v7, v7 row_shr:4 row_mask:0xf bank_mask:0xf bound_ctrl:1
	;; [unrolled: 1-line block ×6, first 2 shown]
	s_delay_alu instid0(VALU_DEP_4)
	v_dual_add_f32 v0, v0, v7 :: v_dual_add_f32 v1, v1, v8
	v_cvt_f32_i32_dpp v10, v10 row_shr:8 row_mask:0xf bank_mask:0xf bound_ctrl:1
	v_cvt_i32_f32_e32 v6, v67
	s_waitcnt vmcnt(0)
	v_dual_add_f32 v3, v69, v4 :: v_dual_lshlrev_b32 v16, 2, v3
	v_cvt_i32_f32_e32 v8, v1
	v_cvt_i32_f32_e32 v7, v0
	v_cvt_f32_i32_dpp v6, v6 row_shr:8 row_mask:0xf bank_mask:0xf bound_ctrl:1
	v_add_f32_e32 v13, v66, v10
	v_cvt_i32_f32_e32 v17, v3
	v_cvt_f32_i32_dpp v8, v8 row_shr:2 row_mask:0xf bank_mask:0xf bound_ctrl:1
	v_add_f32_e32 v2, v2, v9
	v_cvt_f32_i32_dpp v7, v7 row_shr:2 row_mask:0xf bank_mask:0xf bound_ctrl:1
	v_dual_add_f32 v6, v67, v6 :: v_dual_add_f32 v11, v65, v11
	s_delay_alu instid0(VALU_DEP_4) | instskip(NEXT) | instid1(VALU_DEP_4)
	v_add_f32_e32 v1, v1, v8
	v_cvt_i32_f32_e32 v9, v2
	s_delay_alu instid0(VALU_DEP_4) | instskip(NEXT) | instid1(VALU_DEP_3)
	v_add_f32_e32 v0, v0, v7
	v_cvt_i32_f32_e32 v7, v1
	s_delay_alu instid0(VALU_DEP_3) | instskip(NEXT) | instid1(VALU_DEP_2)
	v_cvt_f32_i32_dpp v9, v9 row_shr:2 row_mask:0xf bank_mask:0xf bound_ctrl:1
	v_cvt_f32_i32_dpp v7, v7 row_shr:1 row_mask:0xf bank_mask:0xf bound_ctrl:1
	s_delay_alu instid0(VALU_DEP_2) | instskip(NEXT) | instid1(VALU_DEP_2)
	v_add_f32_e32 v2, v2, v9
	v_add_f32_e32 v10, v1, v7
	s_delay_alu instid0(VALU_DEP_2) | instskip(SKIP_1) | instid1(VALU_DEP_2)
	v_cvt_i32_f32_e32 v8, v2
	v_cvt_i32_f32_e32 v1, v6
	v_cvt_f32_i32_dpp v8, v8 row_shr:1 row_mask:0xf bank_mask:0xf bound_ctrl:1
	v_add_f32_e32 v4, v68, v5
	v_cvt_i32_f32_e32 v5, v0
	s_delay_alu instid0(VALU_DEP_4) | instskip(NEXT) | instid1(VALU_DEP_4)
	v_cvt_f32_i32_dpp v1, v1 row_shr:4 row_mask:0xf bank_mask:0xf bound_ctrl:1
	v_add_f32_e32 v7, v2, v8
	v_cvt_f32_i32_dpp v8, v17 row_shr:4 row_mask:0xf bank_mask:0xf bound_ctrl:1
	s_delay_alu instid0(VALU_DEP_4)
	v_cvt_f32_i32_dpp v5, v5 row_shr:1 row_mask:0xf bank_mask:0xf bound_ctrl:1
	v_cvt_i32_f32_e32 v2, v13
	v_add_f32_e32 v1, v6, v1
	ds_bpermute_b32 v12, v16, v10
	v_dual_add_f32 v3, v3, v8 :: v_dual_add_f32 v14, v0, v5
	v_cvt_i32_f32_e32 v0, v4
	v_cvt_i32_f32_e32 v5, v11
	v_cvt_f32_i32_dpp v2, v2 row_shr:4 row_mask:0xf bank_mask:0xf bound_ctrl:1
	v_cvt_i32_f32_e32 v8, v1
	ds_bpermute_b32 v15, v16, v14
	v_cvt_f32_i32_dpp v0, v0 row_shr:4 row_mask:0xf bank_mask:0xf bound_ctrl:1
	v_cvt_f32_i32_dpp v5, v5 row_shr:4 row_mask:0xf bank_mask:0xf bound_ctrl:1
	ds_bpermute_b32 v9, v16, v7
	v_cvt_f32_i32_dpp v8, v8 row_shr:2 row_mask:0xf bank_mask:0xf bound_ctrl:1
	v_add_f32_e32 v0, v4, v0
	v_add_f32_e32 v4, v11, v5
	;; [unrolled: 1-line block ×3, first 2 shown]
	v_cvt_i32_f32_e32 v5, v3
	v_add_f32_e32 v1, v1, v8
	s_delay_alu instid0(VALU_DEP_4) | instskip(NEXT) | instid1(VALU_DEP_3)
	v_cvt_i32_f32_e32 v13, v4
	v_cvt_f32_i32_dpp v5, v5 row_shr:2 row_mask:0xf bank_mask:0xf bound_ctrl:1
	s_delay_alu instid0(VALU_DEP_3) | instskip(NEXT) | instid1(VALU_DEP_3)
	v_cvt_i32_f32_e32 v8, v1
	v_cvt_f32_i32_dpp v13, v13 row_shr:2 row_mask:0xf bank_mask:0xf bound_ctrl:1
	s_delay_alu instid0(VALU_DEP_3) | instskip(SKIP_1) | instid1(VALU_DEP_4)
	v_add_f32_e32 v3, v3, v5
	v_cvt_i32_f32_e32 v6, v0
	v_cvt_f32_i32_dpp v8, v8 row_shr:1 row_mask:0xf bank_mask:0xf bound_ctrl:1
	s_delay_alu instid0(VALU_DEP_4) | instskip(SKIP_3) | instid1(VALU_DEP_4)
	v_add_f32_e32 v5, v4, v13
	v_cvt_i32_f32_e32 v11, v2
	v_cvt_i32_f32_e32 v4, v3
	v_cvt_f32_i32_dpp v6, v6 row_shr:2 row_mask:0xf bank_mask:0xf bound_ctrl:1
	v_cvt_i32_f32_e32 v13, v5
	s_delay_alu instid0(VALU_DEP_4) | instskip(NEXT) | instid1(VALU_DEP_4)
	v_cvt_f32_i32_dpp v11, v11 row_shr:2 row_mask:0xf bank_mask:0xf bound_ctrl:1
	v_cvt_f32_i32_dpp v4, v4 row_shr:1 row_mask:0xf bank_mask:0xf bound_ctrl:1
	s_delay_alu instid0(VALU_DEP_4) | instskip(NEXT) | instid1(VALU_DEP_4)
	v_add_f32_e32 v0, v0, v6
	v_cvt_f32_i32_dpp v13, v13 row_shr:1 row_mask:0xf bank_mask:0xf bound_ctrl:1
	s_delay_alu instid0(VALU_DEP_4) | instskip(NEXT) | instid1(VALU_DEP_1)
	v_add_f32_e32 v2, v2, v11
	v_cvt_i32_f32_e32 v11, v2
	s_delay_alu instid0(VALU_DEP_1) | instskip(SKIP_3) | instid1(VALU_DEP_4)
	v_cvt_f32_i32_dpp v17, v11 row_shr:1 row_mask:0xf bank_mask:0xf bound_ctrl:1
	v_add_f32_e32 v11, v3, v4
	v_cvt_i32_f32_e32 v6, v0
	v_add_f32_e32 v4, v1, v8
	v_add_f32_e32 v2, v2, v17
	s_delay_alu instid0(VALU_DEP_3)
	v_cvt_f32_i32_dpp v6, v6 row_shr:1 row_mask:0xf bank_mask:0xf bound_ctrl:1
	ds_bpermute_b32 v3, v16, v2
	v_add_f32_e32 v6, v0, v6
	v_add_f32_e32 v0, v5, v13
	ds_bpermute_b32 v13, v16, v11
	ds_bpermute_b32 v5, v16, v4
	;; [unrolled: 1-line block ×4, first 2 shown]
	s_and_saveexec_b32 s14, s0
	s_cbranch_execz .LBB118_44
; %bb.33:                               ;   in Loop: Header=BB118_12 Depth=1
	v_dual_mov_b32 v23, 0 :: v_dual_mov_b32 v22, 0
	v_dual_mov_b32 v21, 0 :: v_dual_mov_b32 v20, 0
	;; [unrolled: 1-line block ×4, first 2 shown]
	s_and_not1_b32 vcc_lo, exec_lo, s29
	s_cbranch_vccnz .LBB118_35
; %bb.34:                               ;   in Loop: Header=BB118_12 Depth=1
	v_add_nc_u32_e32 v16, 1, v50
	v_mul_hi_u32 v17, v50, v64
	s_delay_alu instid0(VALU_DEP_2) | instskip(NEXT) | instid1(VALU_DEP_2)
	v_mul_hi_u32 v18, v16, v64
	v_mul_lo_u32 v17, v17, s4
	s_delay_alu instid0(VALU_DEP_2) | instskip(NEXT) | instid1(VALU_DEP_2)
	v_mul_lo_u32 v18, v18, s4
	v_sub_nc_u32_e32 v17, v50, v17
	s_delay_alu instid0(VALU_DEP_2) | instskip(NEXT) | instid1(VALU_DEP_2)
	v_sub_nc_u32_e32 v16, v16, v18
	v_subrev_nc_u32_e32 v18, s4, v17
	v_cmp_le_u32_e32 vcc_lo, s4, v17
	s_delay_alu instid0(VALU_DEP_3) | instskip(NEXT) | instid1(VALU_DEP_3)
	v_subrev_nc_u32_e32 v19, s4, v16
	v_cndmask_b32_e32 v18, v17, v18, vcc_lo
	v_cmp_le_u32_e32 vcc_lo, s4, v16
	v_mov_b32_e32 v17, v52
	s_delay_alu instid0(VALU_DEP_4) | instskip(SKIP_3) | instid1(VALU_DEP_2)
	v_cndmask_b32_e32 v16, v16, v19, vcc_lo
	v_mov_b32_e32 v19, v52
	v_subrev_nc_u32_e32 v21, s4, v18
	v_cmp_le_u32_e32 vcc_lo, s4, v18
	v_cndmask_b32_e32 v51, v18, v21, vcc_lo
	v_subrev_nc_u32_e32 v24, s4, v16
	v_cmp_le_u32_e32 vcc_lo, s4, v16
	v_mov_b32_e32 v23, v52
	s_delay_alu instid0(VALU_DEP_4) | instskip(SKIP_4) | instid1(VALU_DEP_3)
	v_dual_mov_b32 v20, v52 :: v_dual_add_nc_u32 v21, s33, v51
	v_add_nc_u32_e32 v18, s31, v51
	v_cndmask_b32_e32 v16, v16, v24, vcc_lo
	v_lshlrev_b64 v[24:25], 1, v[51:52]
	v_dual_mov_b32 v22, v52 :: v_dual_add_nc_u32 v51, s37, v51
	v_lshlrev_b64 v[26:27], 1, v[16:17]
	v_lshlrev_b64 v[17:18], 1, v[18:19]
	s_delay_alu instid0(VALU_DEP_4)
	v_add_co_u32 v24, vcc_lo, s10, v24
	v_add_nc_u32_e32 v19, s31, v16
	v_add_co_ci_u32_e32 v25, vcc_lo, s11, v25, vcc_lo
	v_lshlrev_b64 v[28:29], 1, v[21:22]
	v_add_co_u32 v26, vcc_lo, s10, v26
	v_add_nc_u32_e32 v22, s33, v16
	v_add_co_ci_u32_e32 v27, vcc_lo, s11, v27, vcc_lo
	v_lshlrev_b64 v[30:31], 1, v[51:52]
	v_add_nc_u32_e32 v51, s37, v16
	v_lshlrev_b64 v[19:20], 1, v[19:20]
	v_add_co_u32 v16, vcc_lo, s10, v17
	v_add_co_ci_u32_e32 v17, vcc_lo, s11, v18, vcc_lo
	v_lshlrev_b64 v[21:22], 1, v[22:23]
	v_add_co_u32 v28, vcc_lo, s10, v28
	v_add_co_ci_u32_e32 v29, vcc_lo, s11, v29, vcc_lo
	v_add_co_u32 v18, vcc_lo, s10, v19
	v_add_co_ci_u32_e32 v19, vcc_lo, s11, v20, vcc_lo
	v_add_co_u32 v32, vcc_lo, s10, v21
	v_lshlrev_b64 v[20:21], 1, v[51:52]
	v_add_co_ci_u32_e32 v33, vcc_lo, s11, v22, vcc_lo
	v_add_co_u32 v30, vcc_lo, s10, v30
	v_add_co_ci_u32_e32 v31, vcc_lo, s11, v31, vcc_lo
	s_delay_alu instid0(VALU_DEP_4)
	v_add_co_u32 v34, vcc_lo, s10, v20
	v_add_co_ci_u32_e32 v35, vcc_lo, s11, v21, vcc_lo
	s_clause 0x7
	global_load_u16 v23, v[24:25], off
	global_load_u16 v22, v[26:27], off
	;; [unrolled: 1-line block ×8, first 2 shown]
.LBB118_35:                             ;   in Loop: Header=BB118_12 Depth=1
	v_cmp_ne_u32_e32 vcc_lo, 0, v48
	s_and_saveexec_b32 s2, vcc_lo
	s_cbranch_execnz .LBB118_49
; %bb.36:                               ;   in Loop: Header=BB118_12 Depth=1
	s_or_b32 exec_lo, exec_lo, s2
	v_cmp_ne_u32_e64 s1, 0, v49
	s_delay_alu instid0(VALU_DEP_1)
	s_and_saveexec_b32 s15, s1
	s_cbranch_execnz .LBB118_50
.LBB118_37:                             ;   in Loop: Header=BB118_12 Depth=1
	s_or_b32 exec_lo, exec_lo, s15
	v_add_nc_u32_e32 v51, s19, v50
	s_and_saveexec_b32 s15, vcc_lo
	s_cbranch_execnz .LBB118_51
.LBB118_38:                             ;   in Loop: Header=BB118_12 Depth=1
	s_or_b32 exec_lo, exec_lo, s15
	s_and_saveexec_b32 s15, s1
	s_cbranch_execnz .LBB118_52
.LBB118_39:                             ;   in Loop: Header=BB118_12 Depth=1
	s_or_b32 exec_lo, exec_lo, s15
	v_add_nc_u32_e32 v51, s19, v51
	s_and_saveexec_b32 s15, vcc_lo
	s_cbranch_execnz .LBB118_53
.LBB118_40:                             ;   in Loop: Header=BB118_12 Depth=1
	s_or_b32 exec_lo, exec_lo, s15
	s_and_saveexec_b32 s15, s1
	s_cbranch_execnz .LBB118_54
.LBB118_41:                             ;   in Loop: Header=BB118_12 Depth=1
	s_or_b32 exec_lo, exec_lo, s15
	v_add_nc_u32_e32 v51, s19, v51
	s_and_saveexec_b32 s2, vcc_lo
	s_cbranch_execnz .LBB118_55
.LBB118_42:                             ;   in Loop: Header=BB118_12 Depth=1
	s_or_b32 exec_lo, exec_lo, s2
	s_delay_alu instid0(SALU_CYCLE_1)
	s_and_b32 exec_lo, exec_lo, s1
	s_cbranch_execz .LBB118_44
.LBB118_43:                             ;   in Loop: Header=BB118_12 Depth=1
	s_waitcnt lgkmcnt(0)
	v_dual_add_f32 v0, v0, v1 :: v_dual_add_nc_u32 v51, 1, v51
	s_waitcnt vmcnt(0)
	v_cvt_f32_f16_e32 v1, v16
	s_delay_alu instid0(VALU_DEP_1) | instskip(NEXT) | instid1(VALU_DEP_3)
	v_add_f32_e32 v2, v0, v1
	v_lshlrev_b64 v[0:1], 1, v[51:52]
	s_delay_alu instid0(VALU_DEP_2) | instskip(NEXT) | instid1(VALU_DEP_2)
	v_cvt_f16_f32_e32 v2, v2
	v_add_co_u32 v0, vcc_lo, s12, v0
	s_delay_alu instid0(VALU_DEP_3)
	v_add_co_ci_u32_e32 v1, vcc_lo, s13, v1, vcc_lo
	global_store_b16 v[0:1], v2, off
.LBB118_44:                             ;   in Loop: Header=BB118_12 Depth=1
	s_or_b32 exec_lo, exec_lo, s14
	v_add_nc_u32_e32 v50, s28, v50
	s_delay_alu instid0(VALU_DEP_1) | instskip(SKIP_1) | instid1(VALU_DEP_2)
	v_add_nc_u32_e32 v0, 2, v50
	v_cmp_gt_u32_e32 vcc_lo, s19, v50
	v_cmp_le_u32_e64 s1, s19, v0
	s_delay_alu instid0(VALU_DEP_1) | instskip(NEXT) | instid1(SALU_CYCLE_1)
	s_and_b32 s1, vcc_lo, s1
	s_and_saveexec_b32 s40, s1
	s_cbranch_execz .LBB118_10
; %bb.45:                               ;   in Loop: Header=BB118_12 Depth=1
	s_mov_b32 s41, exec_lo
	v_cmpx_ne_u32_e64 s30, v50
	s_cbranch_execz .LBB118_9
; %bb.46:                               ;   in Loop: Header=BB118_12 Depth=1
	v_subrev_nc_u32_e32 v0, s30, v50
	s_mov_b32 s42, 0
	s_mov_b64 s[14:15], 0
	s_delay_alu instid0(VALU_DEP_1)
	v_cmp_lt_u32_e32 vcc_lo, 1, v0
	v_cndmask_b32_e32 v0, 1, v0, vcc_lo
.LBB118_47:                             ;   Parent Loop BB118_12 Depth=1
                                        ; =>  This Inner Loop Header: Depth=2
	s_cmp_lg_u32 s14, 1
	s_cselect_b32 vcc_lo, -1, 0
	s_cmp_lg_u32 s14, 0
	v_cndmask_b32_e32 v49, 0, v49, vcc_lo
	s_cselect_b32 s1, -1, 0
	s_add_u32 s14, s14, 1
	v_cndmask_b32_e64 v48, 0, v48, s1
	v_cmp_eq_u32_e64 s2, s14, v0
	s_addc_u32 s15, s15, 0
	s_delay_alu instid0(VALU_DEP_1) | instskip(NEXT) | instid1(SALU_CYCLE_1)
	s_or_b32 s42, s2, s42
	s_and_not1_b32 exec_lo, exec_lo, s42
	s_cbranch_execnz .LBB118_47
; %bb.48:                               ;   in Loop: Header=BB118_12 Depth=1
	s_or_b32 exec_lo, exec_lo, s42
	s_branch .LBB118_9
.LBB118_49:                             ;   in Loop: Header=BB118_12 Depth=1
	s_waitcnt lgkmcnt(6)
	v_dual_add_f32 v14, v14, v15 :: v_dual_mov_b32 v51, v52
	s_waitcnt vmcnt(7)
	v_cvt_f32_f16_e32 v15, v23
	s_delay_alu instid0(VALU_DEP_1) | instskip(NEXT) | instid1(VALU_DEP_3)
	v_add_f32_e32 v23, v14, v15
	v_lshlrev_b64 v[14:15], 1, v[50:51]
	s_delay_alu instid0(VALU_DEP_2) | instskip(NEXT) | instid1(VALU_DEP_2)
	v_cvt_f16_f32_e32 v23, v23
	v_add_co_u32 v14, s1, s12, v14
	s_delay_alu instid0(VALU_DEP_1) | instskip(SKIP_3) | instid1(VALU_DEP_1)
	v_add_co_ci_u32_e64 v15, s1, s13, v15, s1
	global_store_b16 v[14:15], v23, off
	s_or_b32 exec_lo, exec_lo, s2
	v_cmp_ne_u32_e64 s1, 0, v49
	s_and_saveexec_b32 s15, s1
	s_cbranch_execz .LBB118_37
.LBB118_50:                             ;   in Loop: Header=BB118_12 Depth=1
	s_waitcnt lgkmcnt(7)
	v_dual_add_f32 v10, v10, v12 :: v_dual_mov_b32 v51, v52
	s_waitcnt vmcnt(6)
	v_cvt_f32_f16_e32 v12, v22
	s_waitcnt lgkmcnt(6)
	s_delay_alu instid0(VALU_DEP_2) | instskip(NEXT) | instid1(VALU_DEP_2)
	v_lshlrev_b64 v[14:15], 1, v[50:51]
	v_add_f32_e32 v10, v10, v12
	s_delay_alu instid0(VALU_DEP_1) | instskip(NEXT) | instid1(VALU_DEP_3)
	v_cvt_f16_f32_e32 v10, v10
	v_add_co_u32 v14, s2, s34, v14
	s_delay_alu instid0(VALU_DEP_1)
	v_add_co_ci_u32_e64 v15, s2, s35, v15, s2
	global_store_b16 v[14:15], v10, off
	s_or_b32 exec_lo, exec_lo, s15
	v_add_nc_u32_e32 v51, s19, v50
	s_and_saveexec_b32 s15, vcc_lo
	s_cbranch_execz .LBB118_38
.LBB118_51:                             ;   in Loop: Header=BB118_12 Depth=1
	s_waitcnt lgkmcnt(5)
	v_add_f32_e32 v7, v7, v9
	s_waitcnt vmcnt(5)
	v_cvt_f32_f16_e32 v9, v21
	s_delay_alu instid0(VALU_DEP_1) | instskip(SKIP_1) | instid1(VALU_DEP_2)
	v_add_f32_e32 v7, v7, v9
	v_lshlrev_b64 v[9:10], 1, v[51:52]
	v_cvt_f16_f32_e32 v7, v7
	s_delay_alu instid0(VALU_DEP_2) | instskip(NEXT) | instid1(VALU_DEP_1)
	v_add_co_u32 v9, s2, s12, v9
	v_add_co_ci_u32_e64 v10, s2, s13, v10, s2
	global_store_b16 v[9:10], v7, off
	s_or_b32 exec_lo, exec_lo, s15
	s_and_saveexec_b32 s15, s1
	s_cbranch_execz .LBB118_39
.LBB118_52:                             ;   in Loop: Header=BB118_12 Depth=1
	s_waitcnt lgkmcnt(3)
	v_dual_add_f32 v7, v11, v13 :: v_dual_mov_b32 v10, v52
	v_add_nc_u32_e32 v9, 1, v51
	s_waitcnt vmcnt(4)
	v_cvt_f32_f16_e32 v11, v20
	s_delay_alu instid0(VALU_DEP_2) | instskip(NEXT) | instid1(VALU_DEP_2)
	v_lshlrev_b64 v[9:10], 1, v[9:10]
	v_add_f32_e32 v7, v7, v11
	s_delay_alu instid0(VALU_DEP_1) | instskip(NEXT) | instid1(VALU_DEP_3)
	v_cvt_f16_f32_e32 v7, v7
	v_add_co_u32 v9, s2, s12, v9
	s_delay_alu instid0(VALU_DEP_1)
	v_add_co_ci_u32_e64 v10, s2, s13, v10, s2
	global_store_b16 v[9:10], v7, off
	s_or_b32 exec_lo, exec_lo, s15
	v_add_nc_u32_e32 v51, s19, v51
	s_and_saveexec_b32 s15, vcc_lo
	s_cbranch_execz .LBB118_40
.LBB118_53:                             ;   in Loop: Header=BB118_12 Depth=1
	s_waitcnt lgkmcnt(1)
	v_add_f32_e32 v6, v6, v8
	s_waitcnt vmcnt(3)
	v_cvt_f32_f16_e32 v7, v19
	s_delay_alu instid0(VALU_DEP_1) | instskip(SKIP_1) | instid1(VALU_DEP_2)
	v_add_f32_e32 v8, v6, v7
	v_lshlrev_b64 v[6:7], 1, v[51:52]
	v_cvt_f16_f32_e32 v8, v8
	s_delay_alu instid0(VALU_DEP_2) | instskip(NEXT) | instid1(VALU_DEP_1)
	v_add_co_u32 v6, s2, s12, v6
	v_add_co_ci_u32_e64 v7, s2, s13, v7, s2
	global_store_b16 v[6:7], v8, off
	s_or_b32 exec_lo, exec_lo, s15
	s_and_saveexec_b32 s15, s1
	s_cbranch_execz .LBB118_41
.LBB118_54:                             ;   in Loop: Header=BB118_12 Depth=1
	s_waitcnt lgkmcnt(2)
	v_add_f32_e32 v6, v4, v5
	v_dual_mov_b32 v5, v52 :: v_dual_add_nc_u32 v4, 1, v51
	s_waitcnt vmcnt(2)
	v_cvt_f32_f16_e32 v7, v18
	s_delay_alu instid0(VALU_DEP_2) | instskip(NEXT) | instid1(VALU_DEP_2)
	v_lshlrev_b64 v[4:5], 1, v[4:5]
	v_add_f32_e32 v6, v6, v7
	s_delay_alu instid0(VALU_DEP_1) | instskip(NEXT) | instid1(VALU_DEP_3)
	v_cvt_f16_f32_e32 v6, v6
	v_add_co_u32 v4, s2, s12, v4
	s_delay_alu instid0(VALU_DEP_1)
	v_add_co_ci_u32_e64 v5, s2, s13, v5, s2
	global_store_b16 v[4:5], v6, off
	s_or_b32 exec_lo, exec_lo, s15
	v_add_nc_u32_e32 v51, s19, v51
	s_and_saveexec_b32 s2, vcc_lo
	s_cbranch_execz .LBB118_42
.LBB118_55:                             ;   in Loop: Header=BB118_12 Depth=1
	s_waitcnt lgkmcnt(4)
	v_add_f32_e32 v2, v2, v3
	s_waitcnt vmcnt(1)
	v_cvt_f32_f16_e32 v3, v17
	s_delay_alu instid0(VALU_DEP_1) | instskip(SKIP_1) | instid1(VALU_DEP_2)
	v_add_f32_e32 v4, v2, v3
	v_lshlrev_b64 v[2:3], 1, v[51:52]
	v_cvt_f16_f32_e32 v4, v4
	s_delay_alu instid0(VALU_DEP_2) | instskip(NEXT) | instid1(VALU_DEP_3)
	v_add_co_u32 v2, vcc_lo, s12, v2
	v_add_co_ci_u32_e32 v3, vcc_lo, s13, v3, vcc_lo
	global_store_b16 v[2:3], v4, off
	s_or_b32 exec_lo, exec_lo, s2
	s_delay_alu instid0(SALU_CYCLE_1)
	s_and_b32 exec_lo, exec_lo, s1
	s_cbranch_execnz .LBB118_43
	s_branch .LBB118_44
.LBB118_56:
	s_nop 0
	s_sendmsg sendmsg(MSG_DEALLOC_VGPRS)
	s_endpgm
	.section	.rodata,"a",@progbits
	.p2align	6, 0x0
	.amdhsa_kernel _Z16wvSplitK_hf_big_I6__halfLi64ELi2ELi16ELi8ELi2ELi4EEviiiiiiPKT_S3_S3_PS1_ii
		.amdhsa_group_segment_fixed_size 65536
		.amdhsa_private_segment_fixed_size 0
		.amdhsa_kernarg_size 64
		.amdhsa_user_sgpr_count 15
		.amdhsa_user_sgpr_dispatch_ptr 0
		.amdhsa_user_sgpr_queue_ptr 0
		.amdhsa_user_sgpr_kernarg_segment_ptr 1
		.amdhsa_user_sgpr_dispatch_id 0
		.amdhsa_user_sgpr_private_segment_size 0
		.amdhsa_wavefront_size32 1
		.amdhsa_uses_dynamic_stack 0
		.amdhsa_enable_private_segment 0
		.amdhsa_system_sgpr_workgroup_id_x 1
		.amdhsa_system_sgpr_workgroup_id_y 0
		.amdhsa_system_sgpr_workgroup_id_z 0
		.amdhsa_system_sgpr_workgroup_info 0
		.amdhsa_system_vgpr_workitem_id 1
		.amdhsa_next_free_vgpr 77
		.amdhsa_next_free_sgpr 43
		.amdhsa_reserve_vcc 1
		.amdhsa_float_round_mode_32 0
		.amdhsa_float_round_mode_16_64 0
		.amdhsa_float_denorm_mode_32 3
		.amdhsa_float_denorm_mode_16_64 3
		.amdhsa_dx10_clamp 1
		.amdhsa_ieee_mode 1
		.amdhsa_fp16_overflow 0
		.amdhsa_workgroup_processor_mode 1
		.amdhsa_memory_ordered 1
		.amdhsa_forward_progress 0
		.amdhsa_shared_vgpr_count 0
		.amdhsa_exception_fp_ieee_invalid_op 0
		.amdhsa_exception_fp_denorm_src 0
		.amdhsa_exception_fp_ieee_div_zero 0
		.amdhsa_exception_fp_ieee_overflow 0
		.amdhsa_exception_fp_ieee_underflow 0
		.amdhsa_exception_fp_ieee_inexact 0
		.amdhsa_exception_int_div_zero 0
	.end_amdhsa_kernel
	.section	.text._Z16wvSplitK_hf_big_I6__halfLi64ELi2ELi16ELi8ELi2ELi4EEviiiiiiPKT_S3_S3_PS1_ii,"axG",@progbits,_Z16wvSplitK_hf_big_I6__halfLi64ELi2ELi16ELi8ELi2ELi4EEviiiiiiPKT_S3_S3_PS1_ii,comdat
.Lfunc_end118:
	.size	_Z16wvSplitK_hf_big_I6__halfLi64ELi2ELi16ELi8ELi2ELi4EEviiiiiiPKT_S3_S3_PS1_ii, .Lfunc_end118-_Z16wvSplitK_hf_big_I6__halfLi64ELi2ELi16ELi8ELi2ELi4EEviiiiiiPKT_S3_S3_PS1_ii
                                        ; -- End function
	.section	.AMDGPU.csdata,"",@progbits
; Kernel info:
; codeLenInByte = 5400
; NumSgprs: 45
; NumVgprs: 77
; ScratchSize: 0
; MemoryBound: 0
; FloatMode: 240
; IeeeMode: 1
; LDSByteSize: 65536 bytes/workgroup (compile time only)
; SGPRBlocks: 5
; VGPRBlocks: 9
; NumSGPRsForWavesPerEU: 45
; NumVGPRsForWavesPerEU: 77
; Occupancy: 16
; WaveLimiterHint : 0
; COMPUTE_PGM_RSRC2:SCRATCH_EN: 0
; COMPUTE_PGM_RSRC2:USER_SGPR: 15
; COMPUTE_PGM_RSRC2:TRAP_HANDLER: 0
; COMPUTE_PGM_RSRC2:TGID_X_EN: 1
; COMPUTE_PGM_RSRC2:TGID_Y_EN: 0
; COMPUTE_PGM_RSRC2:TGID_Z_EN: 0
; COMPUTE_PGM_RSRC2:TIDIG_COMP_CNT: 1
	.section	.text._Z16wvSplitK_hf_sml_I6__halfLi64ELi3ELi16ELi8ELi2ELi4EEviiiiiiPKT_S3_S3_PS1_ii,"axG",@progbits,_Z16wvSplitK_hf_sml_I6__halfLi64ELi3ELi16ELi8ELi2ELi4EEviiiiiiPKT_S3_S3_PS1_ii,comdat
	.protected	_Z16wvSplitK_hf_sml_I6__halfLi64ELi3ELi16ELi8ELi2ELi4EEviiiiiiPKT_S3_S3_PS1_ii ; -- Begin function _Z16wvSplitK_hf_sml_I6__halfLi64ELi3ELi16ELi8ELi2ELi4EEviiiiiiPKT_S3_S3_PS1_ii
	.globl	_Z16wvSplitK_hf_sml_I6__halfLi64ELi3ELi16ELi8ELi2ELi4EEviiiiiiPKT_S3_S3_PS1_ii
	.p2align	8
	.type	_Z16wvSplitK_hf_sml_I6__halfLi64ELi3ELi16ELi8ELi2ELi4EEviiiiiiPKT_S3_S3_PS1_ii,@function
_Z16wvSplitK_hf_sml_I6__halfLi64ELi3ELi16ELi8ELi2ELi4EEviiiiiiPKT_S3_S3_PS1_ii: ; @_Z16wvSplitK_hf_sml_I6__halfLi64ELi3ELi16ELi8ELi2ELi4EEviiiiiiPKT_S3_S3_PS1_ii
; %bb.0:
	s_clause 0x2
	s_load_b128 s[4:7], s[0:1], 0x0
	s_load_b64 s[8:9], s[0:1], 0x10
	s_load_b64 s[10:11], s[0:1], 0x28
	v_and_b32_e32 v3, 0x3ff, v0
	v_bfe_u32 v0, v0, 10, 10
	s_mov_b32 s12, exec_lo
	s_delay_alu instid0(VALU_DEP_2) | instskip(NEXT) | instid1(VALU_DEP_1)
	v_lshlrev_b32_e32 v68, 3, v3
	v_lshl_add_u32 v4, v0, 9, v68
	s_waitcnt lgkmcnt(0)
	s_lshl_b32 s14, s6, 2
	s_delay_alu instid0(SALU_CYCLE_1)
	s_min_u32 s3, s14, 0x8000
	s_delay_alu instid0(VALU_DEP_1) | instid1(SALU_CYCLE_1)
	v_cmpx_gt_u32_e64 s3, v4
	s_cbranch_execz .LBB119_3
; %bb.1:
	s_load_b64 s[16:17], s[0:1], 0x20
	v_lshlrev_b32_e32 v5, 10, v0
	v_lshlrev_b32_e32 v6, 4, v3
	s_mov_b32 s13, 0
	s_delay_alu instid0(VALU_DEP_1) | instskip(NEXT) | instid1(VALU_DEP_1)
	v_add_co_u32 v1, s2, v5, v6
	v_add_co_ci_u32_e64 v2, null, 0, 0, s2
	v_add_nc_u32_e32 v5, v5, v6
	s_waitcnt lgkmcnt(0)
	s_delay_alu instid0(VALU_DEP_3) | instskip(NEXT) | instid1(VALU_DEP_3)
	v_add_co_u32 v1, vcc_lo, s16, v1
	v_add_co_ci_u32_e32 v2, vcc_lo, s17, v2, vcc_lo
	.p2align	6
.LBB119_2:                              ; =>This Inner Loop Header: Depth=1
	global_load_b128 v[6:9], v[1:2], off
	v_add_nc_u32_e32 v4, 0x2000, v4
	v_add_co_u32 v1, vcc_lo, 0x4000, v1
	v_add_co_ci_u32_e32 v2, vcc_lo, 0, v2, vcc_lo
	s_delay_alu instid0(VALU_DEP_3) | instskip(NEXT) | instid1(VALU_DEP_1)
	v_cmp_le_u32_e64 s2, s3, v4
	s_or_b32 s13, s2, s13
	s_waitcnt vmcnt(0)
	ds_store_b128 v5, v[6:9]
	v_add_nc_u32_e32 v5, 0x4000, v5
	s_and_not1_b32 exec_lo, exec_lo, s13
	s_cbranch_execnz .LBB119_2
.LBB119_3:
	s_or_b32 exec_lo, exec_lo, s12
	s_load_b64 s[16:17], s[0:1], 0x38
	s_waitcnt lgkmcnt(0)
	s_barrier
	buffer_gl0_inv
	s_mov_b32 s2, exec_lo
	v_cmpx_gt_u32_e64 s16, v0
	s_cbranch_execz .LBB119_20
; %bb.4:
	v_mad_u64_u32 v[1:2], null, s15, s16, v[0:1]
	s_delay_alu instid0(VALU_DEP_1) | instskip(NEXT) | instid1(VALU_DEP_1)
	v_lshl_add_u32 v48, v1, 1, v1
	v_cmp_gt_u32_e32 vcc_lo, s7, v48
	s_and_b32 exec_lo, exec_lo, vcc_lo
	s_cbranch_execz .LBB119_20
; %bb.5:
	s_cmp_lg_u32 s4, 0
	v_cvt_f32_u32_e32 v1, s8
	s_cselect_b32 s15, -1, 0
	s_add_i32 s18, s4, -8
	s_add_i32 s19, s7, -1
	s_cmp_lg_u64 s[10:11], 0
	v_rcp_iflag_f32_e32 v1, v1
	s_cselect_b32 s20, -1, 0
	s_abs_i32 s21, s9
	s_mul_i32 s16, s16, s17
	v_cvt_f32_u32_e32 v0, s21
	s_sub_i32 s17, 0, s21
	s_sub_i32 s22, 0, s8
	;; [unrolled: 1-line block ×3, first 2 shown]
	s_clause 0x1
	s_load_b64 s[2:3], s[0:1], 0x18
	s_load_b64 s[12:13], s[0:1], 0x30
	v_rcp_iflag_f32_e32 v0, v0
	v_cmp_eq_u32_e64 s0, 63, v3
	v_mbcnt_lo_u32_b32 v70, -1, 0
	s_mov_b32 s1, 0
	s_mul_i32 s16, s16, 3
	s_waitcnt_depctr 0xfff
	v_dual_mul_f32 v0, 0x4f7ffffe, v0 :: v_dual_lshlrev_b32 v69, 4, v3
	s_delay_alu instid0(VALU_DEP_1) | instskip(NEXT) | instid1(VALU_DEP_1)
	v_cvt_u32_f32_e32 v0, v0
	v_readfirstlane_b32 s9, v0
	v_mul_f32_e32 v0, 0x4f7ffffe, v1
	s_delay_alu instid0(VALU_DEP_2) | instskip(NEXT) | instid1(VALU_DEP_1)
	s_mul_i32 s17, s17, s9
	v_cvt_u32_f32_e32 v0, v0
	s_mul_hi_u32 s17, s9, s17
	s_delay_alu instid0(SALU_CYCLE_1) | instskip(SKIP_1) | instid1(VALU_DEP_1)
	s_add_i32 s17, s9, s17
	s_cmp_lt_u32 s21, 2
	v_mul_lo_u32 v1, s22, v0
	s_cselect_b32 s23, s23, 1
	s_mul_i32 s9, s6, 6
	s_sub_i32 s24, s23, s21
	s_cmp_ge_u32 s23, s21
	s_cselect_b32 s22, s24, s23
	s_lshr_b32 s23, s17, 31
	s_mul_hi_u32 s17, s17, 3
	s_mul_i32 s23, s23, s21
	s_mul_i32 s17, s17, s21
	s_sub_i32 s23, 2, s23
	v_mul_hi_u32 v1, v0, v1
	s_sub_i32 s24, s23, s21
	s_cmp_ge_u32 s23, s21
	v_mov_b32_e32 v50, 0
	s_cselect_b32 s23, s24, s23
	s_delay_alu instid0(SALU_CYCLE_1) | instskip(SKIP_1) | instid1(VALU_DEP_2)
	s_sub_i32 s24, s23, s21
	s_cmp_ge_u32 s23, s21
	v_add_nc_u32_e32 v71, v0, v1
	s_cselect_b32 s23, s24, s23
	s_sub_i32 s17, 3, s17
	s_delay_alu instid0(SALU_CYCLE_1)
	s_sub_i32 s24, s17, s21
	s_cmp_ge_u32 s17, s21
	s_cselect_b32 s24, s24, s17
	s_mul_i32 s17, s22, s8
	s_sub_i32 s25, s24, s21
	s_cmp_ge_u32 s24, s21
	s_mul_i32 s21, s23, s8
	s_cselect_b32 s22, s25, s24
	s_lshl_b32 s6, s6, 1
	s_mul_i32 s22, s22, s8
	s_branch .LBB119_8
.LBB119_6:                              ;   in Loop: Header=BB119_8 Depth=1
	s_waitcnt lgkmcnt(0)
	v_dual_add_f32 v0, v0, v2 :: v_dual_add_f32 v9, v9, v12
	v_add_f32_e32 v2, v1, v3
	s_waitcnt vmcnt(11)
	v_cvt_f32_f16_e32 v1, v35
	v_add_f32_e32 v6, v4, v6
	v_add_f32_e32 v12, v21, v23
	s_waitcnt vmcnt(10)
	v_cvt_f32_f16_e32 v4, v34
	v_add_f32_e32 v8, v8, v11
	v_add_f32_e32 v3, v0, v1
	v_lshlrev_b64 v[0:1], 1, v[48:49]
	v_dual_add_f32 v10, v10, v13 :: v_dual_add_nc_u32 v49, s7, v48
	v_add_f32_e32 v7, v5, v7
	v_add_f32_e32 v11, v20, v22
	v_cvt_f16_f32_e32 v5, v3
	v_add_f32_e32 v4, v2, v4
	v_lshlrev_b64 v[2:3], 1, v[53:54]
	v_add_co_u32 v0, vcc_lo, s12, v0
	v_add_co_ci_u32_e32 v1, vcc_lo, s13, v1, vcc_lo
	s_delay_alu instid0(VALU_DEP_4) | instskip(NEXT) | instid1(VALU_DEP_4)
	v_cvt_f16_f32_e32 v4, v4
	v_add_co_u32 v2, vcc_lo, s12, v2
	v_add_co_ci_u32_e32 v3, vcc_lo, s13, v3, vcc_lo
	v_add_f32_e32 v13, v17, v19
	s_waitcnt vmcnt(9)
	v_cvt_f32_f16_e32 v17, v33
	s_clause 0x1
	global_store_b16 v[0:1], v5, off
	global_store_b16 v[2:3], v4, off
	s_waitcnt vmcnt(8)
	v_cvt_f32_f16_e32 v2, v32
	v_lshlrev_b64 v[0:1], 1, v[51:52]
	v_add_f32_e32 v8, v8, v17
	v_dual_add_f32 v16, v16, v18 :: v_dual_mov_b32 v3, v50
	s_delay_alu instid0(VALU_DEP_4) | instskip(NEXT) | instid1(VALU_DEP_4)
	v_dual_add_f32 v5, v9, v2 :: v_dual_add_f32 v14, v14, v15
	v_add_co_u32 v0, vcc_lo, s12, v0
	v_add_co_ci_u32_e32 v1, vcc_lo, s13, v1, vcc_lo
	s_delay_alu instid0(VALU_DEP_3)
	v_cvt_f16_f32_e32 v9, v5
	v_mov_b32_e32 v5, v50
	v_cvt_f16_f32_e32 v4, v8
	s_waitcnt vmcnt(7)
	v_cvt_f32_f16_e32 v8, v31
	global_store_b16 v[0:1], v4, off
	v_add_f32_e32 v8, v10, v8
	s_waitcnt vmcnt(6)
	v_cvt_f32_f16_e32 v10, v30
	v_lshlrev_b64 v[0:1], 1, v[49:50]
	v_add_nc_u32_e32 v4, 2, v49
	v_cvt_f16_f32_e32 v8, v8
	s_delay_alu instid0(VALU_DEP_4)
	v_add_f32_e32 v6, v6, v10
	s_waitcnt vmcnt(5)
	v_cvt_f32_f16_e32 v10, v29
	v_add_nc_u32_e32 v2, 1, v49
	v_add_co_u32 v0, vcc_lo, s12, v0
	v_lshlrev_b64 v[4:5], 1, v[4:5]
	s_delay_alu instid0(VALU_DEP_4) | instskip(NEXT) | instid1(VALU_DEP_4)
	v_add_f32_e32 v7, v7, v10
	v_lshlrev_b64 v[2:3], 1, v[2:3]
	v_add_co_ci_u32_e32 v1, vcc_lo, s13, v1, vcc_lo
	s_waitcnt vmcnt(4)
	v_cvt_f32_f16_e32 v10, v28
	v_cvt_f16_f32_e32 v6, v6
	v_add_nc_u32_e32 v49, s7, v49
	v_add_co_u32 v2, vcc_lo, s12, v2
	v_add_co_ci_u32_e32 v3, vcc_lo, s13, v3, vcc_lo
	v_add_co_u32 v4, vcc_lo, s12, v4
	v_add_co_ci_u32_e32 v5, vcc_lo, s13, v5, vcc_lo
	s_clause 0x2
	global_store_b16 v[0:1], v9, off
	global_store_b16 v[2:3], v8, off
	;; [unrolled: 1-line block ×3, first 2 shown]
	v_add_f32_e32 v4, v11, v10
	s_waitcnt vmcnt(3)
	v_cvt_f32_f16_e32 v5, v27
	v_cvt_f16_f32_e32 v15, v7
	v_dual_mov_b32 v3, v50 :: v_dual_add_nc_u32 v2, 1, v49
	s_waitcnt vmcnt(2)
	v_cvt_f32_f16_e32 v7, v26
	v_lshlrev_b64 v[0:1], 1, v[49:50]
	v_dual_add_f32 v6, v12, v5 :: v_dual_mov_b32 v5, v50
	v_cvt_f16_f32_e32 v17, v4
	v_add_nc_u32_e32 v4, 2, v49
	v_dual_add_f32 v8, v13, v7 :: v_dual_add_nc_u32 v49, s7, v49
	v_mov_b32_e32 v7, v50
	v_lshlrev_b64 v[2:3], 1, v[2:3]
	s_waitcnt vmcnt(1)
	v_cvt_f32_f16_e32 v10, v25
	v_add_co_u32 v0, vcc_lo, s12, v0
	v_lshlrev_b64 v[4:5], 1, v[4:5]
	v_cvt_f16_f32_e32 v12, v6
	v_add_nc_u32_e32 v6, 1, v49
	v_add_co_ci_u32_e32 v1, vcc_lo, s13, v1, vcc_lo
	v_add_co_u32 v2, vcc_lo, s12, v2
	v_cvt_f16_f32_e32 v13, v8
	v_lshlrev_b64 v[8:9], 1, v[49:50]
	v_add_f32_e32 v10, v16, v10
	s_waitcnt vmcnt(0)
	v_cvt_f32_f16_e32 v11, v24
	v_add_nc_u32_e32 v49, 2, v49
	v_add_co_ci_u32_e32 v3, vcc_lo, s13, v3, vcc_lo
	v_add_co_u32 v4, vcc_lo, s12, v4
	v_lshlrev_b64 v[6:7], 1, v[6:7]
	v_add_co_ci_u32_e32 v5, vcc_lo, s13, v5, vcc_lo
	v_add_co_u32 v8, vcc_lo, s12, v8
	v_cvt_f16_f32_e32 v16, v10
	v_add_f32_e32 v14, v14, v11
	v_lshlrev_b64 v[10:11], 1, v[49:50]
	v_add_co_ci_u32_e32 v9, vcc_lo, s13, v9, vcc_lo
	v_add_co_u32 v6, vcc_lo, s12, v6
	v_add_co_ci_u32_e32 v7, vcc_lo, s13, v7, vcc_lo
	s_delay_alu instid0(VALU_DEP_4)
	v_add_co_u32 v10, vcc_lo, s12, v10
	v_cvt_f16_f32_e32 v14, v14
	v_add_co_ci_u32_e32 v11, vcc_lo, s13, v11, vcc_lo
	s_clause 0x5
	global_store_b16 v[0:1], v15, off
	global_store_b16 v[2:3], v17, off
	;; [unrolled: 1-line block ×6, first 2 shown]
.LBB119_7:                              ;   in Loop: Header=BB119_8 Depth=1
	s_or_b32 exec_lo, exec_lo, s23
	v_add_nc_u32_e32 v48, s16, v48
	s_delay_alu instid0(VALU_DEP_1) | instskip(SKIP_1) | instid1(SALU_CYCLE_1)
	v_cmp_le_u32_e32 vcc_lo, s7, v48
	s_or_b32 s1, vcc_lo, s1
	s_and_not1_b32 exec_lo, exec_lo, s1
	s_cbranch_execz .LBB119_20
.LBB119_8:                              ; =>This Loop Header: Depth=1
                                        ;     Child Loop BB119_12 Depth 2
	v_dual_mov_b32 v82, v50 :: v_dual_add_nc_u32 v53, 1, v48
	v_dual_mov_b32 v80, v50 :: v_dual_add_nc_u32 v51, 2, v48
	v_mov_b32_e32 v81, v50
	v_mov_b32_e32 v79, v50
	;; [unrolled: 1-line block ×10, first 2 shown]
	s_and_not1_b32 vcc_lo, exec_lo, s15
	s_cbranch_vccnz .LBB119_15
; %bb.9:                                ;   in Loop: Header=BB119_8 Depth=1
	v_min_u32_e32 v0, s19, v48
	v_min_u32_e32 v1, s19, v53
	s_waitcnt lgkmcnt(0)
	v_min_u32_e32 v2, s19, v51
	v_dual_mov_b32 v3, v50 :: v_dual_mov_b32 v72, 0
	v_mul_lo_u32 v49, v0, s5
	v_mul_lo_u32 v0, v1, s5
	s_delay_alu instid0(VALU_DEP_4) | instskip(SKIP_4) | instid1(VALU_DEP_4)
	v_mul_lo_u32 v2, v2, s5
	v_dual_mov_b32 v1, v50 :: v_dual_mov_b32 v76, 0
	v_dual_mov_b32 v83, v69 :: v_dual_mov_b32 v74, 0
	;; [unrolled: 1-line block ×3, first 2 shown]
	v_lshlrev_b64 v[54:55], 1, v[49:50]
	v_lshlrev_b64 v[56:57], 1, v[0:1]
	;; [unrolled: 1-line block ×3, first 2 shown]
	v_dual_mov_b32 v73, 0 :: v_dual_mov_b32 v78, 0
	v_dual_mov_b32 v77, 0 :: v_dual_mov_b32 v80, 0
	v_dual_mov_b32 v79, 0 :: v_dual_mov_b32 v82, 0
	v_mov_b32_e32 v81, 0
	s_mov_b32 s23, 0
	s_branch .LBB119_12
.LBB119_10:                             ;   in Loop: Header=BB119_12 Depth=2
	s_or_b32 exec_lo, exec_lo, s25
.LBB119_11:                             ;   in Loop: Header=BB119_12 Depth=2
	s_delay_alu instid0(SALU_CYCLE_1)
	s_or_b32 exec_lo, exec_lo, s24
	s_waitcnt vmcnt(5) lgkmcnt(4)
	;;#ASMSTART
	v_dot2_f32_f16 v82, v44, v32, v82
	;;#ASMEND
	s_waitcnt vmcnt(4)
	;;#ASMSTART
	v_dot2_f32_f16 v81, v44, v24, v81
	;;#ASMEND
	s_waitcnt vmcnt(3)
	;;#ASMSTART
	v_dot2_f32_f16 v80, v44, v20, v80
	;;#ASMEND
	s_waitcnt lgkmcnt(3)
	;;#ASMSTART
	v_dot2_f32_f16 v79, v40, v32, v79
	;;#ASMEND
	;;#ASMSTART
	v_dot2_f32_f16 v78, v40, v24, v78
	;;#ASMEND
	;;#ASMSTART
	v_dot2_f32_f16 v77, v40, v20, v77
	;;#ASMEND
	s_waitcnt lgkmcnt(2)
	;;#ASMSTART
	v_dot2_f32_f16 v76, v66, v32, v76
	;;#ASMEND
	;;#ASMSTART
	v_dot2_f32_f16 v72, v66, v24, v72
	;;#ASMEND
	;; [unrolled: 10-line block ×3, first 2 shown]
	;;#ASMSTART
	v_dot2_f32_f16 v52, v36, v20, v52
	;;#ASMEND
	;;#ASMSTART
	v_dot2_f32_f16 v82, v45, v33, v82
	;;#ASMEND
	;; [unrolled: 3-line block ×25, first 2 shown]
	v_add_nc_u32_e32 v83, 0x800, v83
	;;#ASMSTART
	v_dot2_f32_f16 v82, v47, v35, v82
	;;#ASMEND
	;;#ASMSTART
	v_dot2_f32_f16 v81, v47, v27, v81
	;;#ASMEND
	;; [unrolled: 3-line block ×12, first 2 shown]
	s_addk_i32 s23, 0x400
	s_waitcnt vmcnt(2)
	;;#ASMSTART
	v_dot2_f32_f16 v82, v28, v8, v82
	;;#ASMEND
	s_waitcnt vmcnt(1)
	;;#ASMSTART
	v_dot2_f32_f16 v81, v28, v4, v81
	;;#ASMEND
	;; [unrolled: 4-line block ×3, first 2 shown]
	;;#ASMSTART
	v_dot2_f32_f16 v79, v16, v8, v79
	;;#ASMEND
	;;#ASMSTART
	v_dot2_f32_f16 v78, v16, v4, v78
	;;#ASMEND
	;; [unrolled: 3-line block ×21, first 2 shown]
	s_cmp_ge_u32 s23, s4
	;;#ASMSTART
	v_dot2_f32_f16 v82, v30, v10, v82
	;;#ASMEND
	;;#ASMSTART
	v_dot2_f32_f16 v81, v30, v6, v81
	;;#ASMEND
	;; [unrolled: 3-line block ×24, first 2 shown]
	s_cbranch_scc1 .LBB119_15
.LBB119_12:                             ;   Parent Loop BB119_8 Depth=1
                                        ; =>  This Inner Loop Header: Depth=2
	v_dual_mov_b32 v45, 0 :: v_dual_add_nc_u32 v16, s23, v68
	v_dual_mov_b32 v44, 0 :: v_dual_mov_b32 v29, 0
	v_dual_mov_b32 v46, 0 :: v_dual_mov_b32 v31, 0
	s_delay_alu instid0(VALU_DEP_3) | instskip(SKIP_2) | instid1(VALU_DEP_3)
	v_min_u32_e32 v49, s18, v16
	v_dual_mov_b32 v47, 0 :: v_dual_add_nc_u32 v84, 0x200, v16
	v_dual_mov_b32 v28, 0 :: v_dual_mov_b32 v41, 0
	v_lshlrev_b64 v[0:1], 1, v[49:50]
	s_delay_alu instid0(VALU_DEP_3) | instskip(SKIP_3) | instid1(VALU_DEP_4)
	v_min_u32_e32 v49, s18, v84
	v_dual_mov_b32 v30, 0 :: v_dual_mov_b32 v43, 0
	v_dual_mov_b32 v40, 0 :: v_dual_mov_b32 v17, 0
	s_waitcnt lgkmcnt(0)
	v_add_co_u32 v6, vcc_lo, s2, v0
	v_add_co_ci_u32_e32 v7, vcc_lo, s3, v1, vcc_lo
	v_lshlrev_b64 v[0:1], 1, v[49:50]
	s_delay_alu instid0(VALU_DEP_3) | instskip(NEXT) | instid1(VALU_DEP_3)
	v_add_co_u32 v2, vcc_lo, v6, v54
	v_add_co_ci_u32_e32 v3, vcc_lo, v7, v55, vcc_lo
	v_add_co_u32 v4, vcc_lo, v6, v56
	v_add_co_ci_u32_e32 v5, vcc_lo, v7, v57, vcc_lo
	;; [unrolled: 2-line block ×4, first 2 shown]
	s_delay_alu instid0(VALU_DEP_4) | instskip(NEXT) | instid1(VALU_DEP_4)
	v_add_co_u32 v6, vcc_lo, v8, v54
	v_add_co_ci_u32_e32 v7, vcc_lo, v9, v55, vcc_lo
	v_add_co_u32 v12, vcc_lo, v8, v56
	v_add_co_ci_u32_e32 v13, vcc_lo, v9, v57, vcc_lo
	;; [unrolled: 2-line block ×3, first 2 shown]
	s_clause 0x5
	global_load_b128 v[32:35], v[2:3], off slc dlc
	global_load_b128 v[24:27], v[4:5], off slc dlc
	;; [unrolled: 1-line block ×6, first 2 shown]
	v_cmp_gt_u32_e32 vcc_lo, s4, v16
	v_dual_mov_b32 v42, 0 :: v_dual_mov_b32 v19, 0
	v_dual_mov_b32 v16, 0 :: v_dual_mov_b32 v67, 0
	;; [unrolled: 1-line block ×9, first 2 shown]
	v_mov_b32_e32 v12, 0
	v_mov_b32_e32 v14, 0
	s_and_saveexec_b32 s24, vcc_lo
	s_cbranch_execz .LBB119_11
; %bb.13:                               ;   in Loop: Header=BB119_12 Depth=2
	v_dual_mov_b32 v14, 0 :: v_dual_add_nc_u32 v49, s6, v83
	v_dual_mov_b32 v15, 0 :: v_dual_add_nc_u32 v86, s14, v83
	;; [unrolled: 1-line block ×3, first 2 shown]
	ds_load_b128 v[44:47], v83
	ds_load_b128 v[40:43], v49
	ds_load_2addr_b32 v[66:67], v86 offset1:1
	ds_load_2addr_b32 v[64:65], v86 offset0:2 offset1:3
	ds_load_b128 v[36:39], v85
	v_dual_mov_b32 v13, 0 :: v_dual_mov_b32 v60, 0
	v_dual_mov_b32 v61, 0 :: v_dual_mov_b32 v62, 0
	v_dual_mov_b32 v63, 0 :: v_dual_mov_b32 v18, 0
	v_dual_mov_b32 v19, 0 :: v_dual_mov_b32 v16, 0
	v_dual_mov_b32 v17, 0 :: v_dual_mov_b32 v30, 0
	v_dual_mov_b32 v31, 0 :: v_dual_mov_b32 v28, 0
	v_mov_b32_e32 v29, 0
	s_mov_b32 s25, exec_lo
	v_cmpx_gt_u32_e64 s4, v84
	s_cbranch_execz .LBB119_10
; %bb.14:                               ;   in Loop: Header=BB119_12 Depth=2
	v_add_nc_u32_e32 v12, 0x400, v86
	v_add_nc_u32_e32 v13, 0x408, v86
	ds_load_b128 v[28:31], v83 offset:1024
	ds_load_2addr_b32 v[62:63], v12 offset1:1
	ds_load_2addr_b32 v[60:61], v13 offset1:1
	ds_load_b128 v[16:19], v49 offset:1024
	ds_load_b128 v[12:15], v85 offset:1024
	s_branch .LBB119_10
.LBB119_15:                             ;   in Loop: Header=BB119_8 Depth=1
	; sched_barrier mask(0x00000000)
	v_cvt_i32_f32_e32 v0, v82
	v_cvt_i32_f32_e32 v1, v81
	s_waitcnt lgkmcnt(0)
	v_xor_b32_e32 v2, 16, v70
	v_cvt_i32_f32_e32 v3, v80
	v_cvt_i32_f32_e32 v4, v79
	v_cvt_f32_i32_dpp v0, v0 row_shr:8 row_mask:0xf bank_mask:0xf bound_ctrl:1
	v_cvt_f32_i32_dpp v1, v1 row_shr:8 row_mask:0xf bank_mask:0xf bound_ctrl:1
	v_cmp_gt_i32_e32 vcc_lo, 32, v2
	v_cvt_i32_f32_e32 v5, v78
	v_cvt_i32_f32_e32 v7, v76
	s_delay_alu instid0(VALU_DEP_4) | instskip(SKIP_3) | instid1(VALU_DEP_4)
	v_dual_add_f32 v0, v82, v0 :: v_dual_add_f32 v1, v81, v1
	v_cvt_f32_i32_dpp v3, v3 row_shr:8 row_mask:0xf bank_mask:0xf bound_ctrl:1
	v_cvt_f32_i32_dpp v4, v4 row_shr:8 row_mask:0xf bank_mask:0xf bound_ctrl:1
	;; [unrolled: 1-line block ×3, first 2 shown]
	v_cvt_i32_f32_e32 v8, v0
	v_cvt_i32_f32_e32 v9, v1
	v_cvt_f32_i32_dpp v7, v7 row_shr:8 row_mask:0xf bank_mask:0xf bound_ctrl:1
	v_cvt_i32_f32_e32 v6, v77
	v_cvt_i32_f32_e32 v17, v74
	v_cvt_f32_i32_dpp v8, v8 row_shr:4 row_mask:0xf bank_mask:0xf bound_ctrl:1
	v_cvt_f32_i32_dpp v9, v9 row_shr:4 row_mask:0xf bank_mask:0xf bound_ctrl:1
	v_cndmask_b32_e32 v2, v70, v2, vcc_lo
	v_cvt_f32_i32_dpp v6, v6 row_shr:8 row_mask:0xf bank_mask:0xf bound_ctrl:1
	v_cvt_i32_f32_e32 v19, v52
	s_delay_alu instid0(VALU_DEP_4) | instskip(NEXT) | instid1(VALU_DEP_4)
	v_dual_add_f32 v0, v0, v8 :: v_dual_add_f32 v1, v1, v9
	v_dual_add_f32 v2, v80, v3 :: v_dual_lshlrev_b32 v15, 2, v2
	v_dual_add_f32 v3, v79, v4 :: v_dual_add_f32 v4, v78, v5
	v_add_f32_e32 v7, v76, v7
	s_delay_alu instid0(VALU_DEP_4)
	v_cvt_i32_f32_e32 v5, v0
	v_cvt_i32_f32_e32 v8, v1
	v_cvt_i32_f32_e32 v9, v2
	v_cvt_i32_f32_e32 v11, v4
	v_cvt_i32_f32_e32 v10, v3
	v_cvt_f32_i32_dpp v5, v5 row_shr:2 row_mask:0xf bank_mask:0xf bound_ctrl:1
	v_cvt_f32_i32_dpp v8, v8 row_shr:2 row_mask:0xf bank_mask:0xf bound_ctrl:1
	v_cvt_f32_i32_dpp v17, v17 row_shr:8 row_mask:0xf bank_mask:0xf bound_ctrl:1
	v_cvt_f32_i32_dpp v11, v11 row_shr:4 row_mask:0xf bank_mask:0xf bound_ctrl:1
	v_cvt_f32_i32_dpp v19, v19 row_shr:8 row_mask:0xf bank_mask:0xf bound_ctrl:1
	s_delay_alu instid0(VALU_DEP_4)
	v_dual_add_f32 v0, v0, v5 :: v_dual_add_f32 v1, v1, v8
	v_cvt_i32_f32_e32 v5, v7
	v_cvt_f32_i32_dpp v8, v9 row_shr:4 row_mask:0xf bank_mask:0xf bound_ctrl:1
	v_cvt_f32_i32_dpp v9, v10 row_shr:4 row_mask:0xf bank_mask:0xf bound_ctrl:1
	v_add_f32_e32 v6, v77, v6
	v_cvt_i32_f32_e32 v13, v1
	v_cvt_f32_i32_dpp v5, v5 row_shr:4 row_mask:0xf bank_mask:0xf bound_ctrl:1
	v_cvt_i32_f32_e32 v10, v0
	v_dual_add_f32 v9, v3, v9 :: v_dual_add_f32 v4, v4, v11
	s_delay_alu instid0(VALU_DEP_4) | instskip(NEXT) | instid1(VALU_DEP_4)
	v_cvt_f32_i32_dpp v13, v13 row_shr:1 row_mask:0xf bank_mask:0xf bound_ctrl:1
	v_add_f32_e32 v5, v7, v5
	v_cvt_i32_f32_e32 v12, v6
	v_cvt_f32_i32_dpp v10, v10 row_shr:1 row_mask:0xf bank_mask:0xf bound_ctrl:1
	s_delay_alu instid0(VALU_DEP_4) | instskip(NEXT) | instid1(VALU_DEP_4)
	v_dual_add_f32 v8, v2, v8 :: v_dual_add_f32 v1, v1, v13
	v_cvt_i32_f32_e32 v13, v5
	s_delay_alu instid0(VALU_DEP_4) | instskip(SKIP_1) | instid1(VALU_DEP_4)
	v_cvt_f32_i32_dpp v12, v12 row_shr:4 row_mask:0xf bank_mask:0xf bound_ctrl:1
	v_cvt_i32_f32_e32 v11, v4
	v_cvt_i32_f32_e32 v7, v8
	;; [unrolled: 1-line block ×3, first 2 shown]
	v_cvt_f32_i32_dpp v13, v13 row_shr:2 row_mask:0xf bank_mask:0xf bound_ctrl:1
	v_add_f32_e32 v0, v0, v10
	v_cvt_i32_f32_e32 v10, v9
	v_cvt_f32_i32_dpp v7, v7 row_shr:2 row_mask:0xf bank_mask:0xf bound_ctrl:1
	v_add_f32_e32 v6, v6, v12
	v_cvt_f32_i32_dpp v11, v11 row_shr:2 row_mask:0xf bank_mask:0xf bound_ctrl:1
	v_cvt_i32_f32_e32 v16, v75
	v_cvt_f32_i32_dpp v10, v10 row_shr:2 row_mask:0xf bank_mask:0xf bound_ctrl:1
	v_add_f32_e32 v7, v8, v7
	v_cvt_i32_f32_e32 v12, v6
	v_add_f32_e32 v4, v4, v11
	v_cvt_f32_i32_dpp v14, v14 row_shr:8 row_mask:0xf bank_mask:0xf bound_ctrl:1
	v_add_f32_e32 v9, v9, v10
	v_cvt_f32_i32_dpp v16, v16 row_shr:8 row_mask:0xf bank_mask:0xf bound_ctrl:1
	v_cvt_f32_i32_dpp v12, v12 row_shr:2 row_mask:0xf bank_mask:0xf bound_ctrl:1
	v_cvt_i32_f32_e32 v11, v4
	v_cvt_i32_f32_e32 v18, v73
	;; [unrolled: 1-line block ×3, first 2 shown]
	v_add_f32_e32 v5, v5, v13
	v_cvt_i32_f32_e32 v8, v7
	v_cvt_f32_i32_dpp v11, v11 row_shr:1 row_mask:0xf bank_mask:0xf bound_ctrl:1
	v_add_f32_e32 v17, v74, v17
	v_cvt_f32_i32_dpp v10, v10 row_shr:1 row_mask:0xf bank_mask:0xf bound_ctrl:1
	v_add_f32_e32 v6, v6, v12
	v_cvt_f32_i32_dpp v18, v18 row_shr:8 row_mask:0xf bank_mask:0xf bound_ctrl:1
	v_cvt_i32_f32_e32 v13, v5
	v_cvt_i32_f32_e32 v22, v17
	v_add_f32_e32 v9, v9, v10
	v_cvt_i32_f32_e32 v12, v6
	v_add_f32_e32 v10, v4, v11
	v_cvt_f32_i32_dpp v8, v8 row_shr:1 row_mask:0xf bank_mask:0xf bound_ctrl:1
	v_add_f32_e32 v19, v52, v19
	v_cvt_f32_i32_dpp v22, v22 row_shr:4 row_mask:0xf bank_mask:0xf bound_ctrl:1
	v_cvt_f32_i32_dpp v12, v12 row_shr:1 row_mask:0xf bank_mask:0xf bound_ctrl:1
	v_add_f32_e32 v16, v75, v16
	v_cvt_f32_i32_dpp v13, v13 row_shr:1 row_mask:0xf bank_mask:0xf bound_ctrl:1
	v_cvt_i32_f32_e32 v24, v19
	s_delay_alu instid0(VALU_DEP_4) | instskip(NEXT) | instid1(VALU_DEP_4)
	v_dual_add_f32 v17, v17, v22 :: v_dual_add_f32 v4, v6, v12
	v_cvt_i32_f32_e32 v21, v16
	s_delay_alu instid0(VALU_DEP_4) | instskip(NEXT) | instid1(VALU_DEP_4)
	v_dual_add_f32 v8, v7, v8 :: v_dual_add_f32 v5, v5, v13
	v_cvt_f32_i32_dpp v24, v24 row_shr:4 row_mask:0xf bank_mask:0xf bound_ctrl:1
	v_add_f32_e32 v14, v72, v14
	v_cvt_i32_f32_e32 v22, v17
	v_cvt_f32_i32_dpp v21, v21 row_shr:4 row_mask:0xf bank_mask:0xf bound_ctrl:1
	ds_bpermute_b32 v2, v15, v0
	v_add_f32_e32 v19, v19, v24
	v_cvt_i32_f32_e32 v20, v14
	v_cvt_f32_i32_dpp v22, v22 row_shr:2 row_mask:0xf bank_mask:0xf bound_ctrl:1
	ds_bpermute_b32 v3, v15, v1
	ds_bpermute_b32 v11, v15, v8
	v_cvt_i32_f32_e32 v24, v19
	v_cvt_f32_i32_dpp v20, v20 row_shr:4 row_mask:0xf bank_mask:0xf bound_ctrl:1
	ds_bpermute_b32 v12, v15, v9
	ds_bpermute_b32 v13, v15, v10
	v_add_f32_e32 v17, v17, v22
	v_cvt_f32_i32_dpp v24, v24 row_shr:2 row_mask:0xf bank_mask:0xf bound_ctrl:1
	v_add_f32_e32 v14, v14, v20
	v_add_f32_e32 v18, v73, v18
	ds_bpermute_b32 v6, v15, v4
	v_cvt_i32_f32_e32 v22, v17
	v_add_f32_e32 v19, v19, v24
	v_cvt_i32_f32_e32 v20, v14
	v_cvt_i32_f32_e32 v23, v18
	ds_bpermute_b32 v7, v15, v5
	v_cvt_f32_i32_dpp v22, v22 row_shr:1 row_mask:0xf bank_mask:0xf bound_ctrl:1
	v_add_f32_e32 v16, v16, v21
	v_cvt_f32_i32_dpp v20, v20 row_shr:2 row_mask:0xf bank_mask:0xf bound_ctrl:1
	v_cvt_f32_i32_dpp v23, v23 row_shr:4 row_mask:0xf bank_mask:0xf bound_ctrl:1
	v_cvt_i32_f32_e32 v24, v19
	v_add_f32_e32 v17, v17, v22
	v_cvt_i32_f32_e32 v21, v16
	v_add_f32_e32 v14, v14, v20
	s_delay_alu instid0(VALU_DEP_4) | instskip(NEXT) | instid1(VALU_DEP_3)
	v_cvt_f32_i32_dpp v24, v24 row_shr:1 row_mask:0xf bank_mask:0xf bound_ctrl:1
	v_cvt_f32_i32_dpp v21, v21 row_shr:2 row_mask:0xf bank_mask:0xf bound_ctrl:1
	s_delay_alu instid0(VALU_DEP_3) | instskip(NEXT) | instid1(VALU_DEP_2)
	v_cvt_i32_f32_e32 v20, v14
	v_add_f32_e32 v16, v16, v21
	s_delay_alu instid0(VALU_DEP_2) | instskip(NEXT) | instid1(VALU_DEP_2)
	v_cvt_f32_i32_dpp v20, v20 row_shr:1 row_mask:0xf bank_mask:0xf bound_ctrl:1
	v_cvt_i32_f32_e32 v21, v16
	s_delay_alu instid0(VALU_DEP_2)
	v_add_f32_e32 v20, v14, v20
	v_add_f32_e32 v14, v19, v24
	ds_bpermute_b32 v19, v15, v17
	v_cvt_f32_i32_dpp v21, v21 row_shr:1 row_mask:0xf bank_mask:0xf bound_ctrl:1
	v_add_f32_e32 v18, v18, v23
	ds_bpermute_b32 v22, v15, v20
	v_add_f32_e32 v21, v16, v21
	v_cvt_i32_f32_e32 v23, v18
	s_delay_alu instid0(VALU_DEP_1) | instskip(NEXT) | instid1(VALU_DEP_1)
	v_cvt_f32_i32_dpp v23, v23 row_shr:2 row_mask:0xf bank_mask:0xf bound_ctrl:1
	v_add_f32_e32 v18, v18, v23
	s_delay_alu instid0(VALU_DEP_1) | instskip(NEXT) | instid1(VALU_DEP_1)
	v_cvt_i32_f32_e32 v23, v18
	v_cvt_f32_i32_dpp v23, v23 row_shr:1 row_mask:0xf bank_mask:0xf bound_ctrl:1
	s_delay_alu instid0(VALU_DEP_1)
	v_add_f32_e32 v16, v18, v23
	ds_bpermute_b32 v23, v15, v21
	ds_bpermute_b32 v18, v15, v16
	;; [unrolled: 1-line block ×3, first 2 shown]
	s_and_saveexec_b32 s23, s0
	s_cbranch_execz .LBB119_7
; %bb.16:                               ;   in Loop: Header=BB119_8 Depth=1
	s_and_b32 vcc_lo, exec_lo, s20
	s_cbranch_vccz .LBB119_18
; %bb.17:                               ;   in Loop: Header=BB119_8 Depth=1
	v_mul_hi_u32 v24, v48, v71
	v_mul_hi_u32 v25, v53, v71
	;; [unrolled: 1-line block ×3, first 2 shown]
	v_mov_b32_e32 v43, v50
	v_mov_b32_e32 v41, v50
	;; [unrolled: 1-line block ×3, first 2 shown]
	v_mul_lo_u32 v24, v24, s8
	v_mul_lo_u32 v25, v25, s8
	;; [unrolled: 1-line block ×3, first 2 shown]
	s_delay_alu instid0(VALU_DEP_3) | instskip(NEXT) | instid1(VALU_DEP_3)
	v_sub_nc_u32_e32 v24, v48, v24
	v_sub_nc_u32_e32 v27, v53, v25
	s_delay_alu instid0(VALU_DEP_3) | instskip(NEXT) | instid1(VALU_DEP_3)
	v_sub_nc_u32_e32 v26, v51, v26
	v_subrev_nc_u32_e32 v28, s8, v24
	v_cmp_le_u32_e32 vcc_lo, s8, v24
	v_mov_b32_e32 v25, v50
	v_subrev_nc_u32_e32 v29, s8, v27
	v_subrev_nc_u32_e32 v30, s8, v26
	v_cndmask_b32_e32 v24, v24, v28, vcc_lo
	v_cmp_le_u32_e32 vcc_lo, s8, v27
	s_delay_alu instid0(VALU_DEP_4) | instskip(SKIP_1) | instid1(VALU_DEP_2)
	v_dual_cndmask_b32 v28, v27, v29 :: v_dual_mov_b32 v27, v50
	v_cmp_le_u32_e32 vcc_lo, s8, v26
	v_subrev_nc_u32_e32 v31, s8, v28
	v_cndmask_b32_e32 v26, v26, v30, vcc_lo
	v_subrev_nc_u32_e32 v30, s8, v24
	v_cmp_le_u32_e32 vcc_lo, s8, v24
	s_delay_alu instid0(VALU_DEP_3) | instskip(NEXT) | instid1(VALU_DEP_3)
	v_subrev_nc_u32_e32 v32, s8, v26
	v_cndmask_b32_e32 v49, v24, v30, vcc_lo
	v_cmp_le_u32_e32 vcc_lo, s8, v28
	v_dual_mov_b32 v29, v50 :: v_dual_cndmask_b32 v24, v28, v31
	v_cmp_le_u32_e32 vcc_lo, s8, v26
	s_delay_alu instid0(VALU_DEP_2) | instskip(SKIP_4) | instid1(VALU_DEP_4)
	v_lshlrev_b64 v[34:35], 1, v[24:25]
	v_cndmask_b32_e32 v26, v26, v32, vcc_lo
	v_lshlrev_b64 v[32:33], 1, v[49:50]
	v_dual_mov_b32 v31, v50 :: v_dual_add_nc_u32 v28, s17, v49
	v_add_nc_u32_e32 v30, s17, v24
	v_lshlrev_b64 v[36:37], 1, v[26:27]
	v_add_nc_u32_e32 v40, s21, v49
	v_add_co_u32 v32, vcc_lo, s10, v32
	v_add_co_ci_u32_e32 v33, vcc_lo, s11, v33, vcc_lo
	v_add_co_u32 v38, vcc_lo, s10, v34
	v_lshlrev_b64 v[27:28], 1, v[28:29]
	v_add_co_ci_u32_e32 v39, vcc_lo, s11, v35, vcc_lo
	v_dual_mov_b32 v35, v50 :: v_dual_add_nc_u32 v34, s17, v26
	v_add_co_u32 v36, vcc_lo, s10, v36
	v_lshlrev_b64 v[29:30], 1, v[30:31]
	v_add_co_ci_u32_e32 v37, vcc_lo, s11, v37, vcc_lo
	v_add_co_u32 v27, vcc_lo, s10, v27
	v_lshlrev_b64 v[34:35], 1, v[34:35]
	v_add_co_ci_u32_e32 v28, vcc_lo, s11, v28, vcc_lo
	v_add_co_u32 v29, vcc_lo, s10, v29
	v_add_nc_u32_e32 v42, s21, v24
	v_add_co_ci_u32_e32 v30, vcc_lo, s11, v30, vcc_lo
	v_lshlrev_b64 v[40:41], 1, v[40:41]
	v_add_co_u32 v44, vcc_lo, s10, v34
	v_add_co_ci_u32_e32 v45, vcc_lo, s11, v35, vcc_lo
	v_lshlrev_b64 v[34:35], 1, v[42:43]
	v_add_nc_u32_e32 v42, s21, v26
	v_add_co_u32 v40, vcc_lo, s10, v40
	v_add_nc_u32_e32 v49, s22, v49
	v_add_co_ci_u32_e32 v41, vcc_lo, s11, v41, vcc_lo
	s_delay_alu instid0(VALU_DEP_4)
	v_lshlrev_b64 v[42:43], 1, v[42:43]
	v_add_co_u32 v46, vcc_lo, s10, v34
	v_add_co_ci_u32_e32 v47, vcc_lo, s11, v35, vcc_lo
	v_lshlrev_b64 v[34:35], 1, v[49:50]
	v_add_nc_u32_e32 v49, s22, v24
	v_add_co_u32 v24, vcc_lo, s10, v42
	v_add_co_ci_u32_e32 v25, vcc_lo, s11, v43, vcc_lo
	s_delay_alu instid0(VALU_DEP_3) | instskip(SKIP_3) | instid1(VALU_DEP_3)
	v_lshlrev_b64 v[42:43], 1, v[49:50]
	v_add_nc_u32_e32 v49, s22, v26
	v_add_co_u32 v54, vcc_lo, s10, v34
	v_add_co_ci_u32_e32 v55, vcc_lo, s11, v35, vcc_lo
	v_lshlrev_b64 v[34:35], 1, v[49:50]
	v_add_co_u32 v42, vcc_lo, s10, v42
	v_add_co_ci_u32_e32 v43, vcc_lo, s11, v43, vcc_lo
	v_mov_b32_e32 v49, v50
	s_delay_alu instid0(VALU_DEP_4)
	v_add_co_u32 v56, vcc_lo, s10, v34
	v_add_co_ci_u32_e32 v57, vcc_lo, s11, v35, vcc_lo
	s_clause 0xb
	global_load_u16 v35, v[32:33], off
	global_load_u16 v34, v[38:39], off
	;; [unrolled: 1-line block ×12, first 2 shown]
	v_mov_b32_e32 v54, v50
	s_cbranch_execnz .LBB119_6
	s_branch .LBB119_19
.LBB119_18:                             ;   in Loop: Header=BB119_8 Depth=1
                                        ; implicit-def: $vgpr24
                                        ; implicit-def: $vgpr25
                                        ; implicit-def: $vgpr26
                                        ; implicit-def: $vgpr27
                                        ; implicit-def: $vgpr28
                                        ; implicit-def: $vgpr29
                                        ; implicit-def: $vgpr30
                                        ; implicit-def: $vgpr31
                                        ; implicit-def: $vgpr32
                                        ; implicit-def: $vgpr33
                                        ; implicit-def: $vgpr34
                                        ; implicit-def: $vgpr35
.LBB119_19:                             ;   in Loop: Header=BB119_8 Depth=1
	s_waitcnt vmcnt(10)
	v_dual_mov_b32 v49, v50 :: v_dual_mov_b32 v34, 0
	v_dual_mov_b32 v54, v50 :: v_dual_mov_b32 v35, 0
	s_waitcnt vmcnt(9)
	v_dual_mov_b32 v52, v50 :: v_dual_mov_b32 v33, 0
	s_waitcnt vmcnt(7)
	;; [unrolled: 2-line block ×6, first 2 shown]
	v_mov_b32_e32 v24, 0
	s_branch .LBB119_6
.LBB119_20:
	s_nop 0
	s_sendmsg sendmsg(MSG_DEALLOC_VGPRS)
	s_endpgm
	.section	.rodata,"a",@progbits
	.p2align	6, 0x0
	.amdhsa_kernel _Z16wvSplitK_hf_sml_I6__halfLi64ELi3ELi16ELi8ELi2ELi4EEviiiiiiPKT_S3_S3_PS1_ii
		.amdhsa_group_segment_fixed_size 65536
		.amdhsa_private_segment_fixed_size 0
		.amdhsa_kernarg_size 64
		.amdhsa_user_sgpr_count 15
		.amdhsa_user_sgpr_dispatch_ptr 0
		.amdhsa_user_sgpr_queue_ptr 0
		.amdhsa_user_sgpr_kernarg_segment_ptr 1
		.amdhsa_user_sgpr_dispatch_id 0
		.amdhsa_user_sgpr_private_segment_size 0
		.amdhsa_wavefront_size32 1
		.amdhsa_uses_dynamic_stack 0
		.amdhsa_enable_private_segment 0
		.amdhsa_system_sgpr_workgroup_id_x 1
		.amdhsa_system_sgpr_workgroup_id_y 0
		.amdhsa_system_sgpr_workgroup_id_z 0
		.amdhsa_system_sgpr_workgroup_info 0
		.amdhsa_system_vgpr_workitem_id 1
		.amdhsa_next_free_vgpr 87
		.amdhsa_next_free_sgpr 26
		.amdhsa_reserve_vcc 1
		.amdhsa_float_round_mode_32 0
		.amdhsa_float_round_mode_16_64 0
		.amdhsa_float_denorm_mode_32 3
		.amdhsa_float_denorm_mode_16_64 3
		.amdhsa_dx10_clamp 1
		.amdhsa_ieee_mode 1
		.amdhsa_fp16_overflow 0
		.amdhsa_workgroup_processor_mode 1
		.amdhsa_memory_ordered 1
		.amdhsa_forward_progress 0
		.amdhsa_shared_vgpr_count 0
		.amdhsa_exception_fp_ieee_invalid_op 0
		.amdhsa_exception_fp_denorm_src 0
		.amdhsa_exception_fp_ieee_div_zero 0
		.amdhsa_exception_fp_ieee_overflow 0
		.amdhsa_exception_fp_ieee_underflow 0
		.amdhsa_exception_fp_ieee_inexact 0
		.amdhsa_exception_int_div_zero 0
	.end_amdhsa_kernel
	.section	.text._Z16wvSplitK_hf_sml_I6__halfLi64ELi3ELi16ELi8ELi2ELi4EEviiiiiiPKT_S3_S3_PS1_ii,"axG",@progbits,_Z16wvSplitK_hf_sml_I6__halfLi64ELi3ELi16ELi8ELi2ELi4EEviiiiiiPKT_S3_S3_PS1_ii,comdat
.Lfunc_end119:
	.size	_Z16wvSplitK_hf_sml_I6__halfLi64ELi3ELi16ELi8ELi2ELi4EEviiiiiiPKT_S3_S3_PS1_ii, .Lfunc_end119-_Z16wvSplitK_hf_sml_I6__halfLi64ELi3ELi16ELi8ELi2ELi4EEviiiiiiPKT_S3_S3_PS1_ii
                                        ; -- End function
	.section	.AMDGPU.csdata,"",@progbits
; Kernel info:
; codeLenInByte = 5708
; NumSgprs: 28
; NumVgprs: 87
; ScratchSize: 0
; MemoryBound: 0
; FloatMode: 240
; IeeeMode: 1
; LDSByteSize: 65536 bytes/workgroup (compile time only)
; SGPRBlocks: 3
; VGPRBlocks: 10
; NumSGPRsForWavesPerEU: 28
; NumVGPRsForWavesPerEU: 87
; Occupancy: 16
; WaveLimiterHint : 0
; COMPUTE_PGM_RSRC2:SCRATCH_EN: 0
; COMPUTE_PGM_RSRC2:USER_SGPR: 15
; COMPUTE_PGM_RSRC2:TRAP_HANDLER: 0
; COMPUTE_PGM_RSRC2:TGID_X_EN: 1
; COMPUTE_PGM_RSRC2:TGID_Y_EN: 0
; COMPUTE_PGM_RSRC2:TGID_Z_EN: 0
; COMPUTE_PGM_RSRC2:TIDIG_COMP_CNT: 1
	.section	.text._Z12wvSplitK_hf_I6__halfLi64ELi3ELi16ELi8ELi2ELi4EEviiiiiiPKT_S3_S3_PS1_ii,"axG",@progbits,_Z12wvSplitK_hf_I6__halfLi64ELi3ELi16ELi8ELi2ELi4EEviiiiiiPKT_S3_S3_PS1_ii,comdat
	.protected	_Z12wvSplitK_hf_I6__halfLi64ELi3ELi16ELi8ELi2ELi4EEviiiiiiPKT_S3_S3_PS1_ii ; -- Begin function _Z12wvSplitK_hf_I6__halfLi64ELi3ELi16ELi8ELi2ELi4EEviiiiiiPKT_S3_S3_PS1_ii
	.globl	_Z12wvSplitK_hf_I6__halfLi64ELi3ELi16ELi8ELi2ELi4EEviiiiiiPKT_S3_S3_PS1_ii
	.p2align	8
	.type	_Z12wvSplitK_hf_I6__halfLi64ELi3ELi16ELi8ELi2ELi4EEviiiiiiPKT_S3_S3_PS1_ii,@function
_Z12wvSplitK_hf_I6__halfLi64ELi3ELi16ELi8ELi2ELi4EEviiiiiiPKT_S3_S3_PS1_ii: ; @_Z12wvSplitK_hf_I6__halfLi64ELi3ELi16ELi8ELi2ELi4EEviiiiiiPKT_S3_S3_PS1_ii
; %bb.0:
	s_clause 0x1
	s_load_b64 s[18:19], s[0:1], 0x38
	s_load_b128 s[4:7], s[0:1], 0x0
	v_bfe_u32 v1, v0, 10, 10
	s_mov_b32 s8, 1
	s_delay_alu instid0(SALU_CYCLE_1) | instskip(SKIP_1) | instid1(SALU_CYCLE_1)
	s_mov_b32 s9, s8
	s_mov_b32 s10, s8
	v_mov_b32_e32 v58, s10
	v_dual_mov_b32 v56, s8 :: v_dual_mov_b32 v57, s9
	s_waitcnt lgkmcnt(0)
	v_mad_u64_u32 v[2:3], null, s15, s18, v[1:2]
	s_clause 0x1
	s_load_b64 s[12:13], s[0:1], 0x20
	s_load_b64 s[14:15], s[0:1], 0x10
	s_delay_alu instid0(VALU_DEP_1) | instskip(NEXT) | instid1(VALU_DEP_1)
	v_lshl_add_u32 v60, v2, 1, v2
	v_add_nc_u32_e32 v2, 3, v60
	v_cmp_gt_u32_e32 vcc_lo, s7, v60
	s_delay_alu instid0(VALU_DEP_2) | instskip(NEXT) | instid1(VALU_DEP_1)
	v_cmp_le_u32_e64 s2, s7, v2
	s_and_b32 s2, vcc_lo, s2
	s_delay_alu instid0(SALU_CYCLE_1)
	s_and_saveexec_b32 s11, s2
	s_cbranch_execz .LBB120_6
; %bb.1:
	v_dual_mov_b32 v58, s10 :: v_dual_mov_b32 v57, s9
	v_mov_b32_e32 v56, s8
	s_add_i32 s16, s7, -3
	s_mov_b32 s17, exec_lo
	v_cmpx_ne_u32_e64 s16, v60
	s_cbranch_execz .LBB120_5
; %bb.2:
	v_subrev_nc_u32_e32 v2, s16, v60
	s_mov_b32 s20, 0
	s_mov_b64 s[2:3], 0
	s_mov_b32 s9, s8
	s_mov_b32 s10, s8
	v_cmp_lt_u32_e32 vcc_lo, 1, v2
	v_cndmask_b32_e32 v2, 1, v2, vcc_lo
.LBB120_3:                              ; =>This Inner Loop Header: Depth=1
	s_cmp_lg_u32 s2, 2
	s_cselect_b32 s10, s10, 0
	s_cmp_lg_u32 s2, 1
	s_cselect_b32 s9, s9, 0
	;; [unrolled: 2-line block ×3, first 2 shown]
	s_add_u32 s2, s2, 1
	v_dual_mov_b32 v58, s10 :: v_dual_mov_b32 v57, s9
	v_cmp_eq_u32_e32 vcc_lo, s2, v2
	v_mov_b32_e32 v56, s8
	s_addc_u32 s3, s3, 0
	s_or_b32 s20, vcc_lo, s20
	s_delay_alu instid0(SALU_CYCLE_1)
	s_and_not1_b32 exec_lo, exec_lo, s20
	s_cbranch_execnz .LBB120_3
; %bb.4:
	s_or_b32 exec_lo, exec_lo, s20
	v_mov_b32_e32 v60, s16
.LBB120_5:
	s_or_b32 exec_lo, exec_lo, s17
.LBB120_6:
	s_delay_alu instid0(SALU_CYCLE_1)
	s_or_b32 exec_lo, exec_lo, s11
	s_load_b64 s[8:9], s[0:1], 0x28
	v_and_b32_e32 v0, 0x3ff, v0
	s_lshl_b32 s20, s6, 2
	s_mov_b32 s10, exec_lo
	s_min_u32 s3, s20, 0x8000
	s_delay_alu instid0(VALU_DEP_1) | instskip(NEXT) | instid1(VALU_DEP_1)
	v_lshlrev_b32_e32 v59, 3, v0
	v_lshl_add_u32 v4, v1, 9, v59
	s_delay_alu instid0(VALU_DEP_1)
	v_cmpx_gt_u32_e64 s3, v4
	s_cbranch_execz .LBB120_9
; %bb.7:
	v_lshlrev_b32_e32 v5, 10, v1
	v_lshlrev_b32_e32 v6, 4, v0
	s_mov_b32 s11, 0
	s_delay_alu instid0(VALU_DEP_1) | instskip(NEXT) | instid1(VALU_DEP_1)
	v_add_co_u32 v2, s2, v5, v6
	v_add_co_ci_u32_e64 v3, null, 0, 0, s2
	v_add_nc_u32_e32 v5, v5, v6
	s_waitcnt lgkmcnt(0)
	s_delay_alu instid0(VALU_DEP_3) | instskip(NEXT) | instid1(VALU_DEP_3)
	v_add_co_u32 v2, vcc_lo, s12, v2
	v_add_co_ci_u32_e32 v3, vcc_lo, s13, v3, vcc_lo
	.p2align	6
.LBB120_8:                              ; =>This Inner Loop Header: Depth=1
	global_load_b128 v[6:9], v[2:3], off
	v_add_nc_u32_e32 v4, 0x2000, v4
	v_add_co_u32 v2, vcc_lo, 0x4000, v2
	v_add_co_ci_u32_e32 v3, vcc_lo, 0, v3, vcc_lo
	s_delay_alu instid0(VALU_DEP_3) | instskip(NEXT) | instid1(VALU_DEP_1)
	v_cmp_le_u32_e64 s2, s3, v4
	s_or_b32 s11, s2, s11
	s_waitcnt vmcnt(0)
	ds_store_b128 v5, v[6:9]
	v_add_nc_u32_e32 v5, 0x4000, v5
	s_and_not1_b32 exec_lo, exec_lo, s11
	s_cbranch_execnz .LBB120_8
.LBB120_9:
	s_or_b32 exec_lo, exec_lo, s10
	v_cmp_gt_u32_e32 vcc_lo, s18, v1
	v_cmp_gt_u32_e64 s2, s7, v60
	s_waitcnt lgkmcnt(0)
	s_barrier
	buffer_gl0_inv
	s_and_b32 s2, vcc_lo, s2
	s_delay_alu instid0(SALU_CYCLE_1)
	s_and_saveexec_b32 s3, s2
	s_cbranch_execz .LBB120_84
; %bb.10:
	s_cmp_lg_u32 s4, 0
	s_clause 0x1
	s_load_b64 s[10:11], s[0:1], 0x18
	s_load_b64 s[16:17], s[0:1], 0x30
	s_cselect_b32 s21, -1, 0
	s_add_i32 s22, s4, -8
	s_add_i32 s23, s7, -1
	s_cmp_lg_u64 s[8:9], 0
	v_cvt_f32_u32_e32 v2, s14
	s_cselect_b32 s24, -1, 0
	s_abs_i32 s2, s15
	s_mul_i32 s26, s18, s19
	v_cvt_f32_u32_e32 v1, s2
	s_sub_i32 s3, 0, s2
	s_add_i32 s25, s7, -3
	s_sub_i32 s18, 0, s14
	s_sub_i32 s19, 1, s2
	v_rcp_iflag_f32_e32 v1, v1
	v_cmp_eq_u32_e64 s0, 63, v0
	v_lshlrev_b32_e32 v78, 4, v0
	v_mad_u64_u32 v[63:64], null, s6, 3, v[59:60]
	v_mbcnt_lo_u32_b32 v82, -1, 0
	s_mov_b32 s15, 0
	v_mov_b32_e32 v62, 0
	s_mul_i32 s26, s26, 3
	v_add_nc_u32_e32 v79, s6, v59
	s_delay_alu instid0(TRANS32_DEP_1) | instskip(NEXT) | instid1(VALU_DEP_1)
	v_mul_f32_e32 v1, 0x4f7ffffe, v1
	v_cvt_u32_f32_e32 v1, v1
	s_delay_alu instid0(VALU_DEP_1) | instskip(SKIP_1) | instid1(VALU_DEP_1)
	v_readfirstlane_b32 s1, v1
	v_rcp_iflag_f32_e32 v1, v2
	s_mul_i32 s3, s3, s1
	s_delay_alu instid0(SALU_CYCLE_1) | instskip(NEXT) | instid1(SALU_CYCLE_1)
	s_mul_hi_u32 s3, s1, s3
	s_add_i32 s1, s1, s3
	s_cmp_lt_u32 s2, 2
	s_waitcnt_depctr 0xfff
	v_mul_f32_e32 v0, 0x4f7ffffe, v1
	s_cselect_b32 s3, s19, 1
	s_delay_alu instid0(SALU_CYCLE_1) | instskip(SKIP_1) | instid1(VALU_DEP_1)
	s_sub_i32 s19, s3, s2
	s_cmp_ge_u32 s3, s2
	v_cvt_u32_f32_e32 v0, v0
	s_cselect_b32 s28, s19, s3
	s_lshr_b32 s3, s1, 31
	s_mul_hi_u32 s1, s1, 3
	s_mul_i32 s3, s3, s2
	v_mul_lo_u32 v1, s18, v0
	s_sub_i32 s3, 2, s3
	s_mul_i32 s1, s1, s2
	s_sub_i32 s19, s3, s2
	s_cmp_ge_u32 s3, s2
	s_mul_i32 s28, s28, s14
	s_cselect_b32 s3, s19, s3
	s_delay_alu instid0(SALU_CYCLE_1)
	s_sub_i32 s18, s3, s2
	s_cmp_ge_u32 s3, s2
	v_mul_hi_u32 v1, v0, v1
	s_cselect_b32 s29, s18, s3
	s_sub_i32 s1, 3, s1
	s_mul_i32 s29, s29, s14
	s_sub_i32 s3, s1, s2
	s_cmp_ge_u32 s1, s2
	s_cselect_b32 s1, s3, s1
	s_delay_alu instid0(VALU_DEP_1)
	v_add_nc_u32_e32 v80, v0, v1
	s_sub_i32 s3, s1, s2
	s_cmp_ge_u32 s1, s2
	s_cselect_b32 s30, s3, s1
	s_lshl_b32 s27, s6, 1
	s_mul_i32 s30, s30, s14
	v_add_nc_u32_e32 v81, s27, v59
	s_mul_i32 s6, s6, 6
	s_branch .LBB120_13
.LBB120_11:                             ;   in Loop: Header=BB120_13 Depth=1
	s_or_b32 exec_lo, exec_lo, s33
	v_mov_b32_e32 v60, s25
.LBB120_12:                             ;   in Loop: Header=BB120_13 Depth=1
	s_or_b32 exec_lo, exec_lo, s31
	s_delay_alu instid0(VALU_DEP_1) | instskip(SKIP_1) | instid1(SALU_CYCLE_1)
	v_cmp_le_u32_e32 vcc_lo, s7, v60
	s_or_b32 s15, vcc_lo, s15
	s_and_not1_b32 exec_lo, exec_lo, s15
	s_cbranch_execz .LBB120_84
.LBB120_13:                             ; =>This Loop Header: Depth=1
                                        ;     Child Loop BB120_18 Depth 2
                                        ;     Child Loop BB120_71 Depth 2
	v_dual_mov_b32 v94, v62 :: v_dual_add_nc_u32 v65, 1, v60
	v_dual_mov_b32 v93, v62 :: v_dual_add_nc_u32 v64, 2, v60
	v_mov_b32_e32 v92, v62
	v_mov_b32_e32 v91, v62
	;; [unrolled: 1-line block ×10, first 2 shown]
	s_and_not1_b32 vcc_lo, exec_lo, s21
	s_cbranch_vccnz .LBB120_52
; %bb.14:                               ;   in Loop: Header=BB120_13 Depth=1
	v_min_u32_e32 v0, s23, v60
	v_min_u32_e32 v1, s23, v65
	s_waitcnt lgkmcnt(0)
	v_min_u32_e32 v2, s23, v64
	v_dual_mov_b32 v3, v62 :: v_dual_mov_b32 v84, 0
	v_mul_lo_u32 v61, v0, s5
	v_mul_lo_u32 v0, v1, s5
	s_delay_alu instid0(VALU_DEP_4) | instskip(SKIP_4) | instid1(VALU_DEP_4)
	v_mul_lo_u32 v2, v2, s5
	v_dual_mov_b32 v1, v62 :: v_dual_mov_b32 v88, 0
	v_dual_mov_b32 v95, v78 :: v_dual_mov_b32 v86, 0
	;; [unrolled: 1-line block ×3, first 2 shown]
	v_lshlrev_b64 v[66:67], 1, v[61:62]
	v_lshlrev_b64 v[68:69], 1, v[0:1]
	v_lshlrev_b64 v[70:71], 1, v[2:3]
	v_dual_mov_b32 v85, 0 :: v_dual_mov_b32 v92, 0
	v_dual_mov_b32 v83, 0 :: v_dual_mov_b32 v94, 0
	v_mov_b32_e32 v89, 0
	v_mov_b32_e32 v91, 0
	v_mov_b32_e32 v93, 0
	s_mov_b32 s1, 0
	s_branch .LBB120_18
.LBB120_15:                             ;   in Loop: Header=BB120_18 Depth=2
	s_or_b32 exec_lo, exec_lo, s18
.LBB120_16:                             ;   in Loop: Header=BB120_18 Depth=2
	s_delay_alu instid0(SALU_CYCLE_1)
	s_or_b32 exec_lo, exec_lo, s3
.LBB120_17:                             ;   in Loop: Header=BB120_18 Depth=2
	s_delay_alu instid0(SALU_CYCLE_1)
	s_or_b32 exec_lo, exec_lo, s2
	s_waitcnt vmcnt(0) lgkmcnt(0)
	;;#ASMSTART
	v_dot2_f32_f16 v94, v36, v20, v94
	;;#ASMEND
	;;#ASMSTART
	v_dot2_f32_f16 v93, v36, v16, v93
	;;#ASMEND
	;; [unrolled: 3-line block ×36, first 2 shown]
	v_add_nc_u32_e32 v95, 0x800, v95
	;;#ASMSTART
	v_dot2_f32_f16 v94, v39, v23, v94
	;;#ASMEND
	;;#ASMSTART
	v_dot2_f32_f16 v93, v39, v19, v93
	;;#ASMEND
	;; [unrolled: 3-line block ×12, first 2 shown]
	s_addk_i32 s1, 0x400
	;;#ASMSTART
	v_dot2_f32_f16 v94, v52, v8, v94
	;;#ASMEND
	;;#ASMSTART
	v_dot2_f32_f16 v93, v52, v4, v93
	;;#ASMEND
	;; [unrolled: 3-line block ×24, first 2 shown]
	s_cmp_ge_u32 s1, s4
	;;#ASMSTART
	v_dot2_f32_f16 v94, v54, v10, v94
	;;#ASMEND
	;;#ASMSTART
	v_dot2_f32_f16 v93, v54, v6, v93
	;;#ASMEND
	;; [unrolled: 3-line block ×24, first 2 shown]
	s_cbranch_scc1 .LBB120_52
.LBB120_18:                             ;   Parent Loop BB120_13 Depth=1
                                        ; =>  This Inner Loop Header: Depth=2
	v_dual_mov_b32 v42, 0 :: v_dual_add_nc_u32 v73, s1, v59
	v_dual_mov_b32 v41, 0 :: v_dual_mov_b32 v40, 0
	v_dual_mov_b32 v47, 0 :: v_dual_mov_b32 v46, 0
	s_delay_alu instid0(VALU_DEP_3) | instskip(SKIP_2) | instid1(VALU_DEP_3)
	v_min_u32_e32 v61, s22, v73
	v_dual_mov_b32 v43, 0 :: v_dual_add_nc_u32 v72, 0x200, v73
	v_dual_mov_b32 v45, 0 :: v_dual_mov_b32 v44, 0
	v_lshlrev_b64 v[0:1], 1, v[61:62]
	s_delay_alu instid0(VALU_DEP_3)
	v_min_u32_e32 v61, s22, v72
	s_waitcnt vmcnt(6)
	v_dual_mov_b32 v31, 0 :: v_dual_mov_b32 v30, 0
	s_waitcnt vmcnt(4)
	v_dual_mov_b32 v29, 0 :: v_dual_mov_b32 v28, 0
	s_waitcnt lgkmcnt(0)
	v_add_co_u32 v6, vcc_lo, s10, v0
	v_add_co_ci_u32_e32 v7, vcc_lo, s11, v1, vcc_lo
	v_lshlrev_b64 v[0:1], 1, v[61:62]
	s_delay_alu instid0(VALU_DEP_3) | instskip(NEXT) | instid1(VALU_DEP_3)
	v_add_co_u32 v2, vcc_lo, v6, v66
	v_add_co_ci_u32_e32 v3, vcc_lo, v7, v67, vcc_lo
	v_add_co_u32 v4, vcc_lo, v6, v68
	v_add_co_ci_u32_e32 v5, vcc_lo, v7, v69, vcc_lo
	v_add_co_u32 v8, vcc_lo, s10, v0
	v_add_co_ci_u32_e32 v9, vcc_lo, s11, v1, vcc_lo
	v_add_co_u32 v0, vcc_lo, v6, v70
	v_add_co_ci_u32_e32 v1, vcc_lo, v7, v71, vcc_lo
	s_delay_alu instid0(VALU_DEP_4) | instskip(NEXT) | instid1(VALU_DEP_4)
	v_add_co_u32 v6, vcc_lo, v8, v66
	v_add_co_ci_u32_e32 v7, vcc_lo, v9, v67, vcc_lo
	s_waitcnt vmcnt(0)
	v_add_co_u32 v24, vcc_lo, v8, v68
	v_add_co_ci_u32_e32 v25, vcc_lo, v9, v69, vcc_lo
	v_add_co_u32 v26, vcc_lo, v8, v70
	v_add_co_ci_u32_e32 v27, vcc_lo, v9, v71, vcc_lo
	s_clause 0x5
	global_load_b128 v[20:23], v[2:3], off slc dlc
	global_load_b128 v[16:19], v[4:5], off slc dlc
	;; [unrolled: 1-line block ×6, first 2 shown]
	v_cmp_gt_u32_e32 vcc_lo, s4, v73
	v_dual_mov_b32 v27, 0 :: v_dual_mov_b32 v26, 0
	v_dual_mov_b32 v25, 0 :: v_dual_mov_b32 v24, 0
	;; [unrolled: 1-line block ×10, first 2 shown]
	s_and_saveexec_b32 s2, vcc_lo
	s_cbranch_execz .LBB120_17
; %bb.19:                               ;   in Loop: Header=BB120_18 Depth=2
	s_mov_b32 s3, exec_lo
                                        ; implicit-def: $vgpr39
	v_cmpx_lt_u32_e32 0x7fff, v73
	s_xor_b32 s3, exec_lo, s3
	s_cbranch_execz .LBB120_21
; %bb.20:                               ;   in Loop: Header=BB120_18 Depth=2
	v_mov_b32_e32 v74, v62
	s_delay_alu instid0(VALU_DEP_1) | instskip(NEXT) | instid1(VALU_DEP_1)
	v_lshlrev_b64 v[24:25], 1, v[73:74]
	v_add_co_u32 v24, vcc_lo, s12, v24
	s_delay_alu instid0(VALU_DEP_2)
	v_add_co_ci_u32_e32 v25, vcc_lo, s13, v25, vcc_lo
	global_load_b128 v[36:39], v[24:25], off
.LBB120_21:                             ;   in Loop: Header=BB120_18 Depth=2
	s_and_not1_saveexec_b32 s3, s3
	s_cbranch_execz .LBB120_23
; %bb.22:                               ;   in Loop: Header=BB120_18 Depth=2
	s_waitcnt vmcnt(0)
	ds_load_b128 v[36:39], v95
.LBB120_23:                             ;   in Loop: Header=BB120_18 Depth=2
	s_or_b32 exec_lo, exec_lo, s3
	v_add_nc_u32_e32 v61, s1, v79
	s_mov_b32 s3, exec_lo
                                        ; implicit-def: $vgpr35
	s_delay_alu instid0(VALU_DEP_1)
	v_cmpx_lt_u32_e32 0x7fff, v61
	s_xor_b32 s3, exec_lo, s3
	s_cbranch_execz .LBB120_25
; %bb.24:                               ;   in Loop: Header=BB120_18 Depth=2
	v_lshlrev_b64 v[24:25], 1, v[61:62]
	s_delay_alu instid0(VALU_DEP_1) | instskip(NEXT) | instid1(VALU_DEP_2)
	v_add_co_u32 v24, vcc_lo, s12, v24
	v_add_co_ci_u32_e32 v25, vcc_lo, s13, v25, vcc_lo
	global_load_b128 v[32:35], v[24:25], off
.LBB120_25:                             ;   in Loop: Header=BB120_18 Depth=2
	s_and_not1_saveexec_b32 s3, s3
	s_cbranch_execz .LBB120_27
; %bb.26:                               ;   in Loop: Header=BB120_18 Depth=2
	v_add_nc_u32_e32 v24, s27, v95
	s_waitcnt vmcnt(0)
	ds_load_b128 v[32:35], v24
.LBB120_27:                             ;   in Loop: Header=BB120_18 Depth=2
	s_or_b32 exec_lo, exec_lo, s3
	v_add_nc_u32_e32 v76, s1, v81
	s_mov_b32 s3, exec_lo
                                        ; implicit-def: $vgpr31
	s_delay_alu instid0(VALU_DEP_1)
	v_cmpx_lt_u32_e32 0x7fff, v76
	s_xor_b32 s3, exec_lo, s3
	s_cbranch_execz .LBB120_29
; %bb.28:                               ;   in Loop: Header=BB120_18 Depth=2
	v_mov_b32_e32 v77, v62
	s_delay_alu instid0(VALU_DEP_1) | instskip(NEXT) | instid1(VALU_DEP_1)
	v_lshlrev_b64 v[24:25], 1, v[76:77]
	v_add_co_u32 v24, vcc_lo, s12, v24
	s_delay_alu instid0(VALU_DEP_2)
	v_add_co_ci_u32_e32 v25, vcc_lo, s13, v25, vcc_lo
	global_load_b128 v[28:31], v[24:25], off
.LBB120_29:                             ;   in Loop: Header=BB120_18 Depth=2
	s_and_not1_saveexec_b32 s3, s3
	s_cbranch_execz .LBB120_31
; %bb.30:                               ;   in Loop: Header=BB120_18 Depth=2
	v_add_nc_u32_e32 v24, s20, v95
	s_waitcnt vmcnt(0)
	ds_load_2addr_b32 v[28:29], v24 offset1:1
	ds_load_2addr_b32 v[30:31], v24 offset0:2 offset1:3
.LBB120_31:                             ;   in Loop: Header=BB120_18 Depth=2
	s_or_b32 exec_lo, exec_lo, s3
	v_add_nc_u32_e32 v74, s1, v63
	s_mov_b32 s3, exec_lo
                                        ; implicit-def: $vgpr27
	s_delay_alu instid0(VALU_DEP_1)
	v_cmpx_lt_u32_e32 0x7fff, v74
	s_xor_b32 s3, exec_lo, s3
	s_cbranch_execz .LBB120_33
; %bb.32:                               ;   in Loop: Header=BB120_18 Depth=2
	v_mov_b32_e32 v75, v62
	s_delay_alu instid0(VALU_DEP_1) | instskip(NEXT) | instid1(VALU_DEP_1)
	v_lshlrev_b64 v[24:25], 1, v[74:75]
	v_add_co_u32 v24, vcc_lo, s12, v24
	s_delay_alu instid0(VALU_DEP_2)
	v_add_co_ci_u32_e32 v25, vcc_lo, s13, v25, vcc_lo
	global_load_b128 v[24:27], v[24:25], off
.LBB120_33:                             ;   in Loop: Header=BB120_18 Depth=2
	s_and_not1_saveexec_b32 s3, s3
	s_cbranch_execz .LBB120_35
; %bb.34:                               ;   in Loop: Header=BB120_18 Depth=2
	s_waitcnt vmcnt(0)
	v_add_nc_u32_e32 v24, s6, v95
	ds_load_b128 v[24:27], v24
.LBB120_35:                             ;   in Loop: Header=BB120_18 Depth=2
	s_or_b32 exec_lo, exec_lo, s3
	v_dual_mov_b32 v43, 0 :: v_dual_mov_b32 v42, 0
	v_dual_mov_b32 v41, 0 :: v_dual_mov_b32 v40, 0
	;; [unrolled: 1-line block ×8, first 2 shown]
	s_mov_b32 s3, exec_lo
	v_cmpx_gt_u32_e64 s4, v72
	s_cbranch_execz .LBB120_16
; %bb.36:                               ;   in Loop: Header=BB120_18 Depth=2
	s_mov_b32 s18, exec_lo
                                        ; implicit-def: $vgpr55
	v_cmpx_lt_u32_e32 0x7fff, v72
	s_xor_b32 s18, exec_lo, s18
	s_cbranch_execz .LBB120_38
; %bb.37:                               ;   in Loop: Header=BB120_18 Depth=2
	v_mov_b32_e32 v73, v62
	s_delay_alu instid0(VALU_DEP_1) | instskip(NEXT) | instid1(VALU_DEP_1)
	v_lshlrev_b64 v[40:41], 1, v[72:73]
	v_add_co_u32 v40, vcc_lo, s12, v40
	s_delay_alu instid0(VALU_DEP_2)
	v_add_co_ci_u32_e32 v41, vcc_lo, s13, v41, vcc_lo
	global_load_b128 v[52:55], v[40:41], off
.LBB120_38:                             ;   in Loop: Header=BB120_18 Depth=2
	s_and_not1_saveexec_b32 s18, s18
	s_cbranch_execz .LBB120_40
; %bb.39:                               ;   in Loop: Header=BB120_18 Depth=2
	s_waitcnt vmcnt(0)
	ds_load_b128 v[52:55], v95 offset:1024
.LBB120_40:                             ;   in Loop: Header=BB120_18 Depth=2
	s_or_b32 exec_lo, exec_lo, s18
	v_add_nc_u32_e32 v61, 0x200, v61
	s_mov_b32 s18, exec_lo
                                        ; implicit-def: $vgpr51
	s_delay_alu instid0(VALU_DEP_1)
	v_cmpx_lt_u32_e32 0x7fff, v61
	s_xor_b32 s18, exec_lo, s18
	s_cbranch_execz .LBB120_42
; %bb.41:                               ;   in Loop: Header=BB120_18 Depth=2
	v_lshlrev_b64 v[40:41], 1, v[61:62]
	s_delay_alu instid0(VALU_DEP_1) | instskip(NEXT) | instid1(VALU_DEP_2)
	v_add_co_u32 v40, vcc_lo, s12, v40
	v_add_co_ci_u32_e32 v41, vcc_lo, s13, v41, vcc_lo
	global_load_b128 v[48:51], v[40:41], off
.LBB120_42:                             ;   in Loop: Header=BB120_18 Depth=2
	s_and_not1_saveexec_b32 s18, s18
	s_cbranch_execz .LBB120_44
; %bb.43:                               ;   in Loop: Header=BB120_18 Depth=2
	v_add_nc_u32_e32 v40, s27, v95
	s_waitcnt vmcnt(0)
	ds_load_b128 v[48:51], v40 offset:1024
.LBB120_44:                             ;   in Loop: Header=BB120_18 Depth=2
	s_or_b32 exec_lo, exec_lo, s18
	v_add_nc_u32_e32 v61, 0x200, v76
	s_mov_b32 s18, exec_lo
                                        ; implicit-def: $vgpr47
	s_delay_alu instid0(VALU_DEP_1)
	v_cmpx_lt_u32_e32 0x7fff, v61
	s_xor_b32 s18, exec_lo, s18
	s_cbranch_execz .LBB120_46
; %bb.45:                               ;   in Loop: Header=BB120_18 Depth=2
	v_lshlrev_b64 v[40:41], 1, v[61:62]
	s_delay_alu instid0(VALU_DEP_1) | instskip(NEXT) | instid1(VALU_DEP_2)
	v_add_co_u32 v40, vcc_lo, s12, v40
	v_add_co_ci_u32_e32 v41, vcc_lo, s13, v41, vcc_lo
	global_load_b128 v[44:47], v[40:41], off
.LBB120_46:                             ;   in Loop: Header=BB120_18 Depth=2
	s_and_not1_saveexec_b32 s18, s18
	s_cbranch_execz .LBB120_48
; %bb.47:                               ;   in Loop: Header=BB120_18 Depth=2
	v_add_nc_u32_e32 v40, s20, v95
	s_delay_alu instid0(VALU_DEP_1)
	v_add_nc_u32_e32 v41, 0x400, v40
	v_add_nc_u32_e32 v40, 0x408, v40
	s_waitcnt vmcnt(0)
	ds_load_2addr_b32 v[44:45], v41 offset1:1
	ds_load_2addr_b32 v[46:47], v40 offset1:1
.LBB120_48:                             ;   in Loop: Header=BB120_18 Depth=2
	s_or_b32 exec_lo, exec_lo, s18
	v_add_nc_u32_e32 v61, 0x200, v74
	s_mov_b32 s18, exec_lo
                                        ; implicit-def: $vgpr43
	s_delay_alu instid0(VALU_DEP_1)
	v_cmpx_lt_u32_e32 0x7fff, v61
	s_xor_b32 s18, exec_lo, s18
	s_cbranch_execz .LBB120_50
; %bb.49:                               ;   in Loop: Header=BB120_18 Depth=2
	v_lshlrev_b64 v[40:41], 1, v[61:62]
	s_delay_alu instid0(VALU_DEP_1) | instskip(NEXT) | instid1(VALU_DEP_2)
	v_add_co_u32 v40, vcc_lo, s12, v40
	v_add_co_ci_u32_e32 v41, vcc_lo, s13, v41, vcc_lo
	global_load_b128 v[40:43], v[40:41], off
.LBB120_50:                             ;   in Loop: Header=BB120_18 Depth=2
	s_and_not1_saveexec_b32 s18, s18
	s_cbranch_execz .LBB120_15
; %bb.51:                               ;   in Loop: Header=BB120_18 Depth=2
	s_waitcnt vmcnt(0)
	v_add_nc_u32_e32 v40, s6, v95
	ds_load_b128 v[40:43], v40 offset:1024
	s_branch .LBB120_15
.LBB120_52:                             ;   in Loop: Header=BB120_13 Depth=1
	v_cvt_i32_f32_e32 v0, v94
	v_cvt_i32_f32_e32 v1, v93
	s_waitcnt lgkmcnt(0)
	v_xor_b32_e32 v2, 16, v82
	v_cvt_i32_f32_e32 v3, v92
	v_cvt_i32_f32_e32 v4, v91
	v_cvt_f32_i32_dpp v0, v0 row_shr:8 row_mask:0xf bank_mask:0xf bound_ctrl:1
	v_cvt_f32_i32_dpp v1, v1 row_shr:8 row_mask:0xf bank_mask:0xf bound_ctrl:1
	v_cmp_gt_i32_e32 vcc_lo, 32, v2
	v_cvt_f32_i32_dpp v3, v3 row_shr:8 row_mask:0xf bank_mask:0xf bound_ctrl:1
	v_cvt_f32_i32_dpp v4, v4 row_shr:8 row_mask:0xf bank_mask:0xf bound_ctrl:1
	s_delay_alu instid0(VALU_DEP_4) | instskip(SKIP_3) | instid1(VALU_DEP_4)
	v_dual_add_f32 v0, v94, v0 :: v_dual_add_f32 v1, v93, v1
	v_cvt_i32_f32_e32 v5, v90
	v_cvt_i32_f32_e32 v7, v88
	;; [unrolled: 1-line block ×5, first 2 shown]
	v_cvt_f32_i32_dpp v5, v5 row_shr:8 row_mask:0xf bank_mask:0xf bound_ctrl:1
	v_cvt_f32_i32_dpp v7, v7 row_shr:8 row_mask:0xf bank_mask:0xf bound_ctrl:1
	;; [unrolled: 1-line block ×5, first 2 shown]
	s_delay_alu instid0(VALU_DEP_4) | instskip(SKIP_1) | instid1(VALU_DEP_1)
	v_dual_cndmask_b32 v2, v82, v2 :: v_dual_add_f32 v7, v88, v7
	s_waitcnt vmcnt(0)
	v_dual_add_f32 v1, v1, v9 :: v_dual_lshlrev_b32 v24, 2, v2
	v_dual_add_f32 v2, v92, v3 :: v_dual_add_f32 v3, v91, v4
	v_add_f32_e32 v0, v0, v8
	s_delay_alu instid0(VALU_DEP_3) | instskip(SKIP_1) | instid1(VALU_DEP_4)
	v_cvt_i32_f32_e32 v8, v1
	v_add_f32_e32 v4, v90, v5
	v_cvt_i32_f32_e32 v10, v3
	s_delay_alu instid0(VALU_DEP_3) | instskip(NEXT) | instid1(VALU_DEP_3)
	v_cvt_f32_i32_dpp v8, v8 row_shr:2 row_mask:0xf bank_mask:0xf bound_ctrl:1
	v_cvt_i32_f32_e32 v11, v4
	s_delay_alu instid0(VALU_DEP_2) | instskip(SKIP_1) | instid1(VALU_DEP_3)
	v_add_f32_e32 v1, v1, v8
	v_cvt_i32_f32_e32 v9, v2
	v_cvt_f32_i32_dpp v11, v11 row_shr:4 row_mask:0xf bank_mask:0xf bound_ctrl:1
	s_delay_alu instid0(VALU_DEP_3) | instskip(NEXT) | instid1(VALU_DEP_3)
	v_cvt_i32_f32_e32 v13, v1
	v_cvt_f32_i32_dpp v8, v9 row_shr:4 row_mask:0xf bank_mask:0xf bound_ctrl:1
	v_cvt_f32_i32_dpp v9, v10 row_shr:4 row_mask:0xf bank_mask:0xf bound_ctrl:1
	s_delay_alu instid0(VALU_DEP_3) | instskip(NEXT) | instid1(VALU_DEP_2)
	v_cvt_f32_i32_dpp v13, v13 row_shr:1 row_mask:0xf bank_mask:0xf bound_ctrl:1
	v_add_f32_e32 v3, v3, v9
	v_cvt_i32_f32_e32 v5, v0
	s_delay_alu instid0(VALU_DEP_3) | instskip(NEXT) | instid1(VALU_DEP_2)
	v_add_f32_e32 v16, v1, v13
	v_cvt_f32_i32_dpp v5, v5 row_shr:2 row_mask:0xf bank_mask:0xf bound_ctrl:1
	s_delay_alu instid0(VALU_DEP_1) | instskip(SKIP_1) | instid1(VALU_DEP_2)
	v_add_f32_e32 v0, v0, v5
	v_cvt_i32_f32_e32 v5, v7
	v_cvt_i32_f32_e32 v10, v0
	s_delay_alu instid0(VALU_DEP_2) | instskip(SKIP_1) | instid1(VALU_DEP_3)
	v_cvt_f32_i32_dpp v5, v5 row_shr:4 row_mask:0xf bank_mask:0xf bound_ctrl:1
	v_add_f32_e32 v6, v89, v6
	v_cvt_f32_i32_dpp v10, v10 row_shr:1 row_mask:0xf bank_mask:0xf bound_ctrl:1
	s_delay_alu instid0(VALU_DEP_3) | instskip(NEXT) | instid1(VALU_DEP_3)
	v_add_f32_e32 v1, v7, v5
	v_cvt_i32_f32_e32 v12, v6
	s_delay_alu instid0(VALU_DEP_3) | instskip(NEXT) | instid1(VALU_DEP_3)
	v_add_f32_e32 v22, v0, v10
	v_cvt_i32_f32_e32 v9, v1
	s_delay_alu instid0(VALU_DEP_3) | instskip(NEXT) | instid1(VALU_DEP_2)
	v_cvt_f32_i32_dpp v12, v12 row_shr:4 row_mask:0xf bank_mask:0xf bound_ctrl:1
	v_cvt_f32_i32_dpp v9, v9 row_shr:2 row_mask:0xf bank_mask:0xf bound_ctrl:1
	v_add_f32_e32 v2, v2, v8
	s_delay_alu instid0(VALU_DEP_3) | instskip(SKIP_1) | instid1(VALU_DEP_4)
	v_add_f32_e32 v0, v6, v12
	v_cvt_i32_f32_e32 v6, v3
	v_add_f32_e32 v1, v1, v9
	s_delay_alu instid0(VALU_DEP_4) | instskip(NEXT) | instid1(VALU_DEP_4)
	v_cvt_i32_f32_e32 v5, v2
	v_cvt_i32_f32_e32 v8, v0
	s_delay_alu instid0(VALU_DEP_4) | instskip(NEXT) | instid1(VALU_DEP_4)
	v_cvt_f32_i32_dpp v6, v6 row_shr:2 row_mask:0xf bank_mask:0xf bound_ctrl:1
	v_cvt_i32_f32_e32 v9, v1
	s_delay_alu instid0(VALU_DEP_4) | instskip(NEXT) | instid1(VALU_DEP_4)
	v_cvt_f32_i32_dpp v5, v5 row_shr:2 row_mask:0xf bank_mask:0xf bound_ctrl:1
	v_cvt_f32_i32_dpp v8, v8 row_shr:2 row_mask:0xf bank_mask:0xf bound_ctrl:1
	s_delay_alu instid0(VALU_DEP_4) | instskip(NEXT) | instid1(VALU_DEP_4)
	v_add_f32_e32 v3, v3, v6
	v_cvt_f32_i32_dpp v10, v9 row_shr:1 row_mask:0xf bank_mask:0xf bound_ctrl:1
	s_delay_alu instid0(VALU_DEP_4) | instskip(NEXT) | instid1(VALU_DEP_3)
	v_add_f32_e32 v2, v2, v5
	v_cvt_i32_f32_e32 v6, v3
	s_delay_alu instid0(VALU_DEP_2) | instskip(NEXT) | instid1(VALU_DEP_2)
	v_cvt_i32_f32_e32 v5, v2
	v_cvt_f32_i32_dpp v6, v6 row_shr:1 row_mask:0xf bank_mask:0xf bound_ctrl:1
	s_delay_alu instid0(VALU_DEP_2) | instskip(NEXT) | instid1(VALU_DEP_1)
	v_cvt_f32_i32_dpp v5, v5 row_shr:1 row_mask:0xf bank_mask:0xf bound_ctrl:1
	v_add_f32_e32 v18, v2, v5
	v_cvt_i32_f32_e32 v5, v86
	s_delay_alu instid0(VALU_DEP_1) | instskip(NEXT) | instid1(VALU_DEP_1)
	v_cvt_f32_i32_dpp v5, v5 row_shr:8 row_mask:0xf bank_mask:0xf bound_ctrl:1
	v_dual_add_f32 v4, v4, v11 :: v_dual_add_f32 v5, v86, v5
	s_delay_alu instid0(VALU_DEP_1) | instskip(NEXT) | instid1(VALU_DEP_2)
	v_cvt_i32_f32_e32 v7, v4
	v_cvt_i32_f32_e32 v15, v5
	s_delay_alu instid0(VALU_DEP_2) | instskip(NEXT) | instid1(VALU_DEP_2)
	v_cvt_f32_i32_dpp v7, v7 row_shr:2 row_mask:0xf bank_mask:0xf bound_ctrl:1
	v_cvt_f32_i32_dpp v15, v15 row_shr:4 row_mask:0xf bank_mask:0xf bound_ctrl:1
	s_delay_alu instid0(VALU_DEP_2) | instskip(NEXT) | instid1(VALU_DEP_2)
	v_add_f32_e32 v4, v4, v7
	v_add_f32_e32 v5, v5, v15
	s_delay_alu instid0(VALU_DEP_2) | instskip(SKIP_3) | instid1(VALU_DEP_2)
	v_cvt_i32_f32_e32 v7, v4
	ds_bpermute_b32 v20, v24, v18
	v_cvt_i32_f32_e32 v15, v5
	v_cvt_f32_i32_dpp v7, v7 row_shr:1 row_mask:0xf bank_mask:0xf bound_ctrl:1
	v_cvt_f32_i32_dpp v15, v15 row_shr:2 row_mask:0xf bank_mask:0xf bound_ctrl:1
	v_add_f32_e32 v12, v3, v6
	v_cvt_i32_f32_e32 v3, v87
	s_delay_alu instid0(VALU_DEP_4)
	v_add_f32_e32 v9, v4, v7
	v_cvt_i32_f32_e32 v7, v85
	v_add_f32_e32 v5, v5, v15
	ds_bpermute_b32 v17, v24, v16
	v_cvt_f32_i32_dpp v3, v3 row_shr:8 row_mask:0xf bank_mask:0xf bound_ctrl:1
	ds_bpermute_b32 v14, v24, v12
	v_cvt_f32_i32_dpp v7, v7 row_shr:8 row_mask:0xf bank_mask:0xf bound_ctrl:1
	v_cvt_i32_f32_e32 v15, v5
	ds_bpermute_b32 v11, v24, v9
	v_add_f32_e32 v3, v87, v3
	ds_bpermute_b32 v23, v24, v22
	v_add_f32_e32 v7, v85, v7
	v_cvt_f32_i32_dpp v15, v15 row_shr:1 row_mask:0xf bank_mask:0xf bound_ctrl:1
	v_cvt_i32_f32_e32 v13, v3
	s_delay_alu instid0(VALU_DEP_3) | instskip(NEXT) | instid1(VALU_DEP_2)
	v_cvt_i32_f32_e32 v19, v7
	v_cvt_f32_i32_dpp v13, v13 row_shr:4 row_mask:0xf bank_mask:0xf bound_ctrl:1
	v_add_f32_e32 v0, v0, v8
	s_delay_alu instid0(VALU_DEP_3) | instskip(NEXT) | instid1(VALU_DEP_3)
	v_cvt_f32_i32_dpp v19, v19 row_shr:4 row_mask:0xf bank_mask:0xf bound_ctrl:1
	v_add_f32_e32 v3, v3, v13
	s_delay_alu instid0(VALU_DEP_3) | instskip(NEXT) | instid1(VALU_DEP_3)
	v_cvt_i32_f32_e32 v8, v0
	v_add_f32_e32 v7, v7, v19
	s_delay_alu instid0(VALU_DEP_3) | instskip(NEXT) | instid1(VALU_DEP_3)
	v_cvt_i32_f32_e32 v13, v3
	v_cvt_f32_i32_dpp v8, v8 row_shr:1 row_mask:0xf bank_mask:0xf bound_ctrl:1
	s_delay_alu instid0(VALU_DEP_3) | instskip(NEXT) | instid1(VALU_DEP_3)
	v_cvt_i32_f32_e32 v19, v7
	v_cvt_f32_i32_dpp v13, v13 row_shr:2 row_mask:0xf bank_mask:0xf bound_ctrl:1
	s_delay_alu instid0(VALU_DEP_3)
	v_add_f32_e32 v4, v0, v8
	v_add_f32_e32 v0, v1, v10
	v_cvt_i32_f32_e32 v1, v84
	v_cvt_i32_f32_e32 v8, v83
	v_add_f32_e32 v3, v3, v13
	v_cvt_f32_i32_dpp v19, v19 row_shr:2 row_mask:0xf bank_mask:0xf bound_ctrl:1
	ds_bpermute_b32 v6, v24, v4
	v_cvt_f32_i32_dpp v1, v1 row_shr:8 row_mask:0xf bank_mask:0xf bound_ctrl:1
	v_cvt_f32_i32_dpp v8, v8 row_shr:8 row_mask:0xf bank_mask:0xf bound_ctrl:1
	v_cvt_i32_f32_e32 v13, v3
	ds_bpermute_b32 v2, v24, v0
	v_add_f32_e32 v7, v7, v19
	v_add_f32_e32 v1, v84, v1
	v_cvt_f32_i32_dpp v13, v13 row_shr:1 row_mask:0xf bank_mask:0xf bound_ctrl:1
	s_delay_alu instid0(VALU_DEP_3) | instskip(NEXT) | instid1(VALU_DEP_3)
	v_cvt_i32_f32_e32 v19, v7
	v_cvt_i32_f32_e32 v10, v1
	s_delay_alu instid0(VALU_DEP_3) | instskip(NEXT) | instid1(VALU_DEP_3)
	v_add_f32_e32 v13, v3, v13
	v_cvt_f32_i32_dpp v25, v19 row_shr:1 row_mask:0xf bank_mask:0xf bound_ctrl:1
	s_delay_alu instid0(VALU_DEP_3) | instskip(NEXT) | instid1(VALU_DEP_1)
	v_cvt_f32_i32_dpp v10, v10 row_shr:4 row_mask:0xf bank_mask:0xf bound_ctrl:1
	v_add_f32_e32 v1, v1, v10
	s_delay_alu instid0(VALU_DEP_1) | instskip(NEXT) | instid1(VALU_DEP_1)
	v_cvt_i32_f32_e32 v10, v1
	v_cvt_f32_i32_dpp v10, v10 row_shr:2 row_mask:0xf bank_mask:0xf bound_ctrl:1
	s_delay_alu instid0(VALU_DEP_1) | instskip(NEXT) | instid1(VALU_DEP_1)
	v_dual_add_f32 v8, v83, v8 :: v_dual_add_f32 v1, v1, v10
	v_cvt_i32_f32_e32 v21, v8
	s_delay_alu instid0(VALU_DEP_1) | instskip(NEXT) | instid1(VALU_DEP_1)
	v_cvt_f32_i32_dpp v21, v21 row_shr:4 row_mask:0xf bank_mask:0xf bound_ctrl:1
	v_add_f32_e32 v8, v8, v21
	s_delay_alu instid0(VALU_DEP_1) | instskip(NEXT) | instid1(VALU_DEP_1)
	v_cvt_i32_f32_e32 v21, v8
	v_cvt_f32_i32_dpp v21, v21 row_shr:2 row_mask:0xf bank_mask:0xf bound_ctrl:1
	s_delay_alu instid0(VALU_DEP_1) | instskip(SKIP_1) | instid1(VALU_DEP_1)
	v_add_f32_e32 v10, v8, v21
	v_cvt_i32_f32_e32 v8, v1
	v_cvt_f32_i32_dpp v8, v8 row_shr:1 row_mask:0xf bank_mask:0xf bound_ctrl:1
	s_delay_alu instid0(VALU_DEP_1) | instskip(NEXT) | instid1(VALU_DEP_4)
	v_add_f32_e32 v19, v1, v8
	v_cvt_i32_f32_e32 v21, v10
	v_dual_add_f32 v8, v5, v15 :: v_dual_add_f32 v5, v7, v25
	ds_bpermute_b32 v15, v24, v13
	v_cvt_f32_i32_dpp v21, v21 row_shr:1 row_mask:0xf bank_mask:0xf bound_ctrl:1
	ds_bpermute_b32 v7, v24, v5
	v_add_f32_e32 v1, v10, v21
	ds_bpermute_b32 v21, v24, v19
	ds_bpermute_b32 v10, v24, v8
	;; [unrolled: 1-line block ×3, first 2 shown]
	s_and_saveexec_b32 s18, s0
	s_cbranch_execz .LBB120_68
; %bb.53:                               ;   in Loop: Header=BB120_13 Depth=1
	v_dual_mov_b32 v35, 0 :: v_dual_mov_b32 v34, 0
	v_dual_mov_b32 v33, 0 :: v_dual_mov_b32 v32, 0
	;; [unrolled: 1-line block ×6, first 2 shown]
	s_and_not1_b32 vcc_lo, exec_lo, s24
	s_cbranch_vccnz .LBB120_55
; %bb.54:                               ;   in Loop: Header=BB120_13 Depth=1
	v_mul_hi_u32 v24, v60, v80
	v_mul_hi_u32 v25, v65, v80
	;; [unrolled: 1-line block ×3, first 2 shown]
	v_mov_b32_e32 v43, v62
	v_mov_b32_e32 v41, v62
	v_mul_lo_u32 v24, v24, s14
	v_mul_lo_u32 v25, v25, s14
	;; [unrolled: 1-line block ×3, first 2 shown]
	s_delay_alu instid0(VALU_DEP_3) | instskip(NEXT) | instid1(VALU_DEP_3)
	v_sub_nc_u32_e32 v24, v60, v24
	v_sub_nc_u32_e32 v27, v65, v25
	s_delay_alu instid0(VALU_DEP_3) | instskip(NEXT) | instid1(VALU_DEP_3)
	v_sub_nc_u32_e32 v26, v64, v26
	v_subrev_nc_u32_e32 v28, s14, v24
	v_cmp_le_u32_e32 vcc_lo, s14, v24
	v_mov_b32_e32 v25, v62
	v_subrev_nc_u32_e32 v29, s14, v27
	v_subrev_nc_u32_e32 v30, s14, v26
	v_cndmask_b32_e32 v24, v24, v28, vcc_lo
	v_cmp_le_u32_e32 vcc_lo, s14, v27
	s_delay_alu instid0(VALU_DEP_4) | instskip(SKIP_1) | instid1(VALU_DEP_2)
	v_dual_cndmask_b32 v28, v27, v29 :: v_dual_mov_b32 v27, v62
	v_cmp_le_u32_e32 vcc_lo, s14, v26
	v_subrev_nc_u32_e32 v31, s14, v28
	v_cndmask_b32_e32 v26, v26, v30, vcc_lo
	v_subrev_nc_u32_e32 v30, s14, v24
	v_cmp_le_u32_e32 vcc_lo, s14, v24
	s_delay_alu instid0(VALU_DEP_3) | instskip(NEXT) | instid1(VALU_DEP_3)
	v_subrev_nc_u32_e32 v32, s14, v26
	v_cndmask_b32_e32 v61, v24, v30, vcc_lo
	v_cmp_le_u32_e32 vcc_lo, s14, v28
	v_dual_mov_b32 v29, v62 :: v_dual_cndmask_b32 v24, v28, v31
	v_cmp_le_u32_e32 vcc_lo, s14, v26
	s_delay_alu instid0(VALU_DEP_2) | instskip(SKIP_4) | instid1(VALU_DEP_4)
	v_lshlrev_b64 v[34:35], 1, v[24:25]
	v_cndmask_b32_e32 v26, v26, v32, vcc_lo
	v_lshlrev_b64 v[32:33], 1, v[61:62]
	v_dual_mov_b32 v31, v62 :: v_dual_add_nc_u32 v28, s28, v61
	v_add_nc_u32_e32 v30, s28, v24
	v_lshlrev_b64 v[36:37], 1, v[26:27]
	v_add_nc_u32_e32 v40, s29, v61
	v_add_co_u32 v32, vcc_lo, s8, v32
	v_add_co_ci_u32_e32 v33, vcc_lo, s9, v33, vcc_lo
	v_add_co_u32 v38, vcc_lo, s8, v34
	v_lshlrev_b64 v[27:28], 1, v[28:29]
	v_add_co_ci_u32_e32 v39, vcc_lo, s9, v35, vcc_lo
	v_dual_mov_b32 v35, v62 :: v_dual_add_nc_u32 v34, s28, v26
	v_add_co_u32 v36, vcc_lo, s8, v36
	v_lshlrev_b64 v[29:30], 1, v[30:31]
	v_add_co_ci_u32_e32 v37, vcc_lo, s9, v37, vcc_lo
	v_add_co_u32 v27, vcc_lo, s8, v27
	v_lshlrev_b64 v[34:35], 1, v[34:35]
	v_add_co_ci_u32_e32 v28, vcc_lo, s9, v28, vcc_lo
	v_add_co_u32 v29, vcc_lo, s8, v29
	v_add_nc_u32_e32 v42, s29, v24
	v_add_co_ci_u32_e32 v30, vcc_lo, s9, v30, vcc_lo
	v_lshlrev_b64 v[40:41], 1, v[40:41]
	v_add_co_u32 v44, vcc_lo, s8, v34
	v_add_co_ci_u32_e32 v45, vcc_lo, s9, v35, vcc_lo
	v_lshlrev_b64 v[34:35], 1, v[42:43]
	v_add_nc_u32_e32 v42, s29, v26
	v_add_co_u32 v40, vcc_lo, s8, v40
	v_add_nc_u32_e32 v61, s30, v61
	v_add_co_ci_u32_e32 v41, vcc_lo, s9, v41, vcc_lo
	s_delay_alu instid0(VALU_DEP_4)
	v_lshlrev_b64 v[42:43], 1, v[42:43]
	v_add_co_u32 v46, vcc_lo, s8, v34
	v_add_co_ci_u32_e32 v47, vcc_lo, s9, v35, vcc_lo
	v_lshlrev_b64 v[34:35], 1, v[61:62]
	v_add_nc_u32_e32 v61, s30, v24
	v_add_co_u32 v24, vcc_lo, s8, v42
	v_add_co_ci_u32_e32 v25, vcc_lo, s9, v43, vcc_lo
	s_delay_alu instid0(VALU_DEP_3) | instskip(SKIP_3) | instid1(VALU_DEP_3)
	v_lshlrev_b64 v[42:43], 1, v[61:62]
	v_add_nc_u32_e32 v61, s30, v26
	v_add_co_u32 v48, vcc_lo, s8, v34
	v_add_co_ci_u32_e32 v49, vcc_lo, s9, v35, vcc_lo
	v_lshlrev_b64 v[34:35], 1, v[61:62]
	v_add_co_u32 v42, vcc_lo, s8, v42
	v_add_co_ci_u32_e32 v43, vcc_lo, s9, v43, vcc_lo
	s_delay_alu instid0(VALU_DEP_3) | instskip(NEXT) | instid1(VALU_DEP_4)
	v_add_co_u32 v50, vcc_lo, s8, v34
	v_add_co_ci_u32_e32 v51, vcc_lo, s9, v35, vcc_lo
	s_clause 0xb
	global_load_u16 v35, v[32:33], off
	global_load_u16 v34, v[38:39], off
	;; [unrolled: 1-line block ×12, first 2 shown]
.LBB120_55:                             ;   in Loop: Header=BB120_13 Depth=1
	v_cmp_ne_u32_e32 vcc_lo, 0, v56
	s_and_saveexec_b32 s2, vcc_lo
	s_cbranch_execnz .LBB120_73
; %bb.56:                               ;   in Loop: Header=BB120_13 Depth=1
	s_or_b32 exec_lo, exec_lo, s2
	v_cmp_ne_u32_e64 s1, 0, v57
	s_delay_alu instid0(VALU_DEP_1)
	s_and_saveexec_b32 s3, s1
	s_cbranch_execnz .LBB120_74
.LBB120_57:                             ;   in Loop: Header=BB120_13 Depth=1
	s_or_b32 exec_lo, exec_lo, s3
	v_cmp_ne_u32_e64 s2, 0, v58
	s_delay_alu instid0(VALU_DEP_1)
	s_and_saveexec_b32 s19, s2
	s_cbranch_execnz .LBB120_75
.LBB120_58:                             ;   in Loop: Header=BB120_13 Depth=1
	s_or_b32 exec_lo, exec_lo, s19
	v_add_nc_u32_e32 v61, s7, v60
	s_and_saveexec_b32 s19, vcc_lo
	s_cbranch_execnz .LBB120_76
.LBB120_59:                             ;   in Loop: Header=BB120_13 Depth=1
	s_or_b32 exec_lo, exec_lo, s19
	s_and_saveexec_b32 s19, s1
	s_cbranch_execnz .LBB120_77
.LBB120_60:                             ;   in Loop: Header=BB120_13 Depth=1
	s_or_b32 exec_lo, exec_lo, s19
	s_and_saveexec_b32 s19, s2
	s_cbranch_execnz .LBB120_78
.LBB120_61:                             ;   in Loop: Header=BB120_13 Depth=1
	s_or_b32 exec_lo, exec_lo, s19
	v_add_nc_u32_e32 v61, s7, v61
	s_and_saveexec_b32 s19, vcc_lo
	s_cbranch_execnz .LBB120_79
.LBB120_62:                             ;   in Loop: Header=BB120_13 Depth=1
	s_or_b32 exec_lo, exec_lo, s19
	s_and_saveexec_b32 s19, s1
	s_cbranch_execnz .LBB120_80
.LBB120_63:                             ;   in Loop: Header=BB120_13 Depth=1
	s_or_b32 exec_lo, exec_lo, s19
	s_and_saveexec_b32 s19, s2
	s_cbranch_execnz .LBB120_81
.LBB120_64:                             ;   in Loop: Header=BB120_13 Depth=1
	s_or_b32 exec_lo, exec_lo, s19
	v_add_nc_u32_e32 v61, s7, v61
	s_and_saveexec_b32 s3, vcc_lo
	s_cbranch_execnz .LBB120_82
.LBB120_65:                             ;   in Loop: Header=BB120_13 Depth=1
	s_or_b32 exec_lo, exec_lo, s3
	s_and_saveexec_b32 s3, s1
	s_cbranch_execnz .LBB120_83
.LBB120_66:                             ;   in Loop: Header=BB120_13 Depth=1
	s_or_b32 exec_lo, exec_lo, s3
	s_delay_alu instid0(SALU_CYCLE_1)
	s_and_b32 exec_lo, exec_lo, s2
	s_cbranch_execz .LBB120_68
.LBB120_67:                             ;   in Loop: Header=BB120_13 Depth=1
	s_waitcnt lgkmcnt(0)
	v_dual_add_f32 v0, v1, v3 :: v_dual_add_nc_u32 v61, 2, v61
	s_waitcnt vmcnt(0)
	v_cvt_f32_f16_e32 v1, v24
	s_delay_alu instid0(VALU_DEP_1) | instskip(NEXT) | instid1(VALU_DEP_3)
	v_add_f32_e32 v2, v0, v1
	v_lshlrev_b64 v[0:1], 1, v[61:62]
	s_delay_alu instid0(VALU_DEP_2) | instskip(NEXT) | instid1(VALU_DEP_2)
	v_cvt_f16_f32_e32 v2, v2
	v_add_co_u32 v0, vcc_lo, s16, v0
	s_delay_alu instid0(VALU_DEP_3)
	v_add_co_ci_u32_e32 v1, vcc_lo, s17, v1, vcc_lo
	global_store_b16 v[0:1], v2, off
.LBB120_68:                             ;   in Loop: Header=BB120_13 Depth=1
	s_or_b32 exec_lo, exec_lo, s18
	v_add_nc_u32_e32 v60, s26, v60
	s_delay_alu instid0(VALU_DEP_1) | instskip(SKIP_1) | instid1(VALU_DEP_2)
	v_add_nc_u32_e32 v0, 3, v60
	v_cmp_gt_u32_e32 vcc_lo, s7, v60
	v_cmp_le_u32_e64 s1, s7, v0
	s_delay_alu instid0(VALU_DEP_1) | instskip(NEXT) | instid1(SALU_CYCLE_1)
	s_and_b32 s1, vcc_lo, s1
	s_and_saveexec_b32 s31, s1
	s_cbranch_execz .LBB120_12
; %bb.69:                               ;   in Loop: Header=BB120_13 Depth=1
	s_mov_b32 s33, exec_lo
	v_cmpx_ne_u32_e64 s25, v60
	s_cbranch_execz .LBB120_11
; %bb.70:                               ;   in Loop: Header=BB120_13 Depth=1
	v_subrev_nc_u32_e32 v0, s25, v60
	s_mov_b32 s34, 0
	s_mov_b64 s[18:19], 0
	s_delay_alu instid0(VALU_DEP_1)
	v_cmp_lt_u32_e32 vcc_lo, 1, v0
	v_cndmask_b32_e32 v0, 1, v0, vcc_lo
	.p2align	6
.LBB120_71:                             ;   Parent Loop BB120_13 Depth=1
                                        ; =>  This Inner Loop Header: Depth=2
	s_cmp_lg_u32 s18, 2
	s_cselect_b32 vcc_lo, -1, 0
	s_cmp_lg_u32 s18, 1
	v_cndmask_b32_e32 v58, 0, v58, vcc_lo
	s_cselect_b32 s1, -1, 0
	s_cmp_lg_u32 s18, 0
	v_cndmask_b32_e64 v57, 0, v57, s1
	s_cselect_b32 s2, -1, 0
	s_add_u32 s18, s18, 1
	v_cndmask_b32_e64 v56, 0, v56, s2
	v_cmp_eq_u32_e64 s3, s18, v0
	s_addc_u32 s19, s19, 0
	s_delay_alu instid0(VALU_DEP_1) | instskip(NEXT) | instid1(SALU_CYCLE_1)
	s_or_b32 s34, s3, s34
	s_and_not1_b32 exec_lo, exec_lo, s34
	s_cbranch_execnz .LBB120_71
; %bb.72:                               ;   in Loop: Header=BB120_13 Depth=1
	s_or_b32 exec_lo, exec_lo, s34
	s_branch .LBB120_11
.LBB120_73:                             ;   in Loop: Header=BB120_13 Depth=1
	s_waitcnt lgkmcnt(0)
	v_add_f32_e32 v22, v22, v23
	s_waitcnt vmcnt(11)
	v_cvt_f32_f16_e32 v23, v35
	v_mov_b32_e32 v61, v62
	s_delay_alu instid0(VALU_DEP_2) | instskip(NEXT) | instid1(VALU_DEP_2)
	v_add_f32_e32 v35, v22, v23
	v_lshlrev_b64 v[22:23], 1, v[60:61]
	s_delay_alu instid0(VALU_DEP_2) | instskip(NEXT) | instid1(VALU_DEP_2)
	v_cvt_f16_f32_e32 v35, v35
	v_add_co_u32 v22, s1, s16, v22
	s_delay_alu instid0(VALU_DEP_1) | instskip(SKIP_3) | instid1(VALU_DEP_1)
	v_add_co_ci_u32_e64 v23, s1, s17, v23, s1
	global_store_b16 v[22:23], v35, off
	s_or_b32 exec_lo, exec_lo, s2
	v_cmp_ne_u32_e64 s1, 0, v57
	s_and_saveexec_b32 s3, s1
	s_cbranch_execz .LBB120_57
.LBB120_74:                             ;   in Loop: Header=BB120_13 Depth=1
	s_waitcnt lgkmcnt(0)
	v_add_f32_e32 v16, v16, v17
	s_waitcnt vmcnt(10)
	v_cvt_f32_f16_e32 v17, v34
	v_mov_b32_e32 v66, v62
	s_delay_alu instid0(VALU_DEP_2) | instskip(NEXT) | instid1(VALU_DEP_2)
	v_add_f32_e32 v22, v16, v17
	v_lshlrev_b64 v[16:17], 1, v[65:66]
	s_delay_alu instid0(VALU_DEP_2) | instskip(NEXT) | instid1(VALU_DEP_2)
	v_cvt_f16_f32_e32 v22, v22
	v_add_co_u32 v16, s2, s16, v16
	s_delay_alu instid0(VALU_DEP_1) | instskip(SKIP_3) | instid1(VALU_DEP_1)
	v_add_co_ci_u32_e64 v17, s2, s17, v17, s2
	global_store_b16 v[16:17], v22, off
	s_or_b32 exec_lo, exec_lo, s3
	v_cmp_ne_u32_e64 s2, 0, v58
	s_and_saveexec_b32 s19, s2
	s_cbranch_execz .LBB120_58
.LBB120_75:                             ;   in Loop: Header=BB120_13 Depth=1
	s_waitcnt lgkmcnt(0)
	v_add_f32_e32 v16, v18, v20
	s_waitcnt vmcnt(9)
	v_cvt_f32_f16_e32 v17, v33
	s_delay_alu instid0(VALU_DEP_1) | instskip(NEXT) | instid1(VALU_DEP_1)
	v_dual_mov_b32 v65, v62 :: v_dual_add_f32 v18, v16, v17
	v_lshlrev_b64 v[16:17], 1, v[64:65]
	s_delay_alu instid0(VALU_DEP_2) | instskip(NEXT) | instid1(VALU_DEP_2)
	v_cvt_f16_f32_e32 v18, v18
	v_add_co_u32 v16, s3, s16, v16
	s_delay_alu instid0(VALU_DEP_1)
	v_add_co_ci_u32_e64 v17, s3, s17, v17, s3
	global_store_b16 v[16:17], v18, off
	s_or_b32 exec_lo, exec_lo, s19
	v_add_nc_u32_e32 v61, s7, v60
	s_and_saveexec_b32 s19, vcc_lo
	s_cbranch_execz .LBB120_59
.LBB120_76:                             ;   in Loop: Header=BB120_13 Depth=1
	s_waitcnt lgkmcnt(0)
	v_add_f32_e32 v12, v12, v14
	s_waitcnt vmcnt(8)
	v_cvt_f32_f16_e32 v14, v32
	v_lshlrev_b64 v[16:17], 1, v[61:62]
	s_delay_alu instid0(VALU_DEP_2) | instskip(NEXT) | instid1(VALU_DEP_2)
	v_add_f32_e32 v12, v12, v14
	v_add_co_u32 v16, s3, s16, v16
	s_delay_alu instid0(VALU_DEP_1) | instskip(NEXT) | instid1(VALU_DEP_3)
	v_add_co_ci_u32_e64 v17, s3, s17, v17, s3
	v_cvt_f16_f32_e32 v12, v12
	global_store_b16 v[16:17], v12, off
	s_or_b32 exec_lo, exec_lo, s19
	s_and_saveexec_b32 s19, s1
	s_cbranch_execz .LBB120_60
.LBB120_77:                             ;   in Loop: Header=BB120_13 Depth=1
	s_waitcnt lgkmcnt(0)
	v_dual_add_f32 v9, v9, v11 :: v_dual_mov_b32 v12, v62
	v_add_nc_u32_e32 v11, 1, v61
	s_waitcnt vmcnt(7)
	v_cvt_f32_f16_e32 v14, v31
	s_delay_alu instid0(VALU_DEP_2) | instskip(NEXT) | instid1(VALU_DEP_2)
	v_lshlrev_b64 v[11:12], 1, v[11:12]
	v_add_f32_e32 v9, v9, v14
	s_delay_alu instid0(VALU_DEP_1) | instskip(NEXT) | instid1(VALU_DEP_3)
	v_cvt_f16_f32_e32 v9, v9
	v_add_co_u32 v11, s3, s16, v11
	s_delay_alu instid0(VALU_DEP_1)
	v_add_co_ci_u32_e64 v12, s3, s17, v12, s3
	global_store_b16 v[11:12], v9, off
	s_or_b32 exec_lo, exec_lo, s19
	s_and_saveexec_b32 s19, s2
	s_cbranch_execz .LBB120_61
.LBB120_78:                             ;   in Loop: Header=BB120_13 Depth=1
	s_waitcnt lgkmcnt(0)
	v_dual_add_f32 v4, v4, v6 :: v_dual_add_nc_u32 v11, 2, v61
	v_mov_b32_e32 v12, v62
	s_waitcnt vmcnt(6)
	v_cvt_f32_f16_e32 v6, v30
	s_delay_alu instid0(VALU_DEP_2) | instskip(NEXT) | instid1(VALU_DEP_2)
	v_lshlrev_b64 v[11:12], 1, v[11:12]
	v_add_f32_e32 v4, v4, v6
	s_delay_alu instid0(VALU_DEP_1) | instskip(NEXT) | instid1(VALU_DEP_3)
	v_cvt_f16_f32_e32 v4, v4
	v_add_co_u32 v11, s3, s16, v11
	s_delay_alu instid0(VALU_DEP_1)
	v_add_co_ci_u32_e64 v12, s3, s17, v12, s3
	global_store_b16 v[11:12], v4, off
	s_or_b32 exec_lo, exec_lo, s19
	v_add_nc_u32_e32 v61, s7, v61
	s_and_saveexec_b32 s19, vcc_lo
	s_cbranch_execz .LBB120_62
.LBB120_79:                             ;   in Loop: Header=BB120_13 Depth=1
	s_waitcnt lgkmcnt(0)
	v_add_f32_e32 v0, v0, v2
	s_waitcnt vmcnt(5)
	v_cvt_f32_f16_e32 v2, v29
	v_lshlrev_b64 v[11:12], 1, v[61:62]
	s_delay_alu instid0(VALU_DEP_2) | instskip(NEXT) | instid1(VALU_DEP_2)
	v_add_f32_e32 v0, v0, v2
	v_add_co_u32 v11, s3, s16, v11
	s_delay_alu instid0(VALU_DEP_1) | instskip(NEXT) | instid1(VALU_DEP_3)
	v_add_co_ci_u32_e64 v12, s3, s17, v12, s3
	v_cvt_f16_f32_e32 v0, v0
	global_store_b16 v[11:12], v0, off
	s_or_b32 exec_lo, exec_lo, s19
	s_and_saveexec_b32 s19, s1
	s_cbranch_execz .LBB120_63
.LBB120_80:                             ;   in Loop: Header=BB120_13 Depth=1
	s_waitcnt lgkmcnt(0)
	v_dual_mov_b32 v12, v62 :: v_dual_add_nc_u32 v11, 1, v61
	v_add_f32_e32 v0, v19, v21
	s_waitcnt vmcnt(4)
	v_cvt_f32_f16_e32 v2, v28
	s_delay_alu instid0(VALU_DEP_3) | instskip(NEXT) | instid1(VALU_DEP_2)
	v_lshlrev_b64 v[11:12], 1, v[11:12]
	v_add_f32_e32 v0, v0, v2
	s_delay_alu instid0(VALU_DEP_2) | instskip(NEXT) | instid1(VALU_DEP_2)
	v_add_co_u32 v11, s3, s16, v11
	v_cvt_f16_f32_e32 v0, v0
	s_delay_alu instid0(VALU_DEP_4)
	v_add_co_ci_u32_e64 v12, s3, s17, v12, s3
	global_store_b16 v[11:12], v0, off
	s_or_b32 exec_lo, exec_lo, s19
	s_and_saveexec_b32 s19, s2
	s_cbranch_execz .LBB120_64
.LBB120_81:                             ;   in Loop: Header=BB120_13 Depth=1
	s_waitcnt lgkmcnt(0)
	v_dual_add_f32 v0, v13, v15 :: v_dual_add_nc_u32 v11, 2, v61
	v_mov_b32_e32 v12, v62
	s_waitcnt vmcnt(3)
	v_cvt_f32_f16_e32 v2, v27
	s_delay_alu instid0(VALU_DEP_2) | instskip(NEXT) | instid1(VALU_DEP_2)
	v_lshlrev_b64 v[11:12], 1, v[11:12]
	v_add_f32_e32 v0, v0, v2
	s_delay_alu instid0(VALU_DEP_1) | instskip(NEXT) | instid1(VALU_DEP_3)
	v_cvt_f16_f32_e32 v0, v0
	v_add_co_u32 v11, s3, s16, v11
	s_delay_alu instid0(VALU_DEP_1)
	v_add_co_ci_u32_e64 v12, s3, s17, v12, s3
	global_store_b16 v[11:12], v0, off
	s_or_b32 exec_lo, exec_lo, s19
	v_add_nc_u32_e32 v61, s7, v61
	s_and_saveexec_b32 s3, vcc_lo
	s_cbranch_execz .LBB120_65
.LBB120_82:                             ;   in Loop: Header=BB120_13 Depth=1
	s_waitcnt lgkmcnt(0)
	v_add_f32_e32 v0, v8, v10
	s_waitcnt vmcnt(2)
	v_cvt_f32_f16_e32 v2, v26
	v_lshlrev_b64 v[8:9], 1, v[61:62]
	s_delay_alu instid0(VALU_DEP_2) | instskip(NEXT) | instid1(VALU_DEP_2)
	v_add_f32_e32 v0, v0, v2
	v_add_co_u32 v8, vcc_lo, s16, v8
	s_delay_alu instid0(VALU_DEP_3) | instskip(NEXT) | instid1(VALU_DEP_3)
	v_add_co_ci_u32_e32 v9, vcc_lo, s17, v9, vcc_lo
	v_cvt_f16_f32_e32 v0, v0
	global_store_b16 v[8:9], v0, off
	s_or_b32 exec_lo, exec_lo, s3
	s_and_saveexec_b32 s3, s1
	s_cbranch_execz .LBB120_66
.LBB120_83:                             ;   in Loop: Header=BB120_13 Depth=1
	s_waitcnt lgkmcnt(0)
	v_dual_add_f32 v0, v5, v7 :: v_dual_mov_b32 v5, v62
	v_add_nc_u32_e32 v4, 1, v61
	s_waitcnt vmcnt(1)
	v_cvt_f32_f16_e32 v2, v25
	s_delay_alu instid0(VALU_DEP_2) | instskip(NEXT) | instid1(VALU_DEP_2)
	v_lshlrev_b64 v[4:5], 1, v[4:5]
	v_add_f32_e32 v0, v0, v2
	s_delay_alu instid0(VALU_DEP_1) | instskip(NEXT) | instid1(VALU_DEP_3)
	v_cvt_f16_f32_e32 v0, v0
	v_add_co_u32 v4, vcc_lo, s16, v4
	s_delay_alu instid0(VALU_DEP_4) | instskip(SKIP_2) | instid1(SALU_CYCLE_1)
	v_add_co_ci_u32_e32 v5, vcc_lo, s17, v5, vcc_lo
	global_store_b16 v[4:5], v0, off
	s_or_b32 exec_lo, exec_lo, s3
	s_and_b32 exec_lo, exec_lo, s2
	s_cbranch_execnz .LBB120_67
	s_branch .LBB120_68
.LBB120_84:
	s_nop 0
	s_sendmsg sendmsg(MSG_DEALLOC_VGPRS)
	s_endpgm
	.section	.rodata,"a",@progbits
	.p2align	6, 0x0
	.amdhsa_kernel _Z12wvSplitK_hf_I6__halfLi64ELi3ELi16ELi8ELi2ELi4EEviiiiiiPKT_S3_S3_PS1_ii
		.amdhsa_group_segment_fixed_size 65536
		.amdhsa_private_segment_fixed_size 0
		.amdhsa_kernarg_size 64
		.amdhsa_user_sgpr_count 15
		.amdhsa_user_sgpr_dispatch_ptr 0
		.amdhsa_user_sgpr_queue_ptr 0
		.amdhsa_user_sgpr_kernarg_segment_ptr 1
		.amdhsa_user_sgpr_dispatch_id 0
		.amdhsa_user_sgpr_private_segment_size 0
		.amdhsa_wavefront_size32 1
		.amdhsa_uses_dynamic_stack 0
		.amdhsa_enable_private_segment 0
		.amdhsa_system_sgpr_workgroup_id_x 1
		.amdhsa_system_sgpr_workgroup_id_y 0
		.amdhsa_system_sgpr_workgroup_id_z 0
		.amdhsa_system_sgpr_workgroup_info 0
		.amdhsa_system_vgpr_workitem_id 1
		.amdhsa_next_free_vgpr 96
		.amdhsa_next_free_sgpr 35
		.amdhsa_reserve_vcc 1
		.amdhsa_float_round_mode_32 0
		.amdhsa_float_round_mode_16_64 0
		.amdhsa_float_denorm_mode_32 3
		.amdhsa_float_denorm_mode_16_64 3
		.amdhsa_dx10_clamp 1
		.amdhsa_ieee_mode 1
		.amdhsa_fp16_overflow 0
		.amdhsa_workgroup_processor_mode 1
		.amdhsa_memory_ordered 1
		.amdhsa_forward_progress 0
		.amdhsa_shared_vgpr_count 0
		.amdhsa_exception_fp_ieee_invalid_op 0
		.amdhsa_exception_fp_denorm_src 0
		.amdhsa_exception_fp_ieee_div_zero 0
		.amdhsa_exception_fp_ieee_overflow 0
		.amdhsa_exception_fp_ieee_underflow 0
		.amdhsa_exception_fp_ieee_inexact 0
		.amdhsa_exception_int_div_zero 0
	.end_amdhsa_kernel
	.section	.text._Z12wvSplitK_hf_I6__halfLi64ELi3ELi16ELi8ELi2ELi4EEviiiiiiPKT_S3_S3_PS1_ii,"axG",@progbits,_Z12wvSplitK_hf_I6__halfLi64ELi3ELi16ELi8ELi2ELi4EEviiiiiiPKT_S3_S3_PS1_ii,comdat
.Lfunc_end120:
	.size	_Z12wvSplitK_hf_I6__halfLi64ELi3ELi16ELi8ELi2ELi4EEviiiiiiPKT_S3_S3_PS1_ii, .Lfunc_end120-_Z12wvSplitK_hf_I6__halfLi64ELi3ELi16ELi8ELi2ELi4EEviiiiiiPKT_S3_S3_PS1_ii
                                        ; -- End function
	.section	.AMDGPU.csdata,"",@progbits
; Kernel info:
; codeLenInByte = 7316
; NumSgprs: 37
; NumVgprs: 96
; ScratchSize: 0
; MemoryBound: 0
; FloatMode: 240
; IeeeMode: 1
; LDSByteSize: 65536 bytes/workgroup (compile time only)
; SGPRBlocks: 4
; VGPRBlocks: 11
; NumSGPRsForWavesPerEU: 37
; NumVGPRsForWavesPerEU: 96
; Occupancy: 16
; WaveLimiterHint : 0
; COMPUTE_PGM_RSRC2:SCRATCH_EN: 0
; COMPUTE_PGM_RSRC2:USER_SGPR: 15
; COMPUTE_PGM_RSRC2:TRAP_HANDLER: 0
; COMPUTE_PGM_RSRC2:TGID_X_EN: 1
; COMPUTE_PGM_RSRC2:TGID_Y_EN: 0
; COMPUTE_PGM_RSRC2:TGID_Z_EN: 0
; COMPUTE_PGM_RSRC2:TIDIG_COMP_CNT: 1
	.section	.text._Z16wvSplitK_hf_big_I6__halfLi64ELi3ELi16ELi8ELi2ELi4EEviiiiiiPKT_S3_S3_PS1_ii,"axG",@progbits,_Z16wvSplitK_hf_big_I6__halfLi64ELi3ELi16ELi8ELi2ELi4EEviiiiiiPKT_S3_S3_PS1_ii,comdat
	.protected	_Z16wvSplitK_hf_big_I6__halfLi64ELi3ELi16ELi8ELi2ELi4EEviiiiiiPKT_S3_S3_PS1_ii ; -- Begin function _Z16wvSplitK_hf_big_I6__halfLi64ELi3ELi16ELi8ELi2ELi4EEviiiiiiPKT_S3_S3_PS1_ii
	.globl	_Z16wvSplitK_hf_big_I6__halfLi64ELi3ELi16ELi8ELi2ELi4EEviiiiiiPKT_S3_S3_PS1_ii
	.p2align	8
	.type	_Z16wvSplitK_hf_big_I6__halfLi64ELi3ELi16ELi8ELi2ELi4EEviiiiiiPKT_S3_S3_PS1_ii,@function
_Z16wvSplitK_hf_big_I6__halfLi64ELi3ELi16ELi8ELi2ELi4EEviiiiiiPKT_S3_S3_PS1_ii: ; @_Z16wvSplitK_hf_big_I6__halfLi64ELi3ELi16ELi8ELi2ELi4EEviiiiiiPKT_S3_S3_PS1_ii
; %bb.0:
	s_load_b64 s[20:21], s[0:1], 0x38
	v_bfe_u32 v1, v0, 10, 10
	s_mov_b32 s2, exec_lo
	s_waitcnt lgkmcnt(0)
	s_delay_alu instid0(VALU_DEP_1)
	v_cmpx_gt_u32_e64 s20, v1
	s_cbranch_execz .LBB121_64
; %bb.1:
	s_load_b128 s[16:19], s[0:1], 0x0
	v_mad_u64_u32 v[2:3], null, s15, s20, v[1:2]
	s_mov_b32 s4, 1
	s_delay_alu instid0(SALU_CYCLE_1) | instskip(SKIP_1) | instid1(SALU_CYCLE_1)
	s_mov_b32 s5, s4
	s_mov_b32 s6, s4
	v_mov_b32_e32 v58, s6
	s_delay_alu instid0(VALU_DEP_2) | instskip(SKIP_1) | instid1(VALU_DEP_2)
	v_lshl_add_u32 v59, v2, 1, v2
	v_dual_mov_b32 v56, s4 :: v_dual_mov_b32 v57, s5
	v_add_nc_u32_e32 v2, 3, v59
	s_waitcnt lgkmcnt(0)
	v_cmp_gt_u32_e32 vcc_lo, s19, v59
	s_delay_alu instid0(VALU_DEP_2) | instskip(NEXT) | instid1(VALU_DEP_1)
	v_cmp_le_u32_e64 s2, s19, v2
	s_and_b32 s2, vcc_lo, s2
	s_delay_alu instid0(SALU_CYCLE_1)
	s_and_saveexec_b32 s7, s2
	s_cbranch_execz .LBB121_7
; %bb.2:
	v_dual_mov_b32 v58, s6 :: v_dual_mov_b32 v57, s5
	v_mov_b32_e32 v56, s4
	s_add_i32 s8, s19, -3
	s_mov_b32 s9, exec_lo
	v_cmpx_ne_u32_e64 s8, v59
	s_cbranch_execz .LBB121_6
; %bb.3:
	v_subrev_nc_u32_e32 v2, s8, v59
	s_mov_b32 s10, 0
	s_mov_b64 s[2:3], 0
	s_mov_b32 s5, s4
	s_mov_b32 s6, s4
	v_cmp_lt_u32_e32 vcc_lo, 1, v2
	v_cndmask_b32_e32 v2, 1, v2, vcc_lo
.LBB121_4:                              ; =>This Inner Loop Header: Depth=1
	s_cmp_lg_u32 s2, 2
	s_cselect_b32 s6, s6, 0
	s_cmp_lg_u32 s2, 1
	s_cselect_b32 s5, s5, 0
	;; [unrolled: 2-line block ×3, first 2 shown]
	s_add_u32 s2, s2, 1
	v_dual_mov_b32 v58, s6 :: v_dual_mov_b32 v57, s5
	v_cmp_eq_u32_e32 vcc_lo, s2, v2
	v_mov_b32_e32 v56, s4
	s_addc_u32 s3, s3, 0
	s_or_b32 s10, vcc_lo, s10
	s_delay_alu instid0(SALU_CYCLE_1)
	s_and_not1_b32 exec_lo, exec_lo, s10
	s_cbranch_execnz .LBB121_4
; %bb.5:
	s_or_b32 exec_lo, exec_lo, s10
	v_mov_b32_e32 v59, s8
.LBB121_6:
	s_or_b32 exec_lo, exec_lo, s9
.LBB121_7:
	s_delay_alu instid0(SALU_CYCLE_1)
	s_or_b32 exec_lo, exec_lo, s7
	s_mul_i32 s2, s20, 3
	s_abs_i32 s6, s19
	s_abs_i32 s3, s2
	s_mov_b32 s23, 0
	v_cvt_f32_u32_e32 v2, s3
	s_sub_i32 s5, 0, s3
	s_delay_alu instid0(VALU_DEP_1) | instskip(SKIP_2) | instid1(VALU_DEP_1)
	v_rcp_iflag_f32_e32 v2, v2
	s_waitcnt_depctr 0xfff
	v_mul_f32_e32 v2, 0x4f7ffffe, v2
	v_cvt_u32_f32_e32 v2, v2
	s_delay_alu instid0(VALU_DEP_1) | instskip(NEXT) | instid1(VALU_DEP_1)
	v_readfirstlane_b32 s4, v2
	s_mul_i32 s5, s5, s4
	s_delay_alu instid0(SALU_CYCLE_1) | instskip(NEXT) | instid1(SALU_CYCLE_1)
	s_mul_hi_u32 s5, s4, s5
	s_add_i32 s4, s4, s5
	s_ashr_i32 s5, s19, 31
	s_mul_hi_u32 s4, s6, s4
	s_delay_alu instid0(SALU_CYCLE_1) | instskip(NEXT) | instid1(SALU_CYCLE_1)
	s_mul_i32 s4, s4, s3
	s_sub_i32 s4, s6, s4
	s_delay_alu instid0(SALU_CYCLE_1) | instskip(SKIP_2) | instid1(SALU_CYCLE_1)
	s_sub_i32 s6, s4, s3
	s_cmp_ge_u32 s4, s3
	s_cselect_b32 s4, s6, s4
	s_sub_i32 s6, s4, s3
	s_cmp_ge_u32 s4, s3
	s_cselect_b32 s3, s6, s4
	s_add_i32 s4, s2, s19
	s_xor_b32 s3, s3, s5
	s_delay_alu instid0(SALU_CYCLE_1) | instskip(NEXT) | instid1(SALU_CYCLE_1)
	s_sub_i32 s3, s3, s5
	s_sub_i32 s4, s4, s3
	s_cmp_eq_u32 s3, 0
	s_cselect_b32 s22, s19, s4
	s_delay_alu instid0(SALU_CYCLE_1)
	v_cmp_gt_u32_e32 vcc_lo, s22, v59
	s_and_b32 exec_lo, exec_lo, vcc_lo
	s_cbranch_execz .LBB121_64
; %bb.8:
	s_load_b256 s[4:11], s[0:1], 0x10
	s_min_u32 s24, s18, 0x2000
	s_cmp_lg_u32 s16, 0
	v_dual_mov_b32 v61, 0 :: v_dual_and_b32 v0, 0x3ff, v0
	s_cselect_b32 s25, -1, 0
	s_cmp_lg_u32 s18, 0
	s_load_b64 s[12:13], s[0:1], 0x30
	s_cselect_b32 s26, -1, 0
	s_lshl_b32 s27, s20, 9
	s_add_i32 s28, s16, -8
	s_add_i32 s29, s19, -1
	v_cmp_eq_u32_e64 s0, 63, v0
	v_mbcnt_lo_u32_b32 v70, -1, 0
	v_lshlrev_b32_e32 v71, 3, v0
	v_lshlrev_b32_e32 v0, 4, v0
	s_delay_alu instid0(VALU_DEP_2)
	v_lshl_add_u32 v62, v1, 9, v71
	s_waitcnt lgkmcnt(0)
	s_cmp_lg_u64 s[10:11], 0
	v_cvt_f32_u32_e32 v3, s4
	s_cselect_b32 s30, -1, 0
	s_abs_i32 s3, s5
	s_mul_i32 s5, s2, s21
	v_cvt_f32_u32_e32 v2, s3
	v_rcp_iflag_f32_e32 v3, v3
	s_sub_i32 s2, 0, s3
	s_add_i32 s31, s19, -3
	s_sub_i32 s14, 0, s4
	v_rcp_iflag_f32_e32 v2, v2
	s_sub_i32 s15, 1, s3
	v_lshl_add_u32 v72, v1, 10, v0
	s_mul_i32 s21, s24, 6
	v_mad_u64_u32 v[63:64], null, s18, 3, v[62:63]
	v_lshl_add_u32 v73, s18, 1, v62
	v_add_nc_u32_e32 v74, s18, v62
	s_waitcnt_depctr 0xfff
	v_mul_f32_e32 v2, 0x4f7ffffe, v2
	s_delay_alu instid0(VALU_DEP_1) | instskip(NEXT) | instid1(VALU_DEP_1)
	v_cvt_u32_f32_e32 v2, v2
	v_readfirstlane_b32 s1, v2
	v_mul_f32_e32 v2, 0x4f7ffffe, v3
	s_delay_alu instid0(VALU_DEP_2) | instskip(NEXT) | instid1(VALU_DEP_1)
	s_mul_i32 s2, s2, s1
	v_cvt_u32_f32_e32 v0, v2
	s_mul_hi_u32 s2, s1, s2
	s_delay_alu instid0(SALU_CYCLE_1) | instskip(SKIP_1) | instid1(VALU_DEP_1)
	s_add_i32 s1, s1, s2
	s_cmp_lt_u32 s3, 2
	v_mul_lo_u32 v1, s14, v0
	s_cselect_b32 s2, s15, 1
	s_delay_alu instid0(SALU_CYCLE_1)
	s_sub_i32 s15, s2, s3
	s_cmp_ge_u32 s2, s3
	s_cselect_b32 s33, s15, s2
	s_lshr_b32 s2, s1, 31
	s_mul_hi_u32 s1, s1, 3
	s_mul_i32 s2, s2, s3
	s_mul_i32 s1, s1, s3
	s_sub_i32 s2, 2, s2
	v_mul_hi_u32 v1, v0, v1
	s_sub_i32 s14, s2, s3
	s_cmp_ge_u32 s2, s3
	s_mul_i32 s33, s33, s4
	s_cselect_b32 s2, s14, s2
	s_delay_alu instid0(SALU_CYCLE_1) | instskip(SKIP_1) | instid1(VALU_DEP_1)
	s_sub_i32 s14, s2, s3
	s_cmp_ge_u32 s2, s3
	v_add_nc_u32_e32 v75, v0, v1
	s_cselect_b32 s34, s14, s2
	s_sub_i32 s1, 3, s1
	s_mul_i32 s34, s34, s4
	s_sub_i32 s2, s1, s3
	s_cmp_ge_u32 s1, s3
	s_cselect_b32 s1, s2, s1
	s_delay_alu instid0(SALU_CYCLE_1)
	s_sub_i32 s2, s1, s3
	s_cmp_ge_u32 s1, s3
	s_cselect_b32 s38, s2, s1
	s_add_u32 s35, s12, 2
	s_addc_u32 s36, s13, 0
	s_lshl_b32 s20, s20, 10
	s_lshl_b32 s37, s24, 2
	s_mul_i32 s38, s38, s4
	s_lshl_b32 s39, s24, 1
	s_branch .LBB121_12
.LBB121_9:                              ;   in Loop: Header=BB121_12 Depth=1
	s_or_b32 exec_lo, exec_lo, s42
	v_mov_b32_e32 v59, s31
.LBB121_10:                             ;   in Loop: Header=BB121_12 Depth=1
	s_or_b32 exec_lo, exec_lo, s41
.LBB121_11:                             ;   in Loop: Header=BB121_12 Depth=1
	s_delay_alu instid0(SALU_CYCLE_1) | instskip(NEXT) | instid1(VALU_DEP_1)
	s_or_b32 exec_lo, exec_lo, s40
	v_cmp_le_u32_e32 vcc_lo, s22, v59
	s_or_b32 s23, vcc_lo, s23
	s_delay_alu instid0(SALU_CYCLE_1)
	s_and_not1_b32 exec_lo, exec_lo, s23
	s_cbranch_execz .LBB121_64
.LBB121_12:                             ; =>This Loop Header: Depth=1
                                        ;     Child Loop BB121_17 Depth 2
                                        ;       Child Loop BB121_22 Depth 3
                                        ;     Child Loop BB121_51 Depth 2
	v_mov_b32_e32 v87, v61
	v_mov_b32_e32 v86, v61
	;; [unrolled: 1-line block ×12, first 2 shown]
	s_and_not1_b32 vcc_lo, exec_lo, s25
	s_mov_b32 s3, 0
	s_cbranch_vccnz .LBB121_29
; %bb.13:                               ;   in Loop: Header=BB121_12 Depth=1
	v_add_nc_u32_e32 v0, 1, v59
	v_dual_mov_b32 v80, 0 :: v_dual_add_nc_u32 v1, 2, v59
	v_min_u32_e32 v2, s29, v59
	v_dual_mov_b32 v3, v61 :: v_dual_mov_b32 v78, 0
	s_waitcnt lgkmcnt(5)
	s_delay_alu instid0(VALU_DEP_3)
	v_min_u32_e32 v4, s29, v1
	v_mov_b32_e32 v1, v61
	v_min_u32_e32 v0, s29, v0
	v_mul_lo_u32 v60, v2, s17
	v_cmp_gt_u32_e64 s1, s19, v59
	v_mul_lo_u32 v2, v4, s17
	v_dual_mov_b32 v81, 0 :: v_dual_mov_b32 v76, 0
	v_mul_lo_u32 v0, v0, s17
	v_dual_mov_b32 v79, 0 :: v_dual_mov_b32 v82, 0
	v_lshlrev_b64 v[64:65], 1, v[60:61]
	v_dual_mov_b32 v77, 0 :: v_dual_mov_b32 v84, 0
	v_lshlrev_b64 v[68:69], 1, v[2:3]
	;; [unrolled: 2-line block ×3, first 2 shown]
	v_mov_b32_e32 v85, 0
	v_mov_b32_e32 v87, 0
	s_mov_b32 s14, 0
	s_branch .LBB121_17
.LBB121_14:                             ;   in Loop: Header=BB121_17 Depth=2
	s_or_b32 exec_lo, exec_lo, s40
.LBB121_15:                             ;   in Loop: Header=BB121_17 Depth=2
	s_delay_alu instid0(SALU_CYCLE_1)
	s_or_b32 exec_lo, exec_lo, s15
	s_waitcnt vmcnt(5) lgkmcnt(3)
	;;#ASMSTART
	v_dot2_f32_f16 v87, v52, v36, v87
	;;#ASMEND
	s_waitcnt vmcnt(4)
	;;#ASMSTART
	v_dot2_f32_f16 v86, v52, v32, v86
	;;#ASMEND
	s_waitcnt vmcnt(3)
	;;#ASMSTART
	v_dot2_f32_f16 v85, v52, v28, v85
	;;#ASMEND
	s_waitcnt lgkmcnt(2)
	;;#ASMSTART
	v_dot2_f32_f16 v84, v48, v36, v84
	;;#ASMEND
	;;#ASMSTART
	v_dot2_f32_f16 v83, v48, v32, v83
	;;#ASMEND
	;;#ASMSTART
	v_dot2_f32_f16 v82, v48, v28, v82
	;;#ASMEND
	s_waitcnt lgkmcnt(1)
	;;#ASMSTART
	v_dot2_f32_f16 v81, v44, v36, v81
	;;#ASMEND
	;;#ASMSTART
	v_dot2_f32_f16 v80, v44, v32, v80
	;;#ASMEND
	;; [unrolled: 10-line block ×3, first 2 shown]
	;;#ASMSTART
	v_dot2_f32_f16 v77, v40, v28, v77
	;;#ASMEND
	;;#ASMSTART
	v_dot2_f32_f16 v87, v53, v37, v87
	;;#ASMEND
	;; [unrolled: 3-line block ×37, first 2 shown]
	s_waitcnt vmcnt(2)
	;;#ASMSTART
	v_dot2_f32_f16 v87, v24, v8, v87
	;;#ASMEND
	s_waitcnt vmcnt(1)
	;;#ASMSTART
	v_dot2_f32_f16 v86, v24, v4, v86
	;;#ASMEND
	;; [unrolled: 4-line block ×3, first 2 shown]
	;;#ASMSTART
	v_dot2_f32_f16 v84, v20, v8, v84
	;;#ASMEND
	;;#ASMSTART
	v_dot2_f32_f16 v83, v20, v4, v83
	;;#ASMEND
	;; [unrolled: 3-line block ×45, first 2 shown]
.LBB121_16:                             ;   in Loop: Header=BB121_17 Depth=2
	s_or_b32 exec_lo, exec_lo, s2
	s_addk_i32 s14, 0x400
	s_delay_alu instid0(SALU_CYCLE_1)
	s_cmp_ge_u32 s14, s16
	s_cbranch_scc1 .LBB121_29
.LBB121_17:                             ;   Parent Loop BB121_12 Depth=1
                                        ; =>  This Loop Header: Depth=2
                                        ;       Child Loop BB121_22 Depth 3
	s_cmp_eq_u32 s14, 0
	s_cselect_b32 s15, -1, 0
	s_add_i32 s2, s3, s24
	s_delay_alu instid0(SALU_CYCLE_1) | instskip(SKIP_1) | instid1(SALU_CYCLE_1)
	s_cmp_eq_u32 s14, s2
	s_cselect_b32 s40, -1, 0
	s_or_b32 s40, s15, s40
	s_delay_alu instid0(SALU_CYCLE_1)
	s_and_not1_b32 vcc_lo, exec_lo, s40
	s_cbranch_vccz .LBB121_19
; %bb.18:                               ;   in Loop: Header=BB121_17 Depth=2
	s_and_saveexec_b32 s2, s1
	s_cbranch_execz .LBB121_16
	s_branch .LBB121_26
.LBB121_19:                             ;   in Loop: Header=BB121_17 Depth=2
	s_and_b32 s15, s15, exec_lo
	s_cselect_b32 s3, s3, s2
	s_and_not1_b32 vcc_lo, exec_lo, s26
	s_waitcnt vmcnt(0) lgkmcnt(0)
	s_waitcnt_vscnt null, 0x0
	s_barrier
	buffer_gl0_inv
	s_cbranch_vccnz .LBB121_25
; %bb.20:                               ;   in Loop: Header=BB121_17 Depth=2
	v_add_nc_u32_e32 v0, s3, v73
	v_dual_mov_b32 v4, v72 :: v_dual_add_nc_u32 v1, s3, v63
	v_add_nc_u32_e32 v2, s3, v74
	v_add_nc_u32_e32 v3, s3, v62
	s_mov_b32 s15, 0
	s_mov_b32 s40, 0
                                        ; implicit-def: $sgpr41
	s_branch .LBB121_22
.LBB121_21:                             ;   in Loop: Header=BB121_22 Depth=3
	s_or_b32 exec_lo, exec_lo, s2
	s_delay_alu instid0(SALU_CYCLE_1) | instskip(NEXT) | instid1(SALU_CYCLE_1)
	s_and_b32 s2, exec_lo, s41
	s_or_b32 s15, s2, s15
	s_delay_alu instid0(SALU_CYCLE_1)
	s_and_not1_b32 exec_lo, exec_lo, s15
	s_cbranch_execz .LBB121_24
.LBB121_22:                             ;   Parent Loop BB121_12 Depth=1
                                        ;     Parent Loop BB121_17 Depth=2
                                        ; =>    This Inner Loop Header: Depth=3
	s_delay_alu instid0(VALU_DEP_1) | instskip(SKIP_2) | instid1(VALU_DEP_2)
	v_add_nc_u32_e32 v60, s40, v3
	v_add_nc_u32_e32 v5, s40, v62
	s_or_b32 s41, s41, exec_lo
	v_cmp_gt_u32_e32 vcc_lo, s18, v60
	s_delay_alu instid0(VALU_DEP_2) | instskip(NEXT) | instid1(VALU_DEP_1)
	v_cmp_gt_u32_e64 s2, s24, v5
	s_and_b32 s42, s2, vcc_lo
	s_delay_alu instid0(SALU_CYCLE_1)
	s_and_saveexec_b32 s2, s42
	s_cbranch_execz .LBB121_21
; %bb.23:                               ;   in Loop: Header=BB121_22 Depth=3
	v_lshlrev_b64 v[5:6], 1, v[60:61]
	v_add_nc_u32_e32 v60, s40, v2
	v_add_nc_u32_e32 v21, s39, v4
	;; [unrolled: 1-line block ×3, first 2 shown]
	s_delay_alu instid0(VALU_DEP_3) | instskip(SKIP_3) | instid1(VALU_DEP_3)
	v_lshlrev_b64 v[7:8], 1, v[60:61]
	v_add_nc_u32_e32 v60, s40, v0
	v_add_co_u32 v5, vcc_lo, s8, v5
	v_add_co_ci_u32_e32 v6, vcc_lo, s9, v6, vcc_lo
	v_lshlrev_b64 v[13:14], 1, v[60:61]
	v_add_nc_u32_e32 v60, s40, v1
	v_add_co_u32 v9, vcc_lo, s8, v7
	v_add_co_ci_u32_e32 v10, vcc_lo, s9, v8, vcc_lo
	s_delay_alu instid0(VALU_DEP_3)
	v_lshlrev_b64 v[15:16], 1, v[60:61]
	v_add_co_u32 v13, vcc_lo, s8, v13
	v_add_co_ci_u32_e32 v14, vcc_lo, s9, v14, vcc_lo
	s_clause 0x1
	global_load_b128 v[5:8], v[5:6], off
	global_load_b128 v[9:12], v[9:10], off
	v_add_co_u32 v17, vcc_lo, s8, v15
	v_add_co_ci_u32_e32 v18, vcc_lo, s9, v16, vcc_lo
	s_clause 0x1
	global_load_b128 v[13:16], v[13:14], off
	global_load_b128 v[17:20], v[17:18], off
	s_add_i32 s40, s40, s27
	s_waitcnt vmcnt(3)
	ds_store_b128 v4, v[5:8]
	s_waitcnt vmcnt(2)
	ds_store_2addr_b64 v21, v[9:10], v[11:12] offset1:1
	s_cmp_ge_u32 s40, s24
	v_add_nc_u32_e32 v5, s21, v4
	s_cselect_b32 s42, -1, 0
	v_add_nc_u32_e32 v4, s20, v4
	s_and_not1_b32 s41, s41, exec_lo
	s_and_b32 s42, s42, exec_lo
	s_waitcnt vmcnt(1)
	ds_store_2addr_b32 v22, v13, v14 offset1:1
	ds_store_2addr_b32 v22, v15, v16 offset0:2 offset1:3
	s_or_b32 s41, s41, s42
	s_waitcnt vmcnt(0)
	ds_store_2addr_b64 v5, v[17:18], v[19:20] offset1:1
	s_branch .LBB121_21
.LBB121_24:                             ;   in Loop: Header=BB121_17 Depth=2
	s_or_b32 exec_lo, exec_lo, s15
.LBB121_25:                             ;   in Loop: Header=BB121_17 Depth=2
	s_waitcnt lgkmcnt(0)
	s_barrier
	buffer_gl0_inv
	s_and_saveexec_b32 s2, s1
	s_cbranch_execz .LBB121_16
.LBB121_26:                             ;   in Loop: Header=BB121_17 Depth=2
	v_dual_mov_b32 v53, 0 :: v_dual_add_nc_u32 v88, s14, v71
	v_dual_mov_b32 v54, 0 :: v_dual_mov_b32 v55, 0
	s_waitcnt vmcnt(0)
	v_dual_mov_b32 v24, 0 :: v_dual_mov_b32 v25, 0
	s_delay_alu instid0(VALU_DEP_3) | instskip(SKIP_2) | instid1(VALU_DEP_3)
	v_min_u32_e32 v60, s28, v88
	v_dual_mov_b32 v52, 0 :: v_dual_add_nc_u32 v89, 0x200, v88
	v_dual_mov_b32 v26, 0 :: v_dual_mov_b32 v27, 0
	v_lshlrev_b64 v[0:1], 1, v[60:61]
	s_delay_alu instid0(VALU_DEP_3) | instskip(SKIP_2) | instid1(VALU_DEP_4)
	v_min_u32_e32 v60, s28, v89
	v_dual_mov_b32 v48, 0 :: v_dual_mov_b32 v49, 0
	v_dual_mov_b32 v50, 0 :: v_dual_mov_b32 v51, 0
	v_add_co_u32 v6, vcc_lo, s6, v0
	v_add_co_ci_u32_e32 v7, vcc_lo, s7, v1, vcc_lo
	v_lshlrev_b64 v[0:1], 1, v[60:61]
	s_delay_alu instid0(VALU_DEP_3) | instskip(NEXT) | instid1(VALU_DEP_3)
	v_add_co_u32 v2, vcc_lo, v6, v64
	v_add_co_ci_u32_e32 v3, vcc_lo, v7, v65, vcc_lo
	v_add_co_u32 v4, vcc_lo, v6, v66
	s_waitcnt lgkmcnt(2)
	v_add_co_ci_u32_e32 v5, vcc_lo, v7, v67, vcc_lo
	v_add_co_u32 v8, vcc_lo, s6, v0
	s_waitcnt lgkmcnt(0)
	v_add_co_ci_u32_e32 v9, vcc_lo, s7, v1, vcc_lo
	v_add_co_u32 v0, vcc_lo, v6, v68
	v_add_co_ci_u32_e32 v1, vcc_lo, v7, v69, vcc_lo
	v_add_co_u32 v6, vcc_lo, v8, v64
	s_delay_alu instid0(VALU_DEP_4)
	v_add_co_ci_u32_e32 v7, vcc_lo, v9, v65, vcc_lo
	v_add_co_u32 v12, vcc_lo, v8, v66
	v_add_co_ci_u32_e32 v13, vcc_lo, v9, v67, vcc_lo
	v_add_co_u32 v14, vcc_lo, v8, v68
	v_add_co_ci_u32_e32 v15, vcc_lo, v9, v69, vcc_lo
	s_clause 0x5
	global_load_b128 v[36:39], v[2:3], off slc dlc
	global_load_b128 v[32:35], v[4:5], off slc dlc
	;; [unrolled: 1-line block ×6, first 2 shown]
	v_cmp_gt_u32_e32 vcc_lo, s16, v88
	v_dual_mov_b32 v20, 0 :: v_dual_mov_b32 v21, 0
	v_dual_mov_b32 v22, 0 :: v_dual_mov_b32 v23, 0
	;; [unrolled: 1-line block ×10, first 2 shown]
	s_and_saveexec_b32 s15, vcc_lo
	s_cbranch_execz .LBB121_15
; %bb.27:                               ;   in Loop: Header=BB121_17 Depth=2
	v_subrev_nc_u32_e32 v12, s3, v88
	v_cmp_gt_u32_e32 vcc_lo, s16, v89
	v_dual_mov_b32 v18, 0 :: v_dual_mov_b32 v23, 0
	v_dual_mov_b32 v16, 0 :: v_dual_mov_b32 v21, 0
	s_delay_alu instid0(VALU_DEP_4) | instskip(SKIP_1) | instid1(VALU_DEP_2)
	v_dual_mov_b32 v14, 0 :: v_dual_lshlrev_b32 v91, 1, v12
	v_dual_mov_b32 v12, 0 :: v_dual_mov_b32 v17, 0
	v_dual_mov_b32 v15, 0 :: v_dual_add_nc_u32 v90, s39, v91
	v_dual_mov_b32 v22, 0 :: v_dual_mov_b32 v27, 0
	v_dual_mov_b32 v20, 0 :: v_dual_mov_b32 v25, 0
	s_delay_alu instid0(VALU_DEP_3) | instskip(SKIP_2) | instid1(VALU_DEP_3)
	v_dual_mov_b32 v13, 0 :: v_dual_add_nc_u32 v88, s39, v90
	v_mov_b32_e32 v26, 0
	v_dual_mov_b32 v24, 0 :: v_dual_mov_b32 v19, 0
	v_add_nc_u32_e32 v60, s39, v88
	ds_load_b128 v[52:55], v91
	ds_load_b128 v[48:51], v90
	;; [unrolled: 1-line block ×4, first 2 shown]
	s_and_saveexec_b32 s40, vcc_lo
	s_cbranch_execz .LBB121_14
; %bb.28:                               ;   in Loop: Header=BB121_17 Depth=2
	ds_load_b128 v[24:27], v91 offset:1024
	ds_load_b128 v[20:23], v90 offset:1024
	;; [unrolled: 1-line block ×4, first 2 shown]
	s_branch .LBB121_14
.LBB121_29:                             ;   in Loop: Header=BB121_12 Depth=1
	s_mov_b32 s1, exec_lo
	v_cmpx_le_u32_e64 s19, v59
	s_xor_b32 s1, exec_lo, s1
; %bb.30:                               ;   in Loop: Header=BB121_12 Depth=1
	v_add_nc_u32_e32 v59, s5, v59
                                        ; implicit-def: $vgpr87
                                        ; implicit-def: $vgpr86
                                        ; implicit-def: $vgpr85
                                        ; implicit-def: $vgpr84
                                        ; implicit-def: $vgpr83
                                        ; implicit-def: $vgpr82
                                        ; implicit-def: $vgpr77
                                        ; implicit-def: $vgpr76
                                        ; implicit-def: $vgpr78
                                        ; implicit-def: $vgpr79
                                        ; implicit-def: $vgpr80
                                        ; implicit-def: $vgpr81
; %bb.31:                               ;   in Loop: Header=BB121_12 Depth=1
	s_and_not1_saveexec_b32 s40, s1
	s_cbranch_execz .LBB121_11
; %bb.32:                               ;   in Loop: Header=BB121_12 Depth=1
	v_cvt_i32_f32_e32 v0, v87
	v_cvt_i32_f32_e32 v1, v86
	v_xor_b32_e32 v2, 16, v70
	v_cvt_i32_f32_e32 v3, v85
	s_waitcnt lgkmcnt(5)
	v_cvt_i32_f32_e32 v4, v84
	v_cvt_f32_i32_dpp v0, v0 row_shr:8 row_mask:0xf bank_mask:0xf bound_ctrl:1
	v_cvt_f32_i32_dpp v1, v1 row_shr:8 row_mask:0xf bank_mask:0xf bound_ctrl:1
	v_cmp_gt_i32_e32 vcc_lo, 32, v2
	s_waitcnt lgkmcnt(2)
	v_cvt_i32_f32_e32 v5, v83
	v_cvt_f32_i32_dpp v3, v3 row_shr:8 row_mask:0xf bank_mask:0xf bound_ctrl:1
	v_dual_add_f32 v0, v87, v0 :: v_dual_add_f32 v1, v86, v1
	v_cvt_f32_i32_dpp v4, v4 row_shr:8 row_mask:0xf bank_mask:0xf bound_ctrl:1
	v_cvt_i32_f32_e32 v6, v82
	v_cvt_i32_f32_e32 v7, v81
	s_delay_alu instid0(VALU_DEP_4)
	v_cvt_i32_f32_e32 v8, v0
	s_waitcnt lgkmcnt(0)
	v_cvt_i32_f32_e32 v9, v1
	v_cvt_f32_i32_dpp v5, v5 row_shr:8 row_mask:0xf bank_mask:0xf bound_ctrl:1
	v_cvt_f32_i32_dpp v6, v6 row_shr:8 row_mask:0xf bank_mask:0xf bound_ctrl:1
	;; [unrolled: 1-line block ×5, first 2 shown]
	s_delay_alu instid0(VALU_DEP_3) | instskip(NEXT) | instid1(VALU_DEP_2)
	v_dual_cndmask_b32 v2, v70, v2 :: v_dual_add_f32 v7, v81, v7
	v_dual_add_f32 v0, v0, v8 :: v_dual_add_f32 v1, v1, v9
	s_waitcnt vmcnt(0)
	s_delay_alu instid0(VALU_DEP_2) | instskip(SKIP_1) | instid1(VALU_DEP_3)
	v_dual_add_f32 v2, v85, v3 :: v_dual_lshlrev_b32 v25, 2, v2
	v_dual_add_f32 v3, v84, v4 :: v_dual_add_f32 v4, v83, v5
	v_cvt_i32_f32_e32 v8, v1
	v_cvt_i32_f32_e32 v5, v0
	s_delay_alu instid0(VALU_DEP_4) | instskip(NEXT) | instid1(VALU_DEP_4)
	v_cvt_i32_f32_e32 v9, v2
	v_cvt_i32_f32_e32 v10, v3
	;; [unrolled: 1-line block ×3, first 2 shown]
	v_cvt_f32_i32_dpp v8, v8 row_shr:2 row_mask:0xf bank_mask:0xf bound_ctrl:1
	v_add_f32_e32 v6, v82, v6
	v_cvt_f32_i32_dpp v5, v5 row_shr:2 row_mask:0xf bank_mask:0xf bound_ctrl:1
	s_delay_alu instid0(VALU_DEP_4) | instskip(NEXT) | instid1(VALU_DEP_4)
	v_cvt_f32_i32_dpp v11, v11 row_shr:4 row_mask:0xf bank_mask:0xf bound_ctrl:1
	v_add_f32_e32 v1, v1, v8
	v_cvt_f32_i32_dpp v8, v9 row_shr:4 row_mask:0xf bank_mask:0xf bound_ctrl:1
	v_cvt_f32_i32_dpp v9, v10 row_shr:4 row_mask:0xf bank_mask:0xf bound_ctrl:1
	v_cvt_i32_f32_e32 v12, v6
	s_delay_alu instid0(VALU_DEP_4) | instskip(NEXT) | instid1(VALU_DEP_3)
	v_cvt_i32_f32_e32 v13, v1
	v_dual_add_f32 v2, v2, v8 :: v_dual_add_f32 v3, v3, v9
	v_add_f32_e32 v0, v0, v5
	v_cvt_i32_f32_e32 v5, v7
	v_cvt_f32_i32_dpp v12, v12 row_shr:4 row_mask:0xf bank_mask:0xf bound_ctrl:1
	v_cvt_f32_i32_dpp v13, v13 row_shr:1 row_mask:0xf bank_mask:0xf bound_ctrl:1
	v_add_f32_e32 v4, v4, v11
	s_delay_alu instid0(VALU_DEP_4) | instskip(NEXT) | instid1(VALU_DEP_3)
	v_cvt_f32_i32_dpp v5, v5 row_shr:4 row_mask:0xf bank_mask:0xf bound_ctrl:1
	v_add_f32_e32 v1, v1, v13
	s_delay_alu instid0(VALU_DEP_3) | instskip(NEXT) | instid1(VALU_DEP_3)
	v_cvt_i32_f32_e32 v8, v4
	v_add_f32_e32 v5, v7, v5
	v_cvt_i32_f32_e32 v7, v3
	ds_bpermute_b32 v18, v25, v1
	v_cvt_f32_i32_dpp v8, v8 row_shr:2 row_mask:0xf bank_mask:0xf bound_ctrl:1
	v_cvt_f32_i32_dpp v7, v7 row_shr:2 row_mask:0xf bank_mask:0xf bound_ctrl:1
	s_delay_alu instid0(VALU_DEP_1) | instskip(SKIP_1) | instid1(VALU_DEP_2)
	v_add_f32_e32 v3, v3, v7
	v_cvt_i32_f32_e32 v10, v0
	v_cvt_i32_f32_e32 v7, v3
	s_delay_alu instid0(VALU_DEP_2) | instskip(NEXT) | instid1(VALU_DEP_2)
	v_cvt_f32_i32_dpp v10, v10 row_shr:1 row_mask:0xf bank_mask:0xf bound_ctrl:1
	v_cvt_f32_i32_dpp v7, v7 row_shr:1 row_mask:0xf bank_mask:0xf bound_ctrl:1
	s_delay_alu instid0(VALU_DEP_2) | instskip(SKIP_4) | instid1(VALU_DEP_2)
	v_dual_add_f32 v23, v0, v10 :: v_dual_add_f32 v0, v6, v12
	v_cvt_i32_f32_e32 v6, v2
	ds_bpermute_b32 v24, v25, v23
	v_cvt_i32_f32_e32 v9, v0
	v_cvt_f32_i32_dpp v6, v6 row_shr:2 row_mask:0xf bank_mask:0xf bound_ctrl:1
	v_cvt_f32_i32_dpp v9, v9 row_shr:2 row_mask:0xf bank_mask:0xf bound_ctrl:1
	s_delay_alu instid0(VALU_DEP_2) | instskip(SKIP_1) | instid1(VALU_DEP_2)
	v_add_f32_e32 v2, v2, v6
	v_cvt_i32_f32_e32 v10, v5
	v_cvt_i32_f32_e32 v6, v2
	s_delay_alu instid0(VALU_DEP_2) | instskip(SKIP_1) | instid1(VALU_DEP_3)
	v_cvt_f32_i32_dpp v10, v10 row_shr:2 row_mask:0xf bank_mask:0xf bound_ctrl:1
	v_add_f32_e32 v4, v4, v8
	v_cvt_f32_i32_dpp v6, v6 row_shr:1 row_mask:0xf bank_mask:0xf bound_ctrl:1
	s_delay_alu instid0(VALU_DEP_3) | instskip(NEXT) | instid1(VALU_DEP_3)
	v_dual_add_f32 v5, v5, v10 :: v_dual_add_f32 v0, v0, v9
	v_cvt_i32_f32_e32 v8, v4
	s_delay_alu instid0(VALU_DEP_3) | instskip(NEXT) | instid1(VALU_DEP_3)
	v_add_f32_e32 v19, v2, v6
	v_cvt_i32_f32_e32 v10, v5
	s_delay_alu instid0(VALU_DEP_4) | instskip(NEXT) | instid1(VALU_DEP_4)
	v_cvt_i32_f32_e32 v9, v0
	v_cvt_f32_i32_dpp v8, v8 row_shr:1 row_mask:0xf bank_mask:0xf bound_ctrl:1
	v_add_f32_e32 v14, v3, v7
	v_cvt_i32_f32_e32 v3, v79
	v_cvt_f32_i32_dpp v10, v10 row_shr:1 row_mask:0xf bank_mask:0xf bound_ctrl:1
	v_cvt_f32_i32_dpp v9, v9 row_shr:1 row_mask:0xf bank_mask:0xf bound_ctrl:1
	v_add_f32_e32 v11, v4, v8
	v_cvt_i32_f32_e32 v7, v76
	v_cvt_f32_i32_dpp v3, v3 row_shr:8 row_mask:0xf bank_mask:0xf bound_ctrl:1
	v_add_f32_e32 v2, v5, v10
	v_add_f32_e32 v6, v0, v9
	v_cvt_i32_f32_e32 v0, v80
	v_cvt_i32_f32_e32 v9, v77
	v_add_f32_e32 v3, v79, v3
	v_cvt_i32_f32_e32 v5, v78
	v_cvt_f32_i32_dpp v7, v7 row_shr:8 row_mask:0xf bank_mask:0xf bound_ctrl:1
	v_cvt_f32_i32_dpp v0, v0 row_shr:8 row_mask:0xf bank_mask:0xf bound_ctrl:1
	;; [unrolled: 1-line block ×3, first 2 shown]
	v_cvt_i32_f32_e32 v12, v3
	v_cvt_f32_i32_dpp v5, v5 row_shr:8 row_mask:0xf bank_mask:0xf bound_ctrl:1
	ds_bpermute_b32 v21, v25, v19
	v_dual_add_f32 v0, v80, v0 :: v_dual_add_f32 v9, v77, v9
	v_cvt_f32_i32_dpp v12, v12 row_shr:4 row_mask:0xf bank_mask:0xf bound_ctrl:1
	v_add_f32_e32 v5, v78, v5
	ds_bpermute_b32 v16, v25, v14
	v_cvt_i32_f32_e32 v10, v0
	v_cvt_i32_f32_e32 v20, v9
	v_add_f32_e32 v3, v3, v12
	v_cvt_i32_f32_e32 v15, v5
	ds_bpermute_b32 v13, v25, v11
	v_cvt_f32_i32_dpp v10, v10 row_shr:4 row_mask:0xf bank_mask:0xf bound_ctrl:1
	v_cvt_f32_i32_dpp v20, v20 row_shr:4 row_mask:0xf bank_mask:0xf bound_ctrl:1
	v_cvt_i32_f32_e32 v12, v3
	v_cvt_f32_i32_dpp v15, v15 row_shr:4 row_mask:0xf bank_mask:0xf bound_ctrl:1
	ds_bpermute_b32 v8, v25, v6
	v_add_f32_e32 v0, v0, v10
	ds_bpermute_b32 v4, v25, v2
	v_cvt_f32_i32_dpp v12, v12 row_shr:2 row_mask:0xf bank_mask:0xf bound_ctrl:1
	v_cvt_i32_f32_e32 v10, v0
	s_delay_alu instid0(VALU_DEP_2) | instskip(NEXT) | instid1(VALU_DEP_2)
	v_add_f32_e32 v3, v3, v12
	v_cvt_f32_i32_dpp v10, v10 row_shr:2 row_mask:0xf bank_mask:0xf bound_ctrl:1
	v_add_f32_e32 v5, v5, v15
	s_delay_alu instid0(VALU_DEP_3) | instskip(NEXT) | instid1(VALU_DEP_3)
	v_cvt_i32_f32_e32 v12, v3
	v_add_f32_e32 v0, v0, v10
	s_delay_alu instid0(VALU_DEP_3) | instskip(NEXT) | instid1(VALU_DEP_3)
	v_cvt_i32_f32_e32 v15, v5
	v_cvt_f32_i32_dpp v12, v12 row_shr:1 row_mask:0xf bank_mask:0xf bound_ctrl:1
	s_delay_alu instid0(VALU_DEP_3) | instskip(NEXT) | instid1(VALU_DEP_3)
	v_cvt_i32_f32_e32 v10, v0
	v_cvt_f32_i32_dpp v15, v15 row_shr:2 row_mask:0xf bank_mask:0xf bound_ctrl:1
	s_delay_alu instid0(VALU_DEP_2) | instskip(SKIP_1) | instid1(VALU_DEP_3)
	v_cvt_f32_i32_dpp v10, v10 row_shr:1 row_mask:0xf bank_mask:0xf bound_ctrl:1
	v_add_f32_e32 v9, v9, v20
	v_add_f32_e32 v5, v5, v15
	s_delay_alu instid0(VALU_DEP_2) | instskip(NEXT) | instid1(VALU_DEP_2)
	v_cvt_i32_f32_e32 v20, v9
	v_cvt_i32_f32_e32 v15, v5
	s_delay_alu instid0(VALU_DEP_2) | instskip(NEXT) | instid1(VALU_DEP_2)
	v_cvt_f32_i32_dpp v20, v20 row_shr:2 row_mask:0xf bank_mask:0xf bound_ctrl:1
	v_cvt_f32_i32_dpp v22, v15 row_shr:1 row_mask:0xf bank_mask:0xf bound_ctrl:1
	v_add_f32_e32 v7, v76, v7
	v_add_f32_e32 v15, v3, v12
	s_delay_alu instid0(VALU_DEP_4) | instskip(NEXT) | instid1(VALU_DEP_1)
	v_add_f32_e32 v9, v9, v20
	v_cvt_i32_f32_e32 v20, v9
	s_delay_alu instid0(VALU_DEP_1) | instskip(SKIP_3) | instid1(VALU_DEP_4)
	v_cvt_f32_i32_dpp v26, v20 row_shr:1 row_mask:0xf bank_mask:0xf bound_ctrl:1
	v_add_f32_e32 v20, v0, v10
	v_add_f32_e32 v10, v5, v22
	v_cvt_i32_f32_e32 v17, v7
	v_add_f32_e32 v3, v9, v26
	ds_bpermute_b32 v22, v25, v20
	ds_bpermute_b32 v12, v25, v10
	v_cvt_f32_i32_dpp v17, v17 row_shr:4 row_mask:0xf bank_mask:0xf bound_ctrl:1
	ds_bpermute_b32 v5, v25, v3
	v_add_f32_e32 v7, v7, v17
	s_delay_alu instid0(VALU_DEP_1) | instskip(NEXT) | instid1(VALU_DEP_1)
	v_cvt_i32_f32_e32 v17, v7
	v_cvt_f32_i32_dpp v17, v17 row_shr:2 row_mask:0xf bank_mask:0xf bound_ctrl:1
	s_delay_alu instid0(VALU_DEP_1) | instskip(NEXT) | instid1(VALU_DEP_1)
	v_add_f32_e32 v7, v7, v17
	v_cvt_i32_f32_e32 v17, v7
	s_delay_alu instid0(VALU_DEP_1) | instskip(NEXT) | instid1(VALU_DEP_1)
	v_cvt_f32_i32_dpp v17, v17 row_shr:1 row_mask:0xf bank_mask:0xf bound_ctrl:1
	v_add_f32_e32 v7, v7, v17
	ds_bpermute_b32 v17, v25, v15
	ds_bpermute_b32 v9, v25, v7
	s_and_saveexec_b32 s14, s0
	s_cbranch_execz .LBB121_48
; %bb.33:                               ;   in Loop: Header=BB121_12 Depth=1
	v_dual_mov_b32 v36, 0 :: v_dual_mov_b32 v35, 0
	v_dual_mov_b32 v33, 0 :: v_dual_add_nc_u32 v0, 2, v59
	v_dual_mov_b32 v34, 0 :: v_dual_mov_b32 v31, 0
	v_dual_mov_b32 v32, 0 :: v_dual_mov_b32 v29, 0
	;; [unrolled: 1-line block ×4, first 2 shown]
	v_mov_b32_e32 v26, 0
	s_and_not1_b32 vcc_lo, exec_lo, s30
	s_cbranch_vccnz .LBB121_35
; %bb.34:                               ;   in Loop: Header=BB121_12 Depth=1
	v_mul_hi_u32 v26, v59, v75
	v_add_nc_u32_e32 v25, 1, v59
	v_mul_hi_u32 v27, v0, v75
	s_delay_alu instid0(VALU_DEP_3) | instskip(NEXT) | instid1(VALU_DEP_2)
	v_mul_lo_u32 v26, v26, s4
	v_mul_lo_u32 v27, v27, s4
	s_delay_alu instid0(VALU_DEP_2) | instskip(SKIP_2) | instid1(VALU_DEP_4)
	v_sub_nc_u32_e32 v29, v59, v26
	v_mov_b32_e32 v26, v61
	v_mul_hi_u32 v28, v25, v75
	v_sub_nc_u32_e32 v27, v0, v27
	s_delay_alu instid0(VALU_DEP_4) | instskip(SKIP_1) | instid1(VALU_DEP_3)
	v_subrev_nc_u32_e32 v31, s4, v29
	v_cmp_le_u32_e32 vcc_lo, s4, v29
	v_subrev_nc_u32_e32 v32, s4, v27
	v_mul_lo_u32 v28, v28, s4
	s_delay_alu instid0(VALU_DEP_4) | instskip(SKIP_1) | instid1(VALU_DEP_4)
	v_cndmask_b32_e32 v29, v29, v31, vcc_lo
	v_cmp_le_u32_e32 vcc_lo, s4, v27
	v_cndmask_b32_e32 v27, v27, v32, vcc_lo
	s_delay_alu instid0(VALU_DEP_4) | instskip(SKIP_2) | instid1(VALU_DEP_4)
	v_sub_nc_u32_e32 v25, v25, v28
	v_mov_b32_e32 v28, v61
	v_subrev_nc_u32_e32 v32, s4, v29
	v_subrev_nc_u32_e32 v34, s4, v27
	s_delay_alu instid0(VALU_DEP_4) | instskip(SKIP_1) | instid1(VALU_DEP_2)
	v_subrev_nc_u32_e32 v33, s4, v25
	v_cmp_le_u32_e32 vcc_lo, s4, v25
	v_cndmask_b32_e32 v25, v25, v33, vcc_lo
	v_cmp_le_u32_e32 vcc_lo, s4, v29
	v_cndmask_b32_e32 v60, v29, v32, vcc_lo
	v_cmp_le_u32_e32 vcc_lo, s4, v27
	v_mov_b32_e32 v30, v61
	s_delay_alu instid0(VALU_DEP_3) | instskip(SKIP_2) | instid1(VALU_DEP_2)
	v_dual_mov_b32 v31, v61 :: v_dual_add_nc_u32 v42, s34, v60
	v_cndmask_b32_e32 v27, v27, v34, vcc_lo
	v_add_nc_u32_e32 v29, s33, v60
	v_dual_mov_b32 v43, v61 :: v_dual_add_nc_u32 v32, s33, v27
	v_subrev_nc_u32_e32 v35, s4, v25
	v_cmp_le_u32_e32 vcc_lo, s4, v25
	v_lshlrev_b64 v[36:37], 1, v[27:28]
	v_lshlrev_b64 v[28:29], 1, v[29:30]
	s_delay_alu instid0(VALU_DEP_4) | instskip(SKIP_3) | instid1(VALU_DEP_4)
	v_cndmask_b32_e32 v25, v25, v35, vcc_lo
	v_lshlrev_b64 v[34:35], 1, v[60:61]
	v_dual_mov_b32 v33, v61 :: v_dual_add_nc_u32 v60, s38, v60
	v_mov_b32_e32 v45, v61
	v_lshlrev_b64 v[38:39], 1, v[25:26]
	v_add_nc_u32_e32 v30, s33, v25
	v_add_co_u32 v34, vcc_lo, s10, v34
	v_add_co_ci_u32_e32 v35, vcc_lo, s11, v35, vcc_lo
	v_add_co_u32 v40, vcc_lo, s10, v36
	v_add_co_ci_u32_e32 v41, vcc_lo, s11, v37, vcc_lo
	v_lshlrev_b64 v[30:31], 1, v[30:31]
	v_add_co_u32 v37, vcc_lo, s10, v38
	v_add_co_ci_u32_e32 v38, vcc_lo, s11, v39, vcc_lo
	v_add_co_u32 v28, vcc_lo, s10, v28
	v_add_nc_u32_e32 v44, s34, v25
	v_lshlrev_b64 v[32:33], 1, v[32:33]
	v_add_co_ci_u32_e32 v29, vcc_lo, s11, v29, vcc_lo
	v_add_co_u32 v30, vcc_lo, s10, v30
	v_add_co_ci_u32_e32 v31, vcc_lo, s11, v31, vcc_lo
	s_delay_alu instid0(VALU_DEP_4) | instskip(SKIP_4) | instid1(VALU_DEP_1)
	v_add_co_u32 v46, vcc_lo, s10, v32
	v_add_co_ci_u32_e32 v47, vcc_lo, s11, v33, vcc_lo
	v_lshlrev_b64 v[32:33], 1, v[44:45]
	v_add_nc_u32_e32 v44, s34, v27
	v_lshlrev_b64 v[42:43], 1, v[42:43]
	v_add_co_u32 v42, vcc_lo, s10, v42
	s_delay_alu instid0(VALU_DEP_2)
	v_add_co_ci_u32_e32 v43, vcc_lo, s11, v43, vcc_lo
	v_add_co_u32 v48, vcc_lo, s10, v32
	v_add_co_ci_u32_e32 v49, vcc_lo, s11, v33, vcc_lo
	v_lshlrev_b64 v[32:33], 1, v[60:61]
	v_add_nc_u32_e32 v60, s38, v25
	v_lshlrev_b64 v[44:45], 1, v[44:45]
	s_delay_alu instid0(VALU_DEP_1) | instskip(NEXT) | instid1(VALU_DEP_2)
	v_add_co_u32 v25, vcc_lo, s10, v44
	v_add_co_ci_u32_e32 v26, vcc_lo, s11, v45, vcc_lo
	s_delay_alu instid0(VALU_DEP_4) | instskip(SKIP_3) | instid1(VALU_DEP_3)
	v_lshlrev_b64 v[44:45], 1, v[60:61]
	v_add_nc_u32_e32 v60, s38, v27
	v_add_co_u32 v50, vcc_lo, s10, v32
	v_add_co_ci_u32_e32 v51, vcc_lo, s11, v33, vcc_lo
	v_lshlrev_b64 v[32:33], 1, v[60:61]
	v_add_co_u32 v44, vcc_lo, s10, v44
	v_add_co_ci_u32_e32 v45, vcc_lo, s11, v45, vcc_lo
	s_delay_alu instid0(VALU_DEP_3) | instskip(NEXT) | instid1(VALU_DEP_4)
	v_add_co_u32 v52, vcc_lo, s10, v32
	v_add_co_ci_u32_e32 v53, vcc_lo, s11, v33, vcc_lo
	s_clause 0xb
	global_load_u16 v36, v[34:35], off
	global_load_u16 v35, v[37:38], off
	;; [unrolled: 1-line block ×12, first 2 shown]
.LBB121_35:                             ;   in Loop: Header=BB121_12 Depth=1
	v_cmp_ne_u32_e32 vcc_lo, 0, v56
	s_and_saveexec_b32 s2, vcc_lo
	s_cbranch_execnz .LBB121_53
; %bb.36:                               ;   in Loop: Header=BB121_12 Depth=1
	s_or_b32 exec_lo, exec_lo, s2
	v_cmp_ne_u32_e64 s1, 0, v57
	s_delay_alu instid0(VALU_DEP_1)
	s_and_saveexec_b32 s3, s1
	s_cbranch_execnz .LBB121_54
.LBB121_37:                             ;   in Loop: Header=BB121_12 Depth=1
	s_or_b32 exec_lo, exec_lo, s3
	v_cmp_ne_u32_e64 s2, 0, v58
	s_delay_alu instid0(VALU_DEP_1)
	s_and_saveexec_b32 s15, s2
	s_cbranch_execnz .LBB121_55
.LBB121_38:                             ;   in Loop: Header=BB121_12 Depth=1
	s_or_b32 exec_lo, exec_lo, s15
	v_add_nc_u32_e32 v60, s19, v59
	s_and_saveexec_b32 s15, vcc_lo
	s_cbranch_execnz .LBB121_56
.LBB121_39:                             ;   in Loop: Header=BB121_12 Depth=1
	s_or_b32 exec_lo, exec_lo, s15
	s_and_saveexec_b32 s15, s1
	s_cbranch_execnz .LBB121_57
.LBB121_40:                             ;   in Loop: Header=BB121_12 Depth=1
	s_or_b32 exec_lo, exec_lo, s15
	s_and_saveexec_b32 s15, s2
	s_cbranch_execnz .LBB121_58
.LBB121_41:                             ;   in Loop: Header=BB121_12 Depth=1
	s_or_b32 exec_lo, exec_lo, s15
	v_add_nc_u32_e32 v60, s19, v60
	s_and_saveexec_b32 s15, vcc_lo
	s_cbranch_execnz .LBB121_59
.LBB121_42:                             ;   in Loop: Header=BB121_12 Depth=1
	s_or_b32 exec_lo, exec_lo, s15
	s_and_saveexec_b32 s15, s1
	s_cbranch_execnz .LBB121_60
.LBB121_43:                             ;   in Loop: Header=BB121_12 Depth=1
	s_or_b32 exec_lo, exec_lo, s15
	s_and_saveexec_b32 s15, s2
	s_cbranch_execnz .LBB121_61
.LBB121_44:                             ;   in Loop: Header=BB121_12 Depth=1
	s_or_b32 exec_lo, exec_lo, s15
	v_add_nc_u32_e32 v60, s19, v60
	s_and_saveexec_b32 s3, vcc_lo
	s_cbranch_execnz .LBB121_62
.LBB121_45:                             ;   in Loop: Header=BB121_12 Depth=1
	s_or_b32 exec_lo, exec_lo, s3
	s_and_saveexec_b32 s3, s1
	s_cbranch_execnz .LBB121_63
.LBB121_46:                             ;   in Loop: Header=BB121_12 Depth=1
	s_or_b32 exec_lo, exec_lo, s3
	s_delay_alu instid0(SALU_CYCLE_1)
	s_and_b32 exec_lo, exec_lo, s2
	s_cbranch_execz .LBB121_48
.LBB121_47:                             ;   in Loop: Header=BB121_12 Depth=1
	s_waitcnt lgkmcnt(2)
	v_add_f32_e32 v0, v3, v5
	s_waitcnt vmcnt(0)
	v_cvt_f32_f16_e32 v1, v25
	v_add_nc_u32_e32 v60, 2, v60
	s_delay_alu instid0(VALU_DEP_2) | instskip(NEXT) | instid1(VALU_DEP_2)
	v_add_f32_e32 v2, v0, v1
	v_lshlrev_b64 v[0:1], 1, v[60:61]
	s_delay_alu instid0(VALU_DEP_2) | instskip(NEXT) | instid1(VALU_DEP_2)
	v_cvt_f16_f32_e32 v2, v2
	v_add_co_u32 v0, vcc_lo, s12, v0
	s_delay_alu instid0(VALU_DEP_3)
	v_add_co_ci_u32_e32 v1, vcc_lo, s13, v1, vcc_lo
	global_store_b16 v[0:1], v2, off
.LBB121_48:                             ;   in Loop: Header=BB121_12 Depth=1
	s_or_b32 exec_lo, exec_lo, s14
	v_add_nc_u32_e32 v59, s5, v59
	s_delay_alu instid0(VALU_DEP_1) | instskip(SKIP_1) | instid1(VALU_DEP_2)
	v_add_nc_u32_e32 v0, 3, v59
	v_cmp_gt_u32_e32 vcc_lo, s19, v59
	v_cmp_le_u32_e64 s1, s19, v0
	s_delay_alu instid0(VALU_DEP_1) | instskip(NEXT) | instid1(SALU_CYCLE_1)
	s_and_b32 s1, vcc_lo, s1
	s_and_saveexec_b32 s41, s1
	s_cbranch_execz .LBB121_10
; %bb.49:                               ;   in Loop: Header=BB121_12 Depth=1
	s_mov_b32 s42, exec_lo
	v_cmpx_ne_u32_e64 s31, v59
	s_cbranch_execz .LBB121_9
; %bb.50:                               ;   in Loop: Header=BB121_12 Depth=1
	v_subrev_nc_u32_e32 v0, s31, v59
	s_mov_b32 s43, 0
	s_mov_b64 s[14:15], 0
	s_delay_alu instid0(VALU_DEP_1)
	v_cmp_lt_u32_e32 vcc_lo, 1, v0
	v_cndmask_b32_e32 v0, 1, v0, vcc_lo
	.p2align	6
.LBB121_51:                             ;   Parent Loop BB121_12 Depth=1
                                        ; =>  This Inner Loop Header: Depth=2
	s_cmp_lg_u32 s14, 2
	s_cselect_b32 vcc_lo, -1, 0
	s_cmp_lg_u32 s14, 1
	v_cndmask_b32_e32 v58, 0, v58, vcc_lo
	s_cselect_b32 s1, -1, 0
	s_cmp_lg_u32 s14, 0
	v_cndmask_b32_e64 v57, 0, v57, s1
	s_cselect_b32 s2, -1, 0
	s_add_u32 s14, s14, 1
	v_cndmask_b32_e64 v56, 0, v56, s2
	v_cmp_eq_u32_e64 s3, s14, v0
	s_addc_u32 s15, s15, 0
	s_delay_alu instid0(VALU_DEP_1) | instskip(NEXT) | instid1(SALU_CYCLE_1)
	s_or_b32 s43, s3, s43
	s_and_not1_b32 exec_lo, exec_lo, s43
	s_cbranch_execnz .LBB121_51
; %bb.52:                               ;   in Loop: Header=BB121_12 Depth=1
	s_or_b32 exec_lo, exec_lo, s43
	s_branch .LBB121_9
.LBB121_53:                             ;   in Loop: Header=BB121_12 Depth=1
	s_waitcnt lgkmcnt(10)
	v_dual_add_f32 v23, v23, v24 :: v_dual_mov_b32 v60, v61
	s_waitcnt vmcnt(11)
	v_cvt_f32_f16_e32 v24, v36
	s_delay_alu instid0(VALU_DEP_1) | instskip(NEXT) | instid1(VALU_DEP_3)
	v_add_f32_e32 v36, v23, v24
	v_lshlrev_b64 v[23:24], 1, v[59:60]
	s_delay_alu instid0(VALU_DEP_2) | instskip(NEXT) | instid1(VALU_DEP_2)
	v_cvt_f16_f32_e32 v36, v36
	v_add_co_u32 v23, s1, s12, v23
	s_delay_alu instid0(VALU_DEP_1) | instskip(SKIP_3) | instid1(VALU_DEP_1)
	v_add_co_ci_u32_e64 v24, s1, s13, v24, s1
	global_store_b16 v[23:24], v36, off
	s_or_b32 exec_lo, exec_lo, s2
	v_cmp_ne_u32_e64 s1, 0, v57
	s_and_saveexec_b32 s3, s1
	s_cbranch_execz .LBB121_37
.LBB121_54:                             ;   in Loop: Header=BB121_12 Depth=1
	v_mov_b32_e32 v60, v61
	s_waitcnt lgkmcnt(11)
	v_add_f32_e32 v1, v1, v18
	s_waitcnt vmcnt(10)
	v_cvt_f32_f16_e32 v18, v35
	s_waitcnt lgkmcnt(10)
	v_lshlrev_b64 v[23:24], 1, v[59:60]
	s_delay_alu instid0(VALU_DEP_2) | instskip(NEXT) | instid1(VALU_DEP_2)
	v_add_f32_e32 v1, v1, v18
	v_add_co_u32 v23, s2, s35, v23
	s_delay_alu instid0(VALU_DEP_2) | instskip(NEXT) | instid1(VALU_DEP_4)
	v_cvt_f16_f32_e32 v1, v1
	v_add_co_ci_u32_e64 v24, s2, s36, v24, s2
	global_store_b16 v[23:24], v1, off
	s_or_b32 exec_lo, exec_lo, s3
	v_cmp_ne_u32_e64 s2, 0, v58
	s_delay_alu instid0(VALU_DEP_1)
	s_and_saveexec_b32 s15, s2
	s_cbranch_execz .LBB121_38
.LBB121_55:                             ;   in Loop: Header=BB121_12 Depth=1
	s_waitcnt lgkmcnt(9)
	v_dual_add_f32 v18, v19, v21 :: v_dual_mov_b32 v1, v61
	s_waitcnt vmcnt(9)
	v_cvt_f32_f16_e32 v19, v34
	s_delay_alu instid0(VALU_DEP_2) | instskip(NEXT) | instid1(VALU_DEP_2)
	v_lshlrev_b64 v[0:1], 1, v[0:1]
	v_add_f32_e32 v18, v18, v19
	s_delay_alu instid0(VALU_DEP_1) | instskip(NEXT) | instid1(VALU_DEP_3)
	v_cvt_f16_f32_e32 v18, v18
	v_add_co_u32 v0, s3, s12, v0
	s_delay_alu instid0(VALU_DEP_1)
	v_add_co_ci_u32_e64 v1, s3, s13, v1, s3
	global_store_b16 v[0:1], v18, off
	s_or_b32 exec_lo, exec_lo, s15
	v_add_nc_u32_e32 v60, s19, v59
	s_and_saveexec_b32 s15, vcc_lo
	s_cbranch_execz .LBB121_39
.LBB121_56:                             ;   in Loop: Header=BB121_12 Depth=1
	s_waitcnt lgkmcnt(8)
	v_add_f32_e32 v0, v14, v16
	s_waitcnt vmcnt(8)
	v_cvt_f32_f16_e32 v1, v33
	s_delay_alu instid0(VALU_DEP_1) | instskip(SKIP_1) | instid1(VALU_DEP_2)
	v_add_f32_e32 v14, v0, v1
	v_lshlrev_b64 v[0:1], 1, v[60:61]
	v_cvt_f16_f32_e32 v14, v14
	s_delay_alu instid0(VALU_DEP_2) | instskip(NEXT) | instid1(VALU_DEP_1)
	v_add_co_u32 v0, s3, s12, v0
	v_add_co_ci_u32_e64 v1, s3, s13, v1, s3
	global_store_b16 v[0:1], v14, off
	s_or_b32 exec_lo, exec_lo, s15
	s_and_saveexec_b32 s15, s1
	s_cbranch_execz .LBB121_40
.LBB121_57:                             ;   in Loop: Header=BB121_12 Depth=1
	s_waitcnt lgkmcnt(7)
	v_dual_add_f32 v11, v11, v13 :: v_dual_add_nc_u32 v0, 1, v60
	v_mov_b32_e32 v1, v61
	s_waitcnt vmcnt(7)
	v_cvt_f32_f16_e32 v13, v32
	s_delay_alu instid0(VALU_DEP_2) | instskip(NEXT) | instid1(VALU_DEP_2)
	v_lshlrev_b64 v[0:1], 1, v[0:1]
	v_add_f32_e32 v11, v11, v13
	s_delay_alu instid0(VALU_DEP_1) | instskip(NEXT) | instid1(VALU_DEP_3)
	v_cvt_f16_f32_e32 v11, v11
	v_add_co_u32 v0, s3, s12, v0
	s_delay_alu instid0(VALU_DEP_1)
	v_add_co_ci_u32_e64 v1, s3, s13, v1, s3
	global_store_b16 v[0:1], v11, off
	s_or_b32 exec_lo, exec_lo, s15
	s_and_saveexec_b32 s15, s2
	s_cbranch_execz .LBB121_41
.LBB121_58:                             ;   in Loop: Header=BB121_12 Depth=1
	s_waitcnt lgkmcnt(6)
	v_dual_add_f32 v6, v6, v8 :: v_dual_mov_b32 v1, v61
	v_add_nc_u32_e32 v0, 2, v60
	s_waitcnt vmcnt(6)
	v_cvt_f32_f16_e32 v8, v31
	s_delay_alu instid0(VALU_DEP_2) | instskip(NEXT) | instid1(VALU_DEP_2)
	v_lshlrev_b64 v[0:1], 1, v[0:1]
	v_add_f32_e32 v6, v6, v8
	s_delay_alu instid0(VALU_DEP_1) | instskip(NEXT) | instid1(VALU_DEP_3)
	v_cvt_f16_f32_e32 v6, v6
	v_add_co_u32 v0, s3, s12, v0
	s_delay_alu instid0(VALU_DEP_1)
	v_add_co_ci_u32_e64 v1, s3, s13, v1, s3
	global_store_b16 v[0:1], v6, off
	s_or_b32 exec_lo, exec_lo, s15
	v_add_nc_u32_e32 v60, s19, v60
	s_and_saveexec_b32 s15, vcc_lo
	s_cbranch_execz .LBB121_42
.LBB121_59:                             ;   in Loop: Header=BB121_12 Depth=1
	s_waitcnt lgkmcnt(5)
	v_add_f32_e32 v0, v2, v4
	s_waitcnt vmcnt(5)
	v_cvt_f32_f16_e32 v1, v30
	s_delay_alu instid0(VALU_DEP_1) | instskip(SKIP_1) | instid1(VALU_DEP_2)
	v_add_f32_e32 v2, v0, v1
	v_lshlrev_b64 v[0:1], 1, v[60:61]
	v_cvt_f16_f32_e32 v2, v2
	s_delay_alu instid0(VALU_DEP_2) | instskip(NEXT) | instid1(VALU_DEP_1)
	v_add_co_u32 v0, s3, s12, v0
	v_add_co_ci_u32_e64 v1, s3, s13, v1, s3
	global_store_b16 v[0:1], v2, off
	s_or_b32 exec_lo, exec_lo, s15
	s_and_saveexec_b32 s15, s1
	s_cbranch_execz .LBB121_43
.LBB121_60:                             ;   in Loop: Header=BB121_12 Depth=1
	s_waitcnt lgkmcnt(4)
	v_dual_add_f32 v2, v20, v22 :: v_dual_mov_b32 v1, v61
	v_add_nc_u32_e32 v0, 1, v60
	s_waitcnt vmcnt(4)
	v_cvt_f32_f16_e32 v4, v29
	s_delay_alu instid0(VALU_DEP_2) | instskip(NEXT) | instid1(VALU_DEP_2)
	v_lshlrev_b64 v[0:1], 1, v[0:1]
	v_add_f32_e32 v2, v2, v4
	s_delay_alu instid0(VALU_DEP_1) | instskip(NEXT) | instid1(VALU_DEP_3)
	v_cvt_f16_f32_e32 v2, v2
	v_add_co_u32 v0, s3, s12, v0
	s_delay_alu instid0(VALU_DEP_1)
	v_add_co_ci_u32_e64 v1, s3, s13, v1, s3
	global_store_b16 v[0:1], v2, off
	s_or_b32 exec_lo, exec_lo, s15
	s_and_saveexec_b32 s15, s2
	s_cbranch_execz .LBB121_44
.LBB121_61:                             ;   in Loop: Header=BB121_12 Depth=1
	s_waitcnt lgkmcnt(1)
	v_dual_add_f32 v2, v15, v17 :: v_dual_mov_b32 v1, v61
	v_add_nc_u32_e32 v0, 2, v60
	s_waitcnt vmcnt(3)
	v_cvt_f32_f16_e32 v4, v28
	s_delay_alu instid0(VALU_DEP_2) | instskip(NEXT) | instid1(VALU_DEP_2)
	v_lshlrev_b64 v[0:1], 1, v[0:1]
	v_add_f32_e32 v2, v2, v4
	s_delay_alu instid0(VALU_DEP_1) | instskip(NEXT) | instid1(VALU_DEP_3)
	v_cvt_f16_f32_e32 v2, v2
	v_add_co_u32 v0, s3, s12, v0
	s_delay_alu instid0(VALU_DEP_1)
	v_add_co_ci_u32_e64 v1, s3, s13, v1, s3
	global_store_b16 v[0:1], v2, off
	s_or_b32 exec_lo, exec_lo, s15
	v_add_nc_u32_e32 v60, s19, v60
	s_and_saveexec_b32 s3, vcc_lo
	s_cbranch_execz .LBB121_45
.LBB121_62:                             ;   in Loop: Header=BB121_12 Depth=1
	s_waitcnt lgkmcnt(3)
	v_add_f32_e32 v0, v10, v12
	s_waitcnt vmcnt(2)
	v_cvt_f32_f16_e32 v1, v27
	s_delay_alu instid0(VALU_DEP_1) | instskip(SKIP_1) | instid1(VALU_DEP_2)
	v_add_f32_e32 v2, v0, v1
	v_lshlrev_b64 v[0:1], 1, v[60:61]
	v_cvt_f16_f32_e32 v2, v2
	s_delay_alu instid0(VALU_DEP_2) | instskip(NEXT) | instid1(VALU_DEP_3)
	v_add_co_u32 v0, vcc_lo, s12, v0
	v_add_co_ci_u32_e32 v1, vcc_lo, s13, v1, vcc_lo
	global_store_b16 v[0:1], v2, off
	s_or_b32 exec_lo, exec_lo, s3
	s_and_saveexec_b32 s3, s1
	s_cbranch_execz .LBB121_46
.LBB121_63:                             ;   in Loop: Header=BB121_12 Depth=1
	s_waitcnt lgkmcnt(0)
	v_dual_add_f32 v2, v7, v9 :: v_dual_mov_b32 v1, v61
	v_add_nc_u32_e32 v0, 1, v60
	s_waitcnt vmcnt(1)
	v_cvt_f32_f16_e32 v4, v26
	s_delay_alu instid0(VALU_DEP_2) | instskip(NEXT) | instid1(VALU_DEP_2)
	v_lshlrev_b64 v[0:1], 1, v[0:1]
	v_add_f32_e32 v2, v2, v4
	s_delay_alu instid0(VALU_DEP_1) | instskip(NEXT) | instid1(VALU_DEP_3)
	v_cvt_f16_f32_e32 v2, v2
	v_add_co_u32 v0, vcc_lo, s12, v0
	s_delay_alu instid0(VALU_DEP_4) | instskip(SKIP_2) | instid1(SALU_CYCLE_1)
	v_add_co_ci_u32_e32 v1, vcc_lo, s13, v1, vcc_lo
	global_store_b16 v[0:1], v2, off
	s_or_b32 exec_lo, exec_lo, s3
	s_and_b32 exec_lo, exec_lo, s2
	s_cbranch_execnz .LBB121_47
	s_branch .LBB121_48
.LBB121_64:
	s_nop 0
	s_sendmsg sendmsg(MSG_DEALLOC_VGPRS)
	s_endpgm
	.section	.rodata,"a",@progbits
	.p2align	6, 0x0
	.amdhsa_kernel _Z16wvSplitK_hf_big_I6__halfLi64ELi3ELi16ELi8ELi2ELi4EEviiiiiiPKT_S3_S3_PS1_ii
		.amdhsa_group_segment_fixed_size 65536
		.amdhsa_private_segment_fixed_size 0
		.amdhsa_kernarg_size 64
		.amdhsa_user_sgpr_count 15
		.amdhsa_user_sgpr_dispatch_ptr 0
		.amdhsa_user_sgpr_queue_ptr 0
		.amdhsa_user_sgpr_kernarg_segment_ptr 1
		.amdhsa_user_sgpr_dispatch_id 0
		.amdhsa_user_sgpr_private_segment_size 0
		.amdhsa_wavefront_size32 1
		.amdhsa_uses_dynamic_stack 0
		.amdhsa_enable_private_segment 0
		.amdhsa_system_sgpr_workgroup_id_x 1
		.amdhsa_system_sgpr_workgroup_id_y 0
		.amdhsa_system_sgpr_workgroup_id_z 0
		.amdhsa_system_sgpr_workgroup_info 0
		.amdhsa_system_vgpr_workitem_id 1
		.amdhsa_next_free_vgpr 92
		.amdhsa_next_free_sgpr 44
		.amdhsa_reserve_vcc 1
		.amdhsa_float_round_mode_32 0
		.amdhsa_float_round_mode_16_64 0
		.amdhsa_float_denorm_mode_32 3
		.amdhsa_float_denorm_mode_16_64 3
		.amdhsa_dx10_clamp 1
		.amdhsa_ieee_mode 1
		.amdhsa_fp16_overflow 0
		.amdhsa_workgroup_processor_mode 1
		.amdhsa_memory_ordered 1
		.amdhsa_forward_progress 0
		.amdhsa_shared_vgpr_count 0
		.amdhsa_exception_fp_ieee_invalid_op 0
		.amdhsa_exception_fp_denorm_src 0
		.amdhsa_exception_fp_ieee_div_zero 0
		.amdhsa_exception_fp_ieee_overflow 0
		.amdhsa_exception_fp_ieee_underflow 0
		.amdhsa_exception_fp_ieee_inexact 0
		.amdhsa_exception_int_div_zero 0
	.end_amdhsa_kernel
	.section	.text._Z16wvSplitK_hf_big_I6__halfLi64ELi3ELi16ELi8ELi2ELi4EEviiiiiiPKT_S3_S3_PS1_ii,"axG",@progbits,_Z16wvSplitK_hf_big_I6__halfLi64ELi3ELi16ELi8ELi2ELi4EEviiiiiiPKT_S3_S3_PS1_ii,comdat
.Lfunc_end121:
	.size	_Z16wvSplitK_hf_big_I6__halfLi64ELi3ELi16ELi8ELi2ELi4EEviiiiiiPKT_S3_S3_PS1_ii, .Lfunc_end121-_Z16wvSplitK_hf_big_I6__halfLi64ELi3ELi16ELi8ELi2ELi4EEviiiiiiPKT_S3_S3_PS1_ii
                                        ; -- End function
	.section	.AMDGPU.csdata,"",@progbits
; Kernel info:
; codeLenInByte = 7144
; NumSgprs: 46
; NumVgprs: 92
; ScratchSize: 0
; MemoryBound: 0
; FloatMode: 240
; IeeeMode: 1
; LDSByteSize: 65536 bytes/workgroup (compile time only)
; SGPRBlocks: 5
; VGPRBlocks: 11
; NumSGPRsForWavesPerEU: 46
; NumVGPRsForWavesPerEU: 92
; Occupancy: 16
; WaveLimiterHint : 0
; COMPUTE_PGM_RSRC2:SCRATCH_EN: 0
; COMPUTE_PGM_RSRC2:USER_SGPR: 15
; COMPUTE_PGM_RSRC2:TRAP_HANDLER: 0
; COMPUTE_PGM_RSRC2:TGID_X_EN: 1
; COMPUTE_PGM_RSRC2:TGID_Y_EN: 0
; COMPUTE_PGM_RSRC2:TGID_Z_EN: 0
; COMPUTE_PGM_RSRC2:TIDIG_COMP_CNT: 1
	.section	.text._Z16wvSplitK_hf_sml_I6__halfLi64ELi4ELi16ELi8ELi1ELi4EEviiiiiiPKT_S3_S3_PS1_ii,"axG",@progbits,_Z16wvSplitK_hf_sml_I6__halfLi64ELi4ELi16ELi8ELi1ELi4EEviiiiiiPKT_S3_S3_PS1_ii,comdat
	.protected	_Z16wvSplitK_hf_sml_I6__halfLi64ELi4ELi16ELi8ELi1ELi4EEviiiiiiPKT_S3_S3_PS1_ii ; -- Begin function _Z16wvSplitK_hf_sml_I6__halfLi64ELi4ELi16ELi8ELi1ELi4EEviiiiiiPKT_S3_S3_PS1_ii
	.globl	_Z16wvSplitK_hf_sml_I6__halfLi64ELi4ELi16ELi8ELi1ELi4EEviiiiiiPKT_S3_S3_PS1_ii
	.p2align	8
	.type	_Z16wvSplitK_hf_sml_I6__halfLi64ELi4ELi16ELi8ELi1ELi4EEviiiiiiPKT_S3_S3_PS1_ii,@function
_Z16wvSplitK_hf_sml_I6__halfLi64ELi4ELi16ELi8ELi1ELi4EEviiiiiiPKT_S3_S3_PS1_ii: ; @_Z16wvSplitK_hf_sml_I6__halfLi64ELi4ELi16ELi8ELi1ELi4EEviiiiiiPKT_S3_S3_PS1_ii
; %bb.0:
	s_clause 0x2
	s_load_b128 s[4:7], s[0:1], 0x0
	s_load_b64 s[8:9], s[0:1], 0x10
	s_load_b64 s[10:11], s[0:1], 0x28
	v_and_b32_e32 v2, 0x3ff, v0
	v_bfe_u32 v3, v0, 10, 10
	s_mov_b32 s12, exec_lo
	s_delay_alu instid0(VALU_DEP_2) | instskip(NEXT) | instid1(VALU_DEP_1)
	v_lshlrev_b32_e32 v43, 3, v2
	v_lshl_add_u32 v4, v3, 9, v43
	s_waitcnt lgkmcnt(0)
	s_lshl_b32 s14, s6, 2
	s_delay_alu instid0(SALU_CYCLE_1)
	s_min_u32 s3, s14, 0x8000
	s_delay_alu instid0(VALU_DEP_1) | instid1(SALU_CYCLE_1)
	v_cmpx_gt_u32_e64 s3, v4
	s_cbranch_execz .LBB122_3
; %bb.1:
	s_load_b64 s[16:17], s[0:1], 0x20
	v_lshlrev_b32_e32 v5, 10, v3
	v_lshlrev_b32_e32 v6, 4, v2
	s_mov_b32 s13, 0
	s_delay_alu instid0(VALU_DEP_1) | instskip(NEXT) | instid1(VALU_DEP_1)
	v_add_co_u32 v0, s2, v5, v6
	v_add_co_ci_u32_e64 v1, null, 0, 0, s2
	v_add_nc_u32_e32 v5, v5, v6
	s_waitcnt lgkmcnt(0)
	s_delay_alu instid0(VALU_DEP_3) | instskip(NEXT) | instid1(VALU_DEP_3)
	v_add_co_u32 v0, vcc_lo, s16, v0
	v_add_co_ci_u32_e32 v1, vcc_lo, s17, v1, vcc_lo
	.p2align	6
.LBB122_2:                              ; =>This Inner Loop Header: Depth=1
	global_load_b128 v[6:9], v[0:1], off
	v_add_nc_u32_e32 v4, 0x2000, v4
	v_add_co_u32 v0, vcc_lo, 0x4000, v0
	v_add_co_ci_u32_e32 v1, vcc_lo, 0, v1, vcc_lo
	s_delay_alu instid0(VALU_DEP_3) | instskip(NEXT) | instid1(VALU_DEP_1)
	v_cmp_le_u32_e64 s2, s3, v4
	s_or_b32 s13, s2, s13
	s_waitcnt vmcnt(0)
	ds_store_b128 v5, v[6:9]
	v_add_nc_u32_e32 v5, 0x4000, v5
	s_and_not1_b32 exec_lo, exec_lo, s13
	s_cbranch_execnz .LBB122_2
.LBB122_3:
	s_or_b32 exec_lo, exec_lo, s12
	s_load_b64 s[16:17], s[0:1], 0x38
	s_waitcnt lgkmcnt(0)
	s_barrier
	buffer_gl0_inv
	s_mov_b32 s2, exec_lo
	v_cmpx_gt_u32_e64 s16, v3
	s_cbranch_execz .LBB122_18
; %bb.4:
	s_mul_i32 s15, s15, s16
	s_delay_alu instid0(SALU_CYCLE_1) | instskip(NEXT) | instid1(VALU_DEP_1)
	v_add_lshl_u32 v28, s15, v3, 2
	v_cmp_gt_u32_e32 vcc_lo, s7, v28
	s_and_b32 exec_lo, exec_lo, vcc_lo
	s_cbranch_execz .LBB122_18
; %bb.5:
	s_cmp_lg_u32 s4, 0
	v_cvt_f32_u32_e32 v1, s8
	s_cselect_b32 s15, -1, 0
	s_add_i32 s18, s4, -8
	s_add_i32 s19, s7, -1
	s_cmp_lg_u64 s[10:11], 0
	v_rcp_iflag_f32_e32 v1, v1
	s_cselect_b32 s20, -1, 0
	s_abs_i32 s21, s9
	s_clause 0x1
	s_load_b64 s[2:3], s[0:1], 0x18
	s_load_b64 s[12:13], s[0:1], 0x30
	v_cvt_f32_u32_e32 v0, s21
	s_mul_i32 s0, s16, s17
	s_sub_i32 s17, 0, s8
	s_lshl_b32 s9, s0, 2
	s_sub_i32 s0, 0, s21
	v_rcp_iflag_f32_e32 v0, v0
	s_sub_i32 s22, 1, s21
	v_mov_b32_e32 v30, 0
	v_lshlrev_b32_e32 v44, 4, v2
	v_mbcnt_lo_u32_b32 v45, -1, 0
	s_mov_b32 s1, 0
	s_waitcnt_depctr 0xfff
	v_mul_f32_e32 v0, 0x4f7ffffe, v0
	s_delay_alu instid0(VALU_DEP_1) | instskip(NEXT) | instid1(VALU_DEP_1)
	v_cvt_u32_f32_e32 v0, v0
	v_readfirstlane_b32 s16, v0
	v_mul_f32_e32 v0, 0x4f7ffffe, v1
	s_delay_alu instid0(VALU_DEP_2) | instskip(NEXT) | instid1(VALU_DEP_1)
	s_mul_i32 s0, s0, s16
	v_cvt_u32_f32_e32 v0, v0
	s_mul_hi_u32 s0, s16, s0
	s_delay_alu instid0(SALU_CYCLE_1) | instskip(SKIP_1) | instid1(VALU_DEP_1)
	s_add_i32 s23, s16, s0
	s_cmp_lt_u32 s21, 2
	v_mul_lo_u32 v1, s17, v0
	s_cselect_b32 s16, s22, 1
	v_cmp_eq_u32_e64 s0, 63, v2
	s_sub_i32 s22, s16, s21
	s_cmp_ge_u32 s16, s21
	s_cselect_b32 s17, s22, s16
	s_lshr_b32 s16, s23, 31
	s_mul_hi_u32 s23, s23, 3
	s_mul_i32 s22, s16, s21
	s_mul_i32 s23, s23, s21
	s_sub_i32 s22, 2, s22
	v_mul_hi_u32 v1, v0, v1
	s_sub_i32 s24, s22, s21
	s_cmp_ge_u32 s22, s21
	s_mul_i32 s16, s6, 6
	s_cselect_b32 s22, s24, s22
	s_mul_i32 s17, s17, s8
	s_sub_i32 s24, s22, s21
	s_cmp_ge_u32 s22, s21
	v_add_nc_u32_e32 v46, v0, v1
	s_cselect_b32 s22, s24, s22
	s_sub_i32 s23, 3, s23
	s_delay_alu instid0(SALU_CYCLE_1) | instskip(SKIP_2) | instid1(SALU_CYCLE_1)
	s_sub_i32 s24, s23, s21
	s_cmp_ge_u32 s23, s21
	s_cselect_b32 s23, s24, s23
	s_sub_i32 s24, s23, s21
	s_cmp_ge_u32 s23, s21
	s_mul_i32 s21, s22, s8
	s_cselect_b32 s23, s24, s23
	s_lshl_b32 s6, s6, 1
	s_mul_i32 s22, s23, s8
	s_branch .LBB122_8
.LBB122_6:                              ;   in Loop: Header=BB122_8 Depth=1
	s_waitcnt lgkmcnt(0)
	v_dual_add_f32 v0, v0, v1 :: v_dual_add_f32 v1, v2, v7
	s_waitcnt vmcnt(15)
	v_cvt_f32_f16_e32 v7, v54
	v_dual_add_f32 v2, v3, v8 :: v_dual_add_f32 v3, v4, v9
	v_dual_add_f32 v4, v5, v10 :: v_dual_add_f32 v5, v6, v11
	;; [unrolled: 1-line block ×4, first 2 shown]
	v_add_f32_e32 v10, v15, v20
	s_waitcnt vmcnt(14)
	v_cvt_f32_f16_e32 v15, v53
	s_waitcnt vmcnt(13)
	v_cvt_f32_f16_e32 v16, v52
	;; [unrolled: 2-line block ×3, first 2 shown]
	v_add_f32_e32 v0, v0, v7
	v_dual_add_f32 v12, v27, v33 :: v_dual_add_f32 v7, v1, v15
	s_delay_alu instid0(VALU_DEP_3) | instskip(NEXT) | instid1(VALU_DEP_3)
	v_dual_add_f32 v2, v2, v16 :: v_dual_add_f32 v3, v3, v17
	v_cvt_f16_f32_e32 v15, v0
	v_lshlrev_b64 v[0:1], 1, v[28:29]
	s_delay_alu instid0(VALU_DEP_4) | instskip(NEXT) | instid1(VALU_DEP_4)
	v_cvt_f16_f32_e32 v7, v7
	v_cvt_f16_f32_e32 v2, v2
	;; [unrolled: 1-line block ×3, first 2 shown]
	s_waitcnt vmcnt(11)
	v_cvt_f32_f16_e32 v16, v49
	v_add_nc_u32_e32 v29, s7, v28
	v_add_co_u32 v0, vcc_lo, s12, v0
	v_add_co_ci_u32_e32 v1, vcc_lo, s13, v1, vcc_lo
	v_pack_b32_f16 v3, v2, v3
	v_pack_b32_f16 v2, v15, v7
	s_waitcnt vmcnt(10)
	v_cvt_f32_f16_e32 v7, v42
	v_add_f32_e32 v4, v4, v16
	s_waitcnt vmcnt(9)
	v_cvt_f32_f16_e32 v17, v40
	s_waitcnt vmcnt(8)
	v_cvt_f32_f16_e32 v20, v38
	global_store_b64 v[0:1], v[2:3], off
	v_dual_mov_b32 v3, v30 :: v_dual_add_nc_u32 v2, 1, v29
	v_add_f32_e32 v7, v5, v7
	v_mov_b32_e32 v5, v30
	v_lshlrev_b64 v[0:1], 1, v[29:30]
	v_cvt_f16_f32_e32 v16, v4
	v_add_nc_u32_e32 v4, 2, v29
	v_lshlrev_b64 v[2:3], 1, v[2:3]
	v_cvt_f16_f32_e32 v19, v7
	v_mov_b32_e32 v7, v30
	v_dual_add_f32 v17, v6, v17 :: v_dual_add_f32 v8, v8, v20
	s_waitcnt vmcnt(7)
	v_cvt_f32_f16_e32 v20, v50
	v_add_nc_u32_e32 v6, 3, v29
	v_add_co_u32 v0, vcc_lo, s12, v0
	v_lshlrev_b64 v[4:5], 1, v[4:5]
	s_delay_alu instid0(VALU_DEP_4)
	v_add_f32_e32 v9, v9, v20
	v_add_co_ci_u32_e32 v1, vcc_lo, s13, v1, vcc_lo
	v_add_co_u32 v2, vcc_lo, s12, v2
	v_lshlrev_b64 v[6:7], 1, v[6:7]
	v_add_co_ci_u32_e32 v3, vcc_lo, s13, v3, vcc_lo
	s_waitcnt vmcnt(6)
	v_cvt_f32_f16_e32 v21, v48
	v_add_co_u32 v4, vcc_lo, s12, v4
	v_add_co_ci_u32_e32 v5, vcc_lo, s13, v5, vcc_lo
	s_waitcnt vmcnt(5)
	v_cvt_f32_f16_e32 v20, v47
	v_add_co_u32 v6, vcc_lo, s12, v6
	v_cvt_f16_f32_e32 v17, v17
	v_add_f32_e32 v10, v10, v21
	v_cvt_f16_f32_e32 v8, v8
	v_add_co_ci_u32_e32 v7, vcc_lo, s13, v7, vcc_lo
	v_add_nc_u32_e32 v29, s7, v29
	s_clause 0x3
	global_store_b16 v[0:1], v16, off
	global_store_b16 v[2:3], v19, off
	;; [unrolled: 1-line block ×4, first 2 shown]
	v_add_f32_e32 v6, v11, v20
	s_waitcnt vmcnt(4)
	v_cvt_f32_f16_e32 v7, v41
	v_cvt_f16_f32_e32 v4, v9
	v_cvt_f16_f32_e32 v5, v10
	v_dual_mov_b32 v3, v30 :: v_dual_add_nc_u32 v2, 2, v29
	v_dual_add_f32 v13, v31, v34 :: v_dual_add_f32 v14, v26, v32
	v_cvt_f16_f32_e32 v17, v6
	v_add_f32_e32 v6, v12, v7
	s_waitcnt vmcnt(3)
	v_cvt_f32_f16_e32 v7, v39
	v_lshlrev_b64 v[0:1], 1, v[29:30]
	v_pack_b32_f16 v16, v4, v5
	v_dual_mov_b32 v5, v30 :: v_dual_add_nc_u32 v4, 3, v29
	v_mov_b32_e32 v9, v30
	v_add_nc_u32_e32 v29, s7, v29
	s_waitcnt vmcnt(2)
	v_cvt_f32_f16_e32 v8, v37
	v_lshlrev_b64 v[2:3], 1, v[2:3]
	v_cvt_f16_f32_e32 v19, v6
	v_add_f32_e32 v6, v13, v7
	v_add_co_u32 v0, vcc_lo, s12, v0
	v_lshlrev_b64 v[4:5], 1, v[4:5]
	v_add_f32_e32 v12, v14, v8
	v_dual_mov_b32 v11, v30 :: v_dual_add_nc_u32 v8, 1, v29
	v_dual_add_f32 v18, v24, v25 :: v_dual_add_f32 v15, v22, v23
	v_add_co_ci_u32_e32 v1, vcc_lo, s13, v1, vcc_lo
	s_waitcnt vmcnt(1)
	v_cvt_f32_f16_e32 v13, v36
	v_add_co_u32 v2, vcc_lo, s12, v2
	v_cvt_f16_f32_e32 v20, v6
	v_lshlrev_b64 v[6:7], 1, v[29:30]
	v_add_nc_u32_e32 v10, 2, v29
	v_add_co_ci_u32_e32 v3, vcc_lo, s13, v3, vcc_lo
	v_add_co_u32 v4, vcc_lo, s12, v4
	v_lshlrev_b64 v[8:9], 1, v[8:9]
	v_add_nc_u32_e32 v29, 3, v29
	v_cvt_f16_f32_e32 v14, v12
	v_add_f32_e32 v12, v18, v13
	s_waitcnt vmcnt(0)
	v_cvt_f32_f16_e32 v13, v35
	v_add_co_ci_u32_e32 v5, vcc_lo, s13, v5, vcc_lo
	v_add_co_u32 v6, vcc_lo, s12, v6
	v_lshlrev_b64 v[10:11], 1, v[10:11]
	v_add_co_ci_u32_e32 v7, vcc_lo, s13, v7, vcc_lo
	v_add_co_u32 v8, vcc_lo, s12, v8
	v_cvt_f16_f32_e32 v18, v12
	v_add_f32_e32 v15, v15, v13
	v_lshlrev_b64 v[12:13], 1, v[29:30]
	v_add_co_ci_u32_e32 v9, vcc_lo, s13, v9, vcc_lo
	v_add_co_u32 v10, vcc_lo, s12, v10
	v_add_co_ci_u32_e32 v11, vcc_lo, s13, v11, vcc_lo
	s_delay_alu instid0(VALU_DEP_4)
	v_add_co_u32 v12, vcc_lo, s12, v12
	v_cvt_f16_f32_e32 v15, v15
	v_add_co_ci_u32_e32 v13, vcc_lo, s13, v13, vcc_lo
	s_clause 0x6
	global_store_b32 v[0:1], v16, off
	global_store_b16 v[2:3], v17, off
	global_store_b16 v[4:5], v19, off
	;; [unrolled: 1-line block ×6, first 2 shown]
.LBB122_7:                              ;   in Loop: Header=BB122_8 Depth=1
	s_or_b32 exec_lo, exec_lo, s23
	v_add_nc_u32_e32 v28, s9, v28
	s_delay_alu instid0(VALU_DEP_1) | instskip(SKIP_1) | instid1(SALU_CYCLE_1)
	v_cmp_le_u32_e32 vcc_lo, s7, v28
	s_or_b32 s1, vcc_lo, s1
	s_and_not1_b32 exec_lo, exec_lo, s1
	s_cbranch_execz .LBB122_18
.LBB122_8:                              ; =>This Loop Header: Depth=1
                                        ;     Child Loop BB122_11 Depth 2
	v_mov_b32_e32 v62, v30
	v_mov_b32_e32 v61, v30
	;; [unrolled: 1-line block ×16, first 2 shown]
	s_and_not1_b32 vcc_lo, exec_lo, s15
	s_cbranch_vccnz .LBB122_13
; %bb.9:                                ;   in Loop: Header=BB122_8 Depth=1
	v_or_b32_e32 v0, 1, v28
	s_waitcnt lgkmcnt(0)
	v_or_b32_e32 v1, 2, v28
	v_or_b32_e32 v2, 3, v28
	v_min_u32_e32 v3, s19, v28
	v_dual_mov_b32 v5, v30 :: v_dual_mov_b32 v54, 0
	v_min_u32_e32 v0, s19, v0
	v_min_u32_e32 v1, s19, v1
	;; [unrolled: 1-line block ×3, first 2 shown]
	v_mul_lo_u32 v29, v3, s5
	v_dual_mov_b32 v3, v30 :: v_dual_mov_b32 v56, 0
	v_mul_lo_u32 v0, v0, s5
	v_mul_lo_u32 v2, v1, s5
	;; [unrolled: 1-line block ×3, first 2 shown]
	v_dual_mov_b32 v1, v30 :: v_dual_mov_b32 v58, 0
	v_lshlrev_b64 v[31:32], 1, v[29:30]
	v_dual_mov_b32 v57, 0 :: v_dual_mov_b32 v52, 0
	s_delay_alu instid0(VALU_DEP_3)
	v_lshlrev_b64 v[33:34], 1, v[0:1]
	v_lshlrev_b64 v[35:36], 1, v[2:3]
	;; [unrolled: 1-line block ×3, first 2 shown]
	v_dual_mov_b32 v63, v44 :: v_dual_mov_b32 v50, 0
	v_dual_mov_b32 v55, 0 :: v_dual_mov_b32 v48, 0
	;; [unrolled: 1-line block ×4, first 2 shown]
	v_mov_b32_e32 v49, 0
	v_mov_b32_e32 v47, 0
	;; [unrolled: 1-line block ×4, first 2 shown]
	s_mov_b32 s23, 0
	s_branch .LBB122_11
.LBB122_10:                             ;   in Loop: Header=BB122_11 Depth=2
	s_or_b32 exec_lo, exec_lo, s24
	v_add_nc_u32_e32 v63, 0x400, v63
	s_addk_i32 s23, 0x200
	s_waitcnt vmcnt(3) lgkmcnt(4)
	;;#ASMSTART
	v_dot2_f32_f16 v62, v24, v12, v62
	;;#ASMEND
	s_waitcnt vmcnt(2)
	;;#ASMSTART
	v_dot2_f32_f16 v61, v24, v8, v61
	;;#ASMEND
	s_waitcnt vmcnt(1)
	;; [unrolled: 4-line block ×3, first 2 shown]
	;;#ASMSTART
	v_dot2_f32_f16 v59, v24, v0, v59
	;;#ASMEND
	s_waitcnt lgkmcnt(3)
	;;#ASMSTART
	v_dot2_f32_f16 v57, v20, v12, v57
	;;#ASMEND
	;;#ASMSTART
	v_dot2_f32_f16 v58, v20, v8, v58
	;;#ASMEND
	;;#ASMSTART
	v_dot2_f32_f16 v56, v20, v4, v56
	;;#ASMEND
	;;#ASMSTART
	v_dot2_f32_f16 v55, v20, v0, v55
	;;#ASMEND
	s_waitcnt lgkmcnt(2)
	;;#ASMSTART
	v_dot2_f32_f16 v54, v41, v12, v54
	;;#ASMEND
	;;#ASMSTART
	v_dot2_f32_f16 v53, v41, v8, v53
	;;#ASMEND
	;;#ASMSTART
	v_dot2_f32_f16 v52, v41, v4, v52
	;;#ASMEND
	;; [unrolled: 13-line block ×3, first 2 shown]
	;;#ASMSTART
	v_dot2_f32_f16 v47, v16, v0, v47
	;;#ASMEND
	;;#ASMSTART
	v_dot2_f32_f16 v62, v25, v13, v62
	;;#ASMEND
	;; [unrolled: 3-line block ×17, first 2 shown]
	s_cmp_ge_u32 s23, s4
	;;#ASMSTART
	v_dot2_f32_f16 v62, v26, v14, v62
	;;#ASMEND
	;;#ASMSTART
	v_dot2_f32_f16 v61, v26, v10, v61
	;;#ASMEND
	;; [unrolled: 3-line block ×32, first 2 shown]
	s_cbranch_scc1 .LBB122_13
.LBB122_11:                             ;   Parent Loop BB122_8 Depth=1
                                        ; =>  This Inner Loop Header: Depth=2
	v_dual_mov_b32 v25, 0 :: v_dual_add_nc_u32 v18, s23, v43
	v_dual_mov_b32 v24, 0 :: v_dual_mov_b32 v27, 0
	v_dual_mov_b32 v26, 0 :: v_dual_mov_b32 v21, 0
	s_delay_alu instid0(VALU_DEP_3) | instskip(SKIP_2) | instid1(VALU_DEP_3)
	v_min_u32_e32 v29, s18, v18
	v_dual_mov_b32 v20, 0 :: v_dual_mov_b32 v23, 0
	v_dual_mov_b32 v22, 0 :: v_dual_mov_b32 v41, 0
	v_lshlrev_b64 v[0:1], 1, v[29:30]
	v_dual_mov_b32 v42, 0 :: v_dual_mov_b32 v39, 0
	v_dual_mov_b32 v40, 0 :: v_dual_mov_b32 v19, 0
	s_waitcnt lgkmcnt(0)
	s_delay_alu instid0(VALU_DEP_3) | instskip(NEXT) | instid1(VALU_DEP_4)
	v_add_co_u32 v6, vcc_lo, s2, v0
	v_add_co_ci_u32_e32 v7, vcc_lo, s3, v1, vcc_lo
	s_delay_alu instid0(VALU_DEP_2) | instskip(NEXT) | instid1(VALU_DEP_2)
	v_add_co_u32 v0, vcc_lo, v6, v31
	v_add_co_ci_u32_e32 v1, vcc_lo, v7, v32, vcc_lo
	v_add_co_u32 v2, vcc_lo, v6, v33
	v_add_co_ci_u32_e32 v3, vcc_lo, v7, v34, vcc_lo
	;; [unrolled: 2-line block ×4, first 2 shown]
	s_clause 0x3
	global_load_b128 v[12:15], v[0:1], off slc dlc
	global_load_b128 v[8:11], v[2:3], off slc dlc
	;; [unrolled: 1-line block ×4, first 2 shown]
	v_mov_b32_e32 v17, 0
	v_cmp_gt_u32_e32 vcc_lo, s4, v18
	v_mov_b32_e32 v16, 0
	v_mov_b32_e32 v18, 0
	s_and_saveexec_b32 s24, vcc_lo
	s_cbranch_execz .LBB122_10
; %bb.12:                               ;   in Loop: Header=BB122_11 Depth=2
	v_add_nc_u32_e32 v16, s6, v63
	v_add_nc_u32_e32 v17, s14, v63
	v_add_nc_u32_e32 v18, s16, v63
	ds_load_b128 v[24:27], v63
	ds_load_b128 v[20:23], v16
	ds_load_2addr_b32 v[41:42], v17 offset1:1
	ds_load_2addr_b32 v[39:40], v17 offset0:2 offset1:3
	ds_load_b128 v[16:19], v18
	s_branch .LBB122_10
.LBB122_13:                             ;   in Loop: Header=BB122_8 Depth=1
	; sched_barrier mask(0x00000000)
	v_cvt_i32_f32_e32 v0, v62
	s_waitcnt lgkmcnt(0)
	v_xor_b32_e32 v1, 16, v45
	v_cvt_i32_f32_e32 v5, v57
	v_cvt_i32_f32_e32 v6, v58
	;; [unrolled: 1-line block ×3, first 2 shown]
	v_cvt_f32_i32_dpp v0, v0 row_shr:8 row_mask:0xf bank_mask:0xf bound_ctrl:1
	v_cmp_gt_i32_e32 vcc_lo, 32, v1
	v_cvt_i32_f32_e32 v3, v60
	v_cvt_i32_f32_e32 v4, v59
	v_cvt_f32_i32_dpp v5, v5 row_shr:8 row_mask:0xf bank_mask:0xf bound_ctrl:1
	v_dual_add_f32 v0, v62, v0 :: v_dual_cndmask_b32 v1, v45, v1
	v_cvt_f32_i32_dpp v6, v6 row_shr:8 row_mask:0xf bank_mask:0xf bound_ctrl:1
	v_cvt_f32_i32_dpp v2, v2 row_shr:8 row_mask:0xf bank_mask:0xf bound_ctrl:1
	;; [unrolled: 1-line block ×4, first 2 shown]
	v_cvt_i32_f32_e32 v7, v0
	v_dual_add_f32 v5, v57, v5 :: v_dual_add_f32 v6, v58, v6
	v_lshlrev_b32_e32 v23, 2, v1
	s_delay_alu instid0(VALU_DEP_4)
	v_dual_add_f32 v1, v61, v2 :: v_dual_add_f32 v4, v59, v4
	v_add_f32_e32 v2, v60, v3
	v_cvt_f32_i32_dpp v3, v7 row_shr:4 row_mask:0xf bank_mask:0xf bound_ctrl:1
	v_cvt_i32_f32_e32 v10, v6
	v_cvt_i32_f32_e32 v9, v5
	;; [unrolled: 1-line block ×5, first 2 shown]
	v_cvt_f32_i32_dpp v10, v10 row_shr:4 row_mask:0xf bank_mask:0xf bound_ctrl:1
	v_add_f32_e32 v0, v0, v3
	v_cvt_i32_f32_e32 v3, v2
	v_cvt_f32_i32_dpp v8, v8 row_shr:4 row_mask:0xf bank_mask:0xf bound_ctrl:1
	v_cvt_f32_i32_dpp v9, v9 row_shr:4 row_mask:0xf bank_mask:0xf bound_ctrl:1
	;; [unrolled: 1-line block ×5, first 2 shown]
	v_cvt_i32_f32_e32 v15, v53
	v_cvt_i32_f32_e32 v12, v56
	;; [unrolled: 1-line block ×4, first 2 shown]
	v_dual_add_f32 v2, v2, v3 :: v_dual_add_f32 v3, v4, v8
	v_dual_add_f32 v4, v5, v9 :: v_dual_add_f32 v5, v6, v10
	v_cvt_i32_f32_e32 v11, v0
	v_cvt_f32_i32_dpp v15, v15 row_shr:8 row_mask:0xf bank_mask:0xf bound_ctrl:1
	s_delay_alu instid0(VALU_DEP_4)
	v_cvt_i32_f32_e32 v9, v3
	v_cvt_f32_i32_dpp v12, v12 row_shr:8 row_mask:0xf bank_mask:0xf bound_ctrl:1
	v_cvt_f32_i32_dpp v14, v14 row_shr:8 row_mask:0xf bank_mask:0xf bound_ctrl:1
	;; [unrolled: 1-line block ×5, first 2 shown]
	v_cvt_i32_f32_e32 v24, v50
	v_cvt_i32_f32_e32 v26, v48
	v_add_f32_e32 v0, v0, v11
	v_cvt_i32_f32_e32 v11, v5
	v_cvt_i32_f32_e32 v25, v49
	;; [unrolled: 1-line block ×3, first 2 shown]
	v_cvt_f32_i32_dpp v24, v24 row_shr:8 row_mask:0xf bank_mask:0xf bound_ctrl:1
	v_cvt_i32_f32_e32 v8, v0
	v_cvt_f32_i32_dpp v11, v11 row_shr:2 row_mask:0xf bank_mask:0xf bound_ctrl:1
	v_cvt_f32_i32_dpp v26, v26 row_shr:8 row_mask:0xf bank_mask:0xf bound_ctrl:1
	;; [unrolled: 1-line block ×5, first 2 shown]
	v_add_f32_e32 v1, v1, v7
	v_cvt_i32_f32_e32 v7, v2
	v_add_f32_e32 v24, v50, v24
	v_add_f32_e32 v26, v48, v26
	;; [unrolled: 1-line block ×3, first 2 shown]
	v_cvt_i32_f32_e32 v6, v1
	v_cvt_f32_i32_dpp v7, v7 row_shr:2 row_mask:0xf bank_mask:0xf bound_ctrl:1
	v_cvt_i32_f32_e32 v31, v24
	v_cvt_i32_f32_e32 v33, v26
	v_add_f32_e32 v13, v55, v13
	v_cvt_f32_i32_dpp v6, v6 row_shr:2 row_mask:0xf bank_mask:0xf bound_ctrl:1
	v_add_f32_e32 v7, v2, v7
	v_cvt_i32_f32_e32 v10, v4
	v_cvt_f32_i32_dpp v31, v31 row_shr:4 row_mask:0xf bank_mask:0xf bound_ctrl:1
	v_cvt_i32_f32_e32 v18, v13
	v_cvt_f32_i32_dpp v33, v33 row_shr:4 row_mask:0xf bank_mask:0xf bound_ctrl:1
	;; [unrolled: 2-line block ×3, first 2 shown]
	v_add_f32_e32 v8, v3, v9
	v_cvt_i32_f32_e32 v3, v7
	v_cvt_f32_i32_dpp v18, v18 row_shr:4 row_mask:0xf bank_mask:0xf bound_ctrl:1
	v_add_f32_e32 v24, v24, v31
	v_dual_add_f32 v9, v4, v10 :: v_dual_add_f32 v10, v5, v11
	s_delay_alu instid0(VALU_DEP_4)
	v_cvt_f32_i32_dpp v3, v3 row_shr:1 row_mask:0xf bank_mask:0xf bound_ctrl:1
	v_add_f32_e32 v6, v1, v6
	v_cvt_i32_f32_e32 v4, v8
	v_add_f32_e32 v15, v53, v15
	v_add_f32_e32 v13, v13, v18
	;; [unrolled: 1-line block ×3, first 2 shown]
	v_cvt_i32_f32_e32 v2, v6
	v_cvt_f32_i32_dpp v4, v4 row_shr:1 row_mask:0xf bank_mask:0xf bound_ctrl:1
	v_cvt_i32_f32_e32 v11, v10
	v_cvt_i32_f32_e32 v20, v15
	;; [unrolled: 1-line block ×3, first 2 shown]
	v_cvt_f32_i32_dpp v2, v2 row_shr:1 row_mask:0xf bank_mask:0xf bound_ctrl:1
	v_add_f32_e32 v4, v8, v4
	v_cvt_f32_i32_dpp v11, v11 row_shr:1 row_mask:0xf bank_mask:0xf bound_ctrl:1
	v_cvt_f32_i32_dpp v20, v20 row_shr:4 row_mask:0xf bank_mask:0xf bound_ctrl:1
	;; [unrolled: 1-line block ×3, first 2 shown]
	v_add_f32_e32 v2, v6, v2
	v_add_f32_e32 v12, v56, v12
	s_delay_alu instid0(VALU_DEP_4) | instskip(NEXT) | instid1(VALU_DEP_4)
	v_dual_add_f32 v6, v10, v11 :: v_dual_add_f32 v15, v15, v20
	v_dual_add_f32 v13, v13, v18 :: v_dual_add_f32 v26, v26, v33
	s_delay_alu instid0(VALU_DEP_3) | instskip(SKIP_1) | instid1(VALU_DEP_4)
	v_cvt_i32_f32_e32 v17, v12
	v_cvt_f32_i32_dpp v22, v22 row_shr:8 row_mask:0xf bank_mask:0xf bound_ctrl:1
	v_cvt_i32_f32_e32 v20, v15
	s_delay_alu instid0(VALU_DEP_4)
	v_cvt_i32_f32_e32 v18, v13
	v_cvt_i32_f32_e32 v31, v24
	v_cvt_f32_i32_dpp v17, v17 row_shr:4 row_mask:0xf bank_mask:0xf bound_ctrl:1
	v_cvt_i32_f32_e32 v33, v26
	v_cvt_f32_i32_dpp v20, v20 row_shr:2 row_mask:0xf bank_mask:0xf bound_ctrl:1
	v_add_f32_e32 v14, v54, v14
	v_cvt_f32_i32_dpp v18, v18 row_shr:1 row_mask:0xf bank_mask:0xf bound_ctrl:1
	v_add_f32_e32 v16, v52, v16
	;; [unrolled: 2-line block ×3, first 2 shown]
	v_cvt_i32_f32_e32 v19, v14
	v_add_f32_e32 v13, v13, v18
	v_cvt_i32_f32_e32 v21, v16
	v_cvt_f32_i32_dpp v33, v33 row_shr:2 row_mask:0xf bank_mask:0xf bound_ctrl:1
	v_cvt_i32_f32_e32 v20, v15
	v_cvt_f32_i32_dpp v19, v19 row_shr:4 row_mask:0xf bank_mask:0xf bound_ctrl:1
	v_add_f32_e32 v25, v49, v25
	v_cvt_f32_i32_dpp v21, v21 row_shr:4 row_mask:0xf bank_mask:0xf bound_ctrl:1
	v_add_f32_e32 v27, v47, v27
	;; [unrolled: 2-line block ×3, first 2 shown]
	v_add_f32_e32 v14, v14, v19
	v_add_f32_e32 v16, v16, v21
	v_cvt_i32_f32_e32 v32, v25
	v_add_f32_e32 v15, v15, v20
	v_cvt_i32_f32_e32 v17, v12
	v_cvt_i32_f32_e32 v19, v14
	;; [unrolled: 1-line block ×3, first 2 shown]
	v_cvt_f32_i32_dpp v32, v32 row_shr:4 row_mask:0xf bank_mask:0xf bound_ctrl:1
	v_cvt_i32_f32_e32 v21, v16
	v_cvt_f32_i32_dpp v17, v17 row_shr:2 row_mask:0xf bank_mask:0xf bound_ctrl:1
	v_cvt_f32_i32_dpp v19, v19 row_shr:2 row_mask:0xf bank_mask:0xf bound_ctrl:1
	;; [unrolled: 1-line block ×3, first 2 shown]
	v_dual_add_f32 v25, v25, v32 :: v_dual_add_f32 v22, v51, v22
	s_delay_alu instid0(VALU_DEP_4) | instskip(NEXT) | instid1(VALU_DEP_3)
	v_add_f32_e32 v12, v12, v17
	v_dual_add_f32 v14, v14, v19 :: v_dual_add_f32 v27, v27, v34
	s_delay_alu instid0(VALU_DEP_3)
	v_cvt_i32_f32_e32 v32, v25
	v_cvt_f32_i32_dpp v21, v21 row_shr:2 row_mask:0xf bank_mask:0xf bound_ctrl:1
	v_cvt_i32_f32_e32 v29, v22
	v_add_f32_e32 v24, v24, v31
	v_cvt_i32_f32_e32 v34, v27
	v_cvt_f32_i32_dpp v32, v32 row_shr:2 row_mask:0xf bank_mask:0xf bound_ctrl:1
	v_add_f32_e32 v16, v16, v21
	v_cvt_f32_i32_dpp v29, v29 row_shr:4 row_mask:0xf bank_mask:0xf bound_ctrl:1
	v_cvt_i32_f32_e32 v5, v9
	v_cvt_f32_i32_dpp v34, v34 row_shr:2 row_mask:0xf bank_mask:0xf bound_ctrl:1
	v_add_f32_e32 v25, v25, v32
	v_cvt_i32_f32_e32 v17, v12
	v_cvt_i32_f32_e32 v19, v14
	;; [unrolled: 1-line block ×3, first 2 shown]
	v_add_f32_e32 v32, v27, v34
	v_cvt_i32_f32_e32 v27, v24
	v_cvt_i32_f32_e32 v31, v25
	v_cvt_f32_i32_dpp v5, v5 row_shr:1 row_mask:0xf bank_mask:0xf bound_ctrl:1
	v_cvt_f32_i32_dpp v17, v17 row_shr:1 row_mask:0xf bank_mask:0xf bound_ctrl:1
	v_cvt_i32_f32_e32 v34, v32
	v_cvt_f32_i32_dpp v35, v27 row_shr:1 row_mask:0xf bank_mask:0xf bound_ctrl:1
	v_add_f32_e32 v22, v22, v29
	v_cvt_f32_i32_dpp v36, v31 row_shr:1 row_mask:0xf bank_mask:0xf bound_ctrl:1
	v_cvt_f32_i32_dpp v19, v19 row_shr:1 row_mask:0xf bank_mask:0xf bound_ctrl:1
	;; [unrolled: 1-line block ×3, first 2 shown]
	v_add_f32_e32 v31, v24, v35
	v_cvt_i32_f32_e32 v29, v22
	v_cvt_f32_i32_dpp v34, v34 row_shr:1 row_mask:0xf bank_mask:0xf bound_ctrl:1
	v_dual_add_f32 v5, v9, v5 :: v_dual_add_f32 v14, v14, v19
	v_add_f32_e32 v16, v16, v21
	s_delay_alu instid0(VALU_DEP_4)
	v_cvt_f32_i32_dpp v29, v29 row_shr:2 row_mask:0xf bank_mask:0xf bound_ctrl:1
	ds_bpermute_b32 v1, v23, v0
	ds_bpermute_b32 v7, v23, v2
	;; [unrolled: 1-line block ×4, first 2 shown]
	v_add_f32_e32 v22, v22, v29
	v_add_f32_e32 v29, v26, v33
	ds_bpermute_b32 v10, v23, v5
	ds_bpermute_b32 v11, v23, v6
	ds_bpermute_b32 v18, v23, v13
	v_cvt_i32_f32_e32 v26, v22
	v_cvt_i32_f32_e32 v33, v29
	ds_bpermute_b32 v19, v23, v14
	ds_bpermute_b32 v20, v23, v15
	;; [unrolled: 1-line block ×3, first 2 shown]
	v_cvt_f32_i32_dpp v26, v26 row_shr:1 row_mask:0xf bank_mask:0xf bound_ctrl:1
	v_cvt_f32_i32_dpp v33, v33 row_shr:1 row_mask:0xf bank_mask:0xf bound_ctrl:1
	s_delay_alu instid0(VALU_DEP_2) | instskip(SKIP_1) | instid1(VALU_DEP_3)
	v_dual_add_f32 v12, v12, v17 :: v_dual_add_f32 v27, v22, v26
	v_add_f32_e32 v26, v25, v36
	v_add_f32_e32 v24, v29, v33
	;; [unrolled: 1-line block ×3, first 2 shown]
	ds_bpermute_b32 v17, v23, v12
	ds_bpermute_b32 v33, v23, v27
	ds_bpermute_b32 v34, v23, v31
	ds_bpermute_b32 v32, v23, v26
	ds_bpermute_b32 v25, v23, v24
	ds_bpermute_b32 v23, v23, v22
	s_and_saveexec_b32 s23, s0
	s_cbranch_execz .LBB122_7
; %bb.14:                               ;   in Loop: Header=BB122_8 Depth=1
	s_and_b32 vcc_lo, exec_lo, s20
	s_cbranch_vccz .LBB122_16
; %bb.15:                               ;   in Loop: Header=BB122_8 Depth=1
	v_mul_hi_u32 v29, v28, v46
	v_or_b32_e32 v35, 1, v28
	v_or_b32_e32 v37, 2, v28
	;; [unrolled: 1-line block ×3, first 2 shown]
	v_mov_b32_e32 v54, v30
	s_delay_alu instid0(VALU_DEP_4) | instskip(NEXT) | instid1(VALU_DEP_4)
	v_mul_hi_u32 v36, v35, v46
	v_mul_hi_u32 v38, v37, v46
	v_mul_lo_u32 v29, v29, s8
	v_mul_hi_u32 v40, v39, v46
	v_mov_b32_e32 v56, v30
	v_mov_b32_e32 v68, v30
	v_mul_lo_u32 v41, v36, s8
	v_mul_lo_u32 v42, v38, s8
	v_sub_nc_u32_e32 v29, v28, v29
	v_mul_lo_u32 v40, v40, s8
	s_delay_alu instid0(VALU_DEP_2)
	v_subrev_nc_u32_e32 v47, s8, v29
	v_sub_nc_u32_e32 v35, v35, v41
	v_cmp_le_u32_e32 vcc_lo, s8, v29
	v_mov_b32_e32 v36, v30
	v_sub_nc_u32_e32 v37, v37, v42
	v_sub_nc_u32_e32 v39, v39, v40
	v_subrev_nc_u32_e32 v41, s8, v35
	v_cndmask_b32_e32 v29, v29, v47, vcc_lo
	v_cmp_le_u32_e32 vcc_lo, s8, v35
	v_mov_b32_e32 v38, v30
	v_subrev_nc_u32_e32 v42, s8, v37
	v_subrev_nc_u32_e32 v47, s8, v39
	;; [unrolled: 1-line block ×3, first 2 shown]
	v_cndmask_b32_e32 v35, v35, v41, vcc_lo
	v_cmp_le_u32_e32 vcc_lo, s8, v37
	v_mov_b32_e32 v40, v30
	s_delay_alu instid0(VALU_DEP_3) | instskip(SKIP_2) | instid1(VALU_DEP_2)
	v_subrev_nc_u32_e32 v41, s8, v35
	v_cndmask_b32_e32 v37, v37, v42, vcc_lo
	v_cmp_le_u32_e32 vcc_lo, s8, v39
	v_subrev_nc_u32_e32 v42, s8, v37
	v_cndmask_b32_e32 v39, v39, v47, vcc_lo
	v_cmp_le_u32_e32 vcc_lo, s8, v29
	s_delay_alu instid0(VALU_DEP_2) | instskip(SKIP_2) | instid1(VALU_DEP_2)
	v_subrev_nc_u32_e32 v47, s8, v39
	v_cndmask_b32_e32 v29, v29, v48, vcc_lo
	v_cmp_le_u32_e32 vcc_lo, s8, v35
	v_add_nc_u32_e32 v53, s17, v29
	v_cndmask_b32_e32 v35, v35, v41, vcc_lo
	v_cmp_le_u32_e32 vcc_lo, s8, v37
	s_delay_alu instid0(VALU_DEP_3) | instskip(NEXT) | instid1(VALU_DEP_3)
	v_lshlrev_b64 v[53:54], 1, v[53:54]
	v_add_nc_u32_e32 v55, s17, v35
	v_cndmask_b32_e32 v37, v37, v42, vcc_lo
	v_cmp_le_u32_e32 vcc_lo, s8, v39
	v_lshlrev_b64 v[41:42], 1, v[29:30]
	s_delay_alu instid0(VALU_DEP_3) | instskip(SKIP_2) | instid1(VALU_DEP_4)
	v_lshlrev_b64 v[49:50], 1, v[37:38]
	v_cndmask_b32_e32 v39, v39, v47, vcc_lo
	v_lshlrev_b64 v[47:48], 1, v[35:36]
	v_add_co_u32 v41, vcc_lo, s10, v41
	v_add_co_ci_u32_e32 v42, vcc_lo, s11, v42, vcc_lo
	s_delay_alu instid0(VALU_DEP_4) | instskip(NEXT) | instid1(VALU_DEP_4)
	v_lshlrev_b64 v[51:52], 1, v[39:40]
	v_add_co_u32 v47, vcc_lo, s10, v47
	v_add_co_ci_u32_e32 v48, vcc_lo, s11, v48, vcc_lo
	v_add_co_u32 v49, vcc_lo, s10, v49
	v_add_co_ci_u32_e32 v50, vcc_lo, s11, v50, vcc_lo
	;; [unrolled: 2-line block ×3, first 2 shown]
	v_lshlrev_b64 v[51:52], 1, v[55:56]
	v_add_nc_u32_e32 v55, s17, v37
	v_add_co_u32 v59, vcc_lo, s10, v53
	v_add_co_ci_u32_e32 v60, vcc_lo, s11, v54, vcc_lo
	s_delay_alu instid0(VALU_DEP_3) | instskip(SKIP_3) | instid1(VALU_DEP_3)
	v_lshlrev_b64 v[53:54], 1, v[55:56]
	v_add_nc_u32_e32 v55, s17, v39
	v_add_co_u32 v61, vcc_lo, s10, v51
	v_add_co_ci_u32_e32 v62, vcc_lo, s11, v52, vcc_lo
	v_lshlrev_b64 v[51:52], 1, v[55:56]
	v_add_co_u32 v55, vcc_lo, s10, v53
	v_add_co_ci_u32_e32 v56, vcc_lo, s11, v54, vcc_lo
	v_dual_mov_b32 v54, v30 :: v_dual_add_nc_u32 v53, s21, v29
	v_add_nc_u32_e32 v67, s21, v35
	v_add_co_u32 v63, vcc_lo, s10, v51
	v_add_co_ci_u32_e32 v64, vcc_lo, s11, v52, vcc_lo
	s_delay_alu instid0(VALU_DEP_4)
	v_lshlrev_b64 v[65:66], 1, v[53:54]
	s_clause 0x7
	global_load_u16 v54, v[41:42], off
	global_load_u16 v53, v[47:48], off
	;; [unrolled: 1-line block ×8, first 2 shown]
	v_dual_mov_b32 v56, v30 :: v_dual_add_nc_u32 v55, s21, v37
	v_lshlrev_b64 v[47:48], 1, v[67:68]
	v_dual_mov_b32 v60, v30 :: v_dual_add_nc_u32 v59, s21, v39
	v_add_co_u32 v57, vcc_lo, s10, v65
	s_delay_alu instid0(VALU_DEP_4)
	v_lshlrev_b64 v[55:56], 1, v[55:56]
	v_add_nc_u32_e32 v29, s22, v29
	v_add_co_ci_u32_e32 v58, vcc_lo, s11, v66, vcc_lo
	v_add_co_u32 v47, vcc_lo, s10, v47
	v_lshlrev_b64 v[59:60], 1, v[59:60]
	v_add_co_ci_u32_e32 v48, vcc_lo, s11, v48, vcc_lo
	v_add_co_u32 v55, vcc_lo, s10, v55
	v_lshlrev_b64 v[61:62], 1, v[29:30]
	v_add_nc_u32_e32 v29, s22, v35
	v_add_co_ci_u32_e32 v56, vcc_lo, s11, v56, vcc_lo
	v_add_co_u32 v35, vcc_lo, s10, v59
	v_add_co_ci_u32_e32 v36, vcc_lo, s11, v60, vcc_lo
	s_delay_alu instid0(VALU_DEP_4) | instskip(SKIP_3) | instid1(VALU_DEP_3)
	v_lshlrev_b64 v[59:60], 1, v[29:30]
	v_add_nc_u32_e32 v29, s22, v37
	v_add_co_u32 v61, vcc_lo, s10, v61
	v_add_co_ci_u32_e32 v62, vcc_lo, s11, v62, vcc_lo
	v_lshlrev_b64 v[63:64], 1, v[29:30]
	v_add_nc_u32_e32 v29, s22, v39
	v_add_co_u32 v59, vcc_lo, s10, v59
	v_add_co_ci_u32_e32 v60, vcc_lo, s11, v60, vcc_lo
	s_delay_alu instid0(VALU_DEP_3) | instskip(SKIP_3) | instid1(VALU_DEP_4)
	v_lshlrev_b64 v[65:66], 1, v[29:30]
	v_add_co_u32 v63, vcc_lo, s10, v63
	v_add_co_ci_u32_e32 v64, vcc_lo, s11, v64, vcc_lo
	v_mov_b32_e32 v29, v30
	v_add_co_u32 v65, vcc_lo, s10, v65
	v_add_co_ci_u32_e32 v66, vcc_lo, s11, v66, vcc_lo
	s_clause 0x7
	global_load_u16 v50, v[57:58], off
	global_load_u16 v48, v[47:48], off
	;; [unrolled: 1-line block ×8, first 2 shown]
	s_cbranch_execnz .LBB122_6
	s_branch .LBB122_17
.LBB122_16:                             ;   in Loop: Header=BB122_8 Depth=1
                                        ; implicit-def: $vgpr35
                                        ; implicit-def: $vgpr36
                                        ; implicit-def: $vgpr37
                                        ; implicit-def: $vgpr39
                                        ; implicit-def: $vgpr41
                                        ; implicit-def: $vgpr47
                                        ; implicit-def: $vgpr48
                                        ; implicit-def: $vgpr50
                                        ; implicit-def: $vgpr38
                                        ; implicit-def: $vgpr40
                                        ; implicit-def: $vgpr42
                                        ; implicit-def: $vgpr49
                                        ; implicit-def: $vgpr51
                                        ; implicit-def: $vgpr52
                                        ; implicit-def: $vgpr53
                                        ; implicit-def: $vgpr54
.LBB122_17:                             ;   in Loop: Header=BB122_8 Depth=1
	s_waitcnt vmcnt(15)
	v_dual_mov_b32 v29, v30 :: v_dual_mov_b32 v54, 0
	s_waitcnt vmcnt(13)
	v_dual_mov_b32 v53, 0 :: v_dual_mov_b32 v52, 0
	s_waitcnt vmcnt(10)
	v_dual_mov_b32 v51, 0 :: v_dual_mov_b32 v42, 0
	s_waitcnt vmcnt(9)
	v_dual_mov_b32 v49, 0 :: v_dual_mov_b32 v40, 0
	s_waitcnt vmcnt(5)
	v_dual_mov_b32 v38, 0 :: v_dual_mov_b32 v47, 0
	s_waitcnt vmcnt(4)
	v_dual_mov_b32 v50, 0 :: v_dual_mov_b32 v41, 0
	s_waitcnt vmcnt(3)
	v_dual_mov_b32 v48, 0 :: v_dual_mov_b32 v39, 0
	s_waitcnt vmcnt(1)
	v_dual_mov_b32 v37, 0 :: v_dual_mov_b32 v36, 0
	s_waitcnt vmcnt(0)
	v_mov_b32_e32 v35, 0
	s_branch .LBB122_6
.LBB122_18:
	s_nop 0
	s_sendmsg sendmsg(MSG_DEALLOC_VGPRS)
	s_endpgm
	.section	.rodata,"a",@progbits
	.p2align	6, 0x0
	.amdhsa_kernel _Z16wvSplitK_hf_sml_I6__halfLi64ELi4ELi16ELi8ELi1ELi4EEviiiiiiPKT_S3_S3_PS1_ii
		.amdhsa_group_segment_fixed_size 65536
		.amdhsa_private_segment_fixed_size 0
		.amdhsa_kernarg_size 64
		.amdhsa_user_sgpr_count 15
		.amdhsa_user_sgpr_dispatch_ptr 0
		.amdhsa_user_sgpr_queue_ptr 0
		.amdhsa_user_sgpr_kernarg_segment_ptr 1
		.amdhsa_user_sgpr_dispatch_id 0
		.amdhsa_user_sgpr_private_segment_size 0
		.amdhsa_wavefront_size32 1
		.amdhsa_uses_dynamic_stack 0
		.amdhsa_enable_private_segment 0
		.amdhsa_system_sgpr_workgroup_id_x 1
		.amdhsa_system_sgpr_workgroup_id_y 0
		.amdhsa_system_sgpr_workgroup_id_z 0
		.amdhsa_system_sgpr_workgroup_info 0
		.amdhsa_system_vgpr_workitem_id 1
		.amdhsa_next_free_vgpr 69
		.amdhsa_next_free_sgpr 25
		.amdhsa_reserve_vcc 1
		.amdhsa_float_round_mode_32 0
		.amdhsa_float_round_mode_16_64 0
		.amdhsa_float_denorm_mode_32 3
		.amdhsa_float_denorm_mode_16_64 3
		.amdhsa_dx10_clamp 1
		.amdhsa_ieee_mode 1
		.amdhsa_fp16_overflow 0
		.amdhsa_workgroup_processor_mode 1
		.amdhsa_memory_ordered 1
		.amdhsa_forward_progress 0
		.amdhsa_shared_vgpr_count 0
		.amdhsa_exception_fp_ieee_invalid_op 0
		.amdhsa_exception_fp_denorm_src 0
		.amdhsa_exception_fp_ieee_div_zero 0
		.amdhsa_exception_fp_ieee_overflow 0
		.amdhsa_exception_fp_ieee_underflow 0
		.amdhsa_exception_fp_ieee_inexact 0
		.amdhsa_exception_int_div_zero 0
	.end_amdhsa_kernel
	.section	.text._Z16wvSplitK_hf_sml_I6__halfLi64ELi4ELi16ELi8ELi1ELi4EEviiiiiiPKT_S3_S3_PS1_ii,"axG",@progbits,_Z16wvSplitK_hf_sml_I6__halfLi64ELi4ELi16ELi8ELi1ELi4EEviiiiiiPKT_S3_S3_PS1_ii,comdat
.Lfunc_end122:
	.size	_Z16wvSplitK_hf_sml_I6__halfLi64ELi4ELi16ELi8ELi1ELi4EEviiiiiiPKT_S3_S3_PS1_ii, .Lfunc_end122-_Z16wvSplitK_hf_sml_I6__halfLi64ELi4ELi16ELi8ELi1ELi4EEviiiiiiPKT_S3_S3_PS1_ii
                                        ; -- End function
	.section	.AMDGPU.csdata,"",@progbits
; Kernel info:
; codeLenInByte = 5416
; NumSgprs: 27
; NumVgprs: 69
; ScratchSize: 0
; MemoryBound: 0
; FloatMode: 240
; IeeeMode: 1
; LDSByteSize: 65536 bytes/workgroup (compile time only)
; SGPRBlocks: 3
; VGPRBlocks: 8
; NumSGPRsForWavesPerEU: 27
; NumVGPRsForWavesPerEU: 69
; Occupancy: 16
; WaveLimiterHint : 0
; COMPUTE_PGM_RSRC2:SCRATCH_EN: 0
; COMPUTE_PGM_RSRC2:USER_SGPR: 15
; COMPUTE_PGM_RSRC2:TRAP_HANDLER: 0
; COMPUTE_PGM_RSRC2:TGID_X_EN: 1
; COMPUTE_PGM_RSRC2:TGID_Y_EN: 0
; COMPUTE_PGM_RSRC2:TGID_Z_EN: 0
; COMPUTE_PGM_RSRC2:TIDIG_COMP_CNT: 1
	.section	.text._Z12wvSplitK_hf_I6__halfLi64ELi4ELi16ELi8ELi1ELi4EEviiiiiiPKT_S3_S3_PS1_ii,"axG",@progbits,_Z12wvSplitK_hf_I6__halfLi64ELi4ELi16ELi8ELi1ELi4EEviiiiiiPKT_S3_S3_PS1_ii,comdat
	.protected	_Z12wvSplitK_hf_I6__halfLi64ELi4ELi16ELi8ELi1ELi4EEviiiiiiPKT_S3_S3_PS1_ii ; -- Begin function _Z12wvSplitK_hf_I6__halfLi64ELi4ELi16ELi8ELi1ELi4EEviiiiiiPKT_S3_S3_PS1_ii
	.globl	_Z12wvSplitK_hf_I6__halfLi64ELi4ELi16ELi8ELi1ELi4EEviiiiiiPKT_S3_S3_PS1_ii
	.p2align	8
	.type	_Z12wvSplitK_hf_I6__halfLi64ELi4ELi16ELi8ELi1ELi4EEviiiiiiPKT_S3_S3_PS1_ii,@function
_Z12wvSplitK_hf_I6__halfLi64ELi4ELi16ELi8ELi1ELi4EEviiiiiiPKT_S3_S3_PS1_ii: ; @_Z12wvSplitK_hf_I6__halfLi64ELi4ELi16ELi8ELi1ELi4EEviiiiiiPKT_S3_S3_PS1_ii
; %bb.0:
	s_clause 0x1
	s_load_b64 s[20:21], s[0:1], 0x38
	s_load_b128 s[8:11], s[0:1], 0x0
	v_bfe_u32 v7, v0, 10, 10
	s_clause 0x1
	s_load_b64 s[12:13], s[0:1], 0x20
	s_load_b64 s[16:17], s[0:1], 0x10
	s_mov_b32 s4, 1
	s_delay_alu instid0(SALU_CYCLE_1) | instskip(SKIP_4) | instid1(SALU_CYCLE_1)
	s_mov_b32 s5, s4
	s_mov_b32 s6, s4
	;; [unrolled: 1-line block ×3, first 2 shown]
	s_waitcnt lgkmcnt(0)
	s_mul_i32 s15, s15, s20
	v_add_lshl_u32 v37, s15, v7, 2
	s_delay_alu instid0(VALU_DEP_1) | instskip(SKIP_1) | instid1(VALU_DEP_2)
	v_add_nc_u32_e32 v1, 4, v37
	v_cmp_gt_u32_e32 vcc_lo, s11, v37
	v_cmp_le_u32_e64 s2, s11, v1
	v_dual_mov_b32 v1, s4 :: v_dual_mov_b32 v4, s7
	v_dual_mov_b32 v2, s5 :: v_dual_mov_b32 v3, s6
	s_delay_alu instid0(VALU_DEP_3) | instskip(NEXT) | instid1(SALU_CYCLE_1)
	s_and_b32 s2, vcc_lo, s2
	s_and_saveexec_b32 s14, s2
	s_cbranch_execz .LBB123_6
; %bb.1:
	v_dual_mov_b32 v1, s4 :: v_dual_mov_b32 v2, s5
	v_dual_mov_b32 v3, s6 :: v_dual_mov_b32 v4, s7
	s_add_i32 s15, s11, -4
	s_mov_b32 s18, exec_lo
	v_cmpx_ne_u32_e64 s15, v37
	s_cbranch_execz .LBB123_5
; %bb.2:
	v_subrev_nc_u32_e32 v1, s15, v37
	s_mov_b32 s19, 0
	s_mov_b64 s[2:3], 0
	s_mov_b32 s5, s4
	s_mov_b32 s6, s4
	v_cmp_lt_u32_e32 vcc_lo, 1, v1
	s_mov_b32 s7, s4
	v_cndmask_b32_e32 v5, 1, v1, vcc_lo
	.p2align	6
.LBB123_3:                              ; =>This Inner Loop Header: Depth=1
	s_cmp_lg_u32 s2, 3
	s_cselect_b32 s7, s7, 0
	s_cmp_lg_u32 s2, 2
	s_cselect_b32 s6, s6, 0
	s_cmp_lg_u32 s2, 1
	s_cselect_b32 s5, s5, 0
	s_cmp_lg_u32 s2, 0
	s_cselect_b32 s4, s4, 0
	s_add_u32 s2, s2, 1
	v_dual_mov_b32 v1, s4 :: v_dual_mov_b32 v2, s5
	v_cmp_eq_u32_e32 vcc_lo, s2, v5
	v_dual_mov_b32 v3, s6 :: v_dual_mov_b32 v4, s7
	s_addc_u32 s3, s3, 0
	s_or_b32 s19, vcc_lo, s19
	s_delay_alu instid0(SALU_CYCLE_1)
	s_and_not1_b32 exec_lo, exec_lo, s19
	s_cbranch_execnz .LBB123_3
; %bb.4:
	s_or_b32 exec_lo, exec_lo, s19
	v_mov_b32_e32 v37, s15
.LBB123_5:
	s_or_b32 exec_lo, exec_lo, s18
.LBB123_6:
	s_delay_alu instid0(SALU_CYCLE_1)
	s_or_b32 exec_lo, exec_lo, s14
	s_load_b64 s[6:7], s[0:1], 0x28
	v_and_b32_e32 v8, 0x3ff, v0
	s_lshl_b32 s22, s10, 2
	s_mov_b32 s4, exec_lo
	s_min_u32 s3, s22, 0x8000
	s_delay_alu instid0(VALU_DEP_1) | instskip(NEXT) | instid1(VALU_DEP_1)
	v_lshlrev_b32_e32 v0, 3, v8
	v_lshl_add_u32 v9, v7, 9, v0
	s_delay_alu instid0(VALU_DEP_1)
	v_cmpx_gt_u32_e64 s3, v9
	s_cbranch_execz .LBB123_9
; %bb.7:
	v_lshlrev_b32_e32 v10, 10, v7
	v_lshlrev_b32_e32 v11, 4, v8
	s_mov_b32 s5, 0
	s_delay_alu instid0(VALU_DEP_1) | instskip(NEXT) | instid1(VALU_DEP_1)
	v_add_co_u32 v5, s2, v10, v11
	v_add_co_ci_u32_e64 v6, null, 0, 0, s2
	v_add_nc_u32_e32 v10, v10, v11
	s_delay_alu instid0(VALU_DEP_3) | instskip(NEXT) | instid1(VALU_DEP_3)
	v_add_co_u32 v5, vcc_lo, s12, v5
	v_add_co_ci_u32_e32 v6, vcc_lo, s13, v6, vcc_lo
	.p2align	6
.LBB123_8:                              ; =>This Inner Loop Header: Depth=1
	global_load_b128 v[11:14], v[5:6], off
	v_add_nc_u32_e32 v9, 0x2000, v9
	v_add_co_u32 v5, vcc_lo, 0x4000, v5
	v_add_co_ci_u32_e32 v6, vcc_lo, 0, v6, vcc_lo
	s_delay_alu instid0(VALU_DEP_3) | instskip(NEXT) | instid1(VALU_DEP_1)
	v_cmp_le_u32_e64 s2, s3, v9
	s_or_b32 s5, s2, s5
	s_waitcnt vmcnt(0)
	ds_store_b128 v10, v[11:14]
	v_add_nc_u32_e32 v10, 0x4000, v10
	s_and_not1_b32 exec_lo, exec_lo, s5
	s_cbranch_execnz .LBB123_8
.LBB123_9:
	s_or_b32 exec_lo, exec_lo, s4
	v_cmp_gt_u32_e32 vcc_lo, s20, v7
	v_cmp_gt_u32_e64 s2, s11, v37
	s_waitcnt lgkmcnt(0)
	s_barrier
	buffer_gl0_inv
	s_and_b32 s2, vcc_lo, s2
	s_delay_alu instid0(SALU_CYCLE_1)
	s_and_saveexec_b32 s3, s2
	s_cbranch_execz .LBB123_74
; %bb.10:
	s_cmp_lg_u32 s8, 0
	s_clause 0x1
	s_load_b64 s[14:15], s[0:1], 0x18
	s_load_b64 s[18:19], s[0:1], 0x30
	s_cselect_b32 s23, -1, 0
	s_add_i32 s24, s8, -8
	s_add_i32 s25, s11, -1
	s_cmp_lg_u64 s[6:7], 0
	s_mul_i32 s0, s20, s21
	s_cselect_b32 s26, -1, 0
	s_abs_i32 s2, s17
	v_cvt_f32_u32_e32 v6, s16
	v_cvt_f32_u32_e32 v5, s2
	s_lshl_b32 s20, s0, 2
	s_sub_i32 s0, 0, s2
	s_add_i32 s21, s11, -4
	s_sub_i32 s3, 0, s16
	v_rcp_iflag_f32_e32 v5, v5
	s_sub_i32 s4, 1, s2
	v_mad_u64_u32 v[40:41], null, s10, 3, v[0:1]
	v_add_nc_u32_e32 v55, s10, v0
	v_mbcnt_lo_u32_b32 v58, -1, 0
	s_mov_b32 s17, 0
	s_waitcnt_depctr 0xfff
	v_dual_mul_f32 v5, 0x4f7ffffe, v5 :: v_dual_lshlrev_b32 v54, 4, v8
	s_delay_alu instid0(VALU_DEP_1) | instskip(NEXT) | instid1(VALU_DEP_1)
	v_cvt_u32_f32_e32 v5, v5
	v_readfirstlane_b32 s1, v5
	v_rcp_iflag_f32_e32 v5, v6
	s_delay_alu instid0(VALU_DEP_1) | instskip(NEXT) | instid1(SALU_CYCLE_1)
	s_mul_i32 s0, s0, s1
	s_mul_hi_u32 s0, s1, s0
	s_delay_alu instid0(SALU_CYCLE_1)
	s_add_i32 s1, s1, s0
	s_cmp_lt_u32 s2, 2
	s_waitcnt_depctr 0xfff
	v_mul_f32_e32 v5, 0x4f7ffffe, v5
	s_cselect_b32 s4, s4, 1
	v_cmp_eq_u32_e64 s0, 63, v8
	s_sub_i32 s5, s4, s2
	s_cmp_ge_u32 s4, s2
	v_cvt_u32_f32_e32 v5, v5
	s_cselect_b32 s28, s5, s4
	s_lshr_b32 s4, s1, 31
	s_mul_hi_u32 s1, s1, 3
	s_mul_i32 s4, s4, s2
	v_mul_lo_u32 v6, s3, v5
	s_sub_i32 s4, 2, s4
	s_mul_i32 s1, s1, s2
	s_sub_i32 s5, s4, s2
	s_cmp_ge_u32 s4, s2
	s_mul_i32 s28, s28, s16
	s_cselect_b32 s3, s5, s4
	s_delay_alu instid0(SALU_CYCLE_1)
	s_sub_i32 s4, s3, s2
	s_cmp_ge_u32 s3, s2
	v_mul_hi_u32 v6, v5, v6
	s_cselect_b32 s29, s4, s3
	s_sub_i32 s1, 3, s1
	v_mov_b32_e32 v39, 0
	s_sub_i32 s3, s1, s2
	s_cmp_ge_u32 s1, s2
	s_mul_i32 s29, s29, s16
	s_cselect_b32 s1, s3, s1
	v_add_nc_u32_e32 v56, v5, v6
	s_sub_i32 s3, s1, s2
	s_cmp_ge_u32 s1, s2
	s_cselect_b32 s30, s3, s1
	s_lshl_b32 s27, s10, 1
	s_mul_i32 s30, s30, s16
	v_add_nc_u32_e32 v57, s27, v0
	s_mul_i32 s10, s10, 6
	s_branch .LBB123_13
.LBB123_11:                             ;   in Loop: Header=BB123_13 Depth=1
	s_or_b32 exec_lo, exec_lo, s33
	v_mov_b32_e32 v37, s21
.LBB123_12:                             ;   in Loop: Header=BB123_13 Depth=1
	s_or_b32 exec_lo, exec_lo, s31
	s_delay_alu instid0(VALU_DEP_1) | instskip(SKIP_1) | instid1(SALU_CYCLE_1)
	v_cmp_le_u32_e32 vcc_lo, s11, v37
	s_or_b32 s17, vcc_lo, s17
	s_and_not1_b32 exec_lo, exec_lo, s17
	s_cbranch_execz .LBB123_74
.LBB123_13:                             ; =>This Loop Header: Depth=1
                                        ;     Child Loop BB123_17 Depth 2
                                        ;     Child Loop BB123_57 Depth 2
	v_dual_mov_b32 v74, v39 :: v_dual_add_nc_u32 v43, 1, v37
	v_dual_mov_b32 v73, v39 :: v_dual_add_nc_u32 v42, 2, v37
	;; [unrolled: 1-line block ×3, first 2 shown]
	v_mov_b32_e32 v71, v39
	s_waitcnt vmcnt(10)
	v_mov_b32_e32 v59, v39
	s_waitcnt vmcnt(7)
	v_mov_b32_e32 v60, v39
	v_mov_b32_e32 v61, v39
	;; [unrolled: 1-line block ×11, first 2 shown]
	s_and_not1_b32 vcc_lo, exec_lo, s23
	s_cbranch_vccnz .LBB123_34
; %bb.14:                               ;   in Loop: Header=BB123_13 Depth=1
	v_min_u32_e32 v5, s25, v37
	v_min_u32_e32 v6, s25, v43
	;; [unrolled: 1-line block ×3, first 2 shown]
	s_waitcnt lgkmcnt(0)
	v_min_u32_e32 v8, s25, v41
	v_dual_mov_b32 v10, v39 :: v_dual_mov_b32 v67, 0
	v_mul_lo_u32 v38, v5, s9
	v_mul_lo_u32 v5, v6, s9
	;; [unrolled: 1-line block ×4, first 2 shown]
	v_dual_mov_b32 v6, v39 :: v_dual_mov_b32 v69, 0
	v_dual_mov_b32 v8, v39 :: v_dual_mov_b32 v75, v54
	s_waitcnt vmcnt(0)
	v_lshlrev_b64 v[44:45], 1, v[38:39]
	s_delay_alu instid0(VALU_DEP_3)
	v_lshlrev_b64 v[46:47], 1, v[5:6]
	v_dual_mov_b32 v70, 0 :: v_dual_mov_b32 v65, 0
	v_lshlrev_b64 v[48:49], 1, v[7:8]
	v_lshlrev_b64 v[50:51], 1, v[9:10]
	v_dual_mov_b32 v68, 0 :: v_dual_mov_b32 v63, 0
	v_dual_mov_b32 v66, 0 :: v_dual_mov_b32 v61, 0
	;; [unrolled: 1-line block ×5, first 2 shown]
	v_mov_b32_e32 v72, 0
	v_mov_b32_e32 v74, 0
	s_mov_b32 s1, 0
	s_branch .LBB123_17
.LBB123_15:                             ;   in Loop: Header=BB123_17 Depth=2
	s_or_b32 exec_lo, exec_lo, s3
.LBB123_16:                             ;   in Loop: Header=BB123_17 Depth=2
	s_delay_alu instid0(SALU_CYCLE_1)
	s_or_b32 exec_lo, exec_lo, s2
	v_add_nc_u32_e32 v75, 0x400, v75
	s_addk_i32 s1, 0x200
	s_waitcnt vmcnt(0) lgkmcnt(0)
	;;#ASMSTART
	v_dot2_f32_f16 v74, v21, v17, v74
	;;#ASMEND
	;;#ASMSTART
	v_dot2_f32_f16 v73, v21, v13, v73
	;;#ASMEND
	;; [unrolled: 3-line block ×32, first 2 shown]
	s_cmp_ge_u32 s1, s8
	;;#ASMSTART
	v_dot2_f32_f16 v74, v23, v19, v74
	;;#ASMEND
	;;#ASMSTART
	v_dot2_f32_f16 v73, v23, v15, v73
	;;#ASMEND
	;; [unrolled: 3-line block ×32, first 2 shown]
	s_cbranch_scc1 .LBB123_34
.LBB123_17:                             ;   Parent Loop BB123_13 Depth=1
                                        ; =>  This Inner Loop Header: Depth=2
	v_dual_mov_b32 v35, 0 :: v_dual_add_nc_u32 v52, s1, v0
	v_dual_mov_b32 v36, 0 :: v_dual_mov_b32 v33, 0
	v_dual_mov_b32 v34, 0 :: v_dual_mov_b32 v31, 0
	s_delay_alu instid0(VALU_DEP_3) | instskip(SKIP_2) | instid1(VALU_DEP_3)
	v_min_u32_e32 v38, s24, v52
	v_dual_mov_b32 v32, 0 :: v_dual_mov_b32 v29, 0
	v_dual_mov_b32 v30, 0 :: v_dual_mov_b32 v27, 0
	v_lshlrev_b64 v[5:6], 1, v[38:39]
	v_dual_mov_b32 v28, 0 :: v_dual_mov_b32 v25, 0
	v_dual_mov_b32 v26, 0 :: v_dual_mov_b32 v23, 0
	v_mov_b32_e32 v24, 0
	s_waitcnt lgkmcnt(0)
	s_delay_alu instid0(VALU_DEP_4) | instskip(SKIP_2) | instid1(VALU_DEP_2)
	v_add_co_u32 v11, vcc_lo, s14, v5
	v_add_co_ci_u32_e32 v12, vcc_lo, s15, v6, vcc_lo
	s_mov_b32 s2, exec_lo
	v_add_co_u32 v5, vcc_lo, v11, v44
	s_delay_alu instid0(VALU_DEP_2)
	v_add_co_ci_u32_e32 v6, vcc_lo, v12, v45, vcc_lo
	v_add_co_u32 v7, vcc_lo, v11, v46
	v_add_co_ci_u32_e32 v8, vcc_lo, v12, v47, vcc_lo
	v_add_co_u32 v9, vcc_lo, v11, v48
	;; [unrolled: 2-line block ×3, first 2 shown]
	v_add_co_ci_u32_e32 v22, vcc_lo, v12, v51, vcc_lo
	s_clause 0x3
	global_load_b128 v[17:20], v[5:6], off slc dlc
	global_load_b128 v[13:16], v[7:8], off slc dlc
	;; [unrolled: 1-line block ×4, first 2 shown]
	v_dual_mov_b32 v21, 0 :: v_dual_mov_b32 v22, 0
	v_cmpx_gt_u32_e64 s8, v52
	s_cbranch_execz .LBB123_16
; %bb.18:                               ;   in Loop: Header=BB123_17 Depth=2
	s_mov_b32 s3, exec_lo
                                        ; implicit-def: $vgpr24
	v_cmpx_lt_u32_e32 0x7fff, v52
	s_xor_b32 s3, exec_lo, s3
	s_cbranch_execz .LBB123_20
; %bb.19:                               ;   in Loop: Header=BB123_17 Depth=2
	v_mov_b32_e32 v53, v39
	s_delay_alu instid0(VALU_DEP_1) | instskip(NEXT) | instid1(VALU_DEP_1)
	v_lshlrev_b64 v[21:22], 1, v[52:53]
	v_add_co_u32 v21, vcc_lo, s12, v21
	s_delay_alu instid0(VALU_DEP_2)
	v_add_co_ci_u32_e32 v22, vcc_lo, s13, v22, vcc_lo
	global_load_b128 v[21:24], v[21:22], off
.LBB123_20:                             ;   in Loop: Header=BB123_17 Depth=2
	s_and_not1_saveexec_b32 s3, s3
	s_cbranch_execz .LBB123_22
; %bb.21:                               ;   in Loop: Header=BB123_17 Depth=2
	s_waitcnt vmcnt(0)
	ds_load_b128 v[21:24], v75
.LBB123_22:                             ;   in Loop: Header=BB123_17 Depth=2
	s_or_b32 exec_lo, exec_lo, s3
	v_add_nc_u32_e32 v38, s1, v55
	s_mov_b32 s3, exec_lo
                                        ; implicit-def: $vgpr28
	s_delay_alu instid0(VALU_DEP_1)
	v_cmpx_lt_u32_e32 0x7fff, v38
	s_xor_b32 s3, exec_lo, s3
	s_cbranch_execz .LBB123_24
; %bb.23:                               ;   in Loop: Header=BB123_17 Depth=2
	v_lshlrev_b64 v[25:26], 1, v[38:39]
	s_delay_alu instid0(VALU_DEP_1) | instskip(NEXT) | instid1(VALU_DEP_2)
	v_add_co_u32 v25, vcc_lo, s12, v25
	v_add_co_ci_u32_e32 v26, vcc_lo, s13, v26, vcc_lo
	global_load_b128 v[25:28], v[25:26], off
.LBB123_24:                             ;   in Loop: Header=BB123_17 Depth=2
	s_and_not1_saveexec_b32 s3, s3
	s_cbranch_execz .LBB123_26
; %bb.25:                               ;   in Loop: Header=BB123_17 Depth=2
	s_waitcnt vmcnt(0)
	v_add_nc_u32_e32 v25, s27, v75
	ds_load_b128 v[25:28], v25
.LBB123_26:                             ;   in Loop: Header=BB123_17 Depth=2
	s_or_b32 exec_lo, exec_lo, s3
	v_add_nc_u32_e32 v38, s1, v57
	s_mov_b32 s3, exec_lo
                                        ; implicit-def: $vgpr32
	s_delay_alu instid0(VALU_DEP_1)
	v_cmpx_lt_u32_e32 0x7fff, v38
	s_xor_b32 s3, exec_lo, s3
	s_cbranch_execz .LBB123_28
; %bb.27:                               ;   in Loop: Header=BB123_17 Depth=2
	v_lshlrev_b64 v[29:30], 1, v[38:39]
	s_delay_alu instid0(VALU_DEP_1) | instskip(NEXT) | instid1(VALU_DEP_2)
	v_add_co_u32 v29, vcc_lo, s12, v29
	v_add_co_ci_u32_e32 v30, vcc_lo, s13, v30, vcc_lo
	global_load_b128 v[29:32], v[29:30], off
.LBB123_28:                             ;   in Loop: Header=BB123_17 Depth=2
	s_and_not1_saveexec_b32 s3, s3
	s_cbranch_execz .LBB123_30
; %bb.29:                               ;   in Loop: Header=BB123_17 Depth=2
	s_waitcnt vmcnt(0)
	v_add_nc_u32_e32 v31, s22, v75
	ds_load_2addr_b32 v[29:30], v31 offset1:1
	ds_load_2addr_b32 v[31:32], v31 offset0:2 offset1:3
.LBB123_30:                             ;   in Loop: Header=BB123_17 Depth=2
	s_or_b32 exec_lo, exec_lo, s3
	v_add_nc_u32_e32 v38, s1, v40
	s_mov_b32 s3, exec_lo
                                        ; implicit-def: $vgpr36
	s_delay_alu instid0(VALU_DEP_1)
	v_cmpx_lt_u32_e32 0x7fff, v38
	s_xor_b32 s3, exec_lo, s3
	s_cbranch_execz .LBB123_32
; %bb.31:                               ;   in Loop: Header=BB123_17 Depth=2
	v_lshlrev_b64 v[33:34], 1, v[38:39]
	s_delay_alu instid0(VALU_DEP_1) | instskip(NEXT) | instid1(VALU_DEP_2)
	v_add_co_u32 v33, vcc_lo, s12, v33
	v_add_co_ci_u32_e32 v34, vcc_lo, s13, v34, vcc_lo
	global_load_b128 v[33:36], v[33:34], off
.LBB123_32:                             ;   in Loop: Header=BB123_17 Depth=2
	s_and_not1_saveexec_b32 s3, s3
	s_cbranch_execz .LBB123_15
; %bb.33:                               ;   in Loop: Header=BB123_17 Depth=2
	s_waitcnt vmcnt(0)
	v_add_nc_u32_e32 v33, s10, v75
	ds_load_b128 v[33:36], v33
	s_branch .LBB123_15
.LBB123_34:                             ;   in Loop: Header=BB123_13 Depth=1
	v_cvt_i32_f32_e32 v5, v74
	v_xor_b32_e32 v6, 16, v58
	s_waitcnt lgkmcnt(0)
	v_cvt_i32_f32_e32 v8, v72
	v_cvt_i32_f32_e32 v10, v69
	;; [unrolled: 1-line block ×3, first 2 shown]
	v_cvt_f32_i32_dpp v5, v5 row_shr:8 row_mask:0xf bank_mask:0xf bound_ctrl:1
	v_cmp_gt_i32_e32 vcc_lo, 32, v6
	v_cvt_i32_f32_e32 v7, v73
	v_cvt_i32_f32_e32 v9, v71
	v_cvt_f32_i32_dpp v8, v8 row_shr:8 row_mask:0xf bank_mask:0xf bound_ctrl:1
	v_cvt_f32_i32_dpp v10, v10 row_shr:8 row_mask:0xf bank_mask:0xf bound_ctrl:1
	v_cndmask_b32_e32 v6, v58, v6, vcc_lo
	v_add_f32_e32 v5, v74, v5
	v_cvt_f32_i32_dpp v11, v11 row_shr:8 row_mask:0xf bank_mask:0xf bound_ctrl:1
	v_cvt_f32_i32_dpp v7, v7 row_shr:8 row_mask:0xf bank_mask:0xf bound_ctrl:1
	;; [unrolled: 1-line block ×3, first 2 shown]
	v_lshlrev_b32_e32 v38, 2, v6
	v_cvt_i32_f32_e32 v12, v5
	v_dual_add_f32 v10, v69, v10 :: v_dual_add_f32 v11, v70, v11
	s_delay_alu instid0(VALU_DEP_4) | instskip(SKIP_1) | instid1(VALU_DEP_4)
	v_dual_add_f32 v6, v73, v7 :: v_dual_add_f32 v9, v71, v9
	v_add_f32_e32 v7, v72, v8
	v_cvt_f32_i32_dpp v8, v12 row_shr:4 row_mask:0xf bank_mask:0xf bound_ctrl:1
	s_delay_alu instid0(VALU_DEP_4) | instskip(SKIP_3) | instid1(VALU_DEP_4)
	v_cvt_i32_f32_e32 v15, v11
	v_cvt_i32_f32_e32 v14, v10
	;; [unrolled: 1-line block ×4, first 2 shown]
	v_cvt_f32_i32_dpp v15, v15 row_shr:4 row_mask:0xf bank_mask:0xf bound_ctrl:1
	v_add_f32_e32 v5, v5, v8
	v_cvt_i32_f32_e32 v8, v7
	v_cvt_f32_i32_dpp v13, v13 row_shr:4 row_mask:0xf bank_mask:0xf bound_ctrl:1
	v_cvt_f32_i32_dpp v14, v14 row_shr:4 row_mask:0xf bank_mask:0xf bound_ctrl:1
	;; [unrolled: 1-line block ×3, first 2 shown]
	s_delay_alu instid0(VALU_DEP_4) | instskip(NEXT) | instid1(VALU_DEP_1)
	v_cvt_f32_i32_dpp v8, v8 row_shr:4 row_mask:0xf bank_mask:0xf bound_ctrl:1
	v_dual_add_f32 v7, v7, v8 :: v_dual_add_f32 v8, v9, v13
	s_delay_alu instid0(VALU_DEP_4) | instskip(SKIP_1) | instid1(VALU_DEP_3)
	v_dual_add_f32 v9, v10, v14 :: v_dual_add_f32 v10, v11, v15
	v_cvt_i32_f32_e32 v16, v5
	v_cvt_i32_f32_e32 v14, v8
	s_delay_alu instid0(VALU_DEP_2) | instskip(NEXT) | instid1(VALU_DEP_2)
	v_cvt_f32_i32_dpp v16, v16 row_shr:2 row_mask:0xf bank_mask:0xf bound_ctrl:1
	v_cvt_f32_i32_dpp v14, v14 row_shr:2 row_mask:0xf bank_mask:0xf bound_ctrl:1
	s_delay_alu instid0(VALU_DEP_2) | instskip(SKIP_1) | instid1(VALU_DEP_2)
	v_add_f32_e32 v5, v5, v16
	v_cvt_i32_f32_e32 v16, v10
	v_cvt_i32_f32_e32 v13, v5
	s_delay_alu instid0(VALU_DEP_2) | instskip(NEXT) | instid1(VALU_DEP_2)
	v_cvt_f32_i32_dpp v16, v16 row_shr:2 row_mask:0xf bank_mask:0xf bound_ctrl:1
	v_cvt_f32_i32_dpp v13, v13 row_shr:1 row_mask:0xf bank_mask:0xf bound_ctrl:1
	v_add_f32_e32 v6, v6, v12
	v_cvt_i32_f32_e32 v12, v7
	s_delay_alu instid0(VALU_DEP_3) | instskip(NEXT) | instid1(VALU_DEP_3)
	v_add_f32_e32 v35, v5, v13
	v_cvt_i32_f32_e32 v11, v6
	s_delay_alu instid0(VALU_DEP_3) | instskip(SKIP_2) | instid1(VALU_DEP_1)
	v_cvt_f32_i32_dpp v12, v12 row_shr:2 row_mask:0xf bank_mask:0xf bound_ctrl:1
	ds_bpermute_b32 v36, v38, v35
	v_cvt_f32_i32_dpp v11, v11 row_shr:2 row_mask:0xf bank_mask:0xf bound_ctrl:1
	v_dual_add_f32 v5, v6, v11 :: v_dual_add_f32 v6, v7, v12
	v_cvt_i32_f32_e32 v15, v9
	s_delay_alu instid0(VALU_DEP_2) | instskip(NEXT) | instid1(VALU_DEP_2)
	v_cvt_i32_f32_e32 v11, v6
	v_cvt_f32_i32_dpp v15, v15 row_shr:2 row_mask:0xf bank_mask:0xf bound_ctrl:1
	v_add_f32_e32 v7, v8, v14
	s_delay_alu instid0(VALU_DEP_3) | instskip(NEXT) | instid1(VALU_DEP_3)
	v_cvt_f32_i32_dpp v11, v11 row_shr:1 row_mask:0xf bank_mask:0xf bound_ctrl:1
	v_add_f32_e32 v8, v9, v15
	s_delay_alu instid0(VALU_DEP_3) | instskip(NEXT) | instid1(VALU_DEP_3)
	v_cvt_i32_f32_e32 v12, v7
	v_add_f32_e32 v24, v6, v11
	s_delay_alu instid0(VALU_DEP_3) | instskip(NEXT) | instid1(VALU_DEP_3)
	v_cvt_i32_f32_e32 v13, v8
	v_cvt_f32_i32_dpp v12, v12 row_shr:1 row_mask:0xf bank_mask:0xf bound_ctrl:1
	v_cvt_i32_f32_e32 v6, v67
	ds_bpermute_b32 v27, v38, v24
	v_cvt_f32_i32_dpp v13, v13 row_shr:1 row_mask:0xf bank_mask:0xf bound_ctrl:1
	v_add_f32_e32 v18, v7, v12
	v_add_f32_e32 v9, v10, v16
	v_cvt_i32_f32_e32 v10, v5
	v_cvt_f32_i32_dpp v6, v6 row_shr:8 row_mask:0xf bank_mask:0xf bound_ctrl:1
	v_add_f32_e32 v11, v8, v13
	v_cvt_i32_f32_e32 v8, v66
	v_cvt_i32_f32_e32 v12, v64
	v_cvt_f32_i32_dpp v10, v10 row_shr:1 row_mask:0xf bank_mask:0xf bound_ctrl:1
	v_add_f32_e32 v6, v67, v6
	ds_bpermute_b32 v21, v38, v18
	v_cvt_f32_i32_dpp v8, v8 row_shr:8 row_mask:0xf bank_mask:0xf bound_ctrl:1
	v_cvt_f32_i32_dpp v12, v12 row_shr:8 row_mask:0xf bank_mask:0xf bound_ctrl:1
	v_add_f32_e32 v30, v5, v10
	v_cvt_i32_f32_e32 v14, v9
	v_cvt_i32_f32_e32 v5, v68
	;; [unrolled: 1-line block ×3, first 2 shown]
	v_add_f32_e32 v8, v66, v8
	v_add_f32_e32 v12, v64, v12
	v_cvt_f32_i32_dpp v14, v14 row_shr:1 row_mask:0xf bank_mask:0xf bound_ctrl:1
	v_cvt_f32_i32_dpp v5, v5 row_shr:8 row_mask:0xf bank_mask:0xf bound_ctrl:1
	;; [unrolled: 1-line block ×3, first 2 shown]
	v_cvt_i32_f32_e32 v16, v8
	v_cvt_i32_f32_e32 v19, v12
	v_add_f32_e32 v7, v9, v14
	v_cvt_i32_f32_e32 v9, v65
	v_dual_add_f32 v5, v68, v5 :: v_dual_add_f32 v6, v6, v15
	v_cvt_f32_i32_dpp v16, v16 row_shr:4 row_mask:0xf bank_mask:0xf bound_ctrl:1
	v_cvt_f32_i32_dpp v19, v19 row_shr:4 row_mask:0xf bank_mask:0xf bound_ctrl:1
	s_delay_alu instid0(VALU_DEP_4) | instskip(NEXT) | instid1(VALU_DEP_4)
	v_cvt_f32_i32_dpp v9, v9 row_shr:8 row_mask:0xf bank_mask:0xf bound_ctrl:1
	v_cvt_i32_f32_e32 v13, v5
	v_cvt_i32_f32_e32 v15, v6
	v_add_f32_e32 v8, v8, v16
	s_delay_alu instid0(VALU_DEP_4) | instskip(NEXT) | instid1(VALU_DEP_4)
	v_dual_add_f32 v12, v12, v19 :: v_dual_add_f32 v9, v65, v9
	v_cvt_f32_i32_dpp v13, v13 row_shr:4 row_mask:0xf bank_mask:0xf bound_ctrl:1
	s_delay_alu instid0(VALU_DEP_4) | instskip(NEXT) | instid1(VALU_DEP_4)
	v_cvt_f32_i32_dpp v15, v15 row_shr:2 row_mask:0xf bank_mask:0xf bound_ctrl:1
	v_cvt_i32_f32_e32 v16, v8
	s_delay_alu instid0(VALU_DEP_4) | instskip(SKIP_1) | instid1(VALU_DEP_4)
	v_cvt_i32_f32_e32 v19, v12
	v_cvt_i32_f32_e32 v17, v9
	v_dual_add_f32 v5, v5, v13 :: v_dual_add_f32 v6, v6, v15
	s_delay_alu instid0(VALU_DEP_4) | instskip(NEXT) | instid1(VALU_DEP_4)
	v_cvt_f32_i32_dpp v16, v16 row_shr:2 row_mask:0xf bank_mask:0xf bound_ctrl:1
	v_cvt_f32_i32_dpp v19, v19 row_shr:2 row_mask:0xf bank_mask:0xf bound_ctrl:1
	s_delay_alu instid0(VALU_DEP_4) | instskip(NEXT) | instid1(VALU_DEP_4)
	v_cvt_f32_i32_dpp v17, v17 row_shr:4 row_mask:0xf bank_mask:0xf bound_ctrl:1
	v_cvt_i32_f32_e32 v13, v5
	v_cvt_i32_f32_e32 v15, v6
	ds_bpermute_b32 v33, v38, v30
	ds_bpermute_b32 v14, v38, v11
	v_add_f32_e32 v9, v9, v17
	v_cvt_f32_i32_dpp v13, v13 row_shr:2 row_mask:0xf bank_mask:0xf bound_ctrl:1
	v_cvt_f32_i32_dpp v15, v15 row_shr:1 row_mask:0xf bank_mask:0xf bound_ctrl:1
	ds_bpermute_b32 v10, v38, v7
	v_cvt_i32_f32_e32 v17, v9
	v_add_f32_e32 v5, v5, v13
	v_add_f32_e32 v25, v6, v15
	v_cvt_i32_f32_e32 v15, v60
	s_delay_alu instid0(VALU_DEP_4) | instskip(NEXT) | instid1(VALU_DEP_4)
	v_cvt_f32_i32_dpp v17, v17 row_shr:2 row_mask:0xf bank_mask:0xf bound_ctrl:1
	v_cvt_i32_f32_e32 v13, v5
	v_add_f32_e32 v8, v8, v16
	s_delay_alu instid0(VALU_DEP_4) | instskip(NEXT) | instid1(VALU_DEP_4)
	v_cvt_f32_i32_dpp v15, v15 row_shr:8 row_mask:0xf bank_mask:0xf bound_ctrl:1
	v_add_f32_e32 v9, v9, v17
	s_delay_alu instid0(VALU_DEP_4) | instskip(SKIP_2) | instid1(VALU_DEP_4)
	v_cvt_f32_i32_dpp v13, v13 row_shr:1 row_mask:0xf bank_mask:0xf bound_ctrl:1
	v_add_f32_e32 v12, v12, v19
	v_cvt_i32_f32_e32 v16, v8
	v_cvt_i32_f32_e32 v17, v9
	s_delay_alu instid0(VALU_DEP_4) | instskip(NEXT) | instid1(VALU_DEP_4)
	v_add_f32_e32 v31, v5, v13
	v_cvt_i32_f32_e32 v19, v12
	s_delay_alu instid0(VALU_DEP_4)
	v_cvt_f32_i32_dpp v16, v16 row_shr:1 row_mask:0xf bank_mask:0xf bound_ctrl:1
	v_cvt_i32_f32_e32 v5, v63
	v_cvt_f32_i32_dpp v20, v17 row_shr:1 row_mask:0xf bank_mask:0xf bound_ctrl:1
	ds_bpermute_b32 v34, v38, v31
	v_cvt_f32_i32_dpp v19, v19 row_shr:1 row_mask:0xf bank_mask:0xf bound_ctrl:1
	v_add_f32_e32 v17, v8, v16
	v_cvt_i32_f32_e32 v8, v62
	v_add_f32_e32 v13, v9, v20
	v_cvt_f32_i32_dpp v5, v5 row_shr:8 row_mask:0xf bank_mask:0xf bound_ctrl:1
	v_add_f32_e32 v6, v12, v19
	v_cvt_i32_f32_e32 v12, v61
	v_cvt_i32_f32_e32 v19, v59
	v_cvt_f32_i32_dpp v8, v8 row_shr:8 row_mask:0xf bank_mask:0xf bound_ctrl:1
	v_add_f32_e32 v5, v63, v5
	ds_bpermute_b32 v20, v38, v17
	v_cvt_f32_i32_dpp v12, v12 row_shr:8 row_mask:0xf bank_mask:0xf bound_ctrl:1
	v_cvt_f32_i32_dpp v19, v19 row_shr:8 row_mask:0xf bank_mask:0xf bound_ctrl:1
	v_add_f32_e32 v8, v62, v8
	v_cvt_i32_f32_e32 v22, v5
	ds_bpermute_b32 v16, v38, v13
	v_add_f32_e32 v12, v61, v12
	ds_bpermute_b32 v28, v38, v25
	v_cvt_i32_f32_e32 v23, v8
	v_cvt_f32_i32_dpp v22, v22 row_shr:4 row_mask:0xf bank_mask:0xf bound_ctrl:1
	ds_bpermute_b32 v9, v38, v6
	v_cvt_i32_f32_e32 v26, v12
	v_cvt_f32_i32_dpp v23, v23 row_shr:4 row_mask:0xf bank_mask:0xf bound_ctrl:1
	v_add_f32_e32 v5, v5, v22
	s_delay_alu instid0(VALU_DEP_3) | instskip(SKIP_1) | instid1(VALU_DEP_4)
	v_cvt_f32_i32_dpp v26, v26 row_shr:4 row_mask:0xf bank_mask:0xf bound_ctrl:1
	v_add_f32_e32 v19, v59, v19
	v_add_f32_e32 v8, v8, v23
	s_delay_alu instid0(VALU_DEP_4) | instskip(NEXT) | instid1(VALU_DEP_4)
	v_cvt_i32_f32_e32 v22, v5
	v_add_f32_e32 v12, v12, v26
	s_delay_alu instid0(VALU_DEP_4) | instskip(NEXT) | instid1(VALU_DEP_4)
	v_cvt_i32_f32_e32 v32, v19
	v_cvt_i32_f32_e32 v23, v8
	s_delay_alu instid0(VALU_DEP_4) | instskip(NEXT) | instid1(VALU_DEP_4)
	v_cvt_f32_i32_dpp v22, v22 row_shr:2 row_mask:0xf bank_mask:0xf bound_ctrl:1
	v_cvt_i32_f32_e32 v26, v12
	s_delay_alu instid0(VALU_DEP_4) | instskip(NEXT) | instid1(VALU_DEP_4)
	v_cvt_f32_i32_dpp v32, v32 row_shr:4 row_mask:0xf bank_mask:0xf bound_ctrl:1
	v_cvt_f32_i32_dpp v23, v23 row_shr:2 row_mask:0xf bank_mask:0xf bound_ctrl:1
	s_delay_alu instid0(VALU_DEP_4) | instskip(NEXT) | instid1(VALU_DEP_4)
	v_add_f32_e32 v5, v5, v22
	v_cvt_f32_i32_dpp v26, v26 row_shr:2 row_mask:0xf bank_mask:0xf bound_ctrl:1
	s_delay_alu instid0(VALU_DEP_3) | instskip(NEXT) | instid1(VALU_DEP_2)
	v_dual_add_f32 v19, v19, v32 :: v_dual_add_f32 v8, v8, v23
	v_add_f32_e32 v12, v12, v26
	s_delay_alu instid0(VALU_DEP_2) | instskip(NEXT) | instid1(VALU_DEP_3)
	v_cvt_i32_f32_e32 v32, v19
	v_cvt_i32_f32_e32 v23, v8
	s_delay_alu instid0(VALU_DEP_3) | instskip(NEXT) | instid1(VALU_DEP_3)
	v_cvt_i32_f32_e32 v26, v12
	v_cvt_f32_i32_dpp v32, v32 row_shr:2 row_mask:0xf bank_mask:0xf bound_ctrl:1
	v_add_f32_e32 v15, v60, v15
	s_delay_alu instid0(VALU_DEP_4) | instskip(NEXT) | instid1(VALU_DEP_4)
	v_cvt_f32_i32_dpp v23, v23 row_shr:1 row_mask:0xf bank_mask:0xf bound_ctrl:1
	v_cvt_f32_i32_dpp v26, v26 row_shr:1 row_mask:0xf bank_mask:0xf bound_ctrl:1
	s_delay_alu instid0(VALU_DEP_4) | instskip(NEXT) | instid1(VALU_DEP_4)
	v_add_f32_e32 v22, v19, v32
	v_cvt_i32_f32_e32 v29, v15
	v_cvt_i32_f32_e32 v19, v5
	v_add_f32_e32 v23, v8, v23
	s_delay_alu instid0(VALU_DEP_4) | instskip(NEXT) | instid1(VALU_DEP_4)
	v_cvt_i32_f32_e32 v32, v22
	v_cvt_f32_i32_dpp v29, v29 row_shr:4 row_mask:0xf bank_mask:0xf bound_ctrl:1
	s_delay_alu instid0(VALU_DEP_4) | instskip(NEXT) | instid1(VALU_DEP_3)
	v_cvt_f32_i32_dpp v19, v19 row_shr:1 row_mask:0xf bank_mask:0xf bound_ctrl:1
	v_cvt_f32_i32_dpp v32, v32 row_shr:1 row_mask:0xf bank_mask:0xf bound_ctrl:1
	s_delay_alu instid0(VALU_DEP_3) | instskip(NEXT) | instid1(VALU_DEP_1)
	v_add_f32_e32 v15, v15, v29
	v_cvt_i32_f32_e32 v29, v15
	s_delay_alu instid0(VALU_DEP_1) | instskip(NEXT) | instid1(VALU_DEP_1)
	v_cvt_f32_i32_dpp v29, v29 row_shr:2 row_mask:0xf bank_mask:0xf bound_ctrl:1
	v_add_f32_e32 v15, v15, v29
	s_delay_alu instid0(VALU_DEP_1) | instskip(NEXT) | instid1(VALU_DEP_1)
	v_cvt_i32_f32_e32 v29, v15
	v_cvt_f32_i32_dpp v44, v29 row_shr:1 row_mask:0xf bank_mask:0xf bound_ctrl:1
	v_add_f32_e32 v29, v5, v19
	v_add_f32_e32 v19, v12, v26
	;; [unrolled: 1-line block ×3, first 2 shown]
	ds_bpermute_b32 v26, v38, v23
	v_add_f32_e32 v12, v15, v44
	ds_bpermute_b32 v32, v38, v29
	ds_bpermute_b32 v22, v38, v19
	;; [unrolled: 1-line block ×4, first 2 shown]
	s_and_saveexec_b32 s5, s0
	s_cbranch_execz .LBB123_54
; %bb.35:                               ;   in Loop: Header=BB123_13 Depth=1
	v_dual_mov_b32 v64, 0 :: v_dual_mov_b32 v63, 0
	v_dual_mov_b32 v44, 0 :: v_dual_mov_b32 v61, 0
	;; [unrolled: 1-line block ×3, first 2 shown]
	s_waitcnt vmcnt(6)
	v_dual_mov_b32 v52, 0 :: v_dual_mov_b32 v53, 0
	s_waitcnt vmcnt(5)
	v_dual_mov_b32 v50, 0 :: v_dual_mov_b32 v51, 0
	;; [unrolled: 2-line block ×5, first 2 shown]
	s_and_not1_b32 vcc_lo, exec_lo, s26
	s_cbranch_vccnz .LBB123_37
; %bb.36:                               ;   in Loop: Header=BB123_13 Depth=1
	v_mul_hi_u32 v38, v37, v56
	v_mul_hi_u32 v44, v43, v56
	;; [unrolled: 1-line block ×4, first 2 shown]
	v_mov_b32_e32 v68, v39
	v_mov_b32_e32 v72, v39
	;; [unrolled: 1-line block ×4, first 2 shown]
	v_mul_lo_u32 v38, v38, s16
	v_mul_lo_u32 v44, v44, s16
	;; [unrolled: 1-line block ×4, first 2 shown]
	s_delay_alu instid0(VALU_DEP_4) | instskip(NEXT) | instid1(VALU_DEP_4)
	v_sub_nc_u32_e32 v38, v37, v38
	v_sub_nc_u32_e32 v44, v43, v44
	s_delay_alu instid0(VALU_DEP_4) | instskip(NEXT) | instid1(VALU_DEP_4)
	v_sub_nc_u32_e32 v47, v41, v47
	v_sub_nc_u32_e32 v45, v42, v45
	s_delay_alu instid0(VALU_DEP_4)
	v_subrev_nc_u32_e32 v49, s16, v38
	v_cmp_le_u32_e32 vcc_lo, s16, v38
	v_subrev_nc_u32_e32 v50, s16, v44
	v_subrev_nc_u32_e32 v52, s16, v47
	;; [unrolled: 1-line block ×3, first 2 shown]
	v_cndmask_b32_e32 v38, v38, v49, vcc_lo
	v_cmp_le_u32_e32 vcc_lo, s16, v44
	v_cndmask_b32_e32 v44, v44, v50, vcc_lo
	v_cmp_le_u32_e32 vcc_lo, s16, v45
	v_dual_mov_b32 v46, v39 :: v_dual_cndmask_b32 v49, v45, v51
	v_cmp_le_u32_e32 vcc_lo, s16, v47
	s_delay_alu instid0(VALU_DEP_2) | instskip(SKIP_4) | instid1(VALU_DEP_4)
	v_subrev_nc_u32_e32 v51, s16, v49
	v_cndmask_b32_e32 v53, v47, v52, vcc_lo
	v_subrev_nc_u32_e32 v45, s16, v38
	v_cmp_le_u32_e32 vcc_lo, s16, v38
	v_subrev_nc_u32_e32 v47, s16, v44
	v_subrev_nc_u32_e32 v59, s16, v53
	s_delay_alu instid0(VALU_DEP_4) | instskip(SKIP_1) | instid1(VALU_DEP_4)
	v_cndmask_b32_e32 v38, v38, v45, vcc_lo
	v_cmp_le_u32_e32 vcc_lo, s16, v44
	v_dual_mov_b32 v48, v39 :: v_dual_cndmask_b32 v45, v44, v47
	v_cmp_le_u32_e32 vcc_lo, s16, v49
	s_delay_alu instid0(VALU_DEP_2) | instskip(SKIP_4) | instid1(VALU_DEP_4)
	v_add_nc_u32_e32 v67, s28, v45
	v_cndmask_b32_e32 v47, v49, v51, vcc_lo
	v_cmp_le_u32_e32 vcc_lo, s16, v53
	v_lshlrev_b64 v[51:52], 1, v[38:39]
	v_dual_mov_b32 v50, v39 :: v_dual_add_nc_u32 v77, s29, v45
	v_lshlrev_b64 v[61:62], 1, v[47:48]
	v_cndmask_b32_e32 v49, v53, v59, vcc_lo
	v_lshlrev_b64 v[59:60], 1, v[45:46]
	v_add_co_u32 v51, vcc_lo, s6, v51
	v_add_co_ci_u32_e32 v52, vcc_lo, s7, v52, vcc_lo
	s_delay_alu instid0(VALU_DEP_4) | instskip(NEXT) | instid1(VALU_DEP_4)
	v_lshlrev_b64 v[63:64], 1, v[49:50]
	v_add_co_u32 v59, vcc_lo, s6, v59
	v_add_co_ci_u32_e32 v60, vcc_lo, s7, v60, vcc_lo
	v_add_co_u32 v61, vcc_lo, s6, v61
	v_add_co_ci_u32_e32 v62, vcc_lo, s7, v62, vcc_lo
	;; [unrolled: 2-line block ×3, first 2 shown]
	v_lshlrev_b64 v[63:64], 1, v[67:68]
	v_add_nc_u32_e32 v67, s28, v47
	v_add_nc_u32_e32 v65, s28, v38
	;; [unrolled: 1-line block ×3, first 2 shown]
	s_delay_alu instid0(VALU_DEP_3) | instskip(NEXT) | instid1(VALU_DEP_3)
	v_lshlrev_b64 v[67:68], 1, v[67:68]
	v_lshlrev_b64 v[65:66], 1, v[65:66]
	s_delay_alu instid0(VALU_DEP_1) | instskip(NEXT) | instid1(VALU_DEP_2)
	v_add_co_u32 v65, vcc_lo, s6, v65
	v_add_co_ci_u32_e32 v66, vcc_lo, s7, v66, vcc_lo
	v_add_co_u32 v73, vcc_lo, s6, v63
	v_add_co_ci_u32_e32 v74, vcc_lo, s7, v64, vcc_lo
	v_lshlrev_b64 v[63:64], 1, v[71:72]
	v_add_nc_u32_e32 v71, s29, v38
	v_add_co_u32 v67, vcc_lo, s6, v67
	v_add_co_ci_u32_e32 v68, vcc_lo, s7, v68, vcc_lo
	s_delay_alu instid0(VALU_DEP_3)
	v_lshlrev_b64 v[71:72], 1, v[71:72]
	v_add_co_u32 v75, vcc_lo, s6, v63
	v_add_co_ci_u32_e32 v76, vcc_lo, s7, v64, vcc_lo
	s_clause 0x7
	global_load_u16 v64, v[51:52], off
	global_load_u16 v44, v[59:60], off
	;; [unrolled: 1-line block ×8, first 2 shown]
	v_dual_mov_b32 v68, v39 :: v_dual_add_nc_u32 v67, s29, v47
	v_add_co_u32 v69, vcc_lo, s6, v71
	v_lshlrev_b64 v[65:66], 1, v[77:78]
	v_add_co_ci_u32_e32 v70, vcc_lo, s7, v72, vcc_lo
	v_dual_mov_b32 v72, v39 :: v_dual_add_nc_u32 v71, s29, v49
	v_lshlrev_b64 v[67:68], 1, v[67:68]
	v_add_nc_u32_e32 v38, s30, v38
	v_add_co_u32 v65, vcc_lo, s6, v65
	s_delay_alu instid0(VALU_DEP_4)
	v_lshlrev_b64 v[71:72], 1, v[71:72]
	v_add_co_ci_u32_e32 v66, vcc_lo, s7, v66, vcc_lo
	v_add_co_u32 v67, vcc_lo, s6, v67
	v_lshlrev_b64 v[73:74], 1, v[38:39]
	v_add_nc_u32_e32 v38, s30, v45
	v_add_co_ci_u32_e32 v68, vcc_lo, s7, v68, vcc_lo
	v_add_co_u32 v45, vcc_lo, s6, v71
	v_add_co_ci_u32_e32 v46, vcc_lo, s7, v72, vcc_lo
	s_delay_alu instid0(VALU_DEP_4) | instskip(SKIP_3) | instid1(VALU_DEP_3)
	v_lshlrev_b64 v[71:72], 1, v[38:39]
	v_add_nc_u32_e32 v38, s30, v47
	v_add_co_u32 v47, vcc_lo, s6, v73
	v_add_co_ci_u32_e32 v48, vcc_lo, s7, v74, vcc_lo
	v_lshlrev_b64 v[73:74], 1, v[38:39]
	v_add_nc_u32_e32 v38, s30, v49
	v_add_co_u32 v71, vcc_lo, s6, v71
	v_add_co_ci_u32_e32 v72, vcc_lo, s7, v72, vcc_lo
	s_delay_alu instid0(VALU_DEP_3) | instskip(SKIP_2) | instid1(VALU_DEP_3)
	v_lshlrev_b64 v[75:76], 1, v[38:39]
	v_add_co_u32 v73, vcc_lo, s6, v73
	v_add_co_ci_u32_e32 v74, vcc_lo, s7, v74, vcc_lo
	v_add_co_u32 v75, vcc_lo, s6, v75
	s_delay_alu instid0(VALU_DEP_4)
	v_add_co_ci_u32_e32 v76, vcc_lo, s7, v76, vcc_lo
	s_clause 0x7
	global_load_u16 v60, v[69:70], off
	global_load_u16 v53, v[65:66], off
	;; [unrolled: 1-line block ×8, first 2 shown]
.LBB123_37:                             ;   in Loop: Header=BB123_13 Depth=1
	v_cmp_ne_u32_e32 vcc_lo, 0, v1
	s_and_saveexec_b32 s2, vcc_lo
	s_cbranch_execnz .LBB123_59
; %bb.38:                               ;   in Loop: Header=BB123_13 Depth=1
	s_or_b32 exec_lo, exec_lo, s2
	v_cmp_ne_u32_e64 s1, 0, v2
	s_delay_alu instid0(VALU_DEP_1)
	s_and_saveexec_b32 s3, s1
	s_cbranch_execnz .LBB123_60
.LBB123_39:                             ;   in Loop: Header=BB123_13 Depth=1
	s_or_b32 exec_lo, exec_lo, s3
	v_cmp_ne_u32_e64 s2, 0, v3
	s_delay_alu instid0(VALU_DEP_1)
	s_and_saveexec_b32 s4, s2
	s_cbranch_execnz .LBB123_61
.LBB123_40:                             ;   in Loop: Header=BB123_13 Depth=1
	s_or_b32 exec_lo, exec_lo, s4
	v_cmp_ne_u32_e64 s3, 0, v4
	s_delay_alu instid0(VALU_DEP_1)
	s_and_saveexec_b32 s31, s3
	s_cbranch_execnz .LBB123_62
.LBB123_41:                             ;   in Loop: Header=BB123_13 Depth=1
	s_or_b32 exec_lo, exec_lo, s31
	v_add_nc_u32_e32 v38, s11, v37
	s_and_saveexec_b32 s31, vcc_lo
	s_cbranch_execnz .LBB123_63
.LBB123_42:                             ;   in Loop: Header=BB123_13 Depth=1
	s_or_b32 exec_lo, exec_lo, s31
	s_and_saveexec_b32 s31, s1
	s_cbranch_execnz .LBB123_64
.LBB123_43:                             ;   in Loop: Header=BB123_13 Depth=1
	s_or_b32 exec_lo, exec_lo, s31
	s_and_saveexec_b32 s31, s2
	s_cbranch_execnz .LBB123_65
.LBB123_44:                             ;   in Loop: Header=BB123_13 Depth=1
	s_or_b32 exec_lo, exec_lo, s31
	s_and_saveexec_b32 s31, s3
	s_cbranch_execnz .LBB123_66
.LBB123_45:                             ;   in Loop: Header=BB123_13 Depth=1
	s_or_b32 exec_lo, exec_lo, s31
	v_add_nc_u32_e32 v38, s11, v38
	s_and_saveexec_b32 s31, vcc_lo
	s_cbranch_execnz .LBB123_67
.LBB123_46:                             ;   in Loop: Header=BB123_13 Depth=1
	s_or_b32 exec_lo, exec_lo, s31
	s_and_saveexec_b32 s31, s1
	s_cbranch_execnz .LBB123_68
.LBB123_47:                             ;   in Loop: Header=BB123_13 Depth=1
	s_or_b32 exec_lo, exec_lo, s31
	s_and_saveexec_b32 s31, s2
	s_cbranch_execnz .LBB123_69
.LBB123_48:                             ;   in Loop: Header=BB123_13 Depth=1
	s_or_b32 exec_lo, exec_lo, s31
	s_and_saveexec_b32 s31, s3
	s_cbranch_execnz .LBB123_70
.LBB123_49:                             ;   in Loop: Header=BB123_13 Depth=1
	s_or_b32 exec_lo, exec_lo, s31
	v_add_nc_u32_e32 v38, s11, v38
	s_and_saveexec_b32 s4, vcc_lo
	s_cbranch_execnz .LBB123_71
.LBB123_50:                             ;   in Loop: Header=BB123_13 Depth=1
	s_or_b32 exec_lo, exec_lo, s4
	s_and_saveexec_b32 s4, s1
	s_cbranch_execnz .LBB123_72
.LBB123_51:                             ;   in Loop: Header=BB123_13 Depth=1
	s_or_b32 exec_lo, exec_lo, s4
	s_and_saveexec_b32 s1, s2
	s_cbranch_execnz .LBB123_73
.LBB123_52:                             ;   in Loop: Header=BB123_13 Depth=1
	s_or_b32 exec_lo, exec_lo, s1
	s_delay_alu instid0(SALU_CYCLE_1)
	s_and_b32 exec_lo, exec_lo, s3
	s_cbranch_execz .LBB123_54
.LBB123_53:                             ;   in Loop: Header=BB123_13 Depth=1
	s_waitcnt lgkmcnt(0)
	v_dual_add_f32 v5, v5, v8 :: v_dual_add_nc_u32 v38, 3, v38
	s_waitcnt vmcnt(0)
	v_cvt_f32_f16_e32 v6, v45
	s_delay_alu instid0(VALU_DEP_1) | instskip(NEXT) | instid1(VALU_DEP_3)
	v_add_f32_e32 v7, v5, v6
	v_lshlrev_b64 v[5:6], 1, v[38:39]
	s_delay_alu instid0(VALU_DEP_2) | instskip(NEXT) | instid1(VALU_DEP_2)
	v_cvt_f16_f32_e32 v7, v7
	v_add_co_u32 v5, vcc_lo, s18, v5
	s_delay_alu instid0(VALU_DEP_3)
	v_add_co_ci_u32_e32 v6, vcc_lo, s19, v6, vcc_lo
	global_store_b16 v[5:6], v7, off
.LBB123_54:                             ;   in Loop: Header=BB123_13 Depth=1
	s_or_b32 exec_lo, exec_lo, s5
	v_add_nc_u32_e32 v37, s20, v37
	s_delay_alu instid0(VALU_DEP_1) | instskip(SKIP_1) | instid1(VALU_DEP_2)
	v_add_nc_u32_e32 v5, 4, v37
	v_cmp_gt_u32_e32 vcc_lo, s11, v37
	v_cmp_le_u32_e64 s1, s11, v5
	s_delay_alu instid0(VALU_DEP_1) | instskip(NEXT) | instid1(SALU_CYCLE_1)
	s_and_b32 s1, vcc_lo, s1
	s_and_saveexec_b32 s31, s1
	s_cbranch_execz .LBB123_12
; %bb.55:                               ;   in Loop: Header=BB123_13 Depth=1
	s_mov_b32 s33, exec_lo
	v_cmpx_ne_u32_e64 s21, v37
	s_cbranch_execz .LBB123_11
; %bb.56:                               ;   in Loop: Header=BB123_13 Depth=1
	v_subrev_nc_u32_e32 v5, s21, v37
	s_mov_b32 s34, 0
	s_mov_b64 s[4:5], 0
	s_delay_alu instid0(VALU_DEP_1)
	v_cmp_lt_u32_e32 vcc_lo, 1, v5
	v_cndmask_b32_e32 v5, 1, v5, vcc_lo
	.p2align	6
.LBB123_57:                             ;   Parent Loop BB123_13 Depth=1
                                        ; =>  This Inner Loop Header: Depth=2
	s_cmp_lg_u32 s4, 3
	s_cselect_b32 vcc_lo, -1, 0
	s_cmp_lg_u32 s4, 2
	v_cndmask_b32_e32 v4, 0, v4, vcc_lo
	s_cselect_b32 s1, -1, 0
	s_cmp_lg_u32 s4, 1
	v_cndmask_b32_e64 v3, 0, v3, s1
	s_cselect_b32 s2, -1, 0
	s_cmp_lg_u32 s4, 0
	v_cndmask_b32_e64 v2, 0, v2, s2
	s_cselect_b32 s3, -1, 0
	s_add_u32 s4, s4, 1
	v_cndmask_b32_e64 v1, 0, v1, s3
	v_cmp_eq_u32_e32 vcc_lo, s4, v5
	s_addc_u32 s5, s5, 0
	s_or_b32 s34, vcc_lo, s34
	s_delay_alu instid0(SALU_CYCLE_1)
	s_and_not1_b32 exec_lo, exec_lo, s34
	s_cbranch_execnz .LBB123_57
; %bb.58:                               ;   in Loop: Header=BB123_13 Depth=1
	s_or_b32 exec_lo, exec_lo, s34
	s_branch .LBB123_11
.LBB123_59:                             ;   in Loop: Header=BB123_13 Depth=1
	s_waitcnt lgkmcnt(0)
	v_add_f32_e32 v35, v35, v36
	s_waitcnt vmcnt(15)
	v_cvt_f32_f16_e32 v36, v64
	v_mov_b32_e32 v38, v39
	s_delay_alu instid0(VALU_DEP_2) | instskip(NEXT) | instid1(VALU_DEP_2)
	v_add_f32_e32 v64, v35, v36
	v_lshlrev_b64 v[35:36], 1, v[37:38]
	s_delay_alu instid0(VALU_DEP_2) | instskip(NEXT) | instid1(VALU_DEP_2)
	v_cvt_f16_f32_e32 v38, v64
	v_add_co_u32 v35, s1, s18, v35
	s_delay_alu instid0(VALU_DEP_1) | instskip(SKIP_3) | instid1(VALU_DEP_1)
	v_add_co_ci_u32_e64 v36, s1, s19, v36, s1
	global_store_b16 v[35:36], v38, off
	s_or_b32 exec_lo, exec_lo, s2
	v_cmp_ne_u32_e64 s1, 0, v2
	s_and_saveexec_b32 s3, s1
	s_cbranch_execz .LBB123_39
.LBB123_60:                             ;   in Loop: Header=BB123_13 Depth=1
	s_waitcnt lgkmcnt(0)
	v_add_f32_e32 v30, v30, v33
	s_waitcnt vmcnt(14)
	v_cvt_f32_f16_e32 v33, v44
	v_mov_b32_e32 v44, v39
	s_delay_alu instid0(VALU_DEP_2) | instskip(NEXT) | instid1(VALU_DEP_2)
	v_add_f32_e32 v30, v30, v33
	v_lshlrev_b64 v[35:36], 1, v[43:44]
	s_delay_alu instid0(VALU_DEP_2) | instskip(NEXT) | instid1(VALU_DEP_2)
	v_cvt_f16_f32_e32 v30, v30
	v_add_co_u32 v35, s2, s18, v35
	s_delay_alu instid0(VALU_DEP_1) | instskip(SKIP_3) | instid1(VALU_DEP_1)
	v_add_co_ci_u32_e64 v36, s2, s19, v36, s2
	global_store_b16 v[35:36], v30, off
	s_or_b32 exec_lo, exec_lo, s3
	v_cmp_ne_u32_e64 s2, 0, v3
	s_and_saveexec_b32 s4, s2
	s_cbranch_execz .LBB123_40
.LBB123_61:                             ;   in Loop: Header=BB123_13 Depth=1
	s_waitcnt lgkmcnt(0)
	v_dual_add_f32 v24, v24, v27 :: v_dual_mov_b32 v43, v39
	s_waitcnt vmcnt(13)
	v_cvt_f32_f16_e32 v27, v63
	s_delay_alu instid0(VALU_DEP_2) | instskip(NEXT) | instid1(VALU_DEP_2)
	v_lshlrev_b64 v[35:36], 1, v[42:43]
	v_add_f32_e32 v24, v24, v27
	s_delay_alu instid0(VALU_DEP_1) | instskip(NEXT) | instid1(VALU_DEP_3)
	v_cvt_f16_f32_e32 v24, v24
	v_add_co_u32 v35, s3, s18, v35
	s_delay_alu instid0(VALU_DEP_1) | instskip(SKIP_3) | instid1(VALU_DEP_1)
	v_add_co_ci_u32_e64 v36, s3, s19, v36, s3
	global_store_b16 v[35:36], v24, off
	s_or_b32 exec_lo, exec_lo, s4
	v_cmp_ne_u32_e64 s3, 0, v4
	s_and_saveexec_b32 s31, s3
	s_cbranch_execz .LBB123_41
.LBB123_62:                             ;   in Loop: Header=BB123_13 Depth=1
	v_mov_b32_e32 v42, v39
	s_waitcnt lgkmcnt(0)
	v_add_f32_e32 v18, v18, v21
	s_waitcnt vmcnt(12)
	v_cvt_f32_f16_e32 v21, v62
	v_lshlrev_b64 v[35:36], 1, v[41:42]
	s_delay_alu instid0(VALU_DEP_2) | instskip(NEXT) | instid1(VALU_DEP_2)
	v_add_f32_e32 v18, v18, v21
	v_add_co_u32 v35, s4, s18, v35
	s_delay_alu instid0(VALU_DEP_2) | instskip(NEXT) | instid1(VALU_DEP_4)
	v_cvt_f16_f32_e32 v18, v18
	v_add_co_ci_u32_e64 v36, s4, s19, v36, s4
	global_store_b16 v[35:36], v18, off
	s_or_b32 exec_lo, exec_lo, s31
	v_add_nc_u32_e32 v38, s11, v37
	s_and_saveexec_b32 s31, vcc_lo
	s_cbranch_execz .LBB123_42
.LBB123_63:                             ;   in Loop: Header=BB123_13 Depth=1
	s_waitcnt lgkmcnt(0)
	v_add_f32_e32 v11, v11, v14
	s_waitcnt vmcnt(11)
	v_cvt_f32_f16_e32 v14, v61
	v_lshlrev_b64 v[35:36], 1, v[38:39]
	s_delay_alu instid0(VALU_DEP_2) | instskip(NEXT) | instid1(VALU_DEP_2)
	v_add_f32_e32 v11, v11, v14
	v_add_co_u32 v35, s4, s18, v35
	s_delay_alu instid0(VALU_DEP_1) | instskip(NEXT) | instid1(VALU_DEP_3)
	v_add_co_ci_u32_e64 v36, s4, s19, v36, s4
	v_cvt_f16_f32_e32 v11, v11
	global_store_b16 v[35:36], v11, off
	s_or_b32 exec_lo, exec_lo, s31
	s_and_saveexec_b32 s31, s1
	s_cbranch_execz .LBB123_43
.LBB123_64:                             ;   in Loop: Header=BB123_13 Depth=1
	s_waitcnt lgkmcnt(0)
	v_add_f32_e32 v7, v7, v10
	v_dual_mov_b32 v11, v39 :: v_dual_add_nc_u32 v10, 1, v38
	s_waitcnt vmcnt(10)
	v_cvt_f32_f16_e32 v14, v59
	s_delay_alu instid0(VALU_DEP_2) | instskip(NEXT) | instid1(VALU_DEP_2)
	v_lshlrev_b64 v[10:11], 1, v[10:11]
	v_add_f32_e32 v7, v7, v14
	s_delay_alu instid0(VALU_DEP_1) | instskip(NEXT) | instid1(VALU_DEP_3)
	v_cvt_f16_f32_e32 v7, v7
	v_add_co_u32 v10, s4, s18, v10
	s_delay_alu instid0(VALU_DEP_1)
	v_add_co_ci_u32_e64 v11, s4, s19, v11, s4
	global_store_b16 v[10:11], v7, off
	s_or_b32 exec_lo, exec_lo, s31
	s_and_saveexec_b32 s31, s2
	s_cbranch_execz .LBB123_44
.LBB123_65:                             ;   in Loop: Header=BB123_13 Depth=1
	s_waitcnt lgkmcnt(0)
	v_dual_mov_b32 v11, v39 :: v_dual_add_nc_u32 v10, 2, v38
	v_add_f32_e32 v7, v31, v34
	s_waitcnt vmcnt(9)
	v_cvt_f32_f16_e32 v14, v52
	s_delay_alu instid0(VALU_DEP_3) | instskip(NEXT) | instid1(VALU_DEP_2)
	v_lshlrev_b64 v[10:11], 1, v[10:11]
	v_add_f32_e32 v7, v7, v14
	s_delay_alu instid0(VALU_DEP_2) | instskip(NEXT) | instid1(VALU_DEP_2)
	v_add_co_u32 v10, s4, s18, v10
	v_cvt_f16_f32_e32 v7, v7
	s_delay_alu instid0(VALU_DEP_4)
	v_add_co_ci_u32_e64 v11, s4, s19, v11, s4
	global_store_b16 v[10:11], v7, off
	s_or_b32 exec_lo, exec_lo, s31
	s_and_saveexec_b32 s31, s3
	s_cbranch_execz .LBB123_45
.LBB123_66:                             ;   in Loop: Header=BB123_13 Depth=1
	s_waitcnt lgkmcnt(0)
	v_dual_add_f32 v7, v25, v28 :: v_dual_add_nc_u32 v10, 3, v38
	v_mov_b32_e32 v11, v39
	s_waitcnt vmcnt(8)
	v_cvt_f32_f16_e32 v14, v50
	s_delay_alu instid0(VALU_DEP_2) | instskip(NEXT) | instid1(VALU_DEP_2)
	v_lshlrev_b64 v[10:11], 1, v[10:11]
	v_add_f32_e32 v7, v7, v14
	s_delay_alu instid0(VALU_DEP_1) | instskip(NEXT) | instid1(VALU_DEP_3)
	v_cvt_f16_f32_e32 v7, v7
	v_add_co_u32 v10, s4, s18, v10
	s_delay_alu instid0(VALU_DEP_1)
	v_add_co_ci_u32_e64 v11, s4, s19, v11, s4
	global_store_b16 v[10:11], v7, off
	s_or_b32 exec_lo, exec_lo, s31
	v_add_nc_u32_e32 v38, s11, v38
	s_and_saveexec_b32 s31, vcc_lo
	s_cbranch_execz .LBB123_46
.LBB123_67:                             ;   in Loop: Header=BB123_13 Depth=1
	s_waitcnt lgkmcnt(0)
	v_add_f32_e32 v7, v17, v20
	s_waitcnt vmcnt(7)
	v_cvt_f32_f16_e32 v10, v60
	s_delay_alu instid0(VALU_DEP_1) | instskip(SKIP_1) | instid1(VALU_DEP_2)
	v_add_f32_e32 v7, v7, v10
	v_lshlrev_b64 v[10:11], 1, v[38:39]
	v_cvt_f16_f32_e32 v7, v7
	s_delay_alu instid0(VALU_DEP_2) | instskip(NEXT) | instid1(VALU_DEP_1)
	v_add_co_u32 v10, s4, s18, v10
	v_add_co_ci_u32_e64 v11, s4, s19, v11, s4
	global_store_b16 v[10:11], v7, off
	s_or_b32 exec_lo, exec_lo, s31
	s_and_saveexec_b32 s31, s1
	s_cbranch_execz .LBB123_47
.LBB123_68:                             ;   in Loop: Header=BB123_13 Depth=1
	s_waitcnt lgkmcnt(0)
	v_dual_add_f32 v7, v13, v16 :: v_dual_add_nc_u32 v10, 1, v38
	v_mov_b32_e32 v11, v39
	s_waitcnt vmcnt(6)
	v_cvt_f32_f16_e32 v13, v53
	s_delay_alu instid0(VALU_DEP_2) | instskip(NEXT) | instid1(VALU_DEP_2)
	v_lshlrev_b64 v[10:11], 1, v[10:11]
	v_add_f32_e32 v7, v7, v13
	s_delay_alu instid0(VALU_DEP_1) | instskip(NEXT) | instid1(VALU_DEP_3)
	v_cvt_f16_f32_e32 v7, v7
	v_add_co_u32 v10, s4, s18, v10
	s_delay_alu instid0(VALU_DEP_1)
	v_add_co_ci_u32_e64 v11, s4, s19, v11, s4
	global_store_b16 v[10:11], v7, off
	s_or_b32 exec_lo, exec_lo, s31
	s_and_saveexec_b32 s31, s2
	s_cbranch_execz .LBB123_48
.LBB123_69:                             ;   in Loop: Header=BB123_13 Depth=1
	s_waitcnt lgkmcnt(0)
	v_dual_add_f32 v9, v6, v9 :: v_dual_add_nc_u32 v6, 2, v38
	v_mov_b32_e32 v7, v39
	s_waitcnt vmcnt(5)
	v_cvt_f32_f16_e32 v10, v51
	s_delay_alu instid0(VALU_DEP_2) | instskip(NEXT) | instid1(VALU_DEP_2)
	v_lshlrev_b64 v[6:7], 1, v[6:7]
	v_add_f32_e32 v9, v9, v10
	s_delay_alu instid0(VALU_DEP_1) | instskip(NEXT) | instid1(VALU_DEP_3)
	v_cvt_f16_f32_e32 v9, v9
	v_add_co_u32 v6, s4, s18, v6
	s_delay_alu instid0(VALU_DEP_1)
	v_add_co_ci_u32_e64 v7, s4, s19, v7, s4
	global_store_b16 v[6:7], v9, off
	s_or_b32 exec_lo, exec_lo, s31
	s_and_saveexec_b32 s31, s3
	s_cbranch_execz .LBB123_49
.LBB123_70:                             ;   in Loop: Header=BB123_13 Depth=1
	s_waitcnt lgkmcnt(0)
	v_dual_add_f32 v9, v29, v32 :: v_dual_add_nc_u32 v6, 3, v38
	v_mov_b32_e32 v7, v39
	s_waitcnt vmcnt(4)
	v_cvt_f32_f16_e32 v10, v49
	s_delay_alu instid0(VALU_DEP_2) | instskip(NEXT) | instid1(VALU_DEP_2)
	v_lshlrev_b64 v[6:7], 1, v[6:7]
	v_add_f32_e32 v9, v9, v10
	s_delay_alu instid0(VALU_DEP_1) | instskip(NEXT) | instid1(VALU_DEP_3)
	v_cvt_f16_f32_e32 v9, v9
	v_add_co_u32 v6, s4, s18, v6
	s_delay_alu instid0(VALU_DEP_1)
	v_add_co_ci_u32_e64 v7, s4, s19, v7, s4
	global_store_b16 v[6:7], v9, off
	s_or_b32 exec_lo, exec_lo, s31
	v_add_nc_u32_e32 v38, s11, v38
	s_and_saveexec_b32 s4, vcc_lo
	s_cbranch_execz .LBB123_50
.LBB123_71:                             ;   in Loop: Header=BB123_13 Depth=1
	s_waitcnt lgkmcnt(0)
	v_add_f32_e32 v6, v23, v26
	s_waitcnt vmcnt(3)
	v_cvt_f32_f16_e32 v7, v48
	s_delay_alu instid0(VALU_DEP_1) | instskip(SKIP_1) | instid1(VALU_DEP_2)
	v_add_f32_e32 v9, v6, v7
	v_lshlrev_b64 v[6:7], 1, v[38:39]
	v_cvt_f16_f32_e32 v9, v9
	s_delay_alu instid0(VALU_DEP_2) | instskip(NEXT) | instid1(VALU_DEP_3)
	v_add_co_u32 v6, vcc_lo, s18, v6
	v_add_co_ci_u32_e32 v7, vcc_lo, s19, v7, vcc_lo
	global_store_b16 v[6:7], v9, off
	s_or_b32 exec_lo, exec_lo, s4
	s_and_saveexec_b32 s4, s1
	s_cbranch_execz .LBB123_51
.LBB123_72:                             ;   in Loop: Header=BB123_13 Depth=1
	v_dual_mov_b32 v7, v39 :: v_dual_add_nc_u32 v6, 1, v38
	s_waitcnt lgkmcnt(0)
	v_add_f32_e32 v9, v19, v22
	s_waitcnt vmcnt(2)
	v_cvt_f32_f16_e32 v10, v47
	v_lshlrev_b64 v[6:7], 1, v[6:7]
	s_delay_alu instid0(VALU_DEP_2) | instskip(NEXT) | instid1(VALU_DEP_2)
	v_add_f32_e32 v9, v9, v10
	v_add_co_u32 v6, vcc_lo, s18, v6
	s_delay_alu instid0(VALU_DEP_2) | instskip(NEXT) | instid1(VALU_DEP_4)
	v_cvt_f16_f32_e32 v9, v9
	v_add_co_ci_u32_e32 v7, vcc_lo, s19, v7, vcc_lo
	global_store_b16 v[6:7], v9, off
	s_or_b32 exec_lo, exec_lo, s4
	s_and_saveexec_b32 s1, s2
	s_cbranch_execz .LBB123_52
.LBB123_73:                             ;   in Loop: Header=BB123_13 Depth=1
	s_waitcnt lgkmcnt(0)
	v_dual_add_f32 v9, v12, v15 :: v_dual_add_nc_u32 v6, 2, v38
	v_mov_b32_e32 v7, v39
	s_waitcnt vmcnt(1)
	v_cvt_f32_f16_e32 v10, v46
	s_delay_alu instid0(VALU_DEP_2) | instskip(NEXT) | instid1(VALU_DEP_2)
	v_lshlrev_b64 v[6:7], 1, v[6:7]
	v_add_f32_e32 v9, v9, v10
	s_delay_alu instid0(VALU_DEP_1) | instskip(NEXT) | instid1(VALU_DEP_3)
	v_cvt_f16_f32_e32 v9, v9
	v_add_co_u32 v6, vcc_lo, s18, v6
	s_delay_alu instid0(VALU_DEP_4) | instskip(SKIP_2) | instid1(SALU_CYCLE_1)
	v_add_co_ci_u32_e32 v7, vcc_lo, s19, v7, vcc_lo
	global_store_b16 v[6:7], v9, off
	s_or_b32 exec_lo, exec_lo, s1
	s_and_b32 exec_lo, exec_lo, s3
	s_cbranch_execnz .LBB123_53
	s_branch .LBB123_54
.LBB123_74:
	s_nop 0
	s_sendmsg sendmsg(MSG_DEALLOC_VGPRS)
	s_endpgm
	.section	.rodata,"a",@progbits
	.p2align	6, 0x0
	.amdhsa_kernel _Z12wvSplitK_hf_I6__halfLi64ELi4ELi16ELi8ELi1ELi4EEviiiiiiPKT_S3_S3_PS1_ii
		.amdhsa_group_segment_fixed_size 65536
		.amdhsa_private_segment_fixed_size 0
		.amdhsa_kernarg_size 64
		.amdhsa_user_sgpr_count 15
		.amdhsa_user_sgpr_dispatch_ptr 0
		.amdhsa_user_sgpr_queue_ptr 0
		.amdhsa_user_sgpr_kernarg_segment_ptr 1
		.amdhsa_user_sgpr_dispatch_id 0
		.amdhsa_user_sgpr_private_segment_size 0
		.amdhsa_wavefront_size32 1
		.amdhsa_uses_dynamic_stack 0
		.amdhsa_enable_private_segment 0
		.amdhsa_system_sgpr_workgroup_id_x 1
		.amdhsa_system_sgpr_workgroup_id_y 0
		.amdhsa_system_sgpr_workgroup_id_z 0
		.amdhsa_system_sgpr_workgroup_info 0
		.amdhsa_system_vgpr_workitem_id 1
		.amdhsa_next_free_vgpr 79
		.amdhsa_next_free_sgpr 35
		.amdhsa_reserve_vcc 1
		.amdhsa_float_round_mode_32 0
		.amdhsa_float_round_mode_16_64 0
		.amdhsa_float_denorm_mode_32 3
		.amdhsa_float_denorm_mode_16_64 3
		.amdhsa_dx10_clamp 1
		.amdhsa_ieee_mode 1
		.amdhsa_fp16_overflow 0
		.amdhsa_workgroup_processor_mode 1
		.amdhsa_memory_ordered 1
		.amdhsa_forward_progress 0
		.amdhsa_shared_vgpr_count 0
		.amdhsa_exception_fp_ieee_invalid_op 0
		.amdhsa_exception_fp_denorm_src 0
		.amdhsa_exception_fp_ieee_div_zero 0
		.amdhsa_exception_fp_ieee_overflow 0
		.amdhsa_exception_fp_ieee_underflow 0
		.amdhsa_exception_fp_ieee_inexact 0
		.amdhsa_exception_int_div_zero 0
	.end_amdhsa_kernel
	.section	.text._Z12wvSplitK_hf_I6__halfLi64ELi4ELi16ELi8ELi1ELi4EEviiiiiiPKT_S3_S3_PS1_ii,"axG",@progbits,_Z12wvSplitK_hf_I6__halfLi64ELi4ELi16ELi8ELi1ELi4EEviiiiiiPKT_S3_S3_PS1_ii,comdat
.Lfunc_end123:
	.size	_Z12wvSplitK_hf_I6__halfLi64ELi4ELi16ELi8ELi1ELi4EEviiiiiiPKT_S3_S3_PS1_ii, .Lfunc_end123-_Z12wvSplitK_hf_I6__halfLi64ELi4ELi16ELi8ELi1ELi4EEviiiiiiPKT_S3_S3_PS1_ii
                                        ; -- End function
	.section	.AMDGPU.csdata,"",@progbits
; Kernel info:
; codeLenInByte = 7052
; NumSgprs: 37
; NumVgprs: 79
; ScratchSize: 0
; MemoryBound: 0
; FloatMode: 240
; IeeeMode: 1
; LDSByteSize: 65536 bytes/workgroup (compile time only)
; SGPRBlocks: 4
; VGPRBlocks: 9
; NumSGPRsForWavesPerEU: 37
; NumVGPRsForWavesPerEU: 79
; Occupancy: 16
; WaveLimiterHint : 0
; COMPUTE_PGM_RSRC2:SCRATCH_EN: 0
; COMPUTE_PGM_RSRC2:USER_SGPR: 15
; COMPUTE_PGM_RSRC2:TRAP_HANDLER: 0
; COMPUTE_PGM_RSRC2:TGID_X_EN: 1
; COMPUTE_PGM_RSRC2:TGID_Y_EN: 0
; COMPUTE_PGM_RSRC2:TGID_Z_EN: 0
; COMPUTE_PGM_RSRC2:TIDIG_COMP_CNT: 1
	.section	.text._Z16wvSplitK_hf_big_I6__halfLi64ELi4ELi16ELi8ELi1ELi4EEviiiiiiPKT_S3_S3_PS1_ii,"axG",@progbits,_Z16wvSplitK_hf_big_I6__halfLi64ELi4ELi16ELi8ELi1ELi4EEviiiiiiPKT_S3_S3_PS1_ii,comdat
	.protected	_Z16wvSplitK_hf_big_I6__halfLi64ELi4ELi16ELi8ELi1ELi4EEviiiiiiPKT_S3_S3_PS1_ii ; -- Begin function _Z16wvSplitK_hf_big_I6__halfLi64ELi4ELi16ELi8ELi1ELi4EEviiiiiiPKT_S3_S3_PS1_ii
	.globl	_Z16wvSplitK_hf_big_I6__halfLi64ELi4ELi16ELi8ELi1ELi4EEviiiiiiPKT_S3_S3_PS1_ii
	.p2align	8
	.type	_Z16wvSplitK_hf_big_I6__halfLi64ELi4ELi16ELi8ELi1ELi4EEviiiiiiPKT_S3_S3_PS1_ii,@function
_Z16wvSplitK_hf_big_I6__halfLi64ELi4ELi16ELi8ELi1ELi4EEviiiiiiPKT_S3_S3_PS1_ii: ; @_Z16wvSplitK_hf_big_I6__halfLi64ELi4ELi16ELi8ELi1ELi4EEviiiiiiPKT_S3_S3_PS1_ii
; %bb.0:
	s_load_b64 s[20:21], s[0:1], 0x38
	v_bfe_u32 v5, v0, 10, 10
	s_mov_b32 s2, exec_lo
	s_waitcnt lgkmcnt(0)
	s_delay_alu instid0(VALU_DEP_1)
	v_cmpx_gt_u32_e64 s20, v5
	s_cbranch_execz .LBB124_70
; %bb.1:
	s_load_b128 s[16:19], s[0:1], 0x0
	s_mul_i32 s15, s15, s20
	s_mov_b32 s4, 1
	v_add_lshl_u32 v37, s15, v5, 2
	s_mov_b32 s5, s4
	s_mov_b32 s6, s4
	;; [unrolled: 1-line block ×3, first 2 shown]
	s_delay_alu instid0(VALU_DEP_1) | instskip(SKIP_2) | instid1(VALU_DEP_2)
	v_add_nc_u32_e32 v1, 4, v37
	s_waitcnt lgkmcnt(0)
	v_cmp_gt_u32_e32 vcc_lo, s19, v37
	v_cmp_le_u32_e64 s2, s19, v1
	v_dual_mov_b32 v1, s4 :: v_dual_mov_b32 v4, s7
	v_dual_mov_b32 v2, s5 :: v_dual_mov_b32 v3, s6
	s_delay_alu instid0(VALU_DEP_3) | instskip(NEXT) | instid1(SALU_CYCLE_1)
	s_and_b32 s2, vcc_lo, s2
	s_and_saveexec_b32 s8, s2
	s_cbranch_execz .LBB124_7
; %bb.2:
	v_dual_mov_b32 v1, s4 :: v_dual_mov_b32 v2, s5
	v_dual_mov_b32 v3, s6 :: v_dual_mov_b32 v4, s7
	s_add_i32 s9, s19, -4
	s_mov_b32 s10, exec_lo
	v_cmpx_ne_u32_e64 s9, v37
	s_cbranch_execz .LBB124_6
; %bb.3:
	v_subrev_nc_u32_e32 v1, s9, v37
	s_mov_b32 s11, 0
	s_mov_b64 s[2:3], 0
	s_mov_b32 s5, s4
	s_mov_b32 s6, s4
	v_cmp_lt_u32_e32 vcc_lo, 1, v1
	s_mov_b32 s7, s4
	v_cndmask_b32_e32 v6, 1, v1, vcc_lo
	.p2align	6
.LBB124_4:                              ; =>This Inner Loop Header: Depth=1
	s_cmp_lg_u32 s2, 3
	s_cselect_b32 s7, s7, 0
	s_cmp_lg_u32 s2, 2
	s_cselect_b32 s6, s6, 0
	;; [unrolled: 2-line block ×4, first 2 shown]
	s_add_u32 s2, s2, 1
	v_dual_mov_b32 v1, s4 :: v_dual_mov_b32 v2, s5
	v_cmp_eq_u32_e32 vcc_lo, s2, v6
	v_dual_mov_b32 v3, s6 :: v_dual_mov_b32 v4, s7
	s_addc_u32 s3, s3, 0
	s_or_b32 s11, vcc_lo, s11
	s_delay_alu instid0(SALU_CYCLE_1)
	s_and_not1_b32 exec_lo, exec_lo, s11
	s_cbranch_execnz .LBB124_4
; %bb.5:
	s_or_b32 exec_lo, exec_lo, s11
	v_mov_b32_e32 v37, s9
.LBB124_6:
	s_or_b32 exec_lo, exec_lo, s10
.LBB124_7:
	s_delay_alu instid0(SALU_CYCLE_1)
	s_or_b32 exec_lo, exec_lo, s8
	s_lshl_b32 s2, s20, 2
	s_abs_i32 s6, s19
	s_abs_i32 s3, s2
	s_mov_b32 s23, 0
	v_cvt_f32_u32_e32 v6, s3
	s_sub_i32 s5, 0, s3
	s_delay_alu instid0(VALU_DEP_1) | instskip(SKIP_2) | instid1(VALU_DEP_1)
	v_rcp_iflag_f32_e32 v6, v6
	s_waitcnt_depctr 0xfff
	v_mul_f32_e32 v6, 0x4f7ffffe, v6
	v_cvt_u32_f32_e32 v6, v6
	s_delay_alu instid0(VALU_DEP_1) | instskip(NEXT) | instid1(VALU_DEP_1)
	v_readfirstlane_b32 s4, v6
	s_mul_i32 s5, s5, s4
	s_delay_alu instid0(SALU_CYCLE_1) | instskip(NEXT) | instid1(SALU_CYCLE_1)
	s_mul_hi_u32 s5, s4, s5
	s_add_i32 s4, s4, s5
	s_ashr_i32 s5, s19, 31
	s_mul_hi_u32 s4, s6, s4
	s_delay_alu instid0(SALU_CYCLE_1) | instskip(NEXT) | instid1(SALU_CYCLE_1)
	s_mul_i32 s4, s4, s3
	s_sub_i32 s4, s6, s4
	s_delay_alu instid0(SALU_CYCLE_1) | instskip(SKIP_2) | instid1(SALU_CYCLE_1)
	s_sub_i32 s6, s4, s3
	s_cmp_ge_u32 s4, s3
	s_cselect_b32 s4, s6, s4
	s_sub_i32 s6, s4, s3
	s_cmp_ge_u32 s4, s3
	s_cselect_b32 s3, s6, s4
	s_add_i32 s2, s2, s19
	s_xor_b32 s3, s3, s5
	s_delay_alu instid0(SALU_CYCLE_1) | instskip(NEXT) | instid1(SALU_CYCLE_1)
	s_sub_i32 s3, s3, s5
	s_sub_i32 s2, s2, s3
	s_cmp_eq_u32 s3, 0
	s_cselect_b32 s22, s19, s2
	s_delay_alu instid0(SALU_CYCLE_1)
	v_cmp_gt_u32_e32 vcc_lo, s22, v37
	s_and_b32 exec_lo, exec_lo, vcc_lo
	s_cbranch_execz .LBB124_70
; %bb.8:
	s_load_b256 s[8:15], s[0:1], 0x10
	s_min_u32 s24, s18, 0x2000
	s_cmp_lg_u32 s16, 0
	s_mul_i32 s2, s21, s20
	s_cselect_b32 s25, -1, 0
	s_cmp_lg_u32 s18, 0
	v_dual_mov_b32 v39, 0 :: v_dual_and_b32 v0, 0x3ff, v0
	s_cselect_b32 s21, -1, 0
	s_lshl_b32 s26, s20, 9
	s_add_i32 s27, s16, -8
	s_add_i32 s28, s19, -1
	s_lshl_b32 s29, s2, 2
	s_load_b64 s[6:7], s[0:1], 0x30
	v_lshlrev_b32_e32 v50, 3, v0
	v_cmp_eq_u32_e64 s0, 63, v0
	v_lshlrev_b32_e32 v0, 4, v0
	v_mbcnt_lo_u32_b32 v49, -1, 0
	s_waitcnt lgkmcnt(0)
	s_cmp_lg_u64 s[14:15], 0
	s_delay_alu instid0(VALU_DEP_2)
	v_lshl_add_u32 v51, v5, 10, v0
	s_cselect_b32 s30, -1, 0
	s_abs_i32 s2, s9
	v_lshl_add_u32 v0, v5, 9, v50
	v_cvt_f32_u32_e32 v6, s2
	v_cvt_f32_u32_e32 v7, s8
	s_sub_i32 s3, 0, s2
	s_add_i32 s31, s19, -4
	s_sub_i32 s4, 0, s8
	v_rcp_iflag_f32_e32 v6, v6
	v_rcp_iflag_f32_e32 v7, v7
	s_sub_i32 s5, 1, s2
	v_mad_u64_u32 v[40:41], null, s18, 3, v[0:1]
	v_lshl_add_u32 v52, s18, 1, v0
	s_mul_i32 s9, s24, 6
	s_waitcnt_depctr 0xfff
	v_dual_mul_f32 v6, 0x4f7ffffe, v6 :: v_dual_add_nc_u32 v53, s18, v0
	s_delay_alu instid0(VALU_DEP_1) | instskip(NEXT) | instid1(VALU_DEP_1)
	v_cvt_u32_f32_e32 v6, v6
	v_readfirstlane_b32 s1, v6
	v_mul_f32_e32 v6, 0x4f7ffffe, v7
	s_delay_alu instid0(VALU_DEP_2) | instskip(NEXT) | instid1(VALU_DEP_1)
	s_mul_i32 s3, s3, s1
	v_cvt_u32_f32_e32 v6, v6
	s_mul_hi_u32 s3, s1, s3
	s_delay_alu instid0(SALU_CYCLE_1) | instskip(SKIP_1) | instid1(VALU_DEP_1)
	s_add_i32 s1, s1, s3
	s_cmp_lt_u32 s2, 2
	v_mul_lo_u32 v5, s4, v6
	s_cselect_b32 s3, s5, 1
	s_delay_alu instid0(SALU_CYCLE_1)
	s_sub_i32 s5, s3, s2
	s_cmp_ge_u32 s3, s2
	s_cselect_b32 s33, s5, s3
	s_lshr_b32 s3, s1, 31
	s_mul_hi_u32 s1, s1, 3
	s_mul_i32 s3, s3, s2
	s_mul_i32 s1, s1, s2
	s_sub_i32 s3, 2, s3
	v_mul_hi_u32 v5, v6, v5
	s_sub_i32 s4, s3, s2
	s_cmp_ge_u32 s3, s2
	s_mul_i32 s33, s33, s8
	s_cselect_b32 s3, s4, s3
	s_delay_alu instid0(SALU_CYCLE_1) | instskip(SKIP_1) | instid1(VALU_DEP_1)
	s_sub_i32 s4, s3, s2
	s_cmp_ge_u32 s3, s2
	v_add_nc_u32_e32 v54, v6, v5
	s_cselect_b32 s34, s4, s3
	s_sub_i32 s1, 3, s1
	s_mul_i32 s34, s34, s8
	s_sub_i32 s3, s1, s2
	s_cmp_ge_u32 s1, s2
	s_cselect_b32 s1, s3, s1
	s_delay_alu instid0(SALU_CYCLE_1)
	s_sub_i32 s3, s1, s2
	s_cmp_ge_u32 s1, s2
	s_cselect_b32 s38, s3, s1
	s_add_u32 s35, s6, 2
	s_addc_u32 s36, s7, 0
	s_lshl_b32 s20, s20, 10
	s_lshl_b32 s37, s24, 2
	s_mul_i32 s38, s38, s8
	s_lshl_b32 s39, s24, 1
	s_branch .LBB124_12
.LBB124_9:                              ;   in Loop: Header=BB124_12 Depth=1
	s_or_b32 exec_lo, exec_lo, s42
	v_mov_b32_e32 v37, s31
.LBB124_10:                             ;   in Loop: Header=BB124_12 Depth=1
	s_or_b32 exec_lo, exec_lo, s41
.LBB124_11:                             ;   in Loop: Header=BB124_12 Depth=1
	s_delay_alu instid0(SALU_CYCLE_1) | instskip(NEXT) | instid1(VALU_DEP_1)
	s_or_b32 exec_lo, exec_lo, s40
	v_cmp_le_u32_e32 vcc_lo, s22, v37
	s_or_b32 s23, vcc_lo, s23
	s_delay_alu instid0(SALU_CYCLE_1)
	s_and_not1_b32 exec_lo, exec_lo, s23
	s_cbranch_execz .LBB124_70
.LBB124_12:                             ; =>This Loop Header: Depth=1
                                        ;     Child Loop BB124_16 Depth 2
                                        ;       Child Loop BB124_21 Depth 3
                                        ;     Child Loop BB124_53 Depth 2
	v_mov_b32_e32 v69, v39
	v_mov_b32_e32 v67, v39
	;; [unrolled: 1-line block ×4, first 2 shown]
	s_waitcnt vmcnt(5)
	v_mov_b32_e32 v55, v39
	v_mov_b32_e32 v56, v39
	;; [unrolled: 1-line block ×12, first 2 shown]
	s_and_not1_b32 vcc_lo, exec_lo, s25
	s_mov_b32 s3, 0
	s_cbranch_vccnz .LBB124_27
; %bb.13:                               ;   in Loop: Header=BB124_12 Depth=1
	v_dual_mov_b32 v63, 0 :: v_dual_add_nc_u32 v6, 2, v37
	v_add_nc_u32_e32 v5, 1, v37
	v_add_nc_u32_e32 v7, 3, v37
	v_min_u32_e32 v8, s28, v37
	s_delay_alu instid0(VALU_DEP_4) | instskip(SKIP_2) | instid1(VALU_DEP_4)
	v_min_u32_e32 v6, s28, v6
	v_dual_mov_b32 v10, v39 :: v_dual_mov_b32 v61, 0
	v_cmp_gt_u32_e64 s1, s19, v37
	v_mul_lo_u32 v38, v8, s17
	v_mov_b32_e32 v8, v39
	v_min_u32_e32 v9, s28, v7
	v_mul_lo_u32 v7, v6, s17
	v_mov_b32_e32 v6, v39
	v_min_u32_e32 v5, s28, v5
	v_dual_mov_b32 v68, 0 :: v_dual_mov_b32 v59, 0
	v_mul_lo_u32 v9, v9, s17
	s_waitcnt lgkmcnt(13)
	v_lshlrev_b64 v[41:42], 1, v[38:39]
	v_mul_lo_u32 v5, v5, s17
	s_waitcnt vmcnt(2)
	v_lshlrev_b64 v[45:46], 1, v[7:8]
	v_dual_mov_b32 v70, 0 :: v_dual_mov_b32 v57, 0
	v_dual_mov_b32 v64, 0 :: v_dual_mov_b32 v55, 0
	v_lshlrev_b64 v[47:48], 1, v[9:10]
	v_dual_mov_b32 v62, 0 :: v_dual_mov_b32 v65, 0
	s_waitcnt vmcnt(0)
	v_lshlrev_b64 v[43:44], 1, v[5:6]
	v_dual_mov_b32 v60, 0 :: v_dual_mov_b32 v67, 0
	v_dual_mov_b32 v58, 0 :: v_dual_mov_b32 v69, 0
	v_mov_b32_e32 v56, 0
	v_mov_b32_e32 v66, 0
	s_mov_b32 s4, 0
	s_branch .LBB124_16
.LBB124_14:                             ;   in Loop: Header=BB124_16 Depth=2
	s_or_b32 exec_lo, exec_lo, s5
	s_waitcnt vmcnt(3) lgkmcnt(3)
	;;#ASMSTART
	v_dot2_f32_f16 v69, v33, v17, v69
	;;#ASMEND
	s_waitcnt vmcnt(2)
	;;#ASMSTART
	v_dot2_f32_f16 v67, v33, v13, v67
	;;#ASMEND
	s_waitcnt vmcnt(1)
	;; [unrolled: 4-line block ×3, first 2 shown]
	;;#ASMSTART
	v_dot2_f32_f16 v65, v33, v5, v65
	;;#ASMEND
	s_waitcnt lgkmcnt(2)
	;;#ASMSTART
	v_dot2_f32_f16 v68, v29, v17, v68
	;;#ASMEND
	;;#ASMSTART
	v_dot2_f32_f16 v70, v29, v13, v70
	;;#ASMEND
	;;#ASMSTART
	v_dot2_f32_f16 v64, v29, v9, v64
	;;#ASMEND
	;;#ASMSTART
	v_dot2_f32_f16 v63, v29, v5, v63
	;;#ASMEND
	s_waitcnt lgkmcnt(1)
	;;#ASMSTART
	v_dot2_f32_f16 v62, v25, v17, v62
	;;#ASMEND
	;;#ASMSTART
	v_dot2_f32_f16 v61, v25, v13, v61
	;;#ASMEND
	;;#ASMSTART
	v_dot2_f32_f16 v60, v25, v9, v60
	;;#ASMEND
	;;#ASMSTART
	v_dot2_f32_f16 v59, v25, v5, v59
	;;#ASMEND
	s_waitcnt lgkmcnt(0)
	;;#ASMSTART
	v_dot2_f32_f16 v58, v21, v17, v58
	;;#ASMEND
	;;#ASMSTART
	v_dot2_f32_f16 v57, v21, v13, v57
	;;#ASMEND
	;;#ASMSTART
	v_dot2_f32_f16 v56, v21, v9, v56
	;;#ASMEND
	;;#ASMSTART
	v_dot2_f32_f16 v55, v21, v5, v55
	;;#ASMEND
	;;#ASMSTART
	v_dot2_f32_f16 v69, v34, v18, v69
	;;#ASMEND
	;; [unrolled: 3-line block ×49, first 2 shown]
.LBB124_15:                             ;   in Loop: Header=BB124_16 Depth=2
	s_or_b32 exec_lo, exec_lo, s2
	s_addk_i32 s4, 0x200
	s_delay_alu instid0(SALU_CYCLE_1)
	s_cmp_ge_u32 s4, s16
	s_cbranch_scc1 .LBB124_27
.LBB124_16:                             ;   Parent Loop BB124_12 Depth=1
                                        ; =>  This Loop Header: Depth=2
                                        ;       Child Loop BB124_21 Depth 3
	s_cmp_eq_u32 s4, 0
	s_cselect_b32 s5, -1, 0
	s_add_i32 s2, s3, s24
	s_delay_alu instid0(SALU_CYCLE_1) | instskip(SKIP_1) | instid1(SALU_CYCLE_1)
	s_cmp_eq_u32 s4, s2
	s_cselect_b32 s40, -1, 0
	s_or_b32 s40, s5, s40
	s_delay_alu instid0(SALU_CYCLE_1)
	s_and_not1_b32 vcc_lo, exec_lo, s40
	s_cbranch_vccz .LBB124_18
; %bb.17:                               ;   in Loop: Header=BB124_16 Depth=2
	s_and_saveexec_b32 s2, s1
	s_cbranch_execz .LBB124_15
	s_branch .LBB124_25
.LBB124_18:                             ;   in Loop: Header=BB124_16 Depth=2
	s_and_b32 s5, s5, exec_lo
	s_cselect_b32 s3, s3, s2
	s_and_not1_b32 vcc_lo, exec_lo, s21
	s_waitcnt lgkmcnt(0)
	s_waitcnt_vscnt null, 0x0
	s_barrier
	buffer_gl0_inv
	s_cbranch_vccnz .LBB124_24
; %bb.19:                               ;   in Loop: Header=BB124_16 Depth=2
	v_add_nc_u32_e32 v5, s3, v52
	v_dual_mov_b32 v9, v51 :: v_dual_add_nc_u32 v6, s3, v40
	v_add_nc_u32_e32 v7, s3, v53
	v_add_nc_u32_e32 v8, s3, v0
	s_mov_b32 s5, 0
	s_mov_b32 s40, 0
                                        ; implicit-def: $sgpr41
	s_branch .LBB124_21
.LBB124_20:                             ;   in Loop: Header=BB124_21 Depth=3
	s_or_b32 exec_lo, exec_lo, s2
	s_delay_alu instid0(SALU_CYCLE_1) | instskip(NEXT) | instid1(SALU_CYCLE_1)
	s_and_b32 s2, exec_lo, s41
	s_or_b32 s5, s2, s5
	s_delay_alu instid0(SALU_CYCLE_1)
	s_and_not1_b32 exec_lo, exec_lo, s5
	s_cbranch_execz .LBB124_23
.LBB124_21:                             ;   Parent Loop BB124_12 Depth=1
                                        ;     Parent Loop BB124_16 Depth=2
                                        ; =>    This Inner Loop Header: Depth=3
	s_delay_alu instid0(VALU_DEP_1) | instskip(SKIP_2) | instid1(VALU_DEP_2)
	v_add_nc_u32_e32 v38, s40, v8
	v_add_nc_u32_e32 v10, s40, v0
	s_or_b32 s41, s41, exec_lo
	v_cmp_gt_u32_e32 vcc_lo, s18, v38
	s_delay_alu instid0(VALU_DEP_2) | instskip(NEXT) | instid1(VALU_DEP_1)
	v_cmp_gt_u32_e64 s2, s24, v10
	s_and_b32 s42, s2, vcc_lo
	s_delay_alu instid0(SALU_CYCLE_1)
	s_and_saveexec_b32 s2, s42
	s_cbranch_execz .LBB124_20
; %bb.22:                               ;   in Loop: Header=BB124_21 Depth=3
	v_lshlrev_b64 v[10:11], 1, v[38:39]
	v_add_nc_u32_e32 v38, s40, v7
	v_add_nc_u32_e32 v26, s39, v9
	;; [unrolled: 1-line block ×3, first 2 shown]
	s_delay_alu instid0(VALU_DEP_3) | instskip(SKIP_3) | instid1(VALU_DEP_3)
	v_lshlrev_b64 v[12:13], 1, v[38:39]
	v_add_nc_u32_e32 v38, s40, v5
	v_add_co_u32 v10, vcc_lo, s12, v10
	v_add_co_ci_u32_e32 v11, vcc_lo, s13, v11, vcc_lo
	v_lshlrev_b64 v[18:19], 1, v[38:39]
	v_add_nc_u32_e32 v38, s40, v6
	v_add_co_u32 v14, vcc_lo, s12, v12
	v_add_co_ci_u32_e32 v15, vcc_lo, s13, v13, vcc_lo
	s_delay_alu instid0(VALU_DEP_3)
	v_lshlrev_b64 v[20:21], 1, v[38:39]
	v_add_co_u32 v18, vcc_lo, s12, v18
	v_add_co_ci_u32_e32 v19, vcc_lo, s13, v19, vcc_lo
	s_clause 0x1
	global_load_b128 v[10:13], v[10:11], off
	global_load_b128 v[14:17], v[14:15], off
	v_add_co_u32 v22, vcc_lo, s12, v20
	v_add_co_ci_u32_e32 v23, vcc_lo, s13, v21, vcc_lo
	s_clause 0x1
	global_load_b128 v[18:21], v[18:19], off
	global_load_b128 v[22:25], v[22:23], off
	s_add_i32 s40, s40, s26
	s_waitcnt vmcnt(3)
	ds_store_b128 v9, v[10:13]
	s_waitcnt vmcnt(2)
	ds_store_2addr_b64 v26, v[14:15], v[16:17] offset1:1
	s_cmp_ge_u32 s40, s24
	v_add_nc_u32_e32 v10, s9, v9
	s_cselect_b32 s42, -1, 0
	v_add_nc_u32_e32 v9, s20, v9
	s_and_not1_b32 s41, s41, exec_lo
	s_and_b32 s42, s42, exec_lo
	s_waitcnt vmcnt(1)
	ds_store_2addr_b32 v27, v18, v19 offset1:1
	ds_store_2addr_b32 v27, v20, v21 offset0:2 offset1:3
	s_or_b32 s41, s41, s42
	s_waitcnt vmcnt(0)
	ds_store_2addr_b64 v10, v[22:23], v[24:25] offset1:1
	s_branch .LBB124_20
.LBB124_23:                             ;   in Loop: Header=BB124_16 Depth=2
	s_or_b32 exec_lo, exec_lo, s5
.LBB124_24:                             ;   in Loop: Header=BB124_16 Depth=2
	s_waitcnt lgkmcnt(0)
	s_barrier
	buffer_gl0_inv
	s_and_saveexec_b32 s2, s1
	s_cbranch_execz .LBB124_15
.LBB124_25:                             ;   in Loop: Header=BB124_16 Depth=2
	s_waitcnt lgkmcnt(3)
	v_dual_mov_b32 v34, 0 :: v_dual_add_nc_u32 v71, s4, v50
	v_dual_mov_b32 v33, 0 :: v_dual_mov_b32 v36, 0
	v_dual_mov_b32 v35, 0 :: v_dual_mov_b32 v30, 0
	s_delay_alu instid0(VALU_DEP_3) | instskip(SKIP_2) | instid1(VALU_DEP_3)
	v_min_u32_e32 v38, s27, v71
	v_dual_mov_b32 v29, 0 :: v_dual_mov_b32 v32, 0
	v_dual_mov_b32 v31, 0 :: v_dual_mov_b32 v26, 0
	v_lshlrev_b64 v[5:6], 1, v[38:39]
	s_waitcnt lgkmcnt(1)
	v_dual_mov_b32 v25, 0 :: v_dual_mov_b32 v28, 0
	v_mov_b32_e32 v27, 0
	v_mov_b32_e32 v23, 0
	s_mov_b32 s5, exec_lo
	v_add_co_u32 v11, vcc_lo, s10, v5
	v_add_co_ci_u32_e32 v12, vcc_lo, s11, v6, vcc_lo
	v_mov_b32_e32 v24, 0
	s_delay_alu instid0(VALU_DEP_3) | instskip(NEXT) | instid1(VALU_DEP_3)
	v_add_co_u32 v5, vcc_lo, v11, v41
	v_add_co_ci_u32_e32 v6, vcc_lo, v12, v42, vcc_lo
	v_add_co_u32 v7, vcc_lo, v11, v43
	v_add_co_ci_u32_e32 v8, vcc_lo, v12, v44, vcc_lo
	;; [unrolled: 2-line block ×4, first 2 shown]
	s_waitcnt lgkmcnt(0)
	s_clause 0x3
	global_load_b128 v[17:20], v[5:6], off slc dlc
	global_load_b128 v[13:16], v[7:8], off slc dlc
	;; [unrolled: 1-line block ×4, first 2 shown]
	v_dual_mov_b32 v22, 0 :: v_dual_mov_b32 v21, 0
	v_cmpx_gt_u32_e64 s16, v71
	s_cbranch_execz .LBB124_14
; %bb.26:                               ;   in Loop: Header=BB124_16 Depth=2
	v_subrev_nc_u32_e32 v21, s3, v71
	s_delay_alu instid0(VALU_DEP_1) | instskip(NEXT) | instid1(VALU_DEP_1)
	v_lshlrev_b32_e32 v21, 1, v21
	v_add_nc_u32_e32 v22, s39, v21
	s_delay_alu instid0(VALU_DEP_1) | instskip(NEXT) | instid1(VALU_DEP_1)
	v_add_nc_u32_e32 v23, s39, v22
	v_add_nc_u32_e32 v24, s39, v23
	ds_load_b128 v[33:36], v21
	ds_load_b128 v[29:32], v22
	;; [unrolled: 1-line block ×4, first 2 shown]
	s_branch .LBB124_14
.LBB124_27:                             ;   in Loop: Header=BB124_12 Depth=1
	s_mov_b32 s1, exec_lo
	v_cmpx_le_u32_e64 s19, v37
	s_xor_b32 s1, exec_lo, s1
; %bb.28:                               ;   in Loop: Header=BB124_12 Depth=1
	v_add_nc_u32_e32 v37, s29, v37
                                        ; implicit-def: $vgpr69
                                        ; implicit-def: $vgpr67
                                        ; implicit-def: $vgpr66
                                        ; implicit-def: $vgpr65
                                        ; implicit-def: $vgpr55
                                        ; implicit-def: $vgpr56
                                        ; implicit-def: $vgpr57
                                        ; implicit-def: $vgpr58
                                        ; implicit-def: $vgpr59
                                        ; implicit-def: $vgpr60
                                        ; implicit-def: $vgpr61
                                        ; implicit-def: $vgpr62
                                        ; implicit-def: $vgpr63
                                        ; implicit-def: $vgpr64
                                        ; implicit-def: $vgpr70
                                        ; implicit-def: $vgpr68
; %bb.29:                               ;   in Loop: Header=BB124_12 Depth=1
	s_and_not1_saveexec_b32 s40, s1
	s_cbranch_execz .LBB124_11
; %bb.30:                               ;   in Loop: Header=BB124_12 Depth=1
	v_cvt_i32_f32_e32 v5, v69
	v_xor_b32_e32 v6, 16, v49
	v_cvt_i32_f32_e32 v7, v67
	v_cvt_i32_f32_e32 v10, v68
	s_waitcnt lgkmcnt(4)
	v_cvt_i32_f32_e32 v11, v70
	v_cvt_f32_i32_dpp v5, v5 row_shr:8 row_mask:0xf bank_mask:0xf bound_ctrl:1
	v_cmp_gt_i32_e32 vcc_lo, 32, v6
	v_cvt_f32_i32_dpp v7, v7 row_shr:8 row_mask:0xf bank_mask:0xf bound_ctrl:1
	v_cvt_f32_i32_dpp v10, v10 row_shr:8 row_mask:0xf bank_mask:0xf bound_ctrl:1
	;; [unrolled: 1-line block ×3, first 2 shown]
	v_cvt_i32_f32_e32 v8, v66
	s_delay_alu instid0(VALU_DEP_4) | instskip(NEXT) | instid1(VALU_DEP_4)
	v_dual_cndmask_b32 v6, v49, v6 :: v_dual_add_f32 v7, v67, v7
	v_dual_add_f32 v5, v69, v5 :: v_dual_add_f32 v10, v68, v10
	s_delay_alu instid0(VALU_DEP_2) | instskip(SKIP_1) | instid1(VALU_DEP_3)
	v_dual_add_f32 v11, v70, v11 :: v_dual_lshlrev_b32 v6, 2, v6
	v_cvt_i32_f32_e32 v9, v65
	v_cvt_i32_f32_e32 v12, v5
	s_delay_alu instid0(VALU_DEP_4)
	v_cvt_i32_f32_e32 v15, v10
	v_cvt_f32_i32_dpp v8, v8 row_shr:8 row_mask:0xf bank_mask:0xf bound_ctrl:1
	v_cvt_i32_f32_e32 v16, v11
	v_cvt_f32_i32_dpp v9, v9 row_shr:8 row_mask:0xf bank_mask:0xf bound_ctrl:1
	v_cvt_f32_i32_dpp v12, v12 row_shr:4 row_mask:0xf bank_mask:0xf bound_ctrl:1
	;; [unrolled: 1-line block ×3, first 2 shown]
	v_add_f32_e32 v8, v66, v8
	v_cvt_f32_i32_dpp v16, v16 row_shr:4 row_mask:0xf bank_mask:0xf bound_ctrl:1
	v_add_f32_e32 v9, v65, v9
	s_delay_alu instid0(VALU_DEP_4) | instskip(SKIP_2) | instid1(VALU_DEP_4)
	v_dual_add_f32 v5, v5, v12 :: v_dual_add_f32 v10, v10, v15
	v_cvt_i32_f32_e32 v13, v7
	v_cvt_i32_f32_e32 v12, v8
	;; [unrolled: 1-line block ×3, first 2 shown]
	s_delay_alu instid0(VALU_DEP_4)
	v_cvt_i32_f32_e32 v17, v5
	v_add_f32_e32 v11, v11, v16
	v_cvt_f32_i32_dpp v13, v13 row_shr:4 row_mask:0xf bank_mask:0xf bound_ctrl:1
	v_cvt_f32_i32_dpp v12, v12 row_shr:4 row_mask:0xf bank_mask:0xf bound_ctrl:1
	;; [unrolled: 1-line block ×4, first 2 shown]
	v_cvt_i32_f32_e32 v16, v10
	s_delay_alu instid0(VALU_DEP_4) | instskip(NEXT) | instid1(VALU_DEP_3)
	v_dual_add_f32 v7, v7, v13 :: v_dual_add_f32 v8, v8, v12
	v_add_f32_e32 v5, v5, v17
	v_cvt_i32_f32_e32 v17, v11
	s_delay_alu instid0(VALU_DEP_3) | instskip(NEXT) | instid1(VALU_DEP_4)
	v_cvt_i32_f32_e32 v12, v7
	v_cvt_i32_f32_e32 v13, v8
	v_cvt_f32_i32_dpp v16, v16 row_shr:2 row_mask:0xf bank_mask:0xf bound_ctrl:1
	s_delay_alu instid0(VALU_DEP_4) | instskip(SKIP_4) | instid1(VALU_DEP_4)
	v_cvt_f32_i32_dpp v17, v17 row_shr:2 row_mask:0xf bank_mask:0xf bound_ctrl:1
	v_add_f32_e32 v9, v9, v14
	v_cvt_i32_f32_e32 v14, v5
	v_cvt_f32_i32_dpp v12, v12 row_shr:2 row_mask:0xf bank_mask:0xf bound_ctrl:1
	v_cvt_f32_i32_dpp v13, v13 row_shr:2 row_mask:0xf bank_mask:0xf bound_ctrl:1
	v_cvt_i32_f32_e32 v15, v9
	s_delay_alu instid0(VALU_DEP_4) | instskip(NEXT) | instid1(VALU_DEP_2)
	v_cvt_f32_i32_dpp v14, v14 row_shr:1 row_mask:0xf bank_mask:0xf bound_ctrl:1
	v_cvt_f32_i32_dpp v15, v15 row_shr:2 row_mask:0xf bank_mask:0xf bound_ctrl:1
	s_delay_alu instid0(VALU_DEP_2) | instskip(SKIP_1) | instid1(VALU_DEP_3)
	v_add_f32_e32 v41, v5, v14
	v_add_f32_e32 v5, v7, v12
	v_dual_add_f32 v7, v8, v13 :: v_dual_add_f32 v8, v9, v15
	v_dual_add_f32 v9, v10, v16 :: v_dual_add_f32 v10, v11, v17
	s_delay_alu instid0(VALU_DEP_2) | instskip(NEXT) | instid1(VALU_DEP_2)
	v_cvt_i32_f32_e32 v13, v8
	v_cvt_i32_f32_e32 v14, v9
	s_delay_alu instid0(VALU_DEP_3) | instskip(NEXT) | instid1(VALU_DEP_3)
	v_cvt_i32_f32_e32 v15, v10
	v_cvt_f32_i32_dpp v13, v13 row_shr:1 row_mask:0xf bank_mask:0xf bound_ctrl:1
	s_delay_alu instid0(VALU_DEP_3) | instskip(NEXT) | instid1(VALU_DEP_3)
	v_cvt_f32_i32_dpp v14, v14 row_shr:1 row_mask:0xf bank_mask:0xf bound_ctrl:1
	v_cvt_f32_i32_dpp v15, v15 row_shr:1 row_mask:0xf bank_mask:0xf bound_ctrl:1
	s_delay_alu instid0(VALU_DEP_2)
	v_dual_add_f32 v21, v8, v13 :: v_dual_add_f32 v14, v9, v14
	v_cvt_i32_f32_e32 v9, v62
	v_cvt_i32_f32_e32 v11, v5
	;; [unrolled: 1-line block ×3, first 2 shown]
	v_add_f32_e32 v10, v10, v15
	ds_bpermute_b32 v17, v6, v14
	v_cvt_f32_i32_dpp v9, v9 row_shr:8 row_mask:0xf bank_mask:0xf bound_ctrl:1
	v_cvt_f32_i32_dpp v11, v11 row_shr:1 row_mask:0xf bank_mask:0xf bound_ctrl:1
	;; [unrolled: 1-line block ×3, first 2 shown]
	ds_bpermute_b32 v13, v6, v10
	v_dual_add_f32 v9, v62, v9 :: v_dual_add_f32 v32, v5, v11
	v_cvt_i32_f32_e32 v12, v7
	v_cvt_i32_f32_e32 v11, v61
	v_add_f32_e32 v8, v63, v8
	s_waitcnt lgkmcnt(2)
	v_cvt_i32_f32_e32 v18, v9
	v_cvt_i32_f32_e32 v5, v64
	v_cvt_f32_i32_dpp v12, v12 row_shr:1 row_mask:0xf bank_mask:0xf bound_ctrl:1
	v_cvt_f32_i32_dpp v11, v11 row_shr:8 row_mask:0xf bank_mask:0xf bound_ctrl:1
	v_cvt_i32_f32_e32 v16, v8
	v_cvt_f32_i32_dpp v18, v18 row_shr:4 row_mask:0xf bank_mask:0xf bound_ctrl:1
	v_cvt_f32_i32_dpp v5, v5 row_shr:8 row_mask:0xf bank_mask:0xf bound_ctrl:1
	ds_bpermute_b32 v42, v6, v41
	ds_bpermute_b32 v35, v6, v32
	v_cvt_f32_i32_dpp v16, v16 row_shr:4 row_mask:0xf bank_mask:0xf bound_ctrl:1
	v_add_f32_e32 v9, v9, v18
	s_delay_alu instid0(VALU_DEP_2) | instskip(NEXT) | instid1(VALU_DEP_2)
	v_dual_add_f32 v11, v61, v11 :: v_dual_add_f32 v8, v8, v16
	v_cvt_i32_f32_e32 v18, v9
	s_delay_alu instid0(VALU_DEP_2) | instskip(NEXT) | instid1(VALU_DEP_3)
	v_cvt_i32_f32_e32 v19, v11
	v_cvt_i32_f32_e32 v16, v8
	s_delay_alu instid0(VALU_DEP_3) | instskip(NEXT) | instid1(VALU_DEP_3)
	v_cvt_f32_i32_dpp v18, v18 row_shr:2 row_mask:0xf bank_mask:0xf bound_ctrl:1
	v_cvt_f32_i32_dpp v19, v19 row_shr:4 row_mask:0xf bank_mask:0xf bound_ctrl:1
	s_delay_alu instid0(VALU_DEP_3) | instskip(NEXT) | instid1(VALU_DEP_1)
	v_cvt_f32_i32_dpp v16, v16 row_shr:2 row_mask:0xf bank_mask:0xf bound_ctrl:1
	v_dual_add_f32 v9, v9, v18 :: v_dual_add_f32 v8, v8, v16
	s_delay_alu instid0(VALU_DEP_1) | instskip(NEXT) | instid1(VALU_DEP_2)
	v_cvt_i32_f32_e32 v18, v9
	v_cvt_i32_f32_e32 v16, v8
	s_delay_alu instid0(VALU_DEP_2) | instskip(SKIP_2) | instid1(VALU_DEP_4)
	v_cvt_f32_i32_dpp v18, v18 row_shr:1 row_mask:0xf bank_mask:0xf bound_ctrl:1
	v_add_f32_e32 v7, v7, v12
	v_cvt_i32_f32_e32 v12, v60
	v_cvt_f32_i32_dpp v16, v16 row_shr:1 row_mask:0xf bank_mask:0xf bound_ctrl:1
	s_delay_alu instid0(VALU_DEP_2) | instskip(NEXT) | instid1(VALU_DEP_1)
	v_cvt_f32_i32_dpp v12, v12 row_shr:8 row_mask:0xf bank_mask:0xf bound_ctrl:1
	v_add_f32_e32 v12, v60, v12
	s_delay_alu instid0(VALU_DEP_1) | instskip(NEXT) | instid1(VALU_DEP_1)
	v_cvt_i32_f32_e32 v20, v12
	v_cvt_f32_i32_dpp v20, v20 row_shr:4 row_mask:0xf bank_mask:0xf bound_ctrl:1
	s_delay_alu instid0(VALU_DEP_1) | instskip(NEXT) | instid1(VALU_DEP_1)
	v_add_f32_e32 v12, v12, v20
	v_cvt_i32_f32_e32 v20, v12
	s_delay_alu instid0(VALU_DEP_1) | instskip(NEXT) | instid1(VALU_DEP_1)
	v_cvt_f32_i32_dpp v20, v20 row_shr:2 row_mask:0xf bank_mask:0xf bound_ctrl:1
	v_dual_add_f32 v11, v11, v19 :: v_dual_add_f32 v12, v12, v20
	s_delay_alu instid0(VALU_DEP_1) | instskip(NEXT) | instid1(VALU_DEP_2)
	v_cvt_i32_f32_e32 v19, v11
	v_cvt_i32_f32_e32 v20, v12
	s_delay_alu instid0(VALU_DEP_2) | instskip(NEXT) | instid1(VALU_DEP_2)
	v_cvt_f32_i32_dpp v19, v19 row_shr:2 row_mask:0xf bank_mask:0xf bound_ctrl:1
	v_cvt_f32_i32_dpp v22, v20 row_shr:1 row_mask:0xf bank_mask:0xf bound_ctrl:1
	v_add_f32_e32 v20, v9, v18
	v_cvt_i32_f32_e32 v18, v55
	ds_bpermute_b32 v29, v6, v7
	v_add_f32_e32 v9, v12, v22
	ds_bpermute_b32 v23, v6, v20
	v_cvt_f32_i32_dpp v18, v18 row_shr:8 row_mask:0xf bank_mask:0xf bound_ctrl:1
	v_add_f32_e32 v5, v64, v5
	ds_bpermute_b32 v12, v6, v9
	v_add_f32_e32 v18, v55, v18
	v_cvt_i32_f32_e32 v15, v5
	s_delay_alu instid0(VALU_DEP_2) | instskip(NEXT) | instid1(VALU_DEP_2)
	v_cvt_i32_f32_e32 v31, v18
	v_cvt_f32_i32_dpp v15, v15 row_shr:4 row_mask:0xf bank_mask:0xf bound_ctrl:1
	s_delay_alu instid0(VALU_DEP_2) | instskip(NEXT) | instid1(VALU_DEP_2)
	v_cvt_f32_i32_dpp v31, v31 row_shr:4 row_mask:0xf bank_mask:0xf bound_ctrl:1
	v_add_f32_e32 v5, v5, v15
	s_delay_alu instid0(VALU_DEP_2) | instskip(NEXT) | instid1(VALU_DEP_2)
	v_add_f32_e32 v18, v18, v31
	v_cvt_i32_f32_e32 v15, v5
	s_delay_alu instid0(VALU_DEP_2) | instskip(NEXT) | instid1(VALU_DEP_2)
	v_cvt_i32_f32_e32 v31, v18
	v_cvt_f32_i32_dpp v15, v15 row_shr:2 row_mask:0xf bank_mask:0xf bound_ctrl:1
	s_delay_alu instid0(VALU_DEP_2) | instskip(SKIP_2) | instid1(VALU_DEP_3)
	v_cvt_f32_i32_dpp v31, v31 row_shr:2 row_mask:0xf bank_mask:0xf bound_ctrl:1
	v_add_f32_e32 v27, v8, v16
	v_cvt_i32_f32_e32 v8, v58
	v_add_f32_e32 v18, v18, v31
	ds_bpermute_b32 v30, v6, v27
	v_cvt_f32_i32_dpp v8, v8 row_shr:8 row_mask:0xf bank_mask:0xf bound_ctrl:1
	v_cvt_i32_f32_e32 v31, v18
	s_delay_alu instid0(VALU_DEP_2) | instskip(SKIP_3) | instid1(VALU_DEP_1)
	v_add_f32_e32 v8, v58, v8
	ds_bpermute_b32 v24, v6, v21
	v_cvt_f32_i32_dpp v38, v31 row_shr:1 row_mask:0xf bank_mask:0xf bound_ctrl:1
	v_cvt_i32_f32_e32 v25, v8
	v_cvt_f32_i32_dpp v25, v25 row_shr:4 row_mask:0xf bank_mask:0xf bound_ctrl:1
	s_delay_alu instid0(VALU_DEP_1) | instskip(NEXT) | instid1(VALU_DEP_1)
	v_dual_add_f32 v5, v5, v15 :: v_dual_add_f32 v8, v8, v25
	v_cvt_i32_f32_e32 v15, v5
	s_delay_alu instid0(VALU_DEP_2) | instskip(NEXT) | instid1(VALU_DEP_2)
	v_cvt_i32_f32_e32 v25, v8
	v_cvt_f32_i32_dpp v15, v15 row_shr:1 row_mask:0xf bank_mask:0xf bound_ctrl:1
	s_delay_alu instid0(VALU_DEP_2) | instskip(NEXT) | instid1(VALU_DEP_1)
	v_cvt_f32_i32_dpp v25, v25 row_shr:2 row_mask:0xf bank_mask:0xf bound_ctrl:1
	v_dual_add_f32 v11, v11, v19 :: v_dual_add_f32 v8, v8, v25
	s_delay_alu instid0(VALU_DEP_1) | instskip(NEXT) | instid1(VALU_DEP_2)
	v_cvt_i32_f32_e32 v19, v11
	v_cvt_i32_f32_e32 v25, v8
	s_delay_alu instid0(VALU_DEP_2) | instskip(NEXT) | instid1(VALU_DEP_2)
	v_cvt_f32_i32_dpp v19, v19 row_shr:1 row_mask:0xf bank_mask:0xf bound_ctrl:1
	v_cvt_f32_i32_dpp v25, v25 row_shr:1 row_mask:0xf bank_mask:0xf bound_ctrl:1
	s_delay_alu instid0(VALU_DEP_2)
	v_add_f32_e32 v16, v11, v19
	v_cvt_i32_f32_e32 v11, v57
	v_add_f32_e32 v33, v5, v15
	v_cvt_i32_f32_e32 v5, v59
	v_cvt_i32_f32_e32 v15, v56
	ds_bpermute_b32 v19, v6, v16
	v_cvt_f32_i32_dpp v11, v11 row_shr:8 row_mask:0xf bank_mask:0xf bound_ctrl:1
	v_cvt_f32_i32_dpp v5, v5 row_shr:8 row_mask:0xf bank_mask:0xf bound_ctrl:1
	;; [unrolled: 1-line block ×3, first 2 shown]
	s_delay_alu instid0(VALU_DEP_3) | instskip(NEXT) | instid1(VALU_DEP_3)
	v_add_f32_e32 v11, v57, v11
	v_add_f32_e32 v5, v59, v5
	s_delay_alu instid0(VALU_DEP_2) | instskip(NEXT) | instid1(VALU_DEP_1)
	v_cvt_i32_f32_e32 v26, v11
	v_cvt_f32_i32_dpp v26, v26 row_shr:4 row_mask:0xf bank_mask:0xf bound_ctrl:1
	s_delay_alu instid0(VALU_DEP_1) | instskip(NEXT) | instid1(VALU_DEP_1)
	v_add_f32_e32 v11, v11, v26
	v_cvt_i32_f32_e32 v26, v11
	s_delay_alu instid0(VALU_DEP_1) | instskip(NEXT) | instid1(VALU_DEP_1)
	v_cvt_f32_i32_dpp v26, v26 row_shr:2 row_mask:0xf bank_mask:0xf bound_ctrl:1
	v_add_f32_e32 v11, v11, v26
	s_delay_alu instid0(VALU_DEP_1) | instskip(NEXT) | instid1(VALU_DEP_1)
	v_cvt_i32_f32_e32 v26, v11
	v_cvt_f32_i32_dpp v34, v26 row_shr:1 row_mask:0xf bank_mask:0xf bound_ctrl:1
	v_add_f32_e32 v26, v8, v25
	v_add_f32_e32 v8, v18, v38
	v_cvt_i32_f32_e32 v22, v5
	v_add_f32_e32 v15, v56, v15
	ds_bpermute_b32 v36, v6, v33
	v_cvt_f32_i32_dpp v22, v22 row_shr:4 row_mask:0xf bank_mask:0xf bound_ctrl:1
	s_delay_alu instid0(VALU_DEP_1) | instskip(NEXT) | instid1(VALU_DEP_1)
	v_add_f32_e32 v5, v5, v22
	v_cvt_i32_f32_e32 v22, v5
	s_delay_alu instid0(VALU_DEP_1) | instskip(NEXT) | instid1(VALU_DEP_1)
	v_cvt_f32_i32_dpp v22, v22 row_shr:2 row_mask:0xf bank_mask:0xf bound_ctrl:1
	v_add_f32_e32 v5, v5, v22
	s_delay_alu instid0(VALU_DEP_1) | instskip(NEXT) | instid1(VALU_DEP_1)
	v_cvt_i32_f32_e32 v22, v5
	v_cvt_f32_i32_dpp v22, v22 row_shr:1 row_mask:0xf bank_mask:0xf bound_ctrl:1
	s_delay_alu instid0(VALU_DEP_1)
	v_add_f32_e32 v31, v5, v22
	v_add_f32_e32 v22, v11, v34
	v_cvt_i32_f32_e32 v28, v15
	ds_bpermute_b32 v11, v6, v8
	ds_bpermute_b32 v34, v6, v31
	;; [unrolled: 1-line block ×3, first 2 shown]
	v_cvt_f32_i32_dpp v28, v28 row_shr:4 row_mask:0xf bank_mask:0xf bound_ctrl:1
	s_delay_alu instid0(VALU_DEP_1) | instskip(NEXT) | instid1(VALU_DEP_1)
	v_add_f32_e32 v15, v15, v28
	v_cvt_i32_f32_e32 v28, v15
	s_delay_alu instid0(VALU_DEP_1) | instskip(NEXT) | instid1(VALU_DEP_1)
	v_cvt_f32_i32_dpp v28, v28 row_shr:2 row_mask:0xf bank_mask:0xf bound_ctrl:1
	v_add_f32_e32 v15, v15, v28
	s_delay_alu instid0(VALU_DEP_1) | instskip(NEXT) | instid1(VALU_DEP_1)
	v_cvt_i32_f32_e32 v28, v15
	v_cvt_f32_i32_dpp v28, v28 row_shr:1 row_mask:0xf bank_mask:0xf bound_ctrl:1
	s_delay_alu instid0(VALU_DEP_1)
	v_add_f32_e32 v15, v15, v28
	ds_bpermute_b32 v28, v6, v26
	ds_bpermute_b32 v18, v6, v15
	s_and_saveexec_b32 s5, s0
	s_cbranch_execz .LBB124_50
; %bb.31:                               ;   in Loop: Header=BB124_12 Depth=1
	v_dual_mov_b32 v64, 0 :: v_dual_add_nc_u32 v5, 3, v37
	v_dual_mov_b32 v63, 0 :: v_dual_add_nc_u32 v6, 2, v37
	v_dual_mov_b32 v62, 0 :: v_dual_mov_b32 v61, 0
	v_dual_mov_b32 v60, 0 :: v_dual_mov_b32 v59, 0
	;; [unrolled: 1-line block ×4, first 2 shown]
	s_waitcnt vmcnt(4)
	v_dual_mov_b32 v48, 0 :: v_dual_mov_b32 v47, 0
	s_waitcnt vmcnt(2)
	v_dual_mov_b32 v46, 0 :: v_dual_mov_b32 v45, 0
	;; [unrolled: 2-line block ×3, first 2 shown]
	s_and_not1_b32 vcc_lo, exec_lo, s30
	s_cbranch_vccnz .LBB124_33
; %bb.32:                               ;   in Loop: Header=BB124_12 Depth=1
	v_mul_hi_u32 v38, v37, v54
	v_mul_hi_u32 v44, v6, v54
	v_add_nc_u32_e32 v43, 1, v37
	v_mul_hi_u32 v45, v5, v54
	v_mov_b32_e32 v78, v39
	v_mul_lo_u32 v38, v38, s8
	v_mul_lo_u32 v47, v44, s8
	v_mov_b32_e32 v44, v39
	v_mul_hi_u32 v46, v43, v54
	v_mul_lo_u32 v45, v45, s8
	v_sub_nc_u32_e32 v38, v37, v38
	v_sub_nc_u32_e32 v47, v6, v47
	s_delay_alu instid0(VALU_DEP_4) | instskip(NEXT) | instid1(VALU_DEP_4)
	v_mul_lo_u32 v55, v46, s8
	v_sub_nc_u32_e32 v45, v5, v45
	s_delay_alu instid0(VALU_DEP_4) | instskip(SKIP_1) | instid1(VALU_DEP_3)
	v_subrev_nc_u32_e32 v56, s8, v38
	v_cmp_le_u32_e32 vcc_lo, s8, v38
	v_subrev_nc_u32_e32 v57, s8, v45
	v_sub_nc_u32_e32 v43, v43, v55
	v_subrev_nc_u32_e32 v55, s8, v47
	v_cndmask_b32_e32 v38, v38, v56, vcc_lo
	v_cmp_le_u32_e32 vcc_lo, s8, v47
	s_delay_alu instid0(VALU_DEP_4) | instskip(NEXT) | instid1(VALU_DEP_4)
	v_subrev_nc_u32_e32 v56, s8, v43
	v_cndmask_b32_e32 v47, v47, v55, vcc_lo
	v_cmp_le_u32_e32 vcc_lo, s8, v45
	v_dual_mov_b32 v46, v39 :: v_dual_cndmask_b32 v55, v45, v57
	v_cmp_le_u32_e32 vcc_lo, s8, v43
	v_subrev_nc_u32_e32 v45, s8, v38
	s_delay_alu instid0(VALU_DEP_3)
	v_subrev_nc_u32_e32 v57, s8, v55
	v_cndmask_b32_e32 v43, v43, v56, vcc_lo
	v_cmp_le_u32_e32 vcc_lo, s8, v38
	v_subrev_nc_u32_e32 v56, s8, v47
	v_cndmask_b32_e32 v38, v38, v45, vcc_lo
	v_cmp_le_u32_e32 vcc_lo, s8, v47
	v_subrev_nc_u32_e32 v58, s8, v43
	s_delay_alu instid0(VALU_DEP_3) | instskip(SKIP_2) | instid1(VALU_DEP_2)
	v_dual_mov_b32 v48, v39 :: v_dual_add_nc_u32 v61, s33, v38
	v_cndmask_b32_e32 v45, v47, v56, vcc_lo
	v_cmp_le_u32_e32 vcc_lo, s8, v55
	v_dual_mov_b32 v64, v39 :: v_dual_add_nc_u32 v67, s33, v45
	v_cndmask_b32_e32 v47, v55, v57, vcc_lo
	v_cmp_le_u32_e32 vcc_lo, s8, v43
	v_lshlrev_b64 v[55:56], 1, v[38:39]
	v_mov_b32_e32 v68, v39
	s_delay_alu instid0(VALU_DEP_4) | instskip(SKIP_4) | instid1(VALU_DEP_4)
	v_lshlrev_b64 v[59:60], 1, v[47:48]
	v_cndmask_b32_e32 v43, v43, v58, vcc_lo
	v_lshlrev_b64 v[57:58], 1, v[45:46]
	v_add_co_u32 v55, vcc_lo, s14, v55
	v_add_co_ci_u32_e32 v56, vcc_lo, s15, v56, vcc_lo
	v_lshlrev_b64 v[62:63], 1, v[43:44]
	v_add_nc_u32_e32 v77, s34, v43
	s_delay_alu instid0(VALU_DEP_2) | instskip(SKIP_1) | instid1(VALU_DEP_4)
	v_add_co_u32 v65, vcc_lo, s14, v62
	v_mov_b32_e32 v62, v39
	v_add_co_ci_u32_e32 v66, vcc_lo, s15, v63, vcc_lo
	v_add_nc_u32_e32 v63, s33, v43
	v_add_co_u32 v57, vcc_lo, s14, v57
	s_delay_alu instid0(VALU_DEP_4)
	v_lshlrev_b64 v[61:62], 1, v[61:62]
	v_add_co_ci_u32_e32 v58, vcc_lo, s15, v58, vcc_lo
	v_add_co_u32 v59, vcc_lo, s14, v59
	v_add_co_ci_u32_e32 v60, vcc_lo, s15, v60, vcc_lo
	v_lshlrev_b64 v[63:64], 1, v[63:64]
	v_add_co_u32 v69, vcc_lo, s14, v61
	v_add_co_ci_u32_e32 v70, vcc_lo, s15, v62, vcc_lo
	v_lshlrev_b64 v[61:62], 1, v[67:68]
	v_add_nc_u32_e32 v67, s33, v47
	v_add_co_u32 v71, vcc_lo, s14, v63
	v_add_co_ci_u32_e32 v72, vcc_lo, s15, v64, vcc_lo
	s_delay_alu instid0(VALU_DEP_3) | instskip(SKIP_3) | instid1(VALU_DEP_4)
	v_lshlrev_b64 v[63:64], 1, v[67:68]
	v_add_co_u32 v67, vcc_lo, s14, v61
	v_add_co_ci_u32_e32 v68, vcc_lo, s15, v62, vcc_lo
	v_dual_mov_b32 v62, v39 :: v_dual_add_nc_u32 v61, s34, v38
	v_add_co_u32 v73, vcc_lo, s14, v63
	v_add_nc_u32_e32 v38, s38, v38
	v_add_co_ci_u32_e32 v74, vcc_lo, s15, v64, vcc_lo
	s_delay_alu instid0(VALU_DEP_4)
	v_lshlrev_b64 v[75:76], 1, v[61:62]
	s_clause 0x7
	global_load_u16 v64, v[55:56], off
	global_load_u16 v63, v[65:66], off
	;; [unrolled: 1-line block ×8, first 2 shown]
	v_dual_mov_b32 v68, v39 :: v_dual_add_nc_u32 v67, s34, v45
	v_lshlrev_b64 v[65:66], 1, v[77:78]
	v_mov_b32_e32 v72, v39
	v_lshlrev_b64 v[73:74], 1, v[38:39]
	v_add_nc_u32_e32 v38, s38, v43
	v_add_nc_u32_e32 v71, s34, v47
	v_add_co_u32 v69, vcc_lo, s14, v75
	v_lshlrev_b64 v[67:68], 1, v[67:68]
	v_add_co_ci_u32_e32 v70, vcc_lo, s15, v76, vcc_lo
	v_add_co_u32 v65, vcc_lo, s14, v65
	v_lshlrev_b64 v[71:72], 1, v[71:72]
	v_add_co_ci_u32_e32 v66, vcc_lo, s15, v66, vcc_lo
	v_add_co_u32 v67, vcc_lo, s14, v67
	v_add_co_ci_u32_e32 v68, vcc_lo, s15, v68, vcc_lo
	s_delay_alu instid0(VALU_DEP_4)
	v_add_co_u32 v43, vcc_lo, s14, v71
	v_add_co_ci_u32_e32 v44, vcc_lo, s15, v72, vcc_lo
	v_lshlrev_b64 v[71:72], 1, v[38:39]
	v_add_nc_u32_e32 v38, s38, v45
	v_add_co_u32 v45, vcc_lo, s14, v73
	v_add_co_ci_u32_e32 v46, vcc_lo, s15, v74, vcc_lo
	s_delay_alu instid0(VALU_DEP_3) | instskip(SKIP_3) | instid1(VALU_DEP_3)
	v_lshlrev_b64 v[73:74], 1, v[38:39]
	v_add_nc_u32_e32 v38, s38, v47
	v_add_co_u32 v71, vcc_lo, s14, v71
	v_add_co_ci_u32_e32 v72, vcc_lo, s15, v72, vcc_lo
	v_lshlrev_b64 v[75:76], 1, v[38:39]
	v_add_co_u32 v73, vcc_lo, s14, v73
	v_add_co_ci_u32_e32 v74, vcc_lo, s15, v74, vcc_lo
	s_delay_alu instid0(VALU_DEP_3) | instskip(NEXT) | instid1(VALU_DEP_4)
	v_add_co_u32 v75, vcc_lo, s14, v75
	v_add_co_ci_u32_e32 v76, vcc_lo, s15, v76, vcc_lo
	s_clause 0x7
	global_load_u16 v59, v[69:70], off
	global_load_u16 v57, v[65:66], off
	;; [unrolled: 1-line block ×8, first 2 shown]
.LBB124_33:                             ;   in Loop: Header=BB124_12 Depth=1
	v_cmp_ne_u32_e32 vcc_lo, 0, v1
	s_and_saveexec_b32 s2, vcc_lo
	s_cbranch_execnz .LBB124_55
; %bb.34:                               ;   in Loop: Header=BB124_12 Depth=1
	s_or_b32 exec_lo, exec_lo, s2
	v_cmp_ne_u32_e64 s1, 0, v2
	s_delay_alu instid0(VALU_DEP_1)
	s_and_saveexec_b32 s3, s1
	s_cbranch_execnz .LBB124_56
.LBB124_35:                             ;   in Loop: Header=BB124_12 Depth=1
	s_or_b32 exec_lo, exec_lo, s3
	v_cmp_ne_u32_e64 s2, 0, v3
	s_delay_alu instid0(VALU_DEP_1)
	s_and_saveexec_b32 s4, s2
	s_cbranch_execnz .LBB124_57
.LBB124_36:                             ;   in Loop: Header=BB124_12 Depth=1
	s_or_b32 exec_lo, exec_lo, s4
	v_cmp_ne_u32_e64 s3, 0, v4
	s_delay_alu instid0(VALU_DEP_1)
	s_and_saveexec_b32 s41, s3
	s_cbranch_execnz .LBB124_58
.LBB124_37:                             ;   in Loop: Header=BB124_12 Depth=1
	s_or_b32 exec_lo, exec_lo, s41
	v_add_nc_u32_e32 v38, s19, v37
	s_and_saveexec_b32 s41, vcc_lo
	s_cbranch_execnz .LBB124_59
.LBB124_38:                             ;   in Loop: Header=BB124_12 Depth=1
	s_or_b32 exec_lo, exec_lo, s41
	s_and_saveexec_b32 s41, s1
	s_cbranch_execnz .LBB124_60
.LBB124_39:                             ;   in Loop: Header=BB124_12 Depth=1
	s_or_b32 exec_lo, exec_lo, s41
	s_and_saveexec_b32 s41, s2
	s_cbranch_execnz .LBB124_61
.LBB124_40:                             ;   in Loop: Header=BB124_12 Depth=1
	s_or_b32 exec_lo, exec_lo, s41
	s_and_saveexec_b32 s41, s3
	s_cbranch_execnz .LBB124_62
.LBB124_41:                             ;   in Loop: Header=BB124_12 Depth=1
	s_or_b32 exec_lo, exec_lo, s41
	v_add_nc_u32_e32 v38, s19, v38
	s_and_saveexec_b32 s41, vcc_lo
	s_cbranch_execnz .LBB124_63
.LBB124_42:                             ;   in Loop: Header=BB124_12 Depth=1
	s_or_b32 exec_lo, exec_lo, s41
	s_and_saveexec_b32 s41, s1
	s_cbranch_execnz .LBB124_64
.LBB124_43:                             ;   in Loop: Header=BB124_12 Depth=1
	s_or_b32 exec_lo, exec_lo, s41
	s_and_saveexec_b32 s41, s2
	s_cbranch_execnz .LBB124_65
.LBB124_44:                             ;   in Loop: Header=BB124_12 Depth=1
	s_or_b32 exec_lo, exec_lo, s41
	s_and_saveexec_b32 s41, s3
	s_cbranch_execnz .LBB124_66
.LBB124_45:                             ;   in Loop: Header=BB124_12 Depth=1
	s_or_b32 exec_lo, exec_lo, s41
	v_add_nc_u32_e32 v38, s19, v38
	s_and_saveexec_b32 s4, vcc_lo
	s_cbranch_execnz .LBB124_67
.LBB124_46:                             ;   in Loop: Header=BB124_12 Depth=1
	s_or_b32 exec_lo, exec_lo, s4
	s_and_saveexec_b32 s4, s1
	s_cbranch_execnz .LBB124_68
.LBB124_47:                             ;   in Loop: Header=BB124_12 Depth=1
	s_or_b32 exec_lo, exec_lo, s4
	s_and_saveexec_b32 s1, s2
	s_cbranch_execnz .LBB124_69
.LBB124_48:                             ;   in Loop: Header=BB124_12 Depth=1
	s_or_b32 exec_lo, exec_lo, s1
	s_delay_alu instid0(SALU_CYCLE_1)
	s_and_b32 exec_lo, exec_lo, s3
	s_cbranch_execz .LBB124_50
.LBB124_49:                             ;   in Loop: Header=BB124_12 Depth=1
	s_waitcnt lgkmcnt(4)
	v_dual_add_f32 v5, v8, v11 :: v_dual_add_nc_u32 v38, 3, v38
	s_waitcnt vmcnt(0)
	v_cvt_f32_f16_e32 v6, v43
	s_delay_alu instid0(VALU_DEP_1) | instskip(NEXT) | instid1(VALU_DEP_3)
	v_add_f32_e32 v7, v5, v6
	v_lshlrev_b64 v[5:6], 1, v[38:39]
	s_delay_alu instid0(VALU_DEP_2) | instskip(NEXT) | instid1(VALU_DEP_2)
	v_cvt_f16_f32_e32 v7, v7
	v_add_co_u32 v5, vcc_lo, s6, v5
	s_delay_alu instid0(VALU_DEP_3)
	v_add_co_ci_u32_e32 v6, vcc_lo, s7, v6, vcc_lo
	global_store_b16 v[5:6], v7, off
.LBB124_50:                             ;   in Loop: Header=BB124_12 Depth=1
	s_or_b32 exec_lo, exec_lo, s5
	v_add_nc_u32_e32 v37, s29, v37
	s_delay_alu instid0(VALU_DEP_1) | instskip(SKIP_1) | instid1(VALU_DEP_2)
	v_add_nc_u32_e32 v5, 4, v37
	v_cmp_gt_u32_e32 vcc_lo, s19, v37
	v_cmp_le_u32_e64 s1, s19, v5
	s_delay_alu instid0(VALU_DEP_1) | instskip(NEXT) | instid1(SALU_CYCLE_1)
	s_and_b32 s1, vcc_lo, s1
	s_and_saveexec_b32 s41, s1
	s_cbranch_execz .LBB124_10
; %bb.51:                               ;   in Loop: Header=BB124_12 Depth=1
	s_mov_b32 s42, exec_lo
	v_cmpx_ne_u32_e64 s31, v37
	s_cbranch_execz .LBB124_9
; %bb.52:                               ;   in Loop: Header=BB124_12 Depth=1
	v_subrev_nc_u32_e32 v5, s31, v37
	s_mov_b32 s43, 0
	s_mov_b64 s[4:5], 0
	s_delay_alu instid0(VALU_DEP_1)
	v_cmp_lt_u32_e32 vcc_lo, 1, v5
	v_cndmask_b32_e32 v5, 1, v5, vcc_lo
	.p2align	6
.LBB124_53:                             ;   Parent Loop BB124_12 Depth=1
                                        ; =>  This Inner Loop Header: Depth=2
	s_cmp_lg_u32 s4, 3
	s_cselect_b32 vcc_lo, -1, 0
	s_cmp_lg_u32 s4, 2
	v_cndmask_b32_e32 v4, 0, v4, vcc_lo
	s_cselect_b32 s1, -1, 0
	s_cmp_lg_u32 s4, 1
	v_cndmask_b32_e64 v3, 0, v3, s1
	s_cselect_b32 s2, -1, 0
	s_cmp_lg_u32 s4, 0
	v_cndmask_b32_e64 v2, 0, v2, s2
	s_cselect_b32 s3, -1, 0
	s_add_u32 s4, s4, 1
	v_cndmask_b32_e64 v1, 0, v1, s3
	v_cmp_eq_u32_e32 vcc_lo, s4, v5
	s_addc_u32 s5, s5, 0
	s_or_b32 s43, vcc_lo, s43
	s_delay_alu instid0(SALU_CYCLE_1)
	s_and_not1_b32 exec_lo, exec_lo, s43
	s_cbranch_execnz .LBB124_53
; %bb.54:                               ;   in Loop: Header=BB124_12 Depth=1
	s_or_b32 exec_lo, exec_lo, s43
	s_branch .LBB124_9
.LBB124_55:                             ;   in Loop: Header=BB124_12 Depth=1
	s_waitcnt lgkmcnt(13)
	v_dual_add_f32 v41, v41, v42 :: v_dual_mov_b32 v38, v39
	s_waitcnt vmcnt(15)
	v_cvt_f32_f16_e32 v42, v64
	s_delay_alu instid0(VALU_DEP_1) | instskip(NEXT) | instid1(VALU_DEP_3)
	v_add_f32_e32 v64, v41, v42
	v_lshlrev_b64 v[41:42], 1, v[37:38]
	s_delay_alu instid0(VALU_DEP_2) | instskip(NEXT) | instid1(VALU_DEP_2)
	v_cvt_f16_f32_e32 v38, v64
	v_add_co_u32 v41, s1, s6, v41
	s_delay_alu instid0(VALU_DEP_1) | instskip(SKIP_3) | instid1(VALU_DEP_1)
	v_add_co_ci_u32_e64 v42, s1, s7, v42, s1
	global_store_b16 v[41:42], v38, off
	s_or_b32 exec_lo, exec_lo, s2
	v_cmp_ne_u32_e64 s1, 0, v2
	s_and_saveexec_b32 s3, s1
	s_cbranch_execz .LBB124_35
.LBB124_56:                             ;   in Loop: Header=BB124_12 Depth=1
	v_mov_b32_e32 v38, v39
	s_waitcnt lgkmcnt(12)
	v_add_f32_e32 v32, v32, v35
	s_waitcnt vmcnt(14)
	v_cvt_f32_f16_e32 v35, v63
	v_lshlrev_b64 v[41:42], 1, v[37:38]
	s_delay_alu instid0(VALU_DEP_2) | instskip(NEXT) | instid1(VALU_DEP_2)
	v_add_f32_e32 v32, v32, v35
	v_add_co_u32 v41, s2, s35, v41
	s_delay_alu instid0(VALU_DEP_2) | instskip(NEXT) | instid1(VALU_DEP_4)
	v_cvt_f16_f32_e32 v32, v32
	v_add_co_ci_u32_e64 v42, s2, s36, v42, s2
	global_store_b16 v[41:42], v32, off
	s_or_b32 exec_lo, exec_lo, s3
	v_cmp_ne_u32_e64 s2, 0, v3
	s_delay_alu instid0(VALU_DEP_1)
	s_and_saveexec_b32 s4, s2
	s_cbranch_execz .LBB124_36
.LBB124_57:                             ;   in Loop: Header=BB124_12 Depth=1
	s_waitcnt lgkmcnt(11)
	v_add_f32_e32 v29, v7, v29
	v_mov_b32_e32 v7, v39
	s_waitcnt vmcnt(13)
	v_cvt_f32_f16_e32 v32, v62
	s_delay_alu instid0(VALU_DEP_2) | instskip(NEXT) | instid1(VALU_DEP_2)
	v_lshlrev_b64 v[6:7], 1, v[6:7]
	v_add_f32_e32 v29, v29, v32
	s_delay_alu instid0(VALU_DEP_1) | instskip(NEXT) | instid1(VALU_DEP_3)
	v_cvt_f16_f32_e32 v29, v29
	v_add_co_u32 v6, s3, s6, v6
	s_delay_alu instid0(VALU_DEP_1) | instskip(SKIP_3) | instid1(VALU_DEP_1)
	v_add_co_ci_u32_e64 v7, s3, s7, v7, s3
	global_store_b16 v[6:7], v29, off
	s_or_b32 exec_lo, exec_lo, s4
	v_cmp_ne_u32_e64 s3, 0, v4
	s_and_saveexec_b32 s41, s3
	s_cbranch_execz .LBB124_37
.LBB124_58:                             ;   in Loop: Header=BB124_12 Depth=1
	s_waitcnt lgkmcnt(7)
	v_dual_add_f32 v7, v21, v24 :: v_dual_mov_b32 v6, v39
	s_waitcnt vmcnt(12)
	v_cvt_f32_f16_e32 v21, v61
	s_delay_alu instid0(VALU_DEP_2) | instskip(NEXT) | instid1(VALU_DEP_2)
	v_lshlrev_b64 v[5:6], 1, v[5:6]
	v_add_f32_e32 v7, v7, v21
	s_delay_alu instid0(VALU_DEP_1) | instskip(NEXT) | instid1(VALU_DEP_3)
	v_cvt_f16_f32_e32 v7, v7
	v_add_co_u32 v5, s4, s6, v5
	s_delay_alu instid0(VALU_DEP_1)
	v_add_co_ci_u32_e64 v6, s4, s7, v6, s4
	global_store_b16 v[5:6], v7, off
	s_or_b32 exec_lo, exec_lo, s41
	v_add_nc_u32_e32 v38, s19, v37
	s_and_saveexec_b32 s41, vcc_lo
	s_cbranch_execz .LBB124_38
.LBB124_59:                             ;   in Loop: Header=BB124_12 Depth=1
	s_waitcnt lgkmcnt(15)
	v_add_f32_e32 v5, v14, v17
	s_waitcnt vmcnt(11)
	v_cvt_f32_f16_e32 v6, v60
	s_delay_alu instid0(VALU_DEP_1) | instskip(SKIP_1) | instid1(VALU_DEP_2)
	v_add_f32_e32 v7, v5, v6
	v_lshlrev_b64 v[5:6], 1, v[38:39]
	v_cvt_f16_f32_e32 v7, v7
	s_delay_alu instid0(VALU_DEP_2) | instskip(NEXT) | instid1(VALU_DEP_1)
	v_add_co_u32 v5, s4, s6, v5
	v_add_co_ci_u32_e64 v6, s4, s7, v6, s4
	global_store_b16 v[5:6], v7, off
	s_or_b32 exec_lo, exec_lo, s41
	s_and_saveexec_b32 s41, s1
	s_cbranch_execz .LBB124_39
.LBB124_60:                             ;   in Loop: Header=BB124_12 Depth=1
	s_waitcnt lgkmcnt(14)
	v_dual_add_f32 v7, v10, v13 :: v_dual_mov_b32 v6, v39
	v_add_nc_u32_e32 v5, 1, v38
	s_waitcnt vmcnt(10)
	v_cvt_f32_f16_e32 v10, v58
	s_delay_alu instid0(VALU_DEP_2) | instskip(NEXT) | instid1(VALU_DEP_2)
	v_lshlrev_b64 v[5:6], 1, v[5:6]
	v_add_f32_e32 v7, v7, v10
	s_delay_alu instid0(VALU_DEP_1) | instskip(NEXT) | instid1(VALU_DEP_3)
	v_cvt_f16_f32_e32 v7, v7
	v_add_co_u32 v5, s4, s6, v5
	s_delay_alu instid0(VALU_DEP_1)
	v_add_co_ci_u32_e64 v6, s4, s7, v6, s4
	global_store_b16 v[5:6], v7, off
	s_or_b32 exec_lo, exec_lo, s41
	s_and_saveexec_b32 s41, s2
	s_cbranch_execz .LBB124_40
.LBB124_61:                             ;   in Loop: Header=BB124_12 Depth=1
	s_waitcnt lgkmcnt(5)
	v_dual_add_f32 v7, v33, v36 :: v_dual_mov_b32 v6, v39
	v_add_nc_u32_e32 v5, 2, v38
	s_waitcnt vmcnt(9)
	v_cvt_f32_f16_e32 v10, v56
	s_delay_alu instid0(VALU_DEP_2) | instskip(NEXT) | instid1(VALU_DEP_2)
	v_lshlrev_b64 v[5:6], 1, v[5:6]
	v_add_f32_e32 v7, v7, v10
	s_delay_alu instid0(VALU_DEP_1) | instskip(NEXT) | instid1(VALU_DEP_3)
	v_cvt_f16_f32_e32 v7, v7
	v_add_co_u32 v5, s4, s6, v5
	s_delay_alu instid0(VALU_DEP_1)
	v_add_co_ci_u32_e64 v6, s4, s7, v6, s4
	global_store_b16 v[5:6], v7, off
	s_or_b32 exec_lo, exec_lo, s41
	s_and_saveexec_b32 s41, s3
	s_cbranch_execz .LBB124_41
.LBB124_62:                             ;   in Loop: Header=BB124_12 Depth=1
	v_dual_mov_b32 v6, v39 :: v_dual_add_nc_u32 v5, 3, v38
	s_waitcnt lgkmcnt(8)
	v_add_f32_e32 v7, v27, v30
	s_waitcnt vmcnt(8)
	v_cvt_f32_f16_e32 v10, v48
	v_lshlrev_b64 v[5:6], 1, v[5:6]
	s_delay_alu instid0(VALU_DEP_2) | instskip(NEXT) | instid1(VALU_DEP_2)
	v_add_f32_e32 v7, v7, v10
	v_add_co_u32 v5, s4, s6, v5
	s_delay_alu instid0(VALU_DEP_2) | instskip(NEXT) | instid1(VALU_DEP_4)
	v_cvt_f16_f32_e32 v7, v7
	v_add_co_ci_u32_e64 v6, s4, s7, v6, s4
	global_store_b16 v[5:6], v7, off
	s_or_b32 exec_lo, exec_lo, s41
	v_add_nc_u32_e32 v38, s19, v38
	s_and_saveexec_b32 s41, vcc_lo
	s_cbranch_execz .LBB124_42
.LBB124_63:                             ;   in Loop: Header=BB124_12 Depth=1
	s_waitcnt lgkmcnt(10)
	v_add_f32_e32 v5, v20, v23
	s_waitcnt vmcnt(7)
	v_cvt_f32_f16_e32 v6, v59
	s_delay_alu instid0(VALU_DEP_1) | instskip(SKIP_1) | instid1(VALU_DEP_2)
	v_add_f32_e32 v7, v5, v6
	v_lshlrev_b64 v[5:6], 1, v[38:39]
	v_cvt_f16_f32_e32 v7, v7
	s_delay_alu instid0(VALU_DEP_2) | instskip(NEXT) | instid1(VALU_DEP_1)
	v_add_co_u32 v5, s4, s6, v5
	v_add_co_ci_u32_e64 v6, s4, s7, v6, s4
	global_store_b16 v[5:6], v7, off
	s_or_b32 exec_lo, exec_lo, s41
	s_and_saveexec_b32 s41, s1
	s_cbranch_execz .LBB124_43
.LBB124_64:                             ;   in Loop: Header=BB124_12 Depth=1
	s_waitcnt lgkmcnt(6)
	v_dual_add_f32 v7, v16, v19 :: v_dual_mov_b32 v6, v39
	v_add_nc_u32_e32 v5, 1, v38
	s_waitcnt vmcnt(6)
	v_cvt_f32_f16_e32 v10, v57
	s_delay_alu instid0(VALU_DEP_2) | instskip(NEXT) | instid1(VALU_DEP_2)
	v_lshlrev_b64 v[5:6], 1, v[5:6]
	v_add_f32_e32 v7, v7, v10
	s_delay_alu instid0(VALU_DEP_1) | instskip(NEXT) | instid1(VALU_DEP_3)
	v_cvt_f16_f32_e32 v7, v7
	v_add_co_u32 v5, s4, s6, v5
	s_delay_alu instid0(VALU_DEP_1)
	v_add_co_ci_u32_e64 v6, s4, s7, v6, s4
	global_store_b16 v[5:6], v7, off
	s_or_b32 exec_lo, exec_lo, s41
	s_and_saveexec_b32 s41, s2
	s_cbranch_execz .LBB124_44
.LBB124_65:                             ;   in Loop: Header=BB124_12 Depth=1
	s_waitcnt lgkmcnt(9)
	v_dual_add_f32 v7, v9, v12 :: v_dual_mov_b32 v6, v39
	v_add_nc_u32_e32 v5, 2, v38
	s_waitcnt vmcnt(5)
	v_cvt_f32_f16_e32 v9, v55
	s_delay_alu instid0(VALU_DEP_2) | instskip(NEXT) | instid1(VALU_DEP_2)
	v_lshlrev_b64 v[5:6], 1, v[5:6]
	v_add_f32_e32 v7, v7, v9
	s_delay_alu instid0(VALU_DEP_1) | instskip(NEXT) | instid1(VALU_DEP_3)
	v_cvt_f16_f32_e32 v7, v7
	v_add_co_u32 v5, s4, s6, v5
	s_delay_alu instid0(VALU_DEP_1)
	v_add_co_ci_u32_e64 v6, s4, s7, v6, s4
	global_store_b16 v[5:6], v7, off
	s_or_b32 exec_lo, exec_lo, s41
	s_and_saveexec_b32 s41, s3
	s_cbranch_execz .LBB124_45
.LBB124_66:                             ;   in Loop: Header=BB124_12 Depth=1
	v_dual_mov_b32 v6, v39 :: v_dual_add_nc_u32 v5, 3, v38
	s_waitcnt lgkmcnt(3)
	v_add_f32_e32 v7, v31, v34
	s_waitcnt vmcnt(4)
	v_cvt_f32_f16_e32 v9, v47
	v_lshlrev_b64 v[5:6], 1, v[5:6]
	s_delay_alu instid0(VALU_DEP_2) | instskip(NEXT) | instid1(VALU_DEP_2)
	v_add_f32_e32 v7, v7, v9
	v_add_co_u32 v5, s4, s6, v5
	s_delay_alu instid0(VALU_DEP_2) | instskip(NEXT) | instid1(VALU_DEP_4)
	v_cvt_f16_f32_e32 v7, v7
	v_add_co_ci_u32_e64 v6, s4, s7, v6, s4
	global_store_b16 v[5:6], v7, off
	s_or_b32 exec_lo, exec_lo, s41
	v_add_nc_u32_e32 v38, s19, v38
	s_and_saveexec_b32 s4, vcc_lo
	s_cbranch_execz .LBB124_46
.LBB124_67:                             ;   in Loop: Header=BB124_12 Depth=1
	s_waitcnt lgkmcnt(1)
	v_add_f32_e32 v5, v26, v28
	s_waitcnt vmcnt(3)
	v_cvt_f32_f16_e32 v6, v46
	s_delay_alu instid0(VALU_DEP_1) | instskip(SKIP_1) | instid1(VALU_DEP_2)
	v_add_f32_e32 v7, v5, v6
	v_lshlrev_b64 v[5:6], 1, v[38:39]
	v_cvt_f16_f32_e32 v7, v7
	s_delay_alu instid0(VALU_DEP_2) | instskip(NEXT) | instid1(VALU_DEP_3)
	v_add_co_u32 v5, vcc_lo, s6, v5
	v_add_co_ci_u32_e32 v6, vcc_lo, s7, v6, vcc_lo
	global_store_b16 v[5:6], v7, off
	s_or_b32 exec_lo, exec_lo, s4
	s_and_saveexec_b32 s4, s1
	s_cbranch_execz .LBB124_47
.LBB124_68:                             ;   in Loop: Header=BB124_12 Depth=1
	s_waitcnt lgkmcnt(2)
	v_dual_add_f32 v7, v22, v25 :: v_dual_mov_b32 v6, v39
	v_add_nc_u32_e32 v5, 1, v38
	s_waitcnt vmcnt(2)
	v_cvt_f32_f16_e32 v9, v45
	s_delay_alu instid0(VALU_DEP_2) | instskip(NEXT) | instid1(VALU_DEP_2)
	v_lshlrev_b64 v[5:6], 1, v[5:6]
	v_add_f32_e32 v7, v7, v9
	s_delay_alu instid0(VALU_DEP_1) | instskip(NEXT) | instid1(VALU_DEP_3)
	v_cvt_f16_f32_e32 v7, v7
	v_add_co_u32 v5, vcc_lo, s6, v5
	s_delay_alu instid0(VALU_DEP_4)
	v_add_co_ci_u32_e32 v6, vcc_lo, s7, v6, vcc_lo
	global_store_b16 v[5:6], v7, off
	s_or_b32 exec_lo, exec_lo, s4
	s_and_saveexec_b32 s1, s2
	s_cbranch_execz .LBB124_48
.LBB124_69:                             ;   in Loop: Header=BB124_12 Depth=1
	v_dual_mov_b32 v6, v39 :: v_dual_add_nc_u32 v5, 2, v38
	s_waitcnt lgkmcnt(0)
	v_add_f32_e32 v7, v15, v18
	s_waitcnt vmcnt(1)
	v_cvt_f32_f16_e32 v9, v44
	v_lshlrev_b64 v[5:6], 1, v[5:6]
	s_delay_alu instid0(VALU_DEP_2) | instskip(NEXT) | instid1(VALU_DEP_2)
	v_add_f32_e32 v7, v7, v9
	v_add_co_u32 v5, vcc_lo, s6, v5
	s_delay_alu instid0(VALU_DEP_2) | instskip(NEXT) | instid1(VALU_DEP_4)
	v_cvt_f16_f32_e32 v7, v7
	v_add_co_ci_u32_e32 v6, vcc_lo, s7, v6, vcc_lo
	global_store_b16 v[5:6], v7, off
	s_or_b32 exec_lo, exec_lo, s1
	s_delay_alu instid0(SALU_CYCLE_1)
	s_and_b32 exec_lo, exec_lo, s3
	s_cbranch_execnz .LBB124_49
	s_branch .LBB124_50
.LBB124_70:
	s_nop 0
	s_sendmsg sendmsg(MSG_DEALLOC_VGPRS)
	s_endpgm
	.section	.rodata,"a",@progbits
	.p2align	6, 0x0
	.amdhsa_kernel _Z16wvSplitK_hf_big_I6__halfLi64ELi4ELi16ELi8ELi1ELi4EEviiiiiiPKT_S3_S3_PS1_ii
		.amdhsa_group_segment_fixed_size 65536
		.amdhsa_private_segment_fixed_size 0
		.amdhsa_kernarg_size 64
		.amdhsa_user_sgpr_count 15
		.amdhsa_user_sgpr_dispatch_ptr 0
		.amdhsa_user_sgpr_queue_ptr 0
		.amdhsa_user_sgpr_kernarg_segment_ptr 1
		.amdhsa_user_sgpr_dispatch_id 0
		.amdhsa_user_sgpr_private_segment_size 0
		.amdhsa_wavefront_size32 1
		.amdhsa_uses_dynamic_stack 0
		.amdhsa_enable_private_segment 0
		.amdhsa_system_sgpr_workgroup_id_x 1
		.amdhsa_system_sgpr_workgroup_id_y 0
		.amdhsa_system_sgpr_workgroup_id_z 0
		.amdhsa_system_sgpr_workgroup_info 0
		.amdhsa_system_vgpr_workitem_id 1
		.amdhsa_next_free_vgpr 79
		.amdhsa_next_free_sgpr 44
		.amdhsa_reserve_vcc 1
		.amdhsa_float_round_mode_32 0
		.amdhsa_float_round_mode_16_64 0
		.amdhsa_float_denorm_mode_32 3
		.amdhsa_float_denorm_mode_16_64 3
		.amdhsa_dx10_clamp 1
		.amdhsa_ieee_mode 1
		.amdhsa_fp16_overflow 0
		.amdhsa_workgroup_processor_mode 1
		.amdhsa_memory_ordered 1
		.amdhsa_forward_progress 0
		.amdhsa_shared_vgpr_count 0
		.amdhsa_exception_fp_ieee_invalid_op 0
		.amdhsa_exception_fp_denorm_src 0
		.amdhsa_exception_fp_ieee_div_zero 0
		.amdhsa_exception_fp_ieee_overflow 0
		.amdhsa_exception_fp_ieee_underflow 0
		.amdhsa_exception_fp_ieee_inexact 0
		.amdhsa_exception_int_div_zero 0
	.end_amdhsa_kernel
	.section	.text._Z16wvSplitK_hf_big_I6__halfLi64ELi4ELi16ELi8ELi1ELi4EEviiiiiiPKT_S3_S3_PS1_ii,"axG",@progbits,_Z16wvSplitK_hf_big_I6__halfLi64ELi4ELi16ELi8ELi1ELi4EEviiiiiiPKT_S3_S3_PS1_ii,comdat
.Lfunc_end124:
	.size	_Z16wvSplitK_hf_big_I6__halfLi64ELi4ELi16ELi8ELi1ELi4EEviiiiiiPKT_S3_S3_PS1_ii, .Lfunc_end124-_Z16wvSplitK_hf_big_I6__halfLi64ELi4ELi16ELi8ELi1ELi4EEviiiiiiPKT_S3_S3_PS1_ii
                                        ; -- End function
	.section	.AMDGPU.csdata,"",@progbits
; Kernel info:
; codeLenInByte = 7332
; NumSgprs: 46
; NumVgprs: 79
; ScratchSize: 0
; MemoryBound: 0
; FloatMode: 240
; IeeeMode: 1
; LDSByteSize: 65536 bytes/workgroup (compile time only)
; SGPRBlocks: 5
; VGPRBlocks: 9
; NumSGPRsForWavesPerEU: 46
; NumVGPRsForWavesPerEU: 79
; Occupancy: 16
; WaveLimiterHint : 0
; COMPUTE_PGM_RSRC2:SCRATCH_EN: 0
; COMPUTE_PGM_RSRC2:USER_SGPR: 15
; COMPUTE_PGM_RSRC2:TRAP_HANDLER: 0
; COMPUTE_PGM_RSRC2:TGID_X_EN: 1
; COMPUTE_PGM_RSRC2:TGID_Y_EN: 0
; COMPUTE_PGM_RSRC2:TGID_Z_EN: 0
; COMPUTE_PGM_RSRC2:TIDIG_COMP_CNT: 1
	.section	.text._Z16wvSplitK_hf_sml_I6__halfLi64ELi4ELi16ELi8ELi2ELi4EEviiiiiiPKT_S3_S3_PS1_ii,"axG",@progbits,_Z16wvSplitK_hf_sml_I6__halfLi64ELi4ELi16ELi8ELi2ELi4EEviiiiiiPKT_S3_S3_PS1_ii,comdat
	.protected	_Z16wvSplitK_hf_sml_I6__halfLi64ELi4ELi16ELi8ELi2ELi4EEviiiiiiPKT_S3_S3_PS1_ii ; -- Begin function _Z16wvSplitK_hf_sml_I6__halfLi64ELi4ELi16ELi8ELi2ELi4EEviiiiiiPKT_S3_S3_PS1_ii
	.globl	_Z16wvSplitK_hf_sml_I6__halfLi64ELi4ELi16ELi8ELi2ELi4EEviiiiiiPKT_S3_S3_PS1_ii
	.p2align	8
	.type	_Z16wvSplitK_hf_sml_I6__halfLi64ELi4ELi16ELi8ELi2ELi4EEviiiiiiPKT_S3_S3_PS1_ii,@function
_Z16wvSplitK_hf_sml_I6__halfLi64ELi4ELi16ELi8ELi2ELi4EEviiiiiiPKT_S3_S3_PS1_ii: ; @_Z16wvSplitK_hf_sml_I6__halfLi64ELi4ELi16ELi8ELi2ELi4EEviiiiiiPKT_S3_S3_PS1_ii
; %bb.0:
	s_clause 0x2
	s_load_b128 s[4:7], s[0:1], 0x0
	s_load_b64 s[8:9], s[0:1], 0x10
	s_load_b64 s[10:11], s[0:1], 0x28
	v_and_b32_e32 v2, 0x3ff, v0
	v_bfe_u32 v3, v0, 10, 10
	s_mov_b32 s12, exec_lo
	s_delay_alu instid0(VALU_DEP_2) | instskip(NEXT) | instid1(VALU_DEP_1)
	v_lshlrev_b32_e32 v75, 3, v2
	v_lshl_add_u32 v4, v3, 9, v75
	s_waitcnt lgkmcnt(0)
	s_lshl_b32 s14, s6, 2
	s_delay_alu instid0(SALU_CYCLE_1)
	s_min_u32 s3, s14, 0x8000
	s_delay_alu instid0(VALU_DEP_1) | instid1(SALU_CYCLE_1)
	v_cmpx_gt_u32_e64 s3, v4
	s_cbranch_execz .LBB125_3
; %bb.1:
	s_load_b64 s[16:17], s[0:1], 0x20
	v_lshlrev_b32_e32 v5, 10, v3
	v_lshlrev_b32_e32 v6, 4, v2
	s_mov_b32 s13, 0
	s_delay_alu instid0(VALU_DEP_1) | instskip(NEXT) | instid1(VALU_DEP_1)
	v_add_co_u32 v0, s2, v5, v6
	v_add_co_ci_u32_e64 v1, null, 0, 0, s2
	v_add_nc_u32_e32 v5, v5, v6
	s_waitcnt lgkmcnt(0)
	s_delay_alu instid0(VALU_DEP_3) | instskip(NEXT) | instid1(VALU_DEP_3)
	v_add_co_u32 v0, vcc_lo, s16, v0
	v_add_co_ci_u32_e32 v1, vcc_lo, s17, v1, vcc_lo
	.p2align	6
.LBB125_2:                              ; =>This Inner Loop Header: Depth=1
	global_load_b128 v[6:9], v[0:1], off
	v_add_nc_u32_e32 v4, 0x2000, v4
	v_add_co_u32 v0, vcc_lo, 0x4000, v0
	v_add_co_ci_u32_e32 v1, vcc_lo, 0, v1, vcc_lo
	s_delay_alu instid0(VALU_DEP_3) | instskip(NEXT) | instid1(VALU_DEP_1)
	v_cmp_le_u32_e64 s2, s3, v4
	s_or_b32 s13, s2, s13
	s_waitcnt vmcnt(0)
	ds_store_b128 v5, v[6:9]
	v_add_nc_u32_e32 v5, 0x4000, v5
	s_and_not1_b32 exec_lo, exec_lo, s13
	s_cbranch_execnz .LBB125_2
.LBB125_3:
	s_or_b32 exec_lo, exec_lo, s12
	s_load_b64 s[16:17], s[0:1], 0x38
	s_waitcnt lgkmcnt(0)
	s_barrier
	buffer_gl0_inv
	s_mov_b32 s2, exec_lo
	v_cmpx_gt_u32_e64 s16, v3
	s_cbranch_execz .LBB125_20
; %bb.4:
	s_mul_i32 s15, s15, s16
	s_delay_alu instid0(SALU_CYCLE_1) | instskip(NEXT) | instid1(VALU_DEP_1)
	v_add_lshl_u32 v56, s15, v3, 2
	v_cmp_gt_u32_e32 vcc_lo, s7, v56
	s_and_b32 exec_lo, exec_lo, vcc_lo
	s_cbranch_execz .LBB125_20
; %bb.5:
	s_cmp_lg_u32 s4, 0
	v_cvt_f32_u32_e32 v1, s8
	s_cselect_b32 s15, -1, 0
	s_add_i32 s18, s4, -8
	s_add_i32 s19, s7, -1
	s_cmp_lg_u64 s[10:11], 0
	v_rcp_iflag_f32_e32 v1, v1
	s_cselect_b32 s20, -1, 0
	s_abs_i32 s21, s9
	s_clause 0x1
	s_load_b64 s[2:3], s[0:1], 0x18
	s_load_b64 s[12:13], s[0:1], 0x30
	v_cvt_f32_u32_e32 v0, s21
	s_mul_i32 s0, s16, s17
	s_sub_i32 s17, 0, s8
	s_lshl_b32 s9, s0, 2
	s_sub_i32 s0, 0, s21
	v_rcp_iflag_f32_e32 v0, v0
	s_sub_i32 s22, 1, s21
	v_mov_b32_e32 v58, 0
	v_lshlrev_b32_e32 v76, 4, v2
	v_mbcnt_lo_u32_b32 v77, -1, 0
	s_mov_b32 s1, 0
	s_waitcnt_depctr 0xfff
	v_mul_f32_e32 v0, 0x4f7ffffe, v0
	s_delay_alu instid0(VALU_DEP_1) | instskip(NEXT) | instid1(VALU_DEP_1)
	v_cvt_u32_f32_e32 v0, v0
	v_readfirstlane_b32 s16, v0
	v_mul_f32_e32 v0, 0x4f7ffffe, v1
	s_delay_alu instid0(VALU_DEP_2) | instskip(NEXT) | instid1(VALU_DEP_1)
	s_mul_i32 s0, s0, s16
	v_cvt_u32_f32_e32 v0, v0
	s_mul_hi_u32 s0, s16, s0
	s_delay_alu instid0(SALU_CYCLE_1) | instskip(SKIP_1) | instid1(VALU_DEP_1)
	s_add_i32 s23, s16, s0
	s_cmp_lt_u32 s21, 2
	v_mul_lo_u32 v1, s17, v0
	s_cselect_b32 s16, s22, 1
	v_cmp_eq_u32_e64 s0, 63, v2
	s_sub_i32 s22, s16, s21
	s_cmp_ge_u32 s16, s21
	s_cselect_b32 s17, s22, s16
	s_lshr_b32 s16, s23, 31
	s_mul_hi_u32 s23, s23, 3
	s_mul_i32 s22, s16, s21
	s_mul_i32 s23, s23, s21
	s_sub_i32 s22, 2, s22
	v_mul_hi_u32 v1, v0, v1
	s_sub_i32 s24, s22, s21
	s_cmp_ge_u32 s22, s21
	s_mul_i32 s16, s6, 6
	s_cselect_b32 s22, s24, s22
	s_mul_i32 s17, s17, s8
	s_sub_i32 s24, s22, s21
	s_cmp_ge_u32 s22, s21
	v_add_nc_u32_e32 v78, v0, v1
	s_cselect_b32 s22, s24, s22
	s_sub_i32 s23, 3, s23
	s_delay_alu instid0(SALU_CYCLE_1) | instskip(SKIP_2) | instid1(SALU_CYCLE_1)
	s_sub_i32 s24, s23, s21
	s_cmp_ge_u32 s23, s21
	s_cselect_b32 s23, s24, s23
	s_sub_i32 s24, s23, s21
	s_cmp_ge_u32 s23, s21
	s_mul_i32 s21, s22, s8
	s_cselect_b32 s23, s24, s23
	s_lshl_b32 s6, s6, 1
	s_mul_i32 s22, s23, s8
	s_branch .LBB125_8
.LBB125_6:                              ;   in Loop: Header=BB125_8 Depth=1
	s_waitcnt lgkmcnt(0)
	v_dual_add_f32 v0, v0, v1 :: v_dual_add_f32 v1, v2, v7
	s_waitcnt vmcnt(15)
	v_cvt_f32_f16_e32 v7, v47
	v_dual_add_f32 v2, v3, v8 :: v_dual_add_f32 v3, v4, v9
	v_dual_add_f32 v4, v5, v10 :: v_dual_add_f32 v5, v6, v11
	;; [unrolled: 1-line block ×5, first 2 shown]
	s_waitcnt vmcnt(14)
	v_cvt_f32_f16_e32 v15, v46
	s_waitcnt vmcnt(13)
	v_cvt_f32_f16_e32 v16, v45
	;; [unrolled: 2-line block ×3, first 2 shown]
	v_add_f32_e32 v0, v0, v7
	v_dual_add_f32 v12, v27, v30 :: v_dual_add_f32 v7, v1, v15
	s_delay_alu instid0(VALU_DEP_3) | instskip(NEXT) | instid1(VALU_DEP_3)
	v_dual_add_f32 v2, v2, v16 :: v_dual_add_f32 v3, v3, v17
	v_cvt_f16_f32_e32 v15, v0
	v_lshlrev_b64 v[0:1], 1, v[56:57]
	s_delay_alu instid0(VALU_DEP_4) | instskip(NEXT) | instid1(VALU_DEP_4)
	v_cvt_f16_f32_e32 v7, v7
	v_cvt_f16_f32_e32 v2, v2
	;; [unrolled: 1-line block ×3, first 2 shown]
	s_waitcnt vmcnt(11)
	v_cvt_f32_f16_e32 v16, v42
	v_dual_add_f32 v14, v26, v29 :: v_dual_add_nc_u32 v57, s7, v56
	v_add_co_u32 v0, vcc_lo, s12, v0
	v_add_co_ci_u32_e32 v1, vcc_lo, s13, v1, vcc_lo
	v_pack_b32_f16 v3, v2, v3
	v_pack_b32_f16 v2, v15, v7
	s_waitcnt vmcnt(10)
	v_cvt_f32_f16_e32 v7, v39
	v_add_f32_e32 v4, v4, v16
	s_waitcnt vmcnt(9)
	v_cvt_f32_f16_e32 v17, v37
	s_waitcnt vmcnt(8)
	v_cvt_f32_f16_e32 v20, v35
	global_store_b64 v[0:1], v[2:3], off
	v_dual_mov_b32 v3, v58 :: v_dual_add_nc_u32 v2, 1, v57
	v_add_f32_e32 v7, v5, v7
	v_mov_b32_e32 v5, v58
	v_lshlrev_b64 v[0:1], 1, v[57:58]
	v_cvt_f16_f32_e32 v16, v4
	v_add_nc_u32_e32 v4, 2, v57
	v_lshlrev_b64 v[2:3], 1, v[2:3]
	v_cvt_f16_f32_e32 v19, v7
	v_mov_b32_e32 v7, v58
	v_dual_add_f32 v17, v6, v17 :: v_dual_add_f32 v8, v8, v20
	s_waitcnt vmcnt(7)
	v_cvt_f32_f16_e32 v20, v43
	v_add_nc_u32_e32 v6, 3, v57
	v_add_co_u32 v0, vcc_lo, s12, v0
	v_lshlrev_b64 v[4:5], 1, v[4:5]
	s_delay_alu instid0(VALU_DEP_4)
	v_add_f32_e32 v9, v9, v20
	v_add_co_ci_u32_e32 v1, vcc_lo, s13, v1, vcc_lo
	v_add_co_u32 v2, vcc_lo, s12, v2
	v_lshlrev_b64 v[6:7], 1, v[6:7]
	v_add_co_ci_u32_e32 v3, vcc_lo, s13, v3, vcc_lo
	s_waitcnt vmcnt(6)
	v_cvt_f32_f16_e32 v21, v41
	v_add_co_u32 v4, vcc_lo, s12, v4
	v_add_co_ci_u32_e32 v5, vcc_lo, s13, v5, vcc_lo
	s_waitcnt vmcnt(5)
	v_cvt_f32_f16_e32 v20, v40
	v_add_co_u32 v6, vcc_lo, s12, v6
	v_cvt_f16_f32_e32 v17, v17
	v_add_f32_e32 v10, v10, v21
	v_cvt_f16_f32_e32 v8, v8
	v_add_co_ci_u32_e32 v7, vcc_lo, s13, v7, vcc_lo
	v_add_nc_u32_e32 v57, s7, v57
	s_clause 0x3
	global_store_b16 v[0:1], v16, off
	global_store_b16 v[2:3], v19, off
	;; [unrolled: 1-line block ×4, first 2 shown]
	v_add_f32_e32 v6, v11, v20
	s_waitcnt vmcnt(4)
	v_cvt_f32_f16_e32 v7, v38
	v_cvt_f16_f32_e32 v4, v9
	v_cvt_f16_f32_e32 v5, v10
	v_dual_mov_b32 v3, v58 :: v_dual_add_nc_u32 v2, 2, v57
	v_cvt_f16_f32_e32 v17, v6
	v_add_f32_e32 v6, v12, v7
	s_waitcnt vmcnt(3)
	v_cvt_f32_f16_e32 v7, v36
	v_lshlrev_b64 v[0:1], 1, v[57:58]
	v_pack_b32_f16 v16, v4, v5
	v_dual_mov_b32 v5, v58 :: v_dual_add_nc_u32 v4, 3, v57
	v_mov_b32_e32 v9, v58
	v_add_nc_u32_e32 v57, s7, v57
	s_waitcnt vmcnt(2)
	v_cvt_f32_f16_e32 v8, v34
	v_lshlrev_b64 v[2:3], 1, v[2:3]
	v_cvt_f16_f32_e32 v19, v6
	v_add_f32_e32 v6, v13, v7
	v_add_co_u32 v0, vcc_lo, s12, v0
	v_lshlrev_b64 v[4:5], 1, v[4:5]
	v_add_f32_e32 v12, v14, v8
	v_dual_mov_b32 v11, v58 :: v_dual_add_nc_u32 v8, 1, v57
	v_dual_add_f32 v18, v24, v25 :: v_dual_add_f32 v15, v22, v23
	v_add_co_ci_u32_e32 v1, vcc_lo, s13, v1, vcc_lo
	s_waitcnt vmcnt(1)
	v_cvt_f32_f16_e32 v13, v33
	v_add_co_u32 v2, vcc_lo, s12, v2
	v_cvt_f16_f32_e32 v20, v6
	v_lshlrev_b64 v[6:7], 1, v[57:58]
	v_add_nc_u32_e32 v10, 2, v57
	v_add_co_ci_u32_e32 v3, vcc_lo, s13, v3, vcc_lo
	v_add_co_u32 v4, vcc_lo, s12, v4
	v_lshlrev_b64 v[8:9], 1, v[8:9]
	v_add_nc_u32_e32 v57, 3, v57
	v_cvt_f16_f32_e32 v14, v12
	v_add_f32_e32 v12, v18, v13
	s_waitcnt vmcnt(0)
	v_cvt_f32_f16_e32 v13, v32
	v_add_co_ci_u32_e32 v5, vcc_lo, s13, v5, vcc_lo
	v_add_co_u32 v6, vcc_lo, s12, v6
	v_lshlrev_b64 v[10:11], 1, v[10:11]
	v_add_co_ci_u32_e32 v7, vcc_lo, s13, v7, vcc_lo
	v_add_co_u32 v8, vcc_lo, s12, v8
	v_cvt_f16_f32_e32 v18, v12
	v_add_f32_e32 v15, v15, v13
	v_lshlrev_b64 v[12:13], 1, v[57:58]
	v_add_co_ci_u32_e32 v9, vcc_lo, s13, v9, vcc_lo
	v_add_co_u32 v10, vcc_lo, s12, v10
	v_add_co_ci_u32_e32 v11, vcc_lo, s13, v11, vcc_lo
	s_delay_alu instid0(VALU_DEP_4)
	v_add_co_u32 v12, vcc_lo, s12, v12
	v_cvt_f16_f32_e32 v15, v15
	v_add_co_ci_u32_e32 v13, vcc_lo, s13, v13, vcc_lo
	s_clause 0x6
	global_store_b32 v[0:1], v16, off
	global_store_b16 v[2:3], v17, off
	global_store_b16 v[4:5], v19, off
	;; [unrolled: 1-line block ×6, first 2 shown]
.LBB125_7:                              ;   in Loop: Header=BB125_8 Depth=1
	s_or_b32 exec_lo, exec_lo, s23
	v_add_nc_u32_e32 v56, s9, v56
	s_delay_alu instid0(VALU_DEP_1) | instskip(SKIP_1) | instid1(SALU_CYCLE_1)
	v_cmp_le_u32_e32 vcc_lo, s7, v56
	s_or_b32 s1, vcc_lo, s1
	s_and_not1_b32 exec_lo, exec_lo, s1
	s_cbranch_execz .LBB125_20
.LBB125_8:                              ; =>This Loop Header: Depth=1
                                        ;     Child Loop BB125_12 Depth 2
	v_mov_b32_e32 v94, v58
	v_mov_b32_e32 v93, v58
	;; [unrolled: 1-line block ×16, first 2 shown]
	s_and_not1_b32 vcc_lo, exec_lo, s15
	s_cbranch_vccnz .LBB125_15
; %bb.9:                                ;   in Loop: Header=BB125_8 Depth=1
	v_or_b32_e32 v0, 1, v56
	s_waitcnt lgkmcnt(0)
	v_or_b32_e32 v1, 2, v56
	v_or_b32_e32 v2, 3, v56
	v_min_u32_e32 v3, s19, v56
	v_dual_mov_b32 v5, v58 :: v_dual_mov_b32 v82, 0
	v_min_u32_e32 v0, s19, v0
	v_min_u32_e32 v1, s19, v1
	v_min_u32_e32 v4, s19, v2
	v_mul_lo_u32 v57, v3, s5
	v_dual_mov_b32 v3, v58 :: v_dual_mov_b32 v86, 0
	v_mul_lo_u32 v0, v0, s5
	v_mul_lo_u32 v2, v1, s5
	;; [unrolled: 1-line block ×3, first 2 shown]
	v_dual_mov_b32 v1, v58 :: v_dual_mov_b32 v84, 0
	v_lshlrev_b64 v[59:60], 1, v[57:58]
	v_dual_mov_b32 v95, v76 :: v_dual_mov_b32 v80, 0
	s_delay_alu instid0(VALU_DEP_3)
	v_lshlrev_b64 v[61:62], 1, v[0:1]
	v_lshlrev_b64 v[63:64], 1, v[2:3]
	;; [unrolled: 1-line block ×3, first 2 shown]
	v_dual_mov_b32 v85, 0 :: v_dual_mov_b32 v88, 0
	v_dual_mov_b32 v83, 0 :: v_dual_mov_b32 v90, 0
	;; [unrolled: 1-line block ×4, first 2 shown]
	v_mov_b32_e32 v87, 0
	v_mov_b32_e32 v89, 0
	;; [unrolled: 1-line block ×4, first 2 shown]
	s_mov_b32 s23, 0
	s_branch .LBB125_12
.LBB125_10:                             ;   in Loop: Header=BB125_12 Depth=2
	s_or_b32 exec_lo, exec_lo, s25
.LBB125_11:                             ;   in Loop: Header=BB125_12 Depth=2
	s_delay_alu instid0(SALU_CYCLE_1)
	s_or_b32 exec_lo, exec_lo, s24
	s_waitcnt vmcnt(7) lgkmcnt(4)
	;;#ASMSTART
	v_dot2_f32_f16 v94, v52, v28, v94
	;;#ASMEND
	s_waitcnt vmcnt(6)
	;;#ASMSTART
	v_dot2_f32_f16 v93, v52, v24, v93
	;;#ASMEND
	s_waitcnt vmcnt(5)
	;; [unrolled: 4-line block ×3, first 2 shown]
	;;#ASMSTART
	v_dot2_f32_f16 v91, v52, v32, v91
	;;#ASMEND
	s_waitcnt lgkmcnt(3)
	;;#ASMSTART
	v_dot2_f32_f16 v90, v48, v28, v90
	;;#ASMEND
	;;#ASMSTART
	v_dot2_f32_f16 v89, v48, v24, v89
	;;#ASMEND
	;;#ASMSTART
	v_dot2_f32_f16 v88, v48, v40, v88
	;;#ASMEND
	;;#ASMSTART
	v_dot2_f32_f16 v87, v48, v32, v87
	;;#ASMEND
	s_waitcnt lgkmcnt(2)
	;;#ASMSTART
	v_dot2_f32_f16 v84, v73, v28, v84
	;;#ASMEND
	;;#ASMSTART
	v_dot2_f32_f16 v86, v73, v24, v86
	;;#ASMEND
	;;#ASMSTART
	v_dot2_f32_f16 v85, v73, v40, v85
	;;#ASMEND
	;; [unrolled: 13-line block ×3, first 2 shown]
	;;#ASMSTART
	v_dot2_f32_f16 v79, v44, v32, v79
	;;#ASMEND
	;;#ASMSTART
	v_dot2_f32_f16 v94, v53, v29, v94
	;;#ASMEND
	;; [unrolled: 3-line block ×33, first 2 shown]
	v_add_nc_u32_e32 v95, 0x800, v95
	;;#ASMSTART
	v_dot2_f32_f16 v94, v55, v31, v94
	;;#ASMEND
	;;#ASMSTART
	v_dot2_f32_f16 v93, v55, v27, v93
	;;#ASMEND
	;; [unrolled: 3-line block ×16, first 2 shown]
	s_addk_i32 s23, 0x400
	s_waitcnt vmcnt(3)
	;;#ASMSTART
	v_dot2_f32_f16 v94, v36, v12, v94
	;;#ASMEND
	s_waitcnt vmcnt(2)
	;;#ASMSTART
	v_dot2_f32_f16 v93, v36, v8, v93
	;;#ASMEND
	;; [unrolled: 4-line block ×4, first 2 shown]
	;;#ASMSTART
	v_dot2_f32_f16 v90, v20, v12, v90
	;;#ASMEND
	;;#ASMSTART
	v_dot2_f32_f16 v89, v20, v8, v89
	;;#ASMEND
	;; [unrolled: 3-line block ×28, first 2 shown]
	s_cmp_ge_u32 s23, s4
	;;#ASMSTART
	v_dot2_f32_f16 v94, v38, v14, v94
	;;#ASMEND
	;;#ASMSTART
	v_dot2_f32_f16 v93, v38, v10, v93
	;;#ASMEND
	;;#ASMSTART
	v_dot2_f32_f16 v92, v38, v6, v92
	;;#ASMEND
	;;#ASMSTART
	v_dot2_f32_f16 v91, v38, v2, v91
	;;#ASMEND
	;;#ASMSTART
	v_dot2_f32_f16 v90, v22, v14, v90
	;;#ASMEND
	;;#ASMSTART
	v_dot2_f32_f16 v89, v22, v10, v89
	;;#ASMEND
	;;#ASMSTART
	v_dot2_f32_f16 v88, v22, v6, v88
	;;#ASMEND
	;;#ASMSTART
	v_dot2_f32_f16 v87, v22, v2, v87
	;;#ASMEND
	;;#ASMSTART
	v_dot2_f32_f16 v84, v67, v14, v84
	;;#ASMEND
	;;#ASMSTART
	v_dot2_f32_f16 v86, v67, v10, v86
	;;#ASMEND
	;;#ASMSTART
	v_dot2_f32_f16 v85, v67, v6, v85
	;;#ASMEND
	;;#ASMSTART
	v_dot2_f32_f16 v83, v67, v2, v83
	;;#ASMEND
	;;#ASMSTART
	v_dot2_f32_f16 v82, v18, v14, v82
	;;#ASMEND
	;;#ASMSTART
	v_dot2_f32_f16 v81, v18, v10, v81
	;;#ASMEND
	;;#ASMSTART
	v_dot2_f32_f16 v80, v18, v6, v80
	;;#ASMEND
	;;#ASMSTART
	v_dot2_f32_f16 v79, v18, v2, v79
	;;#ASMEND
	;;#ASMSTART
	v_dot2_f32_f16 v94, v39, v15, v94
	;;#ASMEND
	;;#ASMSTART
	v_dot2_f32_f16 v93, v39, v11, v93
	;;#ASMEND
	;;#ASMSTART
	v_dot2_f32_f16 v92, v39, v7, v92
	;;#ASMEND
	;;#ASMSTART
	v_dot2_f32_f16 v91, v39, v3, v91
	;;#ASMEND
	;;#ASMSTART
	v_dot2_f32_f16 v90, v23, v15, v90
	;;#ASMEND
	;;#ASMSTART
	v_dot2_f32_f16 v89, v23, v11, v89
	;;#ASMEND
	;;#ASMSTART
	v_dot2_f32_f16 v88, v23, v7, v88
	;;#ASMEND
	;;#ASMSTART
	v_dot2_f32_f16 v87, v23, v3, v87
	;;#ASMEND
	;;#ASMSTART
	v_dot2_f32_f16 v84, v68, v15, v84
	;;#ASMEND
	;;#ASMSTART
	v_dot2_f32_f16 v86, v68, v11, v86
	;;#ASMEND
	;;#ASMSTART
	v_dot2_f32_f16 v85, v68, v7, v85
	;;#ASMEND
	;;#ASMSTART
	v_dot2_f32_f16 v83, v68, v3, v83
	;;#ASMEND
	;;#ASMSTART
	v_dot2_f32_f16 v82, v19, v15, v82
	;;#ASMEND
	;;#ASMSTART
	v_dot2_f32_f16 v81, v19, v11, v81
	;;#ASMEND
	;;#ASMSTART
	v_dot2_f32_f16 v80, v19, v7, v80
	;;#ASMEND
	;;#ASMSTART
	v_dot2_f32_f16 v79, v19, v3, v79
	;;#ASMEND
	s_cbranch_scc1 .LBB125_15
.LBB125_12:                             ;   Parent Loop BB125_8 Depth=1
                                        ; =>  This Inner Loop Header: Depth=2
	v_dual_mov_b32 v53, 0 :: v_dual_add_nc_u32 v20, s23, v75
	v_dual_mov_b32 v52, 0 :: v_dual_mov_b32 v37, 0
	v_dual_mov_b32 v54, 0 :: v_dual_mov_b32 v39, 0
	s_delay_alu instid0(VALU_DEP_3) | instskip(SKIP_2) | instid1(VALU_DEP_3)
	v_min_u32_e32 v57, s18, v20
	v_dual_mov_b32 v55, 0 :: v_dual_add_nc_u32 v96, 0x200, v20
	v_dual_mov_b32 v36, 0 :: v_dual_mov_b32 v49, 0
	v_lshlrev_b64 v[0:1], 1, v[57:58]
	s_delay_alu instid0(VALU_DEP_3) | instskip(SKIP_3) | instid1(VALU_DEP_4)
	v_min_u32_e32 v57, s18, v96
	v_dual_mov_b32 v38, 0 :: v_dual_mov_b32 v51, 0
	v_dual_mov_b32 v48, 0 :: v_dual_mov_b32 v21, 0
	s_waitcnt lgkmcnt(0)
	v_add_co_u32 v8, vcc_lo, s2, v0
	v_add_co_ci_u32_e32 v9, vcc_lo, s3, v1, vcc_lo
	v_lshlrev_b64 v[0:1], 1, v[57:58]
	s_delay_alu instid0(VALU_DEP_3) | instskip(NEXT) | instid1(VALU_DEP_3)
	v_add_co_u32 v2, vcc_lo, v8, v59
	v_add_co_ci_u32_e32 v3, vcc_lo, v9, v60, vcc_lo
	v_add_co_u32 v4, vcc_lo, v8, v61
	v_add_co_ci_u32_e32 v5, vcc_lo, v9, v62, vcc_lo
	;; [unrolled: 2-line block ×5, first 2 shown]
	s_clause 0x1
	global_load_b128 v[28:31], v[2:3], off slc dlc
	global_load_b128 v[24:27], v[4:5], off slc dlc
	v_add_co_u32 v2, vcc_lo, v10, v59
	v_add_co_ci_u32_e32 v3, vcc_lo, v11, v60, vcc_lo
	v_add_co_u32 v4, vcc_lo, v10, v61
	v_add_co_ci_u32_e32 v5, vcc_lo, v11, v62, vcc_lo
	;; [unrolled: 2-line block ×4, first 2 shown]
	s_clause 0x5
	global_load_b128 v[40:43], v[6:7], off slc dlc
	global_load_b128 v[32:35], v[0:1], off slc dlc
	;; [unrolled: 1-line block ×6, first 2 shown]
	v_cmp_gt_u32_e32 vcc_lo, s4, v20
	v_dual_mov_b32 v50, 0 :: v_dual_mov_b32 v23, 0
	v_dual_mov_b32 v20, 0 :: v_dual_mov_b32 v73, 0
	;; [unrolled: 1-line block ×9, first 2 shown]
	v_mov_b32_e32 v16, 0
	v_mov_b32_e32 v18, 0
	s_and_saveexec_b32 s24, vcc_lo
	s_cbranch_execz .LBB125_11
; %bb.13:                               ;   in Loop: Header=BB125_12 Depth=2
	v_dual_mov_b32 v18, 0 :: v_dual_add_nc_u32 v57, s6, v95
	v_dual_mov_b32 v19, 0 :: v_dual_add_nc_u32 v98, s14, v95
	;; [unrolled: 1-line block ×3, first 2 shown]
	ds_load_b128 v[52:55], v95
	ds_load_b128 v[48:51], v57
	ds_load_2addr_b32 v[73:74], v98 offset1:1
	ds_load_2addr_b32 v[71:72], v98 offset0:2 offset1:3
	ds_load_b128 v[44:47], v97
	v_dual_mov_b32 v17, 0 :: v_dual_mov_b32 v68, 0
	v_dual_mov_b32 v67, 0 :: v_dual_mov_b32 v70, 0
	;; [unrolled: 1-line block ×6, first 2 shown]
	v_mov_b32_e32 v37, 0
	s_mov_b32 s25, exec_lo
	v_cmpx_gt_u32_e64 s4, v96
	s_cbranch_execz .LBB125_10
; %bb.14:                               ;   in Loop: Header=BB125_12 Depth=2
	v_add_nc_u32_e32 v16, 0x400, v98
	v_add_nc_u32_e32 v17, 0x408, v98
	ds_load_b128 v[36:39], v95 offset:1024
	ds_load_2addr_b32 v[69:70], v16 offset1:1
	ds_load_2addr_b32 v[67:68], v17 offset1:1
	ds_load_b128 v[20:23], v57 offset:1024
	ds_load_b128 v[16:19], v97 offset:1024
	s_branch .LBB125_10
.LBB125_15:                             ;   in Loop: Header=BB125_8 Depth=1
	; sched_barrier mask(0x00000000)
	v_cvt_i32_f32_e32 v0, v94
	s_waitcnt lgkmcnt(0)
	v_xor_b32_e32 v1, 16, v77
	v_cvt_i32_f32_e32 v5, v90
	v_cvt_i32_f32_e32 v6, v89
	;; [unrolled: 1-line block ×3, first 2 shown]
	v_cvt_f32_i32_dpp v0, v0 row_shr:8 row_mask:0xf bank_mask:0xf bound_ctrl:1
	v_cmp_gt_i32_e32 vcc_lo, 32, v1
	v_cvt_i32_f32_e32 v3, v92
	v_cvt_i32_f32_e32 v4, v91
	v_cvt_f32_i32_dpp v5, v5 row_shr:8 row_mask:0xf bank_mask:0xf bound_ctrl:1
	v_dual_add_f32 v0, v94, v0 :: v_dual_cndmask_b32 v1, v77, v1
	v_cvt_f32_i32_dpp v6, v6 row_shr:8 row_mask:0xf bank_mask:0xf bound_ctrl:1
	v_cvt_f32_i32_dpp v2, v2 row_shr:8 row_mask:0xf bank_mask:0xf bound_ctrl:1
	;; [unrolled: 1-line block ×4, first 2 shown]
	v_cvt_i32_f32_e32 v7, v0
	v_dual_add_f32 v5, v90, v5 :: v_dual_add_f32 v6, v89, v6
	v_lshlrev_b32_e32 v23, 2, v1
	s_delay_alu instid0(VALU_DEP_4)
	v_dual_add_f32 v1, v93, v2 :: v_dual_add_f32 v4, v91, v4
	v_add_f32_e32 v2, v92, v3
	v_cvt_f32_i32_dpp v3, v7 row_shr:4 row_mask:0xf bank_mask:0xf bound_ctrl:1
	v_cvt_i32_f32_e32 v10, v6
	v_cvt_i32_f32_e32 v9, v5
	;; [unrolled: 1-line block ×5, first 2 shown]
	v_cvt_f32_i32_dpp v10, v10 row_shr:4 row_mask:0xf bank_mask:0xf bound_ctrl:1
	v_add_f32_e32 v0, v0, v3
	v_cvt_i32_f32_e32 v3, v2
	v_cvt_f32_i32_dpp v8, v8 row_shr:4 row_mask:0xf bank_mask:0xf bound_ctrl:1
	v_cvt_f32_i32_dpp v9, v9 row_shr:4 row_mask:0xf bank_mask:0xf bound_ctrl:1
	;; [unrolled: 1-line block ×5, first 2 shown]
	v_cvt_i32_f32_e32 v13, v87
	v_cvt_i32_f32_e32 v14, v84
	;; [unrolled: 1-line block ×4, first 2 shown]
	v_dual_add_f32 v2, v2, v3 :: v_dual_add_f32 v3, v4, v8
	v_dual_add_f32 v4, v5, v9 :: v_dual_add_f32 v5, v6, v10
	v_cvt_i32_f32_e32 v11, v0
	v_cvt_f32_i32_dpp v13, v13 row_shr:8 row_mask:0xf bank_mask:0xf bound_ctrl:1
	s_delay_alu instid0(VALU_DEP_4)
	v_cvt_i32_f32_e32 v9, v3
	v_cvt_f32_i32_dpp v14, v14 row_shr:8 row_mask:0xf bank_mask:0xf bound_ctrl:1
	v_cvt_f32_i32_dpp v12, v12 row_shr:8 row_mask:0xf bank_mask:0xf bound_ctrl:1
	;; [unrolled: 1-line block ×3, first 2 shown]
	v_cvt_i32_f32_e32 v22, v83
	v_cvt_f32_i32_dpp v9, v9 row_shr:2 row_mask:0xf bank_mask:0xf bound_ctrl:1
	v_cvt_i32_f32_e32 v24, v82
	v_cvt_i32_f32_e32 v25, v81
	v_add_f32_e32 v0, v0, v11
	v_cvt_i32_f32_e32 v11, v5
	v_cvt_i32_f32_e32 v26, v80
	;; [unrolled: 1-line block ×3, first 2 shown]
	v_cvt_f32_i32_dpp v16, v16 row_shr:8 row_mask:0xf bank_mask:0xf bound_ctrl:1
	v_cvt_i32_f32_e32 v8, v0
	v_cvt_f32_i32_dpp v11, v11 row_shr:2 row_mask:0xf bank_mask:0xf bound_ctrl:1
	v_cvt_f32_i32_dpp v22, v22 row_shr:8 row_mask:0xf bank_mask:0xf bound_ctrl:1
	;; [unrolled: 1-line block ×5, first 2 shown]
	v_add_f32_e32 v1, v1, v7
	v_cvt_i32_f32_e32 v7, v2
	v_cvt_f32_i32_dpp v26, v26 row_shr:8 row_mask:0xf bank_mask:0xf bound_ctrl:1
	v_cvt_f32_i32_dpp v27, v27 row_shr:8 row_mask:0xf bank_mask:0xf bound_ctrl:1
	v_add_f32_e32 v0, v0, v8
	v_cvt_i32_f32_e32 v6, v1
	v_cvt_f32_i32_dpp v7, v7 row_shr:2 row_mask:0xf bank_mask:0xf bound_ctrl:1
	s_delay_alu instid0(VALU_DEP_4) | instskip(SKIP_1) | instid1(VALU_DEP_4)
	v_dual_add_f32 v16, v85, v16 :: v_dual_add_f32 v27, v79, v27
	v_add_f32_e32 v13, v87, v13
	v_cvt_f32_i32_dpp v6, v6 row_shr:2 row_mask:0xf bank_mask:0xf bound_ctrl:1
	s_delay_alu instid0(VALU_DEP_4)
	v_add_f32_e32 v7, v2, v7
	v_cvt_i32_f32_e32 v10, v4
	v_add_f32_e32 v22, v83, v22
	v_cvt_i32_f32_e32 v18, v13
	v_add_f32_e32 v24, v82, v24
	v_add_f32_e32 v26, v80, v26
	v_cvt_f32_i32_dpp v10, v10 row_shr:2 row_mask:0xf bank_mask:0xf bound_ctrl:1
	v_add_f32_e32 v8, v3, v9
	v_cvt_i32_f32_e32 v3, v7
	v_add_f32_e32 v15, v86, v15
	v_cvt_f32_i32_dpp v18, v18 row_shr:4 row_mask:0xf bank_mask:0xf bound_ctrl:1
	v_add_f32_e32 v9, v4, v10
	v_cvt_i32_f32_e32 v4, v8
	v_cvt_f32_i32_dpp v3, v3 row_shr:1 row_mask:0xf bank_mask:0xf bound_ctrl:1
	v_add_f32_e32 v6, v1, v6
	v_cvt_i32_f32_e32 v20, v15
	v_add_f32_e32 v10, v5, v11
	v_cvt_f32_i32_dpp v4, v4 row_shr:1 row_mask:0xf bank_mask:0xf bound_ctrl:1
	v_add_f32_e32 v3, v7, v3
	v_cvt_i32_f32_e32 v2, v6
	v_cvt_f32_i32_dpp v20, v20 row_shr:4 row_mask:0xf bank_mask:0xf bound_ctrl:1
	v_cvt_i32_f32_e32 v11, v10
	v_dual_add_f32 v4, v8, v4 :: v_dual_add_f32 v13, v13, v18
	s_delay_alu instid0(VALU_DEP_4) | instskip(NEXT) | instid1(VALU_DEP_4)
	v_cvt_f32_i32_dpp v2, v2 row_shr:1 row_mask:0xf bank_mask:0xf bound_ctrl:1
	v_add_f32_e32 v15, v15, v20
	s_delay_alu instid0(VALU_DEP_4)
	v_cvt_f32_i32_dpp v11, v11 row_shr:1 row_mask:0xf bank_mask:0xf bound_ctrl:1
	v_cvt_i32_f32_e32 v21, v16
	v_cvt_i32_f32_e32 v18, v13
	v_add_f32_e32 v2, v6, v2
	v_cvt_i32_f32_e32 v20, v15
	v_add_f32_e32 v6, v10, v11
	v_cvt_i32_f32_e32 v28, v22
	v_cvt_f32_i32_dpp v18, v18 row_shr:2 row_mask:0xf bank_mask:0xf bound_ctrl:1
	v_add_f32_e32 v12, v88, v12
	v_cvt_f32_i32_dpp v20, v20 row_shr:2 row_mask:0xf bank_mask:0xf bound_ctrl:1
	v_add_f32_e32 v14, v84, v14
	v_cvt_i32_f32_e32 v29, v24
	v_add_f32_e32 v13, v13, v18
	v_cvt_i32_f32_e32 v17, v12
	;; [unrolled: 2-line block ×3, first 2 shown]
	v_cvt_i32_f32_e32 v31, v26
	v_cvt_i32_f32_e32 v18, v13
	v_cvt_f32_i32_dpp v17, v17 row_shr:4 row_mask:0xf bank_mask:0xf bound_ctrl:1
	v_cvt_i32_f32_e32 v20, v15
	v_cvt_f32_i32_dpp v19, v19 row_shr:4 row_mask:0xf bank_mask:0xf bound_ctrl:1
	;; [unrolled: 2-line block ×3, first 2 shown]
	v_add_f32_e32 v12, v12, v17
	v_cvt_f32_i32_dpp v20, v20 row_shr:1 row_mask:0xf bank_mask:0xf bound_ctrl:1
	v_add_f32_e32 v14, v14, v19
	v_cvt_f32_i32_dpp v21, v21 row_shr:4 row_mask:0xf bank_mask:0xf bound_ctrl:1
	v_add_f32_e32 v13, v13, v18
	v_cvt_i32_f32_e32 v17, v12
	v_add_f32_e32 v15, v15, v20
	v_cvt_i32_f32_e32 v19, v14
	v_cvt_f32_i32_dpp v28, v28 row_shr:4 row_mask:0xf bank_mask:0xf bound_ctrl:1
	v_cvt_f32_i32_dpp v29, v29 row_shr:4 row_mask:0xf bank_mask:0xf bound_ctrl:1
	;; [unrolled: 1-line block ×6, first 2 shown]
	v_add_f32_e32 v25, v81, v25
	v_add_f32_e32 v12, v12, v17
	;; [unrolled: 1-line block ×5, first 2 shown]
	v_cvt_i32_f32_e32 v30, v25
	v_dual_add_f32 v26, v26, v31 :: v_dual_add_f32 v27, v27, v32
	v_cvt_i32_f32_e32 v17, v12
	v_cvt_i32_f32_e32 v28, v22
	s_delay_alu instid0(VALU_DEP_4)
	v_cvt_f32_i32_dpp v30, v30 row_shr:4 row_mask:0xf bank_mask:0xf bound_ctrl:1
	v_add_f32_e32 v16, v16, v21
	v_cvt_i32_f32_e32 v29, v24
	v_cvt_i32_f32_e32 v31, v26
	;; [unrolled: 1-line block ×3, first 2 shown]
	v_add_f32_e32 v25, v25, v30
	v_cvt_i32_f32_e32 v21, v16
	v_cvt_f32_i32_dpp v17, v17 row_shr:1 row_mask:0xf bank_mask:0xf bound_ctrl:1
	v_cvt_f32_i32_dpp v28, v28 row_shr:2 row_mask:0xf bank_mask:0xf bound_ctrl:1
	;; [unrolled: 1-line block ×3, first 2 shown]
	v_cvt_i32_f32_e32 v30, v25
	v_cvt_f32_i32_dpp v21, v21 row_shr:2 row_mask:0xf bank_mask:0xf bound_ctrl:1
	v_cvt_f32_i32_dpp v31, v31 row_shr:2 row_mask:0xf bank_mask:0xf bound_ctrl:1
	;; [unrolled: 1-line block ×3, first 2 shown]
	v_add_f32_e32 v12, v12, v17
	v_cvt_f32_i32_dpp v30, v30 row_shr:2 row_mask:0xf bank_mask:0xf bound_ctrl:1
	v_add_f32_e32 v16, v16, v21
	v_add_f32_e32 v22, v22, v28
	v_dual_add_f32 v24, v24, v29 :: v_dual_add_f32 v29, v26, v31
	s_delay_alu instid0(VALU_DEP_4)
	v_dual_add_f32 v25, v25, v30 :: v_dual_add_f32 v30, v27, v32
	v_cvt_i32_f32_e32 v5, v9
	v_cvt_i32_f32_e32 v19, v14
	;; [unrolled: 1-line block ×8, first 2 shown]
	v_cvt_f32_i32_dpp v5, v5 row_shr:1 row_mask:0xf bank_mask:0xf bound_ctrl:1
	v_cvt_f32_i32_dpp v19, v19 row_shr:1 row_mask:0xf bank_mask:0xf bound_ctrl:1
	;; [unrolled: 1-line block ×8, first 2 shown]
	v_dual_add_f32 v5, v9, v5 :: v_dual_add_f32 v14, v14, v19
	v_dual_add_f32 v16, v16, v21 :: v_dual_add_f32 v27, v22, v26
	v_add_f32_e32 v28, v24, v33
	v_add_f32_e32 v26, v25, v34
	;; [unrolled: 1-line block ×4, first 2 shown]
	ds_bpermute_b32 v1, v23, v0
	ds_bpermute_b32 v7, v23, v2
	;; [unrolled: 1-line block ×16, first 2 shown]
	s_and_saveexec_b32 s23, s0
	s_cbranch_execz .LBB125_7
; %bb.16:                               ;   in Loop: Header=BB125_8 Depth=1
	s_and_b32 vcc_lo, exec_lo, s20
	s_cbranch_vccz .LBB125_18
; %bb.17:                               ;   in Loop: Header=BB125_8 Depth=1
	v_mul_hi_u32 v32, v56, v78
	v_or_b32_e32 v34, 1, v56
	v_or_b32_e32 v36, 2, v56
	;; [unrolled: 1-line block ×3, first 2 shown]
	v_mov_b32_e32 v49, v58
	s_delay_alu instid0(VALU_DEP_4) | instskip(NEXT) | instid1(VALU_DEP_4)
	v_mul_hi_u32 v33, v34, v78
	v_mul_hi_u32 v35, v36, v78
	v_mul_lo_u32 v32, v32, s8
	v_mul_hi_u32 v38, v37, v78
	v_mov_b32_e32 v47, v58
	v_mul_lo_u32 v39, v33, s8
	v_mul_lo_u32 v40, v35, s8
	v_sub_nc_u32_e32 v32, v56, v32
	v_mul_lo_u32 v38, v38, s8
	s_delay_alu instid0(VALU_DEP_2)
	v_subrev_nc_u32_e32 v41, s8, v32
	v_sub_nc_u32_e32 v34, v34, v39
	v_cmp_le_u32_e32 vcc_lo, s8, v32
	v_mov_b32_e32 v33, v58
	v_sub_nc_u32_e32 v36, v36, v40
	v_sub_nc_u32_e32 v38, v37, v38
	v_subrev_nc_u32_e32 v39, s8, v34
	v_cndmask_b32_e32 v32, v32, v41, vcc_lo
	v_cmp_le_u32_e32 vcc_lo, s8, v34
	v_subrev_nc_u32_e32 v40, s8, v36
	v_subrev_nc_u32_e32 v41, s8, v38
	s_delay_alu instid0(VALU_DEP_4) | instskip(SKIP_4) | instid1(VALU_DEP_2)
	v_subrev_nc_u32_e32 v42, s8, v32
	v_cndmask_b32_e32 v34, v34, v39, vcc_lo
	v_cmp_le_u32_e32 vcc_lo, s8, v36
	v_dual_mov_b32 v35, v58 :: v_dual_cndmask_b32 v36, v36, v40
	v_cmp_le_u32_e32 vcc_lo, s8, v38
	v_subrev_nc_u32_e32 v39, s8, v36
	v_cndmask_b32_e32 v40, v38, v41, vcc_lo
	v_cmp_le_u32_e32 vcc_lo, s8, v32
	v_cndmask_b32_e32 v57, v32, v42, vcc_lo
	v_subrev_nc_u32_e32 v38, s8, v34
	v_cmp_le_u32_e32 vcc_lo, s8, v34
	s_delay_alu instid0(VALU_DEP_3) | instskip(NEXT) | instid1(VALU_DEP_3)
	v_add_nc_u32_e32 v46, s17, v57
	v_cndmask_b32_e32 v32, v34, v38, vcc_lo
	v_cmp_le_u32_e32 vcc_lo, s8, v36
	v_mov_b32_e32 v37, v58
	v_mov_b32_e32 v64, v58
	v_lshlrev_b64 v[46:47], 1, v[46:47]
	v_add_nc_u32_e32 v63, s21, v32
	v_subrev_nc_u32_e32 v41, s8, v40
	v_cndmask_b32_e32 v34, v36, v39, vcc_lo
	v_cmp_le_u32_e32 vcc_lo, s8, v40
	v_lshlrev_b64 v[38:39], 1, v[57:58]
	v_add_nc_u32_e32 v48, s17, v32
	s_delay_alu instid0(VALU_DEP_4) | instskip(SKIP_4) | instid1(VALU_DEP_4)
	v_lshlrev_b64 v[42:43], 1, v[34:35]
	v_cndmask_b32_e32 v36, v40, v41, vcc_lo
	v_lshlrev_b64 v[40:41], 1, v[32:33]
	v_add_co_u32 v38, vcc_lo, s10, v38
	v_add_co_ci_u32_e32 v39, vcc_lo, s11, v39, vcc_lo
	v_lshlrev_b64 v[44:45], 1, v[36:37]
	s_delay_alu instid0(VALU_DEP_4)
	v_add_co_u32 v40, vcc_lo, s10, v40
	v_add_co_ci_u32_e32 v41, vcc_lo, s11, v41, vcc_lo
	v_add_co_u32 v42, vcc_lo, s10, v42
	v_add_co_ci_u32_e32 v43, vcc_lo, s11, v43, vcc_lo
	;; [unrolled: 2-line block ×3, first 2 shown]
	v_lshlrev_b64 v[44:45], 1, v[48:49]
	v_add_nc_u32_e32 v48, s17, v34
	v_add_co_u32 v52, vcc_lo, s10, v46
	v_add_co_ci_u32_e32 v53, vcc_lo, s11, v47, vcc_lo
	s_delay_alu instid0(VALU_DEP_3) | instskip(SKIP_3) | instid1(VALU_DEP_3)
	v_lshlrev_b64 v[46:47], 1, v[48:49]
	v_add_nc_u32_e32 v48, s17, v36
	v_add_co_u32 v54, vcc_lo, s10, v44
	v_add_co_ci_u32_e32 v55, vcc_lo, s11, v45, vcc_lo
	v_lshlrev_b64 v[44:45], 1, v[48:49]
	v_add_co_u32 v48, vcc_lo, s10, v46
	v_add_co_ci_u32_e32 v49, vcc_lo, s11, v47, vcc_lo
	v_dual_mov_b32 v47, v58 :: v_dual_add_nc_u32 v46, s21, v57
	v_add_nc_u32_e32 v57, s22, v57
	v_add_co_u32 v59, vcc_lo, s10, v44
	v_add_co_ci_u32_e32 v60, vcc_lo, s11, v45, vcc_lo
	s_delay_alu instid0(VALU_DEP_4)
	v_lshlrev_b64 v[61:62], 1, v[46:47]
	s_clause 0x7
	global_load_u16 v47, v[38:39], off
	global_load_u16 v46, v[40:41], off
	;; [unrolled: 1-line block ×8, first 2 shown]
	v_dual_mov_b32 v49, v58 :: v_dual_add_nc_u32 v48, s21, v34
	v_lshlrev_b64 v[54:55], 1, v[57:58]
	v_add_nc_u32_e32 v57, s22, v32
	v_lshlrev_b64 v[40:41], 1, v[63:64]
	v_dual_mov_b32 v53, v58 :: v_dual_add_nc_u32 v52, s21, v36
	v_add_co_u32 v50, vcc_lo, s10, v61
	v_lshlrev_b64 v[48:49], 1, v[48:49]
	v_add_co_ci_u32_e32 v51, vcc_lo, s11, v62, vcc_lo
	v_add_co_u32 v40, vcc_lo, s10, v40
	v_lshlrev_b64 v[52:53], 1, v[52:53]
	v_add_co_ci_u32_e32 v41, vcc_lo, s11, v41, vcc_lo
	v_add_co_u32 v48, vcc_lo, s10, v48
	v_add_co_ci_u32_e32 v49, vcc_lo, s11, v49, vcc_lo
	s_delay_alu instid0(VALU_DEP_4)
	v_add_co_u32 v32, vcc_lo, s10, v52
	v_add_co_ci_u32_e32 v33, vcc_lo, s11, v53, vcc_lo
	v_lshlrev_b64 v[52:53], 1, v[57:58]
	v_add_nc_u32_e32 v57, s22, v34
	v_add_co_u32 v54, vcc_lo, s10, v54
	v_add_co_ci_u32_e32 v55, vcc_lo, s11, v55, vcc_lo
	s_delay_alu instid0(VALU_DEP_3) | instskip(SKIP_3) | instid1(VALU_DEP_3)
	v_lshlrev_b64 v[59:60], 1, v[57:58]
	v_add_nc_u32_e32 v57, s22, v36
	v_add_co_u32 v52, vcc_lo, s10, v52
	v_add_co_ci_u32_e32 v53, vcc_lo, s11, v53, vcc_lo
	v_lshlrev_b64 v[61:62], 1, v[57:58]
	v_mov_b32_e32 v57, v58
	v_add_co_u32 v59, vcc_lo, s10, v59
	v_add_co_ci_u32_e32 v60, vcc_lo, s11, v60, vcc_lo
	s_delay_alu instid0(VALU_DEP_4)
	v_add_co_u32 v61, vcc_lo, s10, v61
	v_add_co_ci_u32_e32 v62, vcc_lo, s11, v62, vcc_lo
	s_clause 0x7
	global_load_u16 v43, v[50:51], off
	global_load_u16 v41, v[40:41], off
	;; [unrolled: 1-line block ×8, first 2 shown]
	s_cbranch_execnz .LBB125_6
	s_branch .LBB125_19
.LBB125_18:                             ;   in Loop: Header=BB125_8 Depth=1
                                        ; implicit-def: $vgpr32
                                        ; implicit-def: $vgpr33
                                        ; implicit-def: $vgpr34
                                        ; implicit-def: $vgpr36
                                        ; implicit-def: $vgpr38
                                        ; implicit-def: $vgpr40
                                        ; implicit-def: $vgpr41
                                        ; implicit-def: $vgpr43
                                        ; implicit-def: $vgpr35
                                        ; implicit-def: $vgpr37
                                        ; implicit-def: $vgpr39
                                        ; implicit-def: $vgpr42
                                        ; implicit-def: $vgpr44
                                        ; implicit-def: $vgpr45
                                        ; implicit-def: $vgpr46
                                        ; implicit-def: $vgpr47
.LBB125_19:                             ;   in Loop: Header=BB125_8 Depth=1
	s_waitcnt vmcnt(14)
	v_dual_mov_b32 v57, v58 :: v_dual_mov_b32 v46, 0
	s_waitcnt vmcnt(12)
	v_dual_mov_b32 v47, 0 :: v_dual_mov_b32 v44, 0
	;; [unrolled: 2-line block ×8, first 2 shown]
	v_mov_b32_e32 v33, 0
	s_branch .LBB125_6
.LBB125_20:
	s_nop 0
	s_sendmsg sendmsg(MSG_DEALLOC_VGPRS)
	s_endpgm
	.section	.rodata,"a",@progbits
	.p2align	6, 0x0
	.amdhsa_kernel _Z16wvSplitK_hf_sml_I6__halfLi64ELi4ELi16ELi8ELi2ELi4EEviiiiiiPKT_S3_S3_PS1_ii
		.amdhsa_group_segment_fixed_size 65536
		.amdhsa_private_segment_fixed_size 0
		.amdhsa_kernarg_size 64
		.amdhsa_user_sgpr_count 15
		.amdhsa_user_sgpr_dispatch_ptr 0
		.amdhsa_user_sgpr_queue_ptr 0
		.amdhsa_user_sgpr_kernarg_segment_ptr 1
		.amdhsa_user_sgpr_dispatch_id 0
		.amdhsa_user_sgpr_private_segment_size 0
		.amdhsa_wavefront_size32 1
		.amdhsa_uses_dynamic_stack 0
		.amdhsa_enable_private_segment 0
		.amdhsa_system_sgpr_workgroup_id_x 1
		.amdhsa_system_sgpr_workgroup_id_y 0
		.amdhsa_system_sgpr_workgroup_id_z 0
		.amdhsa_system_sgpr_workgroup_info 0
		.amdhsa_system_vgpr_workitem_id 1
		.amdhsa_next_free_vgpr 99
		.amdhsa_next_free_sgpr 26
		.amdhsa_reserve_vcc 1
		.amdhsa_float_round_mode_32 0
		.amdhsa_float_round_mode_16_64 0
		.amdhsa_float_denorm_mode_32 3
		.amdhsa_float_denorm_mode_16_64 3
		.amdhsa_dx10_clamp 1
		.amdhsa_ieee_mode 1
		.amdhsa_fp16_overflow 0
		.amdhsa_workgroup_processor_mode 1
		.amdhsa_memory_ordered 1
		.amdhsa_forward_progress 0
		.amdhsa_shared_vgpr_count 0
		.amdhsa_exception_fp_ieee_invalid_op 0
		.amdhsa_exception_fp_denorm_src 0
		.amdhsa_exception_fp_ieee_div_zero 0
		.amdhsa_exception_fp_ieee_overflow 0
		.amdhsa_exception_fp_ieee_underflow 0
		.amdhsa_exception_fp_ieee_inexact 0
		.amdhsa_exception_int_div_zero 0
	.end_amdhsa_kernel
	.section	.text._Z16wvSplitK_hf_sml_I6__halfLi64ELi4ELi16ELi8ELi2ELi4EEviiiiiiPKT_S3_S3_PS1_ii,"axG",@progbits,_Z16wvSplitK_hf_sml_I6__halfLi64ELi4ELi16ELi8ELi2ELi4EEviiiiiiPKT_S3_S3_PS1_ii,comdat
.Lfunc_end125:
	.size	_Z16wvSplitK_hf_sml_I6__halfLi64ELi4ELi16ELi8ELi2ELi4EEviiiiiiPKT_S3_S3_PS1_ii, .Lfunc_end125-_Z16wvSplitK_hf_sml_I6__halfLi64ELi4ELi16ELi8ELi2ELi4EEviiiiiiPKT_S3_S3_PS1_ii
                                        ; -- End function
	.section	.AMDGPU.csdata,"",@progbits
; Kernel info:
; codeLenInByte = 7020
; NumSgprs: 28
; NumVgprs: 99
; ScratchSize: 0
; MemoryBound: 0
; FloatMode: 240
; IeeeMode: 1
; LDSByteSize: 65536 bytes/workgroup (compile time only)
; SGPRBlocks: 3
; VGPRBlocks: 12
; NumSGPRsForWavesPerEU: 28
; NumVGPRsForWavesPerEU: 99
; Occupancy: 12
; WaveLimiterHint : 0
; COMPUTE_PGM_RSRC2:SCRATCH_EN: 0
; COMPUTE_PGM_RSRC2:USER_SGPR: 15
; COMPUTE_PGM_RSRC2:TRAP_HANDLER: 0
; COMPUTE_PGM_RSRC2:TGID_X_EN: 1
; COMPUTE_PGM_RSRC2:TGID_Y_EN: 0
; COMPUTE_PGM_RSRC2:TGID_Z_EN: 0
; COMPUTE_PGM_RSRC2:TIDIG_COMP_CNT: 1
	.section	.text._Z12wvSplitK_hf_I6__halfLi64ELi4ELi16ELi8ELi2ELi4EEviiiiiiPKT_S3_S3_PS1_ii,"axG",@progbits,_Z12wvSplitK_hf_I6__halfLi64ELi4ELi16ELi8ELi2ELi4EEviiiiiiPKT_S3_S3_PS1_ii,comdat
	.protected	_Z12wvSplitK_hf_I6__halfLi64ELi4ELi16ELi8ELi2ELi4EEviiiiiiPKT_S3_S3_PS1_ii ; -- Begin function _Z12wvSplitK_hf_I6__halfLi64ELi4ELi16ELi8ELi2ELi4EEviiiiiiPKT_S3_S3_PS1_ii
	.globl	_Z12wvSplitK_hf_I6__halfLi64ELi4ELi16ELi8ELi2ELi4EEviiiiiiPKT_S3_S3_PS1_ii
	.p2align	8
	.type	_Z12wvSplitK_hf_I6__halfLi64ELi4ELi16ELi8ELi2ELi4EEviiiiiiPKT_S3_S3_PS1_ii,@function
_Z12wvSplitK_hf_I6__halfLi64ELi4ELi16ELi8ELi2ELi4EEviiiiiiPKT_S3_S3_PS1_ii: ; @_Z12wvSplitK_hf_I6__halfLi64ELi4ELi16ELi8ELi2ELi4EEviiiiiiPKT_S3_S3_PS1_ii
; %bb.0:
	s_clause 0x1
	s_load_b64 s[20:21], s[0:1], 0x38
	s_load_b128 s[8:11], s[0:1], 0x0
	v_bfe_u32 v7, v0, 10, 10
	s_clause 0x1
	s_load_b64 s[12:13], s[0:1], 0x20
	s_load_b64 s[16:17], s[0:1], 0x10
	s_mov_b32 s4, 1
	s_delay_alu instid0(SALU_CYCLE_1) | instskip(SKIP_4) | instid1(SALU_CYCLE_1)
	s_mov_b32 s5, s4
	s_mov_b32 s6, s4
	;; [unrolled: 1-line block ×3, first 2 shown]
	s_waitcnt lgkmcnt(0)
	s_mul_i32 s15, s15, s20
	v_add_lshl_u32 v69, s15, v7, 2
	s_delay_alu instid0(VALU_DEP_1) | instskip(SKIP_1) | instid1(VALU_DEP_2)
	v_add_nc_u32_e32 v1, 4, v69
	v_cmp_gt_u32_e32 vcc_lo, s11, v69
	v_cmp_le_u32_e64 s2, s11, v1
	v_dual_mov_b32 v1, s4 :: v_dual_mov_b32 v4, s7
	v_dual_mov_b32 v2, s5 :: v_dual_mov_b32 v3, s6
	s_delay_alu instid0(VALU_DEP_3) | instskip(NEXT) | instid1(SALU_CYCLE_1)
	s_and_b32 s2, vcc_lo, s2
	s_and_saveexec_b32 s14, s2
	s_cbranch_execz .LBB126_6
; %bb.1:
	v_dual_mov_b32 v1, s4 :: v_dual_mov_b32 v2, s5
	v_dual_mov_b32 v3, s6 :: v_dual_mov_b32 v4, s7
	s_add_i32 s15, s11, -4
	s_mov_b32 s18, exec_lo
	v_cmpx_ne_u32_e64 s15, v69
	s_cbranch_execz .LBB126_5
; %bb.2:
	v_subrev_nc_u32_e32 v1, s15, v69
	s_mov_b32 s19, 0
	s_mov_b64 s[2:3], 0
	s_mov_b32 s5, s4
	s_mov_b32 s6, s4
	v_cmp_lt_u32_e32 vcc_lo, 1, v1
	s_mov_b32 s7, s4
	v_cndmask_b32_e32 v5, 1, v1, vcc_lo
	.p2align	6
.LBB126_3:                              ; =>This Inner Loop Header: Depth=1
	s_cmp_lg_u32 s2, 3
	s_cselect_b32 s7, s7, 0
	s_cmp_lg_u32 s2, 2
	s_cselect_b32 s6, s6, 0
	;; [unrolled: 2-line block ×4, first 2 shown]
	s_add_u32 s2, s2, 1
	v_dual_mov_b32 v1, s4 :: v_dual_mov_b32 v2, s5
	v_cmp_eq_u32_e32 vcc_lo, s2, v5
	v_dual_mov_b32 v3, s6 :: v_dual_mov_b32 v4, s7
	s_addc_u32 s3, s3, 0
	s_or_b32 s19, vcc_lo, s19
	s_delay_alu instid0(SALU_CYCLE_1)
	s_and_not1_b32 exec_lo, exec_lo, s19
	s_cbranch_execnz .LBB126_3
; %bb.4:
	s_or_b32 exec_lo, exec_lo, s19
	v_mov_b32_e32 v69, s15
.LBB126_5:
	s_or_b32 exec_lo, exec_lo, s18
.LBB126_6:
	s_delay_alu instid0(SALU_CYCLE_1)
	s_or_b32 exec_lo, exec_lo, s14
	s_load_b64 s[6:7], s[0:1], 0x28
	v_and_b32_e32 v8, 0x3ff, v0
	s_lshl_b32 s22, s10, 2
	s_mov_b32 s4, exec_lo
	s_min_u32 s3, s22, 0x8000
	s_delay_alu instid0(VALU_DEP_1) | instskip(NEXT) | instid1(VALU_DEP_1)
	v_lshlrev_b32_e32 v0, 3, v8
	v_lshl_add_u32 v9, v7, 9, v0
	s_delay_alu instid0(VALU_DEP_1)
	v_cmpx_gt_u32_e64 s3, v9
	s_cbranch_execz .LBB126_9
; %bb.7:
	v_lshlrev_b32_e32 v10, 10, v7
	v_lshlrev_b32_e32 v11, 4, v8
	s_mov_b32 s5, 0
	s_delay_alu instid0(VALU_DEP_1) | instskip(NEXT) | instid1(VALU_DEP_1)
	v_add_co_u32 v5, s2, v10, v11
	v_add_co_ci_u32_e64 v6, null, 0, 0, s2
	v_add_nc_u32_e32 v10, v10, v11
	s_delay_alu instid0(VALU_DEP_3) | instskip(NEXT) | instid1(VALU_DEP_3)
	v_add_co_u32 v5, vcc_lo, s12, v5
	v_add_co_ci_u32_e32 v6, vcc_lo, s13, v6, vcc_lo
	.p2align	6
.LBB126_8:                              ; =>This Inner Loop Header: Depth=1
	global_load_b128 v[11:14], v[5:6], off
	v_add_nc_u32_e32 v9, 0x2000, v9
	v_add_co_u32 v5, vcc_lo, 0x4000, v5
	v_add_co_ci_u32_e32 v6, vcc_lo, 0, v6, vcc_lo
	s_delay_alu instid0(VALU_DEP_3) | instskip(NEXT) | instid1(VALU_DEP_1)
	v_cmp_le_u32_e64 s2, s3, v9
	s_or_b32 s5, s2, s5
	s_waitcnt vmcnt(0)
	ds_store_b128 v10, v[11:14]
	v_add_nc_u32_e32 v10, 0x4000, v10
	s_and_not1_b32 exec_lo, exec_lo, s5
	s_cbranch_execnz .LBB126_8
.LBB126_9:
	s_or_b32 exec_lo, exec_lo, s4
	v_cmp_gt_u32_e32 vcc_lo, s20, v7
	v_cmp_gt_u32_e64 s2, s11, v69
	s_waitcnt lgkmcnt(0)
	s_barrier
	buffer_gl0_inv
	s_and_b32 s2, vcc_lo, s2
	s_delay_alu instid0(SALU_CYCLE_1)
	s_and_saveexec_b32 s3, s2
	s_cbranch_execz .LBB126_92
; %bb.10:
	s_cmp_lg_u32 s8, 0
	s_clause 0x1
	s_load_b64 s[14:15], s[0:1], 0x18
	s_load_b64 s[18:19], s[0:1], 0x30
	s_cselect_b32 s23, -1, 0
	s_add_i32 s24, s8, -8
	s_add_i32 s25, s11, -1
	s_cmp_lg_u64 s[6:7], 0
	s_mul_i32 s0, s20, s21
	s_cselect_b32 s26, -1, 0
	s_abs_i32 s2, s17
	v_cvt_f32_u32_e32 v6, s16
	v_cvt_f32_u32_e32 v5, s2
	s_lshl_b32 s20, s0, 2
	s_sub_i32 s0, 0, s2
	s_add_i32 s21, s11, -4
	s_sub_i32 s3, 0, s16
	v_rcp_iflag_f32_e32 v5, v5
	s_sub_i32 s4, 1, s2
	v_mad_u64_u32 v[72:73], null, s10, 3, v[0:1]
	v_add_nc_u32_e32 v91, s10, v0
	v_mbcnt_lo_u32_b32 v94, -1, 0
	s_mov_b32 s17, 0
	s_waitcnt_depctr 0xfff
	v_dual_mul_f32 v5, 0x4f7ffffe, v5 :: v_dual_lshlrev_b32 v90, 4, v8
	s_delay_alu instid0(VALU_DEP_1) | instskip(NEXT) | instid1(VALU_DEP_1)
	v_cvt_u32_f32_e32 v5, v5
	v_readfirstlane_b32 s1, v5
	v_rcp_iflag_f32_e32 v5, v6
	s_delay_alu instid0(VALU_DEP_1) | instskip(NEXT) | instid1(SALU_CYCLE_1)
	s_mul_i32 s0, s0, s1
	s_mul_hi_u32 s0, s1, s0
	s_delay_alu instid0(SALU_CYCLE_1)
	s_add_i32 s1, s1, s0
	s_cmp_lt_u32 s2, 2
	s_waitcnt_depctr 0xfff
	v_mul_f32_e32 v5, 0x4f7ffffe, v5
	s_cselect_b32 s4, s4, 1
	v_cmp_eq_u32_e64 s0, 63, v8
	s_sub_i32 s5, s4, s2
	s_cmp_ge_u32 s4, s2
	v_cvt_u32_f32_e32 v5, v5
	s_cselect_b32 s28, s5, s4
	s_lshr_b32 s4, s1, 31
	s_mul_hi_u32 s1, s1, 3
	s_mul_i32 s4, s4, s2
	v_mul_lo_u32 v6, s3, v5
	s_sub_i32 s4, 2, s4
	s_mul_i32 s1, s1, s2
	s_sub_i32 s5, s4, s2
	s_cmp_ge_u32 s4, s2
	s_mul_i32 s28, s28, s16
	s_cselect_b32 s3, s5, s4
	s_delay_alu instid0(SALU_CYCLE_1)
	s_sub_i32 s4, s3, s2
	s_cmp_ge_u32 s3, s2
	v_mul_hi_u32 v6, v5, v6
	s_cselect_b32 s29, s4, s3
	s_sub_i32 s1, 3, s1
	v_mov_b32_e32 v71, 0
	s_sub_i32 s3, s1, s2
	s_cmp_ge_u32 s1, s2
	s_mul_i32 s29, s29, s16
	s_cselect_b32 s1, s3, s1
	v_add_nc_u32_e32 v92, v5, v6
	s_sub_i32 s3, s1, s2
	s_cmp_ge_u32 s1, s2
	s_cselect_b32 s30, s3, s1
	s_lshl_b32 s27, s10, 1
	s_mul_i32 s30, s30, s16
	v_add_nc_u32_e32 v93, s27, v0
	s_mul_i32 s10, s10, 6
	s_branch .LBB126_13
.LBB126_11:                             ;   in Loop: Header=BB126_13 Depth=1
	s_or_b32 exec_lo, exec_lo, s33
	v_mov_b32_e32 v69, s21
.LBB126_12:                             ;   in Loop: Header=BB126_13 Depth=1
	s_or_b32 exec_lo, exec_lo, s31
	s_delay_alu instid0(VALU_DEP_1) | instskip(SKIP_1) | instid1(SALU_CYCLE_1)
	v_cmp_le_u32_e32 vcc_lo, s11, v69
	s_or_b32 s17, vcc_lo, s17
	s_and_not1_b32 exec_lo, exec_lo, s17
	s_cbranch_execz .LBB126_92
.LBB126_13:                             ; =>This Loop Header: Depth=1
                                        ;     Child Loop BB126_18 Depth 2
                                        ;     Child Loop BB126_75 Depth 2
	v_dual_mov_b32 v110, v71 :: v_dual_add_nc_u32 v75, 1, v69
	v_dual_mov_b32 v109, v71 :: v_dual_add_nc_u32 v74, 2, v69
	v_dual_mov_b32 v108, v71 :: v_dual_add_nc_u32 v73, 3, v69
	v_mov_b32_e32 v107, v71
	v_mov_b32_e32 v106, v71
	;; [unrolled: 1-line block ×13, first 2 shown]
	s_and_not1_b32 vcc_lo, exec_lo, s23
	s_cbranch_vccnz .LBB126_52
; %bb.14:                               ;   in Loop: Header=BB126_13 Depth=1
	v_min_u32_e32 v5, s25, v69
	v_min_u32_e32 v6, s25, v75
	;; [unrolled: 1-line block ×3, first 2 shown]
	s_waitcnt lgkmcnt(0)
	v_min_u32_e32 v8, s25, v73
	v_dual_mov_b32 v10, v71 :: v_dual_mov_b32 v99, 0
	v_mul_lo_u32 v70, v5, s9
	v_mul_lo_u32 v5, v6, s9
	v_mul_lo_u32 v7, v7, s9
	v_mul_lo_u32 v9, v8, s9
	v_dual_mov_b32 v6, v71 :: v_dual_mov_b32 v111, v90
	v_dual_mov_b32 v8, v71 :: v_dual_mov_b32 v101, 0
	v_lshlrev_b64 v[76:77], 1, v[70:71]
	s_delay_alu instid0(VALU_DEP_3) | instskip(SKIP_1) | instid1(VALU_DEP_4)
	v_lshlrev_b64 v[78:79], 1, v[5:6]
	v_dual_mov_b32 v100, 0 :: v_dual_mov_b32 v97, 0
	v_lshlrev_b64 v[80:81], 1, v[7:8]
	v_lshlrev_b64 v[82:83], 1, v[9:10]
	v_dual_mov_b32 v102, 0 :: v_dual_mov_b32 v95, 0
	v_dual_mov_b32 v98, 0 :: v_dual_mov_b32 v103, 0
	;; [unrolled: 1-line block ×5, first 2 shown]
	v_mov_b32_e32 v108, 0
	v_mov_b32_e32 v110, 0
	s_mov_b32 s1, 0
	s_branch .LBB126_18
.LBB126_15:                             ;   in Loop: Header=BB126_18 Depth=2
	s_or_b32 exec_lo, exec_lo, s4
.LBB126_16:                             ;   in Loop: Header=BB126_18 Depth=2
	s_delay_alu instid0(SALU_CYCLE_1)
	s_or_b32 exec_lo, exec_lo, s3
.LBB126_17:                             ;   in Loop: Header=BB126_18 Depth=2
	s_delay_alu instid0(SALU_CYCLE_1)
	s_or_b32 exec_lo, exec_lo, s2
	s_waitcnt vmcnt(0) lgkmcnt(0)
	;;#ASMSTART
	v_dot2_f32_f16 v110, v49, v25, v110
	;;#ASMEND
	;;#ASMSTART
	v_dot2_f32_f16 v109, v49, v21, v109
	;;#ASMEND
	;; [unrolled: 3-line block ×48, first 2 shown]
	v_add_nc_u32_e32 v111, 0x800, v111
	;;#ASMSTART
	v_dot2_f32_f16 v110, v52, v28, v110
	;;#ASMEND
	;;#ASMSTART
	v_dot2_f32_f16 v109, v52, v24, v109
	;;#ASMEND
	;;#ASMSTART
	v_dot2_f32_f16 v108, v52, v36, v108
	;;#ASMEND
	;;#ASMSTART
	v_dot2_f32_f16 v107, v52, v32, v107
	;;#ASMEND
	;;#ASMSTART
	v_dot2_f32_f16 v106, v48, v28, v106
	;;#ASMEND
	;;#ASMSTART
	v_dot2_f32_f16 v105, v48, v24, v105
	;;#ASMEND
	;;#ASMSTART
	v_dot2_f32_f16 v104, v48, v36, v104
	;;#ASMEND
	;;#ASMSTART
	v_dot2_f32_f16 v103, v48, v32, v103
	;;#ASMEND
	;;#ASMSTART
	v_dot2_f32_f16 v100, v44, v28, v100
	;;#ASMEND
	;;#ASMSTART
	v_dot2_f32_f16 v102, v44, v24, v102
	;;#ASMEND
	;;#ASMSTART
	v_dot2_f32_f16 v101, v44, v36, v101
	;;#ASMEND
	;;#ASMSTART
	v_dot2_f32_f16 v99, v44, v32, v99
	;;#ASMEND
	;;#ASMSTART
	v_dot2_f32_f16 v98, v40, v28, v98
	;;#ASMEND
	;;#ASMSTART
	v_dot2_f32_f16 v97, v40, v24, v97
	;;#ASMEND
	;;#ASMSTART
	v_dot2_f32_f16 v96, v40, v36, v96
	;;#ASMEND
	;;#ASMSTART
	v_dot2_f32_f16 v95, v40, v32, v95
	;;#ASMEND
	s_addk_i32 s1, 0x400
	;;#ASMSTART
	v_dot2_f32_f16 v110, v65, v17, v110
	;;#ASMEND
	;;#ASMSTART
	v_dot2_f32_f16 v109, v65, v13, v109
	;;#ASMEND
	;; [unrolled: 3-line block ×32, first 2 shown]
	s_cmp_ge_u32 s1, s8
	;;#ASMSTART
	v_dot2_f32_f16 v110, v67, v19, v110
	;;#ASMEND
	;;#ASMSTART
	v_dot2_f32_f16 v109, v67, v15, v109
	;;#ASMEND
	;; [unrolled: 3-line block ×32, first 2 shown]
	s_cbranch_scc1 .LBB126_52
.LBB126_18:                             ;   Parent Loop BB126_13 Depth=1
                                        ; =>  This Inner Loop Header: Depth=2
	v_dual_mov_b32 v56, 0 :: v_dual_add_nc_u32 v85, s1, v0
	v_dual_mov_b32 v54, 0 :: v_dual_mov_b32 v53, 0
	v_dual_mov_b32 v60, 0 :: v_dual_mov_b32 v59, 0
	s_delay_alu instid0(VALU_DEP_3) | instskip(SKIP_2) | instid1(VALU_DEP_3)
	v_min_u32_e32 v70, s24, v85
	v_dual_mov_b32 v55, 0 :: v_dual_add_nc_u32 v84, 0x200, v85
	v_dual_mov_b32 v58, 0 :: v_dual_mov_b32 v57, 0
	v_lshlrev_b64 v[5:6], 1, v[70:71]
	s_delay_alu instid0(VALU_DEP_3)
	v_min_u32_e32 v70, s24, v84
	s_waitcnt vmcnt(5)
	v_dual_mov_b32 v44, 0 :: v_dual_mov_b32 v43, 0
	s_waitcnt vmcnt(4)
	v_dual_mov_b32 v42, 0 :: v_dual_mov_b32 v41, 0
	s_waitcnt lgkmcnt(0)
	v_add_co_u32 v13, vcc_lo, s14, v5
	v_add_co_ci_u32_e32 v14, vcc_lo, s15, v6, vcc_lo
	v_lshlrev_b64 v[5:6], 1, v[70:71]
	s_delay_alu instid0(VALU_DEP_3) | instskip(NEXT) | instid1(VALU_DEP_3)
	v_add_co_u32 v7, vcc_lo, v13, v76
	v_add_co_ci_u32_e32 v8, vcc_lo, v14, v77, vcc_lo
	v_add_co_u32 v9, vcc_lo, v13, v78
	v_add_co_ci_u32_e32 v10, vcc_lo, v14, v79, vcc_lo
	;; [unrolled: 2-line block ×5, first 2 shown]
	s_clause 0x1
	global_load_b128 v[25:28], v[7:8], off slc dlc
	global_load_b128 v[21:24], v[9:10], off slc dlc
	v_add_co_u32 v7, vcc_lo, v15, v76
	v_add_co_ci_u32_e32 v8, vcc_lo, v16, v77, vcc_lo
	v_add_co_u32 v9, vcc_lo, v15, v78
	v_add_co_ci_u32_e32 v10, vcc_lo, v16, v79, vcc_lo
	s_waitcnt vmcnt(2)
	v_add_co_u32 v37, vcc_lo, v15, v80
	v_add_co_ci_u32_e32 v38, vcc_lo, v16, v81, vcc_lo
	v_add_co_u32 v39, vcc_lo, v15, v82
	v_add_co_ci_u32_e32 v40, vcc_lo, v16, v83, vcc_lo
	s_clause 0x5
	global_load_b128 v[33:36], v[11:12], off slc dlc
	global_load_b128 v[29:32], v[5:6], off slc dlc
	;; [unrolled: 1-line block ×6, first 2 shown]
	v_cmp_gt_u32_e32 vcc_lo, s8, v85
	v_dual_mov_b32 v40, 0 :: v_dual_mov_b32 v39, 0
	v_dual_mov_b32 v38, 0 :: v_dual_mov_b32 v37, 0
	v_dual_mov_b32 v64, 0 :: v_dual_mov_b32 v63, 0
	v_dual_mov_b32 v62, 0 :: v_dual_mov_b32 v61, 0
	v_dual_mov_b32 v48, 0 :: v_dual_mov_b32 v47, 0
	v_dual_mov_b32 v46, 0 :: v_dual_mov_b32 v45, 0
	v_dual_mov_b32 v68, 0 :: v_dual_mov_b32 v67, 0
	v_dual_mov_b32 v66, 0 :: v_dual_mov_b32 v65, 0
	v_dual_mov_b32 v52, 0 :: v_dual_mov_b32 v51, 0
	v_dual_mov_b32 v50, 0 :: v_dual_mov_b32 v49, 0
	s_and_saveexec_b32 s2, vcc_lo
	s_cbranch_execz .LBB126_17
; %bb.19:                               ;   in Loop: Header=BB126_18 Depth=2
	s_mov_b32 s3, exec_lo
                                        ; implicit-def: $vgpr52
	v_cmpx_lt_u32_e32 0x7fff, v85
	s_xor_b32 s3, exec_lo, s3
	s_cbranch_execz .LBB126_21
; %bb.20:                               ;   in Loop: Header=BB126_18 Depth=2
	v_mov_b32_e32 v86, v71
	s_delay_alu instid0(VALU_DEP_1) | instskip(NEXT) | instid1(VALU_DEP_1)
	v_lshlrev_b64 v[37:38], 1, v[85:86]
	v_add_co_u32 v37, vcc_lo, s12, v37
	s_delay_alu instid0(VALU_DEP_2)
	v_add_co_ci_u32_e32 v38, vcc_lo, s13, v38, vcc_lo
	global_load_b128 v[49:52], v[37:38], off
.LBB126_21:                             ;   in Loop: Header=BB126_18 Depth=2
	s_and_not1_saveexec_b32 s3, s3
	s_cbranch_execz .LBB126_23
; %bb.22:                               ;   in Loop: Header=BB126_18 Depth=2
	s_waitcnt vmcnt(0)
	ds_load_b128 v[49:52], v111
.LBB126_23:                             ;   in Loop: Header=BB126_18 Depth=2
	s_or_b32 exec_lo, exec_lo, s3
	v_add_nc_u32_e32 v70, s1, v91
	s_mov_b32 s3, exec_lo
                                        ; implicit-def: $vgpr48
	s_delay_alu instid0(VALU_DEP_1)
	v_cmpx_lt_u32_e32 0x7fff, v70
	s_xor_b32 s3, exec_lo, s3
	s_cbranch_execz .LBB126_25
; %bb.24:                               ;   in Loop: Header=BB126_18 Depth=2
	v_lshlrev_b64 v[37:38], 1, v[70:71]
	s_delay_alu instid0(VALU_DEP_1) | instskip(NEXT) | instid1(VALU_DEP_2)
	v_add_co_u32 v37, vcc_lo, s12, v37
	v_add_co_ci_u32_e32 v38, vcc_lo, s13, v38, vcc_lo
	global_load_b128 v[45:48], v[37:38], off
.LBB126_25:                             ;   in Loop: Header=BB126_18 Depth=2
	s_and_not1_saveexec_b32 s3, s3
	s_cbranch_execz .LBB126_27
; %bb.26:                               ;   in Loop: Header=BB126_18 Depth=2
	v_add_nc_u32_e32 v37, s27, v111
	s_waitcnt vmcnt(0)
	ds_load_b128 v[45:48], v37
.LBB126_27:                             ;   in Loop: Header=BB126_18 Depth=2
	s_or_b32 exec_lo, exec_lo, s3
	v_add_nc_u32_e32 v88, s1, v93
	s_mov_b32 s3, exec_lo
                                        ; implicit-def: $vgpr44
	s_delay_alu instid0(VALU_DEP_1)
	v_cmpx_lt_u32_e32 0x7fff, v88
	s_xor_b32 s3, exec_lo, s3
	s_cbranch_execz .LBB126_29
; %bb.28:                               ;   in Loop: Header=BB126_18 Depth=2
	v_mov_b32_e32 v89, v71
	s_delay_alu instid0(VALU_DEP_1) | instskip(NEXT) | instid1(VALU_DEP_1)
	v_lshlrev_b64 v[37:38], 1, v[88:89]
	v_add_co_u32 v37, vcc_lo, s12, v37
	s_delay_alu instid0(VALU_DEP_2)
	v_add_co_ci_u32_e32 v38, vcc_lo, s13, v38, vcc_lo
	global_load_b128 v[41:44], v[37:38], off
.LBB126_29:                             ;   in Loop: Header=BB126_18 Depth=2
	s_and_not1_saveexec_b32 s3, s3
	s_cbranch_execz .LBB126_31
; %bb.30:                               ;   in Loop: Header=BB126_18 Depth=2
	v_add_nc_u32_e32 v37, s22, v111
	s_waitcnt vmcnt(0)
	ds_load_2addr_b32 v[41:42], v37 offset1:1
	ds_load_2addr_b32 v[43:44], v37 offset0:2 offset1:3
.LBB126_31:                             ;   in Loop: Header=BB126_18 Depth=2
	s_or_b32 exec_lo, exec_lo, s3
	v_add_nc_u32_e32 v86, s1, v72
	s_mov_b32 s3, exec_lo
                                        ; implicit-def: $vgpr40
	s_delay_alu instid0(VALU_DEP_1)
	v_cmpx_lt_u32_e32 0x7fff, v86
	s_xor_b32 s3, exec_lo, s3
	s_cbranch_execz .LBB126_33
; %bb.32:                               ;   in Loop: Header=BB126_18 Depth=2
	v_mov_b32_e32 v87, v71
	s_delay_alu instid0(VALU_DEP_1) | instskip(NEXT) | instid1(VALU_DEP_1)
	v_lshlrev_b64 v[37:38], 1, v[86:87]
	v_add_co_u32 v37, vcc_lo, s12, v37
	s_delay_alu instid0(VALU_DEP_2)
	v_add_co_ci_u32_e32 v38, vcc_lo, s13, v38, vcc_lo
	global_load_b128 v[37:40], v[37:38], off
.LBB126_33:                             ;   in Loop: Header=BB126_18 Depth=2
	s_and_not1_saveexec_b32 s3, s3
	s_cbranch_execz .LBB126_35
; %bb.34:                               ;   in Loop: Header=BB126_18 Depth=2
	s_waitcnt vmcnt(0)
	v_add_nc_u32_e32 v37, s10, v111
	ds_load_b128 v[37:40], v37
.LBB126_35:                             ;   in Loop: Header=BB126_18 Depth=2
	s_or_b32 exec_lo, exec_lo, s3
	v_dual_mov_b32 v56, 0 :: v_dual_mov_b32 v55, 0
	v_dual_mov_b32 v54, 0 :: v_dual_mov_b32 v53, 0
	;; [unrolled: 1-line block ×8, first 2 shown]
	s_mov_b32 s3, exec_lo
	v_cmpx_gt_u32_e64 s8, v84
	s_cbranch_execz .LBB126_16
; %bb.36:                               ;   in Loop: Header=BB126_18 Depth=2
	s_mov_b32 s4, exec_lo
                                        ; implicit-def: $vgpr68
	v_cmpx_lt_u32_e32 0x7fff, v84
	s_xor_b32 s4, exec_lo, s4
	s_cbranch_execz .LBB126_38
; %bb.37:                               ;   in Loop: Header=BB126_18 Depth=2
	v_mov_b32_e32 v85, v71
	s_delay_alu instid0(VALU_DEP_1) | instskip(NEXT) | instid1(VALU_DEP_1)
	v_lshlrev_b64 v[53:54], 1, v[84:85]
	v_add_co_u32 v53, vcc_lo, s12, v53
	s_delay_alu instid0(VALU_DEP_2)
	v_add_co_ci_u32_e32 v54, vcc_lo, s13, v54, vcc_lo
	global_load_b128 v[65:68], v[53:54], off
.LBB126_38:                             ;   in Loop: Header=BB126_18 Depth=2
	s_and_not1_saveexec_b32 s4, s4
	s_cbranch_execz .LBB126_40
; %bb.39:                               ;   in Loop: Header=BB126_18 Depth=2
	s_waitcnt vmcnt(0)
	ds_load_b128 v[65:68], v111 offset:1024
.LBB126_40:                             ;   in Loop: Header=BB126_18 Depth=2
	s_or_b32 exec_lo, exec_lo, s4
	v_add_nc_u32_e32 v70, 0x200, v70
	s_mov_b32 s4, exec_lo
                                        ; implicit-def: $vgpr64
	s_delay_alu instid0(VALU_DEP_1)
	v_cmpx_lt_u32_e32 0x7fff, v70
	s_xor_b32 s4, exec_lo, s4
	s_cbranch_execz .LBB126_42
; %bb.41:                               ;   in Loop: Header=BB126_18 Depth=2
	v_lshlrev_b64 v[53:54], 1, v[70:71]
	s_delay_alu instid0(VALU_DEP_1) | instskip(NEXT) | instid1(VALU_DEP_2)
	v_add_co_u32 v53, vcc_lo, s12, v53
	v_add_co_ci_u32_e32 v54, vcc_lo, s13, v54, vcc_lo
	global_load_b128 v[61:64], v[53:54], off
.LBB126_42:                             ;   in Loop: Header=BB126_18 Depth=2
	s_and_not1_saveexec_b32 s4, s4
	s_cbranch_execz .LBB126_44
; %bb.43:                               ;   in Loop: Header=BB126_18 Depth=2
	v_add_nc_u32_e32 v53, s27, v111
	s_waitcnt vmcnt(0)
	ds_load_b128 v[61:64], v53 offset:1024
.LBB126_44:                             ;   in Loop: Header=BB126_18 Depth=2
	s_or_b32 exec_lo, exec_lo, s4
	v_add_nc_u32_e32 v70, 0x200, v88
	s_mov_b32 s4, exec_lo
                                        ; implicit-def: $vgpr60
	s_delay_alu instid0(VALU_DEP_1)
	v_cmpx_lt_u32_e32 0x7fff, v70
	s_xor_b32 s4, exec_lo, s4
	s_cbranch_execz .LBB126_46
; %bb.45:                               ;   in Loop: Header=BB126_18 Depth=2
	v_lshlrev_b64 v[53:54], 1, v[70:71]
	s_delay_alu instid0(VALU_DEP_1) | instskip(NEXT) | instid1(VALU_DEP_2)
	v_add_co_u32 v53, vcc_lo, s12, v53
	v_add_co_ci_u32_e32 v54, vcc_lo, s13, v54, vcc_lo
	global_load_b128 v[57:60], v[53:54], off
.LBB126_46:                             ;   in Loop: Header=BB126_18 Depth=2
	s_and_not1_saveexec_b32 s4, s4
	s_cbranch_execz .LBB126_48
; %bb.47:                               ;   in Loop: Header=BB126_18 Depth=2
	v_add_nc_u32_e32 v53, s22, v111
	s_delay_alu instid0(VALU_DEP_1)
	v_add_nc_u32_e32 v54, 0x400, v53
	v_add_nc_u32_e32 v53, 0x408, v53
	s_waitcnt vmcnt(0)
	ds_load_2addr_b32 v[57:58], v54 offset1:1
	ds_load_2addr_b32 v[59:60], v53 offset1:1
.LBB126_48:                             ;   in Loop: Header=BB126_18 Depth=2
	s_or_b32 exec_lo, exec_lo, s4
	v_add_nc_u32_e32 v70, 0x200, v86
	s_mov_b32 s4, exec_lo
                                        ; implicit-def: $vgpr56
	s_delay_alu instid0(VALU_DEP_1)
	v_cmpx_lt_u32_e32 0x7fff, v70
	s_xor_b32 s4, exec_lo, s4
	s_cbranch_execz .LBB126_50
; %bb.49:                               ;   in Loop: Header=BB126_18 Depth=2
	v_lshlrev_b64 v[53:54], 1, v[70:71]
	s_delay_alu instid0(VALU_DEP_1) | instskip(NEXT) | instid1(VALU_DEP_2)
	v_add_co_u32 v53, vcc_lo, s12, v53
	v_add_co_ci_u32_e32 v54, vcc_lo, s13, v54, vcc_lo
	global_load_b128 v[53:56], v[53:54], off
.LBB126_50:                             ;   in Loop: Header=BB126_18 Depth=2
	s_and_not1_saveexec_b32 s4, s4
	s_cbranch_execz .LBB126_15
; %bb.51:                               ;   in Loop: Header=BB126_18 Depth=2
	s_waitcnt vmcnt(0)
	v_add_nc_u32_e32 v53, s10, v111
	ds_load_b128 v[53:56], v53 offset:1024
	s_branch .LBB126_15
.LBB126_52:                             ;   in Loop: Header=BB126_13 Depth=1
	v_cvt_i32_f32_e32 v5, v110
	v_xor_b32_e32 v6, 16, v94
	v_cvt_i32_f32_e32 v7, v109
	s_waitcnt lgkmcnt(0)
	v_cvt_i32_f32_e32 v8, v108
	v_cvt_i32_f32_e32 v9, v107
	v_cvt_f32_i32_dpp v5, v5 row_shr:8 row_mask:0xf bank_mask:0xf bound_ctrl:1
	v_cmp_gt_i32_e32 vcc_lo, 32, v6
	v_cvt_f32_i32_dpp v7, v7 row_shr:8 row_mask:0xf bank_mask:0xf bound_ctrl:1
	v_cvt_f32_i32_dpp v8, v8 row_shr:8 row_mask:0xf bank_mask:0xf bound_ctrl:1
	v_cvt_i32_f32_e32 v10, v106
	v_add_f32_e32 v5, v110, v5
	v_cndmask_b32_e32 v6, v94, v6, vcc_lo
	v_cvt_f32_i32_dpp v9, v9 row_shr:8 row_mask:0xf bank_mask:0xf bound_ctrl:1
	v_cvt_i32_f32_e32 v11, v105
	v_cvt_f32_i32_dpp v10, v10 row_shr:8 row_mask:0xf bank_mask:0xf bound_ctrl:1
	s_waitcnt vmcnt(0)
	v_dual_add_f32 v6, v109, v7 :: v_dual_lshlrev_b32 v37, 2, v6
	v_cvt_i32_f32_e32 v12, v5
	v_add_f32_e32 v7, v108, v8
	v_dual_add_f32 v9, v107, v9 :: v_dual_add_f32 v10, v106, v10
	v_cvt_f32_i32_dpp v11, v11 row_shr:8 row_mask:0xf bank_mask:0xf bound_ctrl:1
	s_delay_alu instid0(VALU_DEP_4) | instskip(SKIP_1) | instid1(VALU_DEP_4)
	v_cvt_f32_i32_dpp v8, v12 row_shr:4 row_mask:0xf bank_mask:0xf bound_ctrl:1
	v_cvt_i32_f32_e32 v12, v6
	v_cvt_i32_f32_e32 v13, v9
	v_cvt_i32_f32_e32 v14, v10
	s_delay_alu instid0(VALU_DEP_4) | instskip(SKIP_4) | instid1(VALU_DEP_4)
	v_add_f32_e32 v5, v5, v8
	v_cvt_i32_f32_e32 v8, v7
	v_cvt_f32_i32_dpp v12, v12 row_shr:4 row_mask:0xf bank_mask:0xf bound_ctrl:1
	v_cvt_f32_i32_dpp v13, v13 row_shr:4 row_mask:0xf bank_mask:0xf bound_ctrl:1
	;; [unrolled: 1-line block ×4, first 2 shown]
	s_delay_alu instid0(VALU_DEP_4) | instskip(NEXT) | instid1(VALU_DEP_2)
	v_add_f32_e32 v6, v6, v12
	v_dual_add_f32 v7, v7, v8 :: v_dual_add_f32 v8, v9, v13
	s_delay_alu instid0(VALU_DEP_4) | instskip(NEXT) | instid1(VALU_DEP_2)
	v_add_f32_e32 v9, v10, v14
	v_cvt_i32_f32_e32 v12, v7
	s_delay_alu instid0(VALU_DEP_3) | instskip(NEXT) | instid1(VALU_DEP_2)
	v_cvt_i32_f32_e32 v14, v8
	v_cvt_f32_i32_dpp v12, v12 row_shr:2 row_mask:0xf bank_mask:0xf bound_ctrl:1
	v_add_f32_e32 v11, v105, v11
	s_delay_alu instid0(VALU_DEP_3) | instskip(NEXT) | instid1(VALU_DEP_2)
	v_cvt_f32_i32_dpp v14, v14 row_shr:2 row_mask:0xf bank_mask:0xf bound_ctrl:1
	v_cvt_i32_f32_e32 v15, v11
	s_delay_alu instid0(VALU_DEP_1) | instskip(NEXT) | instid1(VALU_DEP_1)
	v_cvt_f32_i32_dpp v15, v15 row_shr:4 row_mask:0xf bank_mask:0xf bound_ctrl:1
	v_add_f32_e32 v10, v11, v15
	v_cvt_i32_f32_e32 v16, v5
	v_cvt_i32_f32_e32 v11, v6
	s_delay_alu instid0(VALU_DEP_2) | instskip(NEXT) | instid1(VALU_DEP_2)
	v_cvt_f32_i32_dpp v16, v16 row_shr:2 row_mask:0xf bank_mask:0xf bound_ctrl:1
	v_cvt_f32_i32_dpp v11, v11 row_shr:2 row_mask:0xf bank_mask:0xf bound_ctrl:1
	s_delay_alu instid0(VALU_DEP_2) | instskip(SKIP_1) | instid1(VALU_DEP_2)
	v_add_f32_e32 v5, v5, v16
	v_cvt_i32_f32_e32 v16, v10
	v_cvt_i32_f32_e32 v13, v5
	s_delay_alu instid0(VALU_DEP_2) | instskip(NEXT) | instid1(VALU_DEP_2)
	v_cvt_f32_i32_dpp v16, v16 row_shr:2 row_mask:0xf bank_mask:0xf bound_ctrl:1
	v_cvt_f32_i32_dpp v13, v13 row_shr:1 row_mask:0xf bank_mask:0xf bound_ctrl:1
	s_delay_alu instid0(VALU_DEP_1) | instskip(SKIP_2) | instid1(VALU_DEP_2)
	v_add_f32_e32 v35, v5, v13
	v_dual_add_f32 v5, v6, v11 :: v_dual_add_f32 v6, v7, v12
	v_add_f32_e32 v7, v8, v14
	v_cvt_i32_f32_e32 v11, v6
	s_delay_alu instid0(VALU_DEP_2) | instskip(NEXT) | instid1(VALU_DEP_2)
	v_cvt_i32_f32_e32 v12, v7
	v_cvt_f32_i32_dpp v11, v11 row_shr:1 row_mask:0xf bank_mask:0xf bound_ctrl:1
	s_delay_alu instid0(VALU_DEP_2) | instskip(NEXT) | instid1(VALU_DEP_2)
	v_cvt_f32_i32_dpp v12, v12 row_shr:1 row_mask:0xf bank_mask:0xf bound_ctrl:1
	v_add_f32_e32 v24, v6, v11
	s_delay_alu instid0(VALU_DEP_2)
	v_add_f32_e32 v18, v7, v12
	v_cvt_i32_f32_e32 v15, v9
	v_cvt_i32_f32_e32 v12, v101
	;; [unrolled: 1-line block ×3, first 2 shown]
	ds_bpermute_b32 v27, v37, v24
	ds_bpermute_b32 v21, v37, v18
	v_cvt_f32_i32_dpp v15, v15 row_shr:2 row_mask:0xf bank_mask:0xf bound_ctrl:1
	v_cvt_f32_i32_dpp v12, v12 row_shr:8 row_mask:0xf bank_mask:0xf bound_ctrl:1
	;; [unrolled: 1-line block ×3, first 2 shown]
	s_delay_alu instid0(VALU_DEP_3) | instskip(NEXT) | instid1(VALU_DEP_3)
	v_add_f32_e32 v8, v9, v15
	v_add_f32_e32 v12, v101, v12
	s_delay_alu instid0(VALU_DEP_3) | instskip(SKIP_4) | instid1(VALU_DEP_3)
	v_add_f32_e32 v6, v103, v6
	ds_bpermute_b32 v36, v37, v35
	v_cvt_i32_f32_e32 v13, v8
	v_cvt_i32_f32_e32 v19, v12
	;; [unrolled: 1-line block ×3, first 2 shown]
	v_cvt_f32_i32_dpp v13, v13 row_shr:1 row_mask:0xf bank_mask:0xf bound_ctrl:1
	s_delay_alu instid0(VALU_DEP_3) | instskip(NEXT) | instid1(VALU_DEP_3)
	v_cvt_f32_i32_dpp v19, v19 row_shr:4 row_mask:0xf bank_mask:0xf bound_ctrl:1
	v_cvt_f32_i32_dpp v15, v15 row_shr:4 row_mask:0xf bank_mask:0xf bound_ctrl:1
	s_delay_alu instid0(VALU_DEP_3) | instskip(SKIP_1) | instid1(VALU_DEP_3)
	v_add_f32_e32 v11, v8, v13
	v_cvt_i32_f32_e32 v8, v100
	v_add_f32_e32 v6, v6, v15
	v_add_f32_e32 v12, v12, v19
	s_delay_alu instid0(VALU_DEP_3) | instskip(NEXT) | instid1(VALU_DEP_3)
	v_cvt_f32_i32_dpp v8, v8 row_shr:8 row_mask:0xf bank_mask:0xf bound_ctrl:1
	v_cvt_i32_f32_e32 v15, v6
	s_delay_alu instid0(VALU_DEP_3) | instskip(NEXT) | instid1(VALU_DEP_3)
	v_cvt_i32_f32_e32 v19, v12
	v_add_f32_e32 v8, v100, v8
	v_add_f32_e32 v9, v10, v16
	v_cvt_i32_f32_e32 v10, v5
	v_cvt_f32_i32_dpp v15, v15 row_shr:2 row_mask:0xf bank_mask:0xf bound_ctrl:1
	v_cvt_f32_i32_dpp v19, v19 row_shr:2 row_mask:0xf bank_mask:0xf bound_ctrl:1
	v_cvt_i32_f32_e32 v16, v8
	s_delay_alu instid0(VALU_DEP_4) | instskip(NEXT) | instid1(VALU_DEP_4)
	v_cvt_f32_i32_dpp v10, v10 row_shr:1 row_mask:0xf bank_mask:0xf bound_ctrl:1
	v_add_f32_e32 v6, v6, v15
	s_delay_alu instid0(VALU_DEP_4) | instskip(NEXT) | instid1(VALU_DEP_4)
	v_add_f32_e32 v12, v12, v19
	v_cvt_f32_i32_dpp v16, v16 row_shr:4 row_mask:0xf bank_mask:0xf bound_ctrl:1
	s_delay_alu instid0(VALU_DEP_4) | instskip(SKIP_2) | instid1(VALU_DEP_4)
	v_add_f32_e32 v30, v5, v10
	v_cvt_i32_f32_e32 v14, v9
	v_cvt_i32_f32_e32 v5, v104
	v_add_f32_e32 v8, v8, v16
	v_cvt_i32_f32_e32 v15, v6
	ds_bpermute_b32 v33, v37, v30
	v_cvt_f32_i32_dpp v14, v14 row_shr:1 row_mask:0xf bank_mask:0xf bound_ctrl:1
	v_cvt_f32_i32_dpp v5, v5 row_shr:8 row_mask:0xf bank_mask:0xf bound_ctrl:1
	v_cvt_i32_f32_e32 v16, v8
	v_cvt_f32_i32_dpp v15, v15 row_shr:1 row_mask:0xf bank_mask:0xf bound_ctrl:1
	v_cvt_i32_f32_e32 v19, v12
	v_add_f32_e32 v7, v9, v14
	v_add_f32_e32 v5, v104, v5
	v_cvt_i32_f32_e32 v9, v102
	v_cvt_f32_i32_dpp v16, v16 row_shr:2 row_mask:0xf bank_mask:0xf bound_ctrl:1
	v_add_f32_e32 v25, v6, v15
	v_cvt_i32_f32_e32 v15, v96
	v_cvt_i32_f32_e32 v13, v5
	v_cvt_f32_i32_dpp v9, v9 row_shr:8 row_mask:0xf bank_mask:0xf bound_ctrl:1
	v_add_f32_e32 v8, v8, v16
	ds_bpermute_b32 v14, v37, v11
	v_cvt_f32_i32_dpp v15, v15 row_shr:8 row_mask:0xf bank_mask:0xf bound_ctrl:1
	v_cvt_f32_i32_dpp v13, v13 row_shr:4 row_mask:0xf bank_mask:0xf bound_ctrl:1
	v_add_f32_e32 v9, v102, v9
	v_cvt_i32_f32_e32 v16, v8
	ds_bpermute_b32 v10, v37, v7
	v_cvt_f32_i32_dpp v19, v19 row_shr:1 row_mask:0xf bank_mask:0xf bound_ctrl:1
	v_add_f32_e32 v5, v5, v13
	v_cvt_i32_f32_e32 v17, v9
	v_cvt_f32_i32_dpp v16, v16 row_shr:1 row_mask:0xf bank_mask:0xf bound_ctrl:1
	s_delay_alu instid0(VALU_DEP_4) | instskip(NEXT) | instid1(VALU_DEP_4)
	v_add_f32_e32 v6, v12, v19
	v_cvt_i32_f32_e32 v13, v5
	s_delay_alu instid0(VALU_DEP_4) | instskip(SKIP_2) | instid1(VALU_DEP_4)
	v_cvt_f32_i32_dpp v17, v17 row_shr:4 row_mask:0xf bank_mask:0xf bound_ctrl:1
	v_cvt_i32_f32_e32 v19, v95
	v_cvt_i32_f32_e32 v12, v97
	v_cvt_f32_i32_dpp v13, v13 row_shr:2 row_mask:0xf bank_mask:0xf bound_ctrl:1
	s_delay_alu instid0(VALU_DEP_4) | instskip(NEXT) | instid1(VALU_DEP_4)
	v_add_f32_e32 v9, v9, v17
	v_cvt_f32_i32_dpp v19, v19 row_shr:8 row_mask:0xf bank_mask:0xf bound_ctrl:1
	s_delay_alu instid0(VALU_DEP_4) | instskip(NEXT) | instid1(VALU_DEP_4)
	v_cvt_f32_i32_dpp v12, v12 row_shr:8 row_mask:0xf bank_mask:0xf bound_ctrl:1
	v_add_f32_e32 v5, v5, v13
	s_delay_alu instid0(VALU_DEP_4) | instskip(NEXT) | instid1(VALU_DEP_3)
	v_cvt_i32_f32_e32 v17, v9
	v_dual_add_f32 v19, v95, v19 :: v_dual_add_f32 v12, v97, v12
	ds_bpermute_b32 v28, v37, v25
	v_cvt_i32_f32_e32 v13, v5
	v_cvt_f32_i32_dpp v17, v17 row_shr:2 row_mask:0xf bank_mask:0xf bound_ctrl:1
	v_cvt_i32_f32_e32 v32, v19
	v_cvt_i32_f32_e32 v26, v12
	s_delay_alu instid0(VALU_DEP_4) | instskip(NEXT) | instid1(VALU_DEP_4)
	v_cvt_f32_i32_dpp v13, v13 row_shr:1 row_mask:0xf bank_mask:0xf bound_ctrl:1
	v_add_f32_e32 v9, v9, v17
	s_delay_alu instid0(VALU_DEP_4) | instskip(NEXT) | instid1(VALU_DEP_4)
	v_cvt_f32_i32_dpp v32, v32 row_shr:4 row_mask:0xf bank_mask:0xf bound_ctrl:1
	v_cvt_f32_i32_dpp v26, v26 row_shr:4 row_mask:0xf bank_mask:0xf bound_ctrl:1
	s_delay_alu instid0(VALU_DEP_3) | instskip(NEXT) | instid1(VALU_DEP_2)
	v_cvt_i32_f32_e32 v17, v9
	v_dual_add_f32 v19, v19, v32 :: v_dual_add_f32 v12, v12, v26
	s_delay_alu instid0(VALU_DEP_2) | instskip(NEXT) | instid1(VALU_DEP_2)
	v_cvt_f32_i32_dpp v20, v17 row_shr:1 row_mask:0xf bank_mask:0xf bound_ctrl:1
	v_cvt_i32_f32_e32 v32, v19
	s_delay_alu instid0(VALU_DEP_3) | instskip(NEXT) | instid1(VALU_DEP_2)
	v_cvt_i32_f32_e32 v26, v12
	v_cvt_f32_i32_dpp v32, v32 row_shr:2 row_mask:0xf bank_mask:0xf bound_ctrl:1
	v_add_f32_e32 v15, v96, v15
	s_delay_alu instid0(VALU_DEP_3) | instskip(NEXT) | instid1(VALU_DEP_2)
	v_cvt_f32_i32_dpp v26, v26 row_shr:2 row_mask:0xf bank_mask:0xf bound_ctrl:1
	v_cvt_i32_f32_e32 v29, v15
	s_delay_alu instid0(VALU_DEP_2) | instskip(NEXT) | instid1(VALU_DEP_2)
	v_add_f32_e32 v12, v12, v26
	v_cvt_f32_i32_dpp v29, v29 row_shr:4 row_mask:0xf bank_mask:0xf bound_ctrl:1
	s_delay_alu instid0(VALU_DEP_2) | instskip(NEXT) | instid1(VALU_DEP_2)
	v_cvt_i32_f32_e32 v26, v12
	v_add_f32_e32 v15, v15, v29
	s_delay_alu instid0(VALU_DEP_2) | instskip(NEXT) | instid1(VALU_DEP_2)
	v_cvt_f32_i32_dpp v26, v26 row_shr:1 row_mask:0xf bank_mask:0xf bound_ctrl:1
	v_cvt_i32_f32_e32 v29, v15
	s_delay_alu instid0(VALU_DEP_1) | instskip(NEXT) | instid1(VALU_DEP_1)
	v_cvt_f32_i32_dpp v29, v29 row_shr:2 row_mask:0xf bank_mask:0xf bound_ctrl:1
	v_add_f32_e32 v15, v15, v29
	s_delay_alu instid0(VALU_DEP_1) | instskip(NEXT) | instid1(VALU_DEP_1)
	v_cvt_i32_f32_e32 v29, v15
	v_cvt_f32_i32_dpp v38, v29 row_shr:1 row_mask:0xf bank_mask:0xf bound_ctrl:1
	v_add_f32_e32 v17, v8, v16
	v_cvt_i32_f32_e32 v8, v98
	s_delay_alu instid0(VALU_DEP_1) | instskip(SKIP_2) | instid1(VALU_DEP_3)
	v_cvt_f32_i32_dpp v8, v8 row_shr:8 row_mask:0xf bank_mask:0xf bound_ctrl:1
	v_add_f32_e32 v31, v5, v13
	v_cvt_i32_f32_e32 v5, v99
	v_add_f32_e32 v8, v98, v8
	ds_bpermute_b32 v34, v37, v31
	v_cvt_f32_i32_dpp v5, v5 row_shr:8 row_mask:0xf bank_mask:0xf bound_ctrl:1
	v_cvt_i32_f32_e32 v23, v8
	s_delay_alu instid0(VALU_DEP_2) | instskip(NEXT) | instid1(VALU_DEP_2)
	v_add_f32_e32 v5, v99, v5
	v_cvt_f32_i32_dpp v23, v23 row_shr:4 row_mask:0xf bank_mask:0xf bound_ctrl:1
	v_add_f32_e32 v13, v9, v20
	s_delay_alu instid0(VALU_DEP_3)
	v_cvt_i32_f32_e32 v22, v5
	ds_bpermute_b32 v9, v37, v6
	v_add_f32_e32 v8, v8, v23
	ds_bpermute_b32 v16, v37, v13
	v_cvt_f32_i32_dpp v22, v22 row_shr:4 row_mask:0xf bank_mask:0xf bound_ctrl:1
	v_cvt_i32_f32_e32 v23, v8
	s_delay_alu instid0(VALU_DEP_1) | instskip(NEXT) | instid1(VALU_DEP_1)
	v_cvt_f32_i32_dpp v23, v23 row_shr:2 row_mask:0xf bank_mask:0xf bound_ctrl:1
	v_dual_add_f32 v5, v5, v22 :: v_dual_add_f32 v8, v8, v23
	s_delay_alu instid0(VALU_DEP_1) | instskip(NEXT) | instid1(VALU_DEP_2)
	v_cvt_i32_f32_e32 v22, v5
	v_cvt_i32_f32_e32 v23, v8
	s_delay_alu instid0(VALU_DEP_2) | instskip(NEXT) | instid1(VALU_DEP_2)
	v_cvt_f32_i32_dpp v22, v22 row_shr:2 row_mask:0xf bank_mask:0xf bound_ctrl:1
	v_cvt_f32_i32_dpp v23, v23 row_shr:1 row_mask:0xf bank_mask:0xf bound_ctrl:1
	s_delay_alu instid0(VALU_DEP_2) | instskip(NEXT) | instid1(VALU_DEP_2)
	v_dual_add_f32 v5, v5, v22 :: v_dual_add_f32 v22, v19, v32
	v_add_f32_e32 v23, v8, v23
	s_delay_alu instid0(VALU_DEP_2) | instskip(NEXT) | instid1(VALU_DEP_3)
	v_cvt_i32_f32_e32 v19, v5
	v_cvt_i32_f32_e32 v32, v22
	s_delay_alu instid0(VALU_DEP_2) | instskip(NEXT) | instid1(VALU_DEP_2)
	v_cvt_f32_i32_dpp v19, v19 row_shr:1 row_mask:0xf bank_mask:0xf bound_ctrl:1
	v_cvt_f32_i32_dpp v32, v32 row_shr:1 row_mask:0xf bank_mask:0xf bound_ctrl:1
	s_delay_alu instid0(VALU_DEP_2) | instskip(SKIP_1) | instid1(VALU_DEP_3)
	v_add_f32_e32 v29, v5, v19
	v_add_f32_e32 v19, v12, v26
	v_dual_add_f32 v12, v15, v38 :: v_dual_add_f32 v5, v22, v32
	ds_bpermute_b32 v20, v37, v17
	ds_bpermute_b32 v26, v37, v23
	;; [unrolled: 1-line block ×6, first 2 shown]
	s_and_saveexec_b32 s5, s0
	s_cbranch_execz .LBB126_72
; %bb.53:                               ;   in Loop: Header=BB126_13 Depth=1
	v_dual_mov_b32 v52, 0 :: v_dual_mov_b32 v51, 0
	v_dual_mov_b32 v50, 0 :: v_dual_mov_b32 v49, 0
	;; [unrolled: 1-line block ×8, first 2 shown]
	s_and_not1_b32 vcc_lo, exec_lo, s26
	s_cbranch_vccnz .LBB126_55
; %bb.54:                               ;   in Loop: Header=BB126_13 Depth=1
	v_mul_hi_u32 v37, v69, v92
	v_mul_hi_u32 v38, v75, v92
	;; [unrolled: 1-line block ×4, first 2 shown]
	v_mov_b32_e32 v52, v71
	v_mov_b32_e32 v66, v71
	;; [unrolled: 1-line block ×3, first 2 shown]
	v_mul_lo_u32 v37, v37, s16
	v_mul_lo_u32 v41, v38, s16
	;; [unrolled: 1-line block ×4, first 2 shown]
	s_delay_alu instid0(VALU_DEP_4) | instskip(NEXT) | instid1(VALU_DEP_4)
	v_sub_nc_u32_e32 v37, v69, v37
	v_sub_nc_u32_e32 v41, v75, v41
	s_delay_alu instid0(VALU_DEP_4) | instskip(NEXT) | instid1(VALU_DEP_4)
	v_sub_nc_u32_e32 v39, v74, v39
	v_sub_nc_u32_e32 v42, v73, v40
	s_delay_alu instid0(VALU_DEP_4)
	v_subrev_nc_u32_e32 v43, s16, v37
	v_cmp_le_u32_e32 vcc_lo, s16, v37
	v_mov_b32_e32 v38, v71
	v_subrev_nc_u32_e32 v44, s16, v41
	v_subrev_nc_u32_e32 v45, s16, v39
	;; [unrolled: 1-line block ×3, first 2 shown]
	v_cndmask_b32_e32 v37, v37, v43, vcc_lo
	v_cmp_le_u32_e32 vcc_lo, s16, v41
	v_mov_b32_e32 v40, v71
	s_delay_alu instid0(VALU_DEP_3) | instskip(SKIP_2) | instid1(VALU_DEP_2)
	v_subrev_nc_u32_e32 v43, s16, v37
	v_cndmask_b32_e32 v41, v41, v44, vcc_lo
	v_cmp_le_u32_e32 vcc_lo, s16, v39
	v_subrev_nc_u32_e32 v44, s16, v41
	v_cndmask_b32_e32 v39, v39, v45, vcc_lo
	v_cmp_le_u32_e32 vcc_lo, s16, v42
	v_dual_cndmask_b32 v45, v42, v46 :: v_dual_mov_b32 v42, v71
	v_cmp_le_u32_e32 vcc_lo, s16, v37
	s_delay_alu instid0(VALU_DEP_2) | instskip(SKIP_3) | instid1(VALU_DEP_3)
	v_subrev_nc_u32_e32 v47, s16, v45
	v_cndmask_b32_e32 v70, v37, v43, vcc_lo
	v_cmp_le_u32_e32 vcc_lo, s16, v41
	v_subrev_nc_u32_e32 v46, s16, v39
	v_add_nc_u32_e32 v51, s28, v70
	v_cndmask_b32_e32 v37, v41, v44, vcc_lo
	v_cmp_le_u32_e32 vcc_lo, s16, v39
	v_lshlrev_b64 v[43:44], 1, v[70:71]
	s_delay_alu instid0(VALU_DEP_4) | instskip(NEXT) | instid1(VALU_DEP_4)
	v_lshlrev_b64 v[51:52], 1, v[51:52]
	v_add_nc_u32_e32 v53, s28, v37
	v_cndmask_b32_e32 v39, v39, v46, vcc_lo
	v_cmp_le_u32_e32 vcc_lo, s16, v45
	v_add_nc_u32_e32 v65, s29, v37
	v_cndmask_b32_e32 v41, v45, v47, vcc_lo
	v_lshlrev_b64 v[45:46], 1, v[37:38]
	v_lshlrev_b64 v[47:48], 1, v[39:40]
	v_add_co_u32 v43, vcc_lo, s6, v43
	v_add_co_ci_u32_e32 v44, vcc_lo, s7, v44, vcc_lo
	s_delay_alu instid0(VALU_DEP_4) | instskip(SKIP_4) | instid1(VALU_DEP_4)
	v_add_co_u32 v45, vcc_lo, s6, v45
	v_lshlrev_b64 v[49:50], 1, v[41:42]
	v_add_co_ci_u32_e32 v46, vcc_lo, s7, v46, vcc_lo
	v_add_co_u32 v47, vcc_lo, s6, v47
	v_add_co_ci_u32_e32 v48, vcc_lo, s7, v48, vcc_lo
	v_add_co_u32 v55, vcc_lo, s6, v49
	v_add_co_ci_u32_e32 v56, vcc_lo, s7, v50, vcc_lo
	v_lshlrev_b64 v[49:50], 1, v[53:54]
	v_add_nc_u32_e32 v53, s28, v39
	v_add_co_u32 v57, vcc_lo, s6, v51
	v_add_co_ci_u32_e32 v58, vcc_lo, s7, v52, vcc_lo
	s_delay_alu instid0(VALU_DEP_3) | instskip(SKIP_3) | instid1(VALU_DEP_3)
	v_lshlrev_b64 v[51:52], 1, v[53:54]
	v_add_nc_u32_e32 v53, s28, v41
	v_add_co_u32 v59, vcc_lo, s6, v49
	v_add_co_ci_u32_e32 v60, vcc_lo, s7, v50, vcc_lo
	v_lshlrev_b64 v[49:50], 1, v[53:54]
	v_add_co_u32 v53, vcc_lo, s6, v51
	v_add_co_ci_u32_e32 v54, vcc_lo, s7, v52, vcc_lo
	v_dual_mov_b32 v52, v71 :: v_dual_add_nc_u32 v51, s29, v70
	v_add_nc_u32_e32 v70, s30, v70
	v_add_co_u32 v61, vcc_lo, s6, v49
	v_add_co_ci_u32_e32 v62, vcc_lo, s7, v50, vcc_lo
	s_delay_alu instid0(VALU_DEP_4)
	v_lshlrev_b64 v[63:64], 1, v[51:52]
	s_clause 0x7
	global_load_u16 v52, v[43:44], off
	global_load_u16 v51, v[45:46], off
	;; [unrolled: 1-line block ×8, first 2 shown]
	v_mov_b32_e32 v60, v71
	v_mov_b32_e32 v56, v71
	v_lshlrev_b64 v[61:62], 1, v[70:71]
	v_add_nc_u32_e32 v70, s30, v37
	v_add_nc_u32_e32 v55, s29, v39
	v_lshlrev_b64 v[53:54], 1, v[65:66]
	v_add_nc_u32_e32 v59, s29, v41
	v_add_co_u32 v57, vcc_lo, s6, v63
	s_delay_alu instid0(VALU_DEP_4)
	v_lshlrev_b64 v[55:56], 1, v[55:56]
	v_add_co_ci_u32_e32 v58, vcc_lo, s7, v64, vcc_lo
	v_add_co_u32 v53, vcc_lo, s6, v53
	v_lshlrev_b64 v[59:60], 1, v[59:60]
	v_add_co_ci_u32_e32 v54, vcc_lo, s7, v54, vcc_lo
	v_add_co_u32 v55, vcc_lo, s6, v55
	v_add_co_ci_u32_e32 v56, vcc_lo, s7, v56, vcc_lo
	s_delay_alu instid0(VALU_DEP_4)
	v_add_co_u32 v37, vcc_lo, s6, v59
	v_add_co_ci_u32_e32 v38, vcc_lo, s7, v60, vcc_lo
	v_lshlrev_b64 v[59:60], 1, v[70:71]
	v_add_nc_u32_e32 v70, s30, v39
	v_add_co_u32 v39, vcc_lo, s6, v61
	v_add_co_ci_u32_e32 v40, vcc_lo, s7, v62, vcc_lo
	s_delay_alu instid0(VALU_DEP_3) | instskip(SKIP_3) | instid1(VALU_DEP_3)
	v_lshlrev_b64 v[61:62], 1, v[70:71]
	v_add_nc_u32_e32 v70, s30, v41
	v_add_co_u32 v59, vcc_lo, s6, v59
	v_add_co_ci_u32_e32 v60, vcc_lo, s7, v60, vcc_lo
	v_lshlrev_b64 v[63:64], 1, v[70:71]
	v_add_co_u32 v61, vcc_lo, s6, v61
	v_add_co_ci_u32_e32 v62, vcc_lo, s7, v62, vcc_lo
	s_delay_alu instid0(VALU_DEP_3) | instskip(NEXT) | instid1(VALU_DEP_4)
	v_add_co_u32 v63, vcc_lo, s6, v63
	v_add_co_ci_u32_e32 v64, vcc_lo, s7, v64, vcc_lo
	s_clause 0x7
	global_load_u16 v47, v[57:58], off
	global_load_u16 v45, v[53:54], off
	;; [unrolled: 1-line block ×8, first 2 shown]
.LBB126_55:                             ;   in Loop: Header=BB126_13 Depth=1
	v_cmp_ne_u32_e32 vcc_lo, 0, v1
	s_and_saveexec_b32 s2, vcc_lo
	s_cbranch_execnz .LBB126_77
; %bb.56:                               ;   in Loop: Header=BB126_13 Depth=1
	s_or_b32 exec_lo, exec_lo, s2
	v_cmp_ne_u32_e64 s1, 0, v2
	s_delay_alu instid0(VALU_DEP_1)
	s_and_saveexec_b32 s3, s1
	s_cbranch_execnz .LBB126_78
.LBB126_57:                             ;   in Loop: Header=BB126_13 Depth=1
	s_or_b32 exec_lo, exec_lo, s3
	v_cmp_ne_u32_e64 s2, 0, v3
	s_delay_alu instid0(VALU_DEP_1)
	s_and_saveexec_b32 s4, s2
	s_cbranch_execnz .LBB126_79
.LBB126_58:                             ;   in Loop: Header=BB126_13 Depth=1
	s_or_b32 exec_lo, exec_lo, s4
	v_cmp_ne_u32_e64 s3, 0, v4
	s_delay_alu instid0(VALU_DEP_1)
	s_and_saveexec_b32 s31, s3
	s_cbranch_execnz .LBB126_80
.LBB126_59:                             ;   in Loop: Header=BB126_13 Depth=1
	s_or_b32 exec_lo, exec_lo, s31
	v_add_nc_u32_e32 v70, s11, v69
	s_and_saveexec_b32 s31, vcc_lo
	s_cbranch_execnz .LBB126_81
.LBB126_60:                             ;   in Loop: Header=BB126_13 Depth=1
	s_or_b32 exec_lo, exec_lo, s31
	s_and_saveexec_b32 s31, s1
	s_cbranch_execnz .LBB126_82
.LBB126_61:                             ;   in Loop: Header=BB126_13 Depth=1
	s_or_b32 exec_lo, exec_lo, s31
	s_and_saveexec_b32 s31, s2
	s_cbranch_execnz .LBB126_83
.LBB126_62:                             ;   in Loop: Header=BB126_13 Depth=1
	s_or_b32 exec_lo, exec_lo, s31
	s_and_saveexec_b32 s31, s3
	s_cbranch_execnz .LBB126_84
.LBB126_63:                             ;   in Loop: Header=BB126_13 Depth=1
	s_or_b32 exec_lo, exec_lo, s31
	v_add_nc_u32_e32 v70, s11, v70
	s_and_saveexec_b32 s31, vcc_lo
	s_cbranch_execnz .LBB126_85
.LBB126_64:                             ;   in Loop: Header=BB126_13 Depth=1
	s_or_b32 exec_lo, exec_lo, s31
	s_and_saveexec_b32 s31, s1
	s_cbranch_execnz .LBB126_86
.LBB126_65:                             ;   in Loop: Header=BB126_13 Depth=1
	s_or_b32 exec_lo, exec_lo, s31
	s_and_saveexec_b32 s31, s2
	s_cbranch_execnz .LBB126_87
.LBB126_66:                             ;   in Loop: Header=BB126_13 Depth=1
	s_or_b32 exec_lo, exec_lo, s31
	s_and_saveexec_b32 s31, s3
	s_cbranch_execnz .LBB126_88
.LBB126_67:                             ;   in Loop: Header=BB126_13 Depth=1
	s_or_b32 exec_lo, exec_lo, s31
	v_add_nc_u32_e32 v70, s11, v70
	s_and_saveexec_b32 s4, vcc_lo
	s_cbranch_execnz .LBB126_89
.LBB126_68:                             ;   in Loop: Header=BB126_13 Depth=1
	s_or_b32 exec_lo, exec_lo, s4
	s_and_saveexec_b32 s4, s1
	s_cbranch_execnz .LBB126_90
.LBB126_69:                             ;   in Loop: Header=BB126_13 Depth=1
	s_or_b32 exec_lo, exec_lo, s4
	s_and_saveexec_b32 s1, s2
	s_cbranch_execnz .LBB126_91
.LBB126_70:                             ;   in Loop: Header=BB126_13 Depth=1
	s_or_b32 exec_lo, exec_lo, s1
	s_delay_alu instid0(SALU_CYCLE_1)
	s_and_b32 exec_lo, exec_lo, s3
	s_cbranch_execz .LBB126_72
.LBB126_71:                             ;   in Loop: Header=BB126_13 Depth=1
	s_waitcnt lgkmcnt(0)
	v_dual_add_f32 v5, v5, v8 :: v_dual_add_nc_u32 v70, 3, v70
	s_waitcnt vmcnt(0)
	v_cvt_f32_f16_e32 v6, v37
	s_delay_alu instid0(VALU_DEP_1) | instskip(NEXT) | instid1(VALU_DEP_3)
	v_add_f32_e32 v7, v5, v6
	v_lshlrev_b64 v[5:6], 1, v[70:71]
	s_delay_alu instid0(VALU_DEP_2) | instskip(NEXT) | instid1(VALU_DEP_2)
	v_cvt_f16_f32_e32 v7, v7
	v_add_co_u32 v5, vcc_lo, s18, v5
	s_delay_alu instid0(VALU_DEP_3)
	v_add_co_ci_u32_e32 v6, vcc_lo, s19, v6, vcc_lo
	global_store_b16 v[5:6], v7, off
.LBB126_72:                             ;   in Loop: Header=BB126_13 Depth=1
	s_or_b32 exec_lo, exec_lo, s5
	v_add_nc_u32_e32 v69, s20, v69
	s_delay_alu instid0(VALU_DEP_1) | instskip(SKIP_1) | instid1(VALU_DEP_2)
	v_add_nc_u32_e32 v5, 4, v69
	v_cmp_gt_u32_e32 vcc_lo, s11, v69
	v_cmp_le_u32_e64 s1, s11, v5
	s_delay_alu instid0(VALU_DEP_1) | instskip(NEXT) | instid1(SALU_CYCLE_1)
	s_and_b32 s1, vcc_lo, s1
	s_and_saveexec_b32 s31, s1
	s_cbranch_execz .LBB126_12
; %bb.73:                               ;   in Loop: Header=BB126_13 Depth=1
	s_mov_b32 s33, exec_lo
	v_cmpx_ne_u32_e64 s21, v69
	s_cbranch_execz .LBB126_11
; %bb.74:                               ;   in Loop: Header=BB126_13 Depth=1
	v_subrev_nc_u32_e32 v5, s21, v69
	s_mov_b32 s34, 0
	s_mov_b64 s[4:5], 0
	s_delay_alu instid0(VALU_DEP_1)
	v_cmp_lt_u32_e32 vcc_lo, 1, v5
	v_cndmask_b32_e32 v5, 1, v5, vcc_lo
	.p2align	6
.LBB126_75:                             ;   Parent Loop BB126_13 Depth=1
                                        ; =>  This Inner Loop Header: Depth=2
	s_cmp_lg_u32 s4, 3
	s_cselect_b32 vcc_lo, -1, 0
	s_cmp_lg_u32 s4, 2
	v_cndmask_b32_e32 v4, 0, v4, vcc_lo
	s_cselect_b32 s1, -1, 0
	s_cmp_lg_u32 s4, 1
	v_cndmask_b32_e64 v3, 0, v3, s1
	s_cselect_b32 s2, -1, 0
	s_cmp_lg_u32 s4, 0
	v_cndmask_b32_e64 v2, 0, v2, s2
	s_cselect_b32 s3, -1, 0
	s_add_u32 s4, s4, 1
	v_cndmask_b32_e64 v1, 0, v1, s3
	v_cmp_eq_u32_e32 vcc_lo, s4, v5
	s_addc_u32 s5, s5, 0
	s_or_b32 s34, vcc_lo, s34
	s_delay_alu instid0(SALU_CYCLE_1)
	s_and_not1_b32 exec_lo, exec_lo, s34
	s_cbranch_execnz .LBB126_75
; %bb.76:                               ;   in Loop: Header=BB126_13 Depth=1
	s_or_b32 exec_lo, exec_lo, s34
	s_branch .LBB126_11
.LBB126_77:                             ;   in Loop: Header=BB126_13 Depth=1
	s_waitcnt lgkmcnt(0)
	v_add_f32_e32 v35, v35, v36
	s_waitcnt vmcnt(15)
	v_cvt_f32_f16_e32 v36, v52
	v_mov_b32_e32 v70, v71
	s_delay_alu instid0(VALU_DEP_2) | instskip(NEXT) | instid1(VALU_DEP_2)
	v_add_f32_e32 v52, v35, v36
	v_lshlrev_b64 v[35:36], 1, v[69:70]
	s_delay_alu instid0(VALU_DEP_2) | instskip(NEXT) | instid1(VALU_DEP_2)
	v_cvt_f16_f32_e32 v52, v52
	v_add_co_u32 v35, s1, s18, v35
	s_delay_alu instid0(VALU_DEP_1) | instskip(SKIP_3) | instid1(VALU_DEP_1)
	v_add_co_ci_u32_e64 v36, s1, s19, v36, s1
	global_store_b16 v[35:36], v52, off
	s_or_b32 exec_lo, exec_lo, s2
	v_cmp_ne_u32_e64 s1, 0, v2
	s_and_saveexec_b32 s3, s1
	s_cbranch_execz .LBB126_57
.LBB126_78:                             ;   in Loop: Header=BB126_13 Depth=1
	v_mov_b32_e32 v76, v71
	s_waitcnt lgkmcnt(0)
	v_add_f32_e32 v30, v30, v33
	s_waitcnt vmcnt(14)
	v_cvt_f32_f16_e32 v33, v51
	v_lshlrev_b64 v[35:36], 1, v[75:76]
	s_delay_alu instid0(VALU_DEP_2) | instskip(NEXT) | instid1(VALU_DEP_2)
	v_add_f32_e32 v30, v30, v33
	v_add_co_u32 v35, s2, s18, v35
	s_delay_alu instid0(VALU_DEP_2) | instskip(NEXT) | instid1(VALU_DEP_4)
	v_cvt_f16_f32_e32 v30, v30
	v_add_co_ci_u32_e64 v36, s2, s19, v36, s2
	global_store_b16 v[35:36], v30, off
	s_or_b32 exec_lo, exec_lo, s3
	v_cmp_ne_u32_e64 s2, 0, v3
	s_delay_alu instid0(VALU_DEP_1)
	s_and_saveexec_b32 s4, s2
	s_cbranch_execz .LBB126_58
.LBB126_79:                             ;   in Loop: Header=BB126_13 Depth=1
	s_waitcnt lgkmcnt(0)
	v_dual_add_f32 v24, v24, v27 :: v_dual_mov_b32 v75, v71
	s_waitcnt vmcnt(13)
	v_cvt_f32_f16_e32 v27, v50
	s_delay_alu instid0(VALU_DEP_2) | instskip(NEXT) | instid1(VALU_DEP_2)
	v_lshlrev_b64 v[35:36], 1, v[74:75]
	v_add_f32_e32 v24, v24, v27
	s_delay_alu instid0(VALU_DEP_1) | instskip(NEXT) | instid1(VALU_DEP_3)
	v_cvt_f16_f32_e32 v24, v24
	v_add_co_u32 v35, s3, s18, v35
	s_delay_alu instid0(VALU_DEP_1) | instskip(SKIP_3) | instid1(VALU_DEP_1)
	v_add_co_ci_u32_e64 v36, s3, s19, v36, s3
	global_store_b16 v[35:36], v24, off
	s_or_b32 exec_lo, exec_lo, s4
	v_cmp_ne_u32_e64 s3, 0, v4
	s_and_saveexec_b32 s31, s3
	s_cbranch_execz .LBB126_59
.LBB126_80:                             ;   in Loop: Header=BB126_13 Depth=1
	v_mov_b32_e32 v74, v71
	s_waitcnt lgkmcnt(0)
	v_add_f32_e32 v18, v18, v21
	s_waitcnt vmcnt(12)
	v_cvt_f32_f16_e32 v21, v49
	v_lshlrev_b64 v[35:36], 1, v[73:74]
	s_delay_alu instid0(VALU_DEP_2) | instskip(NEXT) | instid1(VALU_DEP_2)
	v_add_f32_e32 v18, v18, v21
	v_add_co_u32 v35, s4, s18, v35
	s_delay_alu instid0(VALU_DEP_2) | instskip(NEXT) | instid1(VALU_DEP_4)
	v_cvt_f16_f32_e32 v18, v18
	v_add_co_ci_u32_e64 v36, s4, s19, v36, s4
	global_store_b16 v[35:36], v18, off
	s_or_b32 exec_lo, exec_lo, s31
	v_add_nc_u32_e32 v70, s11, v69
	s_and_saveexec_b32 s31, vcc_lo
	s_cbranch_execz .LBB126_60
.LBB126_81:                             ;   in Loop: Header=BB126_13 Depth=1
	s_waitcnt lgkmcnt(0)
	v_add_f32_e32 v11, v11, v14
	s_waitcnt vmcnt(11)
	v_cvt_f32_f16_e32 v14, v48
	v_lshlrev_b64 v[35:36], 1, v[70:71]
	s_delay_alu instid0(VALU_DEP_2) | instskip(NEXT) | instid1(VALU_DEP_2)
	v_add_f32_e32 v11, v11, v14
	v_add_co_u32 v35, s4, s18, v35
	s_delay_alu instid0(VALU_DEP_1) | instskip(NEXT) | instid1(VALU_DEP_3)
	v_add_co_ci_u32_e64 v36, s4, s19, v36, s4
	v_cvt_f16_f32_e32 v11, v11
	global_store_b16 v[35:36], v11, off
	s_or_b32 exec_lo, exec_lo, s31
	s_and_saveexec_b32 s31, s1
	s_cbranch_execz .LBB126_61
.LBB126_82:                             ;   in Loop: Header=BB126_13 Depth=1
	s_waitcnt lgkmcnt(0)
	v_add_f32_e32 v7, v7, v10
	v_dual_mov_b32 v11, v71 :: v_dual_add_nc_u32 v10, 1, v70
	s_waitcnt vmcnt(10)
	v_cvt_f32_f16_e32 v14, v46
	s_delay_alu instid0(VALU_DEP_2) | instskip(NEXT) | instid1(VALU_DEP_2)
	v_lshlrev_b64 v[10:11], 1, v[10:11]
	v_add_f32_e32 v7, v7, v14
	s_delay_alu instid0(VALU_DEP_1) | instskip(NEXT) | instid1(VALU_DEP_3)
	v_cvt_f16_f32_e32 v7, v7
	v_add_co_u32 v10, s4, s18, v10
	s_delay_alu instid0(VALU_DEP_1)
	v_add_co_ci_u32_e64 v11, s4, s19, v11, s4
	global_store_b16 v[10:11], v7, off
	s_or_b32 exec_lo, exec_lo, s31
	s_and_saveexec_b32 s31, s2
	s_cbranch_execz .LBB126_62
.LBB126_83:                             ;   in Loop: Header=BB126_13 Depth=1
	s_waitcnt lgkmcnt(0)
	v_dual_mov_b32 v11, v71 :: v_dual_add_nc_u32 v10, 2, v70
	v_add_f32_e32 v7, v31, v34
	s_waitcnt vmcnt(9)
	v_cvt_f32_f16_e32 v14, v44
	s_delay_alu instid0(VALU_DEP_3) | instskip(NEXT) | instid1(VALU_DEP_2)
	v_lshlrev_b64 v[10:11], 1, v[10:11]
	v_add_f32_e32 v7, v7, v14
	s_delay_alu instid0(VALU_DEP_2) | instskip(NEXT) | instid1(VALU_DEP_2)
	v_add_co_u32 v10, s4, s18, v10
	v_cvt_f16_f32_e32 v7, v7
	s_delay_alu instid0(VALU_DEP_4)
	v_add_co_ci_u32_e64 v11, s4, s19, v11, s4
	global_store_b16 v[10:11], v7, off
	s_or_b32 exec_lo, exec_lo, s31
	s_and_saveexec_b32 s31, s3
	s_cbranch_execz .LBB126_63
.LBB126_84:                             ;   in Loop: Header=BB126_13 Depth=1
	s_waitcnt lgkmcnt(0)
	v_dual_add_f32 v7, v25, v28 :: v_dual_add_nc_u32 v10, 3, v70
	v_mov_b32_e32 v11, v71
	s_waitcnt vmcnt(8)
	v_cvt_f32_f16_e32 v14, v42
	s_delay_alu instid0(VALU_DEP_2) | instskip(NEXT) | instid1(VALU_DEP_2)
	v_lshlrev_b64 v[10:11], 1, v[10:11]
	v_add_f32_e32 v7, v7, v14
	s_delay_alu instid0(VALU_DEP_1) | instskip(NEXT) | instid1(VALU_DEP_3)
	v_cvt_f16_f32_e32 v7, v7
	v_add_co_u32 v10, s4, s18, v10
	s_delay_alu instid0(VALU_DEP_1)
	v_add_co_ci_u32_e64 v11, s4, s19, v11, s4
	global_store_b16 v[10:11], v7, off
	s_or_b32 exec_lo, exec_lo, s31
	v_add_nc_u32_e32 v70, s11, v70
	s_and_saveexec_b32 s31, vcc_lo
	s_cbranch_execz .LBB126_64
.LBB126_85:                             ;   in Loop: Header=BB126_13 Depth=1
	s_waitcnt lgkmcnt(0)
	v_add_f32_e32 v7, v17, v20
	s_waitcnt vmcnt(7)
	v_cvt_f32_f16_e32 v10, v47
	s_delay_alu instid0(VALU_DEP_1) | instskip(SKIP_1) | instid1(VALU_DEP_2)
	v_add_f32_e32 v7, v7, v10
	v_lshlrev_b64 v[10:11], 1, v[70:71]
	v_cvt_f16_f32_e32 v7, v7
	s_delay_alu instid0(VALU_DEP_2) | instskip(NEXT) | instid1(VALU_DEP_1)
	v_add_co_u32 v10, s4, s18, v10
	v_add_co_ci_u32_e64 v11, s4, s19, v11, s4
	global_store_b16 v[10:11], v7, off
	s_or_b32 exec_lo, exec_lo, s31
	s_and_saveexec_b32 s31, s1
	s_cbranch_execz .LBB126_65
.LBB126_86:                             ;   in Loop: Header=BB126_13 Depth=1
	s_waitcnt lgkmcnt(0)
	v_dual_add_f32 v7, v13, v16 :: v_dual_add_nc_u32 v10, 1, v70
	v_mov_b32_e32 v11, v71
	s_waitcnt vmcnt(6)
	v_cvt_f32_f16_e32 v13, v45
	s_delay_alu instid0(VALU_DEP_2) | instskip(NEXT) | instid1(VALU_DEP_2)
	v_lshlrev_b64 v[10:11], 1, v[10:11]
	v_add_f32_e32 v7, v7, v13
	s_delay_alu instid0(VALU_DEP_1) | instskip(NEXT) | instid1(VALU_DEP_3)
	v_cvt_f16_f32_e32 v7, v7
	v_add_co_u32 v10, s4, s18, v10
	s_delay_alu instid0(VALU_DEP_1)
	v_add_co_ci_u32_e64 v11, s4, s19, v11, s4
	global_store_b16 v[10:11], v7, off
	s_or_b32 exec_lo, exec_lo, s31
	s_and_saveexec_b32 s31, s2
	s_cbranch_execz .LBB126_66
.LBB126_87:                             ;   in Loop: Header=BB126_13 Depth=1
	s_waitcnt lgkmcnt(0)
	v_dual_add_f32 v9, v6, v9 :: v_dual_add_nc_u32 v6, 2, v70
	v_mov_b32_e32 v7, v71
	s_waitcnt vmcnt(5)
	v_cvt_f32_f16_e32 v10, v43
	s_delay_alu instid0(VALU_DEP_2) | instskip(NEXT) | instid1(VALU_DEP_2)
	v_lshlrev_b64 v[6:7], 1, v[6:7]
	v_add_f32_e32 v9, v9, v10
	s_delay_alu instid0(VALU_DEP_1) | instskip(NEXT) | instid1(VALU_DEP_3)
	v_cvt_f16_f32_e32 v9, v9
	v_add_co_u32 v6, s4, s18, v6
	s_delay_alu instid0(VALU_DEP_1)
	v_add_co_ci_u32_e64 v7, s4, s19, v7, s4
	global_store_b16 v[6:7], v9, off
	s_or_b32 exec_lo, exec_lo, s31
	s_and_saveexec_b32 s31, s3
	s_cbranch_execz .LBB126_67
.LBB126_88:                             ;   in Loop: Header=BB126_13 Depth=1
	s_waitcnt lgkmcnt(0)
	v_dual_add_f32 v9, v29, v32 :: v_dual_add_nc_u32 v6, 3, v70
	v_mov_b32_e32 v7, v71
	s_waitcnt vmcnt(4)
	v_cvt_f32_f16_e32 v10, v41
	s_delay_alu instid0(VALU_DEP_2) | instskip(NEXT) | instid1(VALU_DEP_2)
	v_lshlrev_b64 v[6:7], 1, v[6:7]
	v_add_f32_e32 v9, v9, v10
	s_delay_alu instid0(VALU_DEP_1) | instskip(NEXT) | instid1(VALU_DEP_3)
	v_cvt_f16_f32_e32 v9, v9
	v_add_co_u32 v6, s4, s18, v6
	s_delay_alu instid0(VALU_DEP_1)
	v_add_co_ci_u32_e64 v7, s4, s19, v7, s4
	global_store_b16 v[6:7], v9, off
	s_or_b32 exec_lo, exec_lo, s31
	v_add_nc_u32_e32 v70, s11, v70
	s_and_saveexec_b32 s4, vcc_lo
	s_cbranch_execz .LBB126_68
.LBB126_89:                             ;   in Loop: Header=BB126_13 Depth=1
	s_waitcnt lgkmcnt(0)
	v_add_f32_e32 v6, v23, v26
	s_waitcnt vmcnt(3)
	v_cvt_f32_f16_e32 v7, v40
	s_delay_alu instid0(VALU_DEP_1) | instskip(SKIP_1) | instid1(VALU_DEP_2)
	v_add_f32_e32 v9, v6, v7
	v_lshlrev_b64 v[6:7], 1, v[70:71]
	v_cvt_f16_f32_e32 v9, v9
	s_delay_alu instid0(VALU_DEP_2) | instskip(NEXT) | instid1(VALU_DEP_3)
	v_add_co_u32 v6, vcc_lo, s18, v6
	v_add_co_ci_u32_e32 v7, vcc_lo, s19, v7, vcc_lo
	global_store_b16 v[6:7], v9, off
	s_or_b32 exec_lo, exec_lo, s4
	s_and_saveexec_b32 s4, s1
	s_cbranch_execz .LBB126_69
.LBB126_90:                             ;   in Loop: Header=BB126_13 Depth=1
	v_dual_mov_b32 v7, v71 :: v_dual_add_nc_u32 v6, 1, v70
	s_waitcnt lgkmcnt(0)
	v_add_f32_e32 v9, v19, v22
	s_waitcnt vmcnt(2)
	v_cvt_f32_f16_e32 v10, v39
	v_lshlrev_b64 v[6:7], 1, v[6:7]
	s_delay_alu instid0(VALU_DEP_2) | instskip(NEXT) | instid1(VALU_DEP_2)
	v_add_f32_e32 v9, v9, v10
	v_add_co_u32 v6, vcc_lo, s18, v6
	s_delay_alu instid0(VALU_DEP_2) | instskip(NEXT) | instid1(VALU_DEP_4)
	v_cvt_f16_f32_e32 v9, v9
	v_add_co_ci_u32_e32 v7, vcc_lo, s19, v7, vcc_lo
	global_store_b16 v[6:7], v9, off
	s_or_b32 exec_lo, exec_lo, s4
	s_and_saveexec_b32 s1, s2
	s_cbranch_execz .LBB126_70
.LBB126_91:                             ;   in Loop: Header=BB126_13 Depth=1
	s_waitcnt lgkmcnt(0)
	v_dual_add_f32 v9, v12, v15 :: v_dual_add_nc_u32 v6, 2, v70
	v_mov_b32_e32 v7, v71
	s_waitcnt vmcnt(1)
	v_cvt_f32_f16_e32 v10, v38
	s_delay_alu instid0(VALU_DEP_2) | instskip(NEXT) | instid1(VALU_DEP_2)
	v_lshlrev_b64 v[6:7], 1, v[6:7]
	v_add_f32_e32 v9, v9, v10
	s_delay_alu instid0(VALU_DEP_1) | instskip(NEXT) | instid1(VALU_DEP_3)
	v_cvt_f16_f32_e32 v9, v9
	v_add_co_u32 v6, vcc_lo, s18, v6
	s_delay_alu instid0(VALU_DEP_4) | instskip(SKIP_2) | instid1(SALU_CYCLE_1)
	v_add_co_ci_u32_e32 v7, vcc_lo, s19, v7, vcc_lo
	global_store_b16 v[6:7], v9, off
	s_or_b32 exec_lo, exec_lo, s1
	s_and_b32 exec_lo, exec_lo, s3
	s_cbranch_execnz .LBB126_71
	s_branch .LBB126_72
.LBB126_92:
	s_nop 0
	s_sendmsg sendmsg(MSG_DEALLOC_VGPRS)
	s_endpgm
	.section	.rodata,"a",@progbits
	.p2align	6, 0x0
	.amdhsa_kernel _Z12wvSplitK_hf_I6__halfLi64ELi4ELi16ELi8ELi2ELi4EEviiiiiiPKT_S3_S3_PS1_ii
		.amdhsa_group_segment_fixed_size 65536
		.amdhsa_private_segment_fixed_size 0
		.amdhsa_kernarg_size 64
		.amdhsa_user_sgpr_count 15
		.amdhsa_user_sgpr_dispatch_ptr 0
		.amdhsa_user_sgpr_queue_ptr 0
		.amdhsa_user_sgpr_kernarg_segment_ptr 1
		.amdhsa_user_sgpr_dispatch_id 0
		.amdhsa_user_sgpr_private_segment_size 0
		.amdhsa_wavefront_size32 1
		.amdhsa_uses_dynamic_stack 0
		.amdhsa_enable_private_segment 0
		.amdhsa_system_sgpr_workgroup_id_x 1
		.amdhsa_system_sgpr_workgroup_id_y 0
		.amdhsa_system_sgpr_workgroup_id_z 0
		.amdhsa_system_sgpr_workgroup_info 0
		.amdhsa_system_vgpr_workitem_id 1
		.amdhsa_next_free_vgpr 112
		.amdhsa_next_free_sgpr 35
		.amdhsa_reserve_vcc 1
		.amdhsa_float_round_mode_32 0
		.amdhsa_float_round_mode_16_64 0
		.amdhsa_float_denorm_mode_32 3
		.amdhsa_float_denorm_mode_16_64 3
		.amdhsa_dx10_clamp 1
		.amdhsa_ieee_mode 1
		.amdhsa_fp16_overflow 0
		.amdhsa_workgroup_processor_mode 1
		.amdhsa_memory_ordered 1
		.amdhsa_forward_progress 0
		.amdhsa_shared_vgpr_count 0
		.amdhsa_exception_fp_ieee_invalid_op 0
		.amdhsa_exception_fp_denorm_src 0
		.amdhsa_exception_fp_ieee_div_zero 0
		.amdhsa_exception_fp_ieee_overflow 0
		.amdhsa_exception_fp_ieee_underflow 0
		.amdhsa_exception_fp_ieee_inexact 0
		.amdhsa_exception_int_div_zero 0
	.end_amdhsa_kernel
	.section	.text._Z12wvSplitK_hf_I6__halfLi64ELi4ELi16ELi8ELi2ELi4EEviiiiiiPKT_S3_S3_PS1_ii,"axG",@progbits,_Z12wvSplitK_hf_I6__halfLi64ELi4ELi16ELi8ELi2ELi4EEviiiiiiPKT_S3_S3_PS1_ii,comdat
.Lfunc_end126:
	.size	_Z12wvSplitK_hf_I6__halfLi64ELi4ELi16ELi8ELi2ELi4EEviiiiiiPKT_S3_S3_PS1_ii, .Lfunc_end126-_Z12wvSplitK_hf_I6__halfLi64ELi4ELi16ELi8ELi2ELi4EEviiiiiiPKT_S3_S3_PS1_ii
                                        ; -- End function
	.section	.AMDGPU.csdata,"",@progbits
; Kernel info:
; codeLenInByte = 9016
; NumSgprs: 37
; NumVgprs: 112
; ScratchSize: 0
; MemoryBound: 0
; FloatMode: 240
; IeeeMode: 1
; LDSByteSize: 65536 bytes/workgroup (compile time only)
; SGPRBlocks: 4
; VGPRBlocks: 13
; NumSGPRsForWavesPerEU: 37
; NumVGPRsForWavesPerEU: 112
; Occupancy: 12
; WaveLimiterHint : 0
; COMPUTE_PGM_RSRC2:SCRATCH_EN: 0
; COMPUTE_PGM_RSRC2:USER_SGPR: 15
; COMPUTE_PGM_RSRC2:TRAP_HANDLER: 0
; COMPUTE_PGM_RSRC2:TGID_X_EN: 1
; COMPUTE_PGM_RSRC2:TGID_Y_EN: 0
; COMPUTE_PGM_RSRC2:TGID_Z_EN: 0
; COMPUTE_PGM_RSRC2:TIDIG_COMP_CNT: 1
	.section	.text._Z16wvSplitK_hf_big_I6__halfLi64ELi4ELi16ELi8ELi2ELi4EEviiiiiiPKT_S3_S3_PS1_ii,"axG",@progbits,_Z16wvSplitK_hf_big_I6__halfLi64ELi4ELi16ELi8ELi2ELi4EEviiiiiiPKT_S3_S3_PS1_ii,comdat
	.protected	_Z16wvSplitK_hf_big_I6__halfLi64ELi4ELi16ELi8ELi2ELi4EEviiiiiiPKT_S3_S3_PS1_ii ; -- Begin function _Z16wvSplitK_hf_big_I6__halfLi64ELi4ELi16ELi8ELi2ELi4EEviiiiiiPKT_S3_S3_PS1_ii
	.globl	_Z16wvSplitK_hf_big_I6__halfLi64ELi4ELi16ELi8ELi2ELi4EEviiiiiiPKT_S3_S3_PS1_ii
	.p2align	8
	.type	_Z16wvSplitK_hf_big_I6__halfLi64ELi4ELi16ELi8ELi2ELi4EEviiiiiiPKT_S3_S3_PS1_ii,@function
_Z16wvSplitK_hf_big_I6__halfLi64ELi4ELi16ELi8ELi2ELi4EEviiiiiiPKT_S3_S3_PS1_ii: ; @_Z16wvSplitK_hf_big_I6__halfLi64ELi4ELi16ELi8ELi2ELi4EEviiiiiiPKT_S3_S3_PS1_ii
; %bb.0:
	s_load_b64 s[20:21], s[0:1], 0x38
	v_bfe_u32 v5, v0, 10, 10
	s_mov_b32 s2, exec_lo
	s_waitcnt lgkmcnt(0)
	s_delay_alu instid0(VALU_DEP_1)
	v_cmpx_gt_u32_e64 s20, v5
	s_cbranch_execz .LBB127_72
; %bb.1:
	s_load_b128 s[16:19], s[0:1], 0x0
	s_mul_i32 s15, s15, s20
	s_mov_b32 s4, 1
	v_add_lshl_u32 v69, s15, v5, 2
	s_mov_b32 s5, s4
	s_mov_b32 s6, s4
	;; [unrolled: 1-line block ×3, first 2 shown]
	s_delay_alu instid0(VALU_DEP_1) | instskip(SKIP_2) | instid1(VALU_DEP_2)
	v_add_nc_u32_e32 v1, 4, v69
	s_waitcnt lgkmcnt(0)
	v_cmp_gt_u32_e32 vcc_lo, s19, v69
	v_cmp_le_u32_e64 s2, s19, v1
	v_dual_mov_b32 v1, s4 :: v_dual_mov_b32 v4, s7
	v_dual_mov_b32 v2, s5 :: v_dual_mov_b32 v3, s6
	s_delay_alu instid0(VALU_DEP_3) | instskip(NEXT) | instid1(SALU_CYCLE_1)
	s_and_b32 s2, vcc_lo, s2
	s_and_saveexec_b32 s8, s2
	s_cbranch_execz .LBB127_7
; %bb.2:
	v_dual_mov_b32 v1, s4 :: v_dual_mov_b32 v2, s5
	v_dual_mov_b32 v3, s6 :: v_dual_mov_b32 v4, s7
	s_add_i32 s9, s19, -4
	s_mov_b32 s10, exec_lo
	v_cmpx_ne_u32_e64 s9, v69
	s_cbranch_execz .LBB127_6
; %bb.3:
	v_subrev_nc_u32_e32 v1, s9, v69
	s_mov_b32 s11, 0
	s_mov_b64 s[2:3], 0
	s_mov_b32 s5, s4
	s_mov_b32 s6, s4
	v_cmp_lt_u32_e32 vcc_lo, 1, v1
	s_mov_b32 s7, s4
	v_cndmask_b32_e32 v6, 1, v1, vcc_lo
	.p2align	6
.LBB127_4:                              ; =>This Inner Loop Header: Depth=1
	s_cmp_lg_u32 s2, 3
	s_cselect_b32 s7, s7, 0
	s_cmp_lg_u32 s2, 2
	s_cselect_b32 s6, s6, 0
	;; [unrolled: 2-line block ×4, first 2 shown]
	s_add_u32 s2, s2, 1
	v_dual_mov_b32 v1, s4 :: v_dual_mov_b32 v2, s5
	v_cmp_eq_u32_e32 vcc_lo, s2, v6
	v_dual_mov_b32 v3, s6 :: v_dual_mov_b32 v4, s7
	s_addc_u32 s3, s3, 0
	s_or_b32 s11, vcc_lo, s11
	s_delay_alu instid0(SALU_CYCLE_1)
	s_and_not1_b32 exec_lo, exec_lo, s11
	s_cbranch_execnz .LBB127_4
; %bb.5:
	s_or_b32 exec_lo, exec_lo, s11
	v_mov_b32_e32 v69, s9
.LBB127_6:
	s_or_b32 exec_lo, exec_lo, s10
.LBB127_7:
	s_delay_alu instid0(SALU_CYCLE_1)
	s_or_b32 exec_lo, exec_lo, s8
	s_lshl_b32 s2, s20, 2
	s_abs_i32 s6, s19
	s_abs_i32 s3, s2
	s_mov_b32 s23, 0
	v_cvt_f32_u32_e32 v6, s3
	s_sub_i32 s5, 0, s3
	s_delay_alu instid0(VALU_DEP_1) | instskip(SKIP_2) | instid1(VALU_DEP_1)
	v_rcp_iflag_f32_e32 v6, v6
	s_waitcnt_depctr 0xfff
	v_mul_f32_e32 v6, 0x4f7ffffe, v6
	v_cvt_u32_f32_e32 v6, v6
	s_delay_alu instid0(VALU_DEP_1) | instskip(NEXT) | instid1(VALU_DEP_1)
	v_readfirstlane_b32 s4, v6
	s_mul_i32 s5, s5, s4
	s_delay_alu instid0(SALU_CYCLE_1) | instskip(NEXT) | instid1(SALU_CYCLE_1)
	s_mul_hi_u32 s5, s4, s5
	s_add_i32 s4, s4, s5
	s_ashr_i32 s5, s19, 31
	s_mul_hi_u32 s4, s6, s4
	s_delay_alu instid0(SALU_CYCLE_1) | instskip(NEXT) | instid1(SALU_CYCLE_1)
	s_mul_i32 s4, s4, s3
	s_sub_i32 s4, s6, s4
	s_delay_alu instid0(SALU_CYCLE_1) | instskip(SKIP_2) | instid1(SALU_CYCLE_1)
	s_sub_i32 s6, s4, s3
	s_cmp_ge_u32 s4, s3
	s_cselect_b32 s4, s6, s4
	s_sub_i32 s6, s4, s3
	s_cmp_ge_u32 s4, s3
	s_cselect_b32 s3, s6, s4
	s_add_i32 s2, s2, s19
	s_xor_b32 s3, s3, s5
	s_delay_alu instid0(SALU_CYCLE_1) | instskip(NEXT) | instid1(SALU_CYCLE_1)
	s_sub_i32 s3, s3, s5
	s_sub_i32 s2, s2, s3
	s_cmp_eq_u32 s3, 0
	s_cselect_b32 s22, s19, s2
	s_delay_alu instid0(SALU_CYCLE_1)
	v_cmp_gt_u32_e32 vcc_lo, s22, v69
	s_and_b32 exec_lo, exec_lo, vcc_lo
	s_cbranch_execz .LBB127_72
; %bb.8:
	s_load_b256 s[8:15], s[0:1], 0x10
	s_min_u32 s24, s18, 0x2000
	s_cmp_lg_u32 s16, 0
	s_mul_i32 s2, s21, s20
	s_cselect_b32 s25, -1, 0
	s_cmp_lg_u32 s18, 0
	v_dual_mov_b32 v71, 0 :: v_dual_and_b32 v0, 0x3ff, v0
	s_cselect_b32 s21, -1, 0
	s_lshl_b32 s26, s20, 9
	s_add_i32 s27, s16, -8
	s_add_i32 s28, s19, -1
	s_lshl_b32 s29, s2, 2
	s_load_b64 s[6:7], s[0:1], 0x30
	v_lshlrev_b32_e32 v82, 3, v0
	v_cmp_eq_u32_e64 s0, 63, v0
	v_lshlrev_b32_e32 v0, 4, v0
	v_mbcnt_lo_u32_b32 v81, -1, 0
	s_waitcnt lgkmcnt(0)
	s_cmp_lg_u64 s[14:15], 0
	s_delay_alu instid0(VALU_DEP_2)
	v_lshl_add_u32 v83, v5, 10, v0
	s_cselect_b32 s30, -1, 0
	s_abs_i32 s2, s9
	v_lshl_add_u32 v0, v5, 9, v82
	v_cvt_f32_u32_e32 v6, s2
	v_cvt_f32_u32_e32 v7, s8
	s_sub_i32 s3, 0, s2
	s_add_i32 s31, s19, -4
	s_sub_i32 s4, 0, s8
	v_rcp_iflag_f32_e32 v6, v6
	v_rcp_iflag_f32_e32 v7, v7
	s_sub_i32 s5, 1, s2
	v_mad_u64_u32 v[72:73], null, s18, 3, v[0:1]
	v_lshl_add_u32 v84, s18, 1, v0
	s_mul_i32 s9, s24, 6
	s_waitcnt_depctr 0xfff
	v_dual_mul_f32 v6, 0x4f7ffffe, v6 :: v_dual_add_nc_u32 v85, s18, v0
	s_delay_alu instid0(VALU_DEP_1) | instskip(NEXT) | instid1(VALU_DEP_1)
	v_cvt_u32_f32_e32 v6, v6
	v_readfirstlane_b32 s1, v6
	v_mul_f32_e32 v6, 0x4f7ffffe, v7
	s_delay_alu instid0(VALU_DEP_2) | instskip(NEXT) | instid1(VALU_DEP_1)
	s_mul_i32 s3, s3, s1
	v_cvt_u32_f32_e32 v6, v6
	s_mul_hi_u32 s3, s1, s3
	s_delay_alu instid0(SALU_CYCLE_1) | instskip(SKIP_1) | instid1(VALU_DEP_1)
	s_add_i32 s1, s1, s3
	s_cmp_lt_u32 s2, 2
	v_mul_lo_u32 v5, s4, v6
	s_cselect_b32 s3, s5, 1
	s_delay_alu instid0(SALU_CYCLE_1)
	s_sub_i32 s5, s3, s2
	s_cmp_ge_u32 s3, s2
	s_cselect_b32 s33, s5, s3
	s_lshr_b32 s3, s1, 31
	s_mul_hi_u32 s1, s1, 3
	s_mul_i32 s3, s3, s2
	s_mul_i32 s1, s1, s2
	s_sub_i32 s3, 2, s3
	v_mul_hi_u32 v5, v6, v5
	s_sub_i32 s4, s3, s2
	s_cmp_ge_u32 s3, s2
	s_mul_i32 s33, s33, s8
	s_cselect_b32 s3, s4, s3
	s_delay_alu instid0(SALU_CYCLE_1) | instskip(SKIP_1) | instid1(VALU_DEP_1)
	s_sub_i32 s4, s3, s2
	s_cmp_ge_u32 s3, s2
	v_add_nc_u32_e32 v86, v6, v5
	s_cselect_b32 s34, s4, s3
	s_sub_i32 s1, 3, s1
	s_mul_i32 s34, s34, s8
	s_sub_i32 s3, s1, s2
	s_cmp_ge_u32 s1, s2
	s_cselect_b32 s1, s3, s1
	s_delay_alu instid0(SALU_CYCLE_1)
	s_sub_i32 s3, s1, s2
	s_cmp_ge_u32 s1, s2
	s_cselect_b32 s38, s3, s1
	s_add_u32 s35, s6, 2
	s_addc_u32 s36, s7, 0
	s_lshl_b32 s20, s20, 10
	s_lshl_b32 s37, s24, 2
	s_mul_i32 s38, s38, s8
	s_lshl_b32 s39, s24, 1
	s_branch .LBB127_12
.LBB127_9:                              ;   in Loop: Header=BB127_12 Depth=1
	s_or_b32 exec_lo, exec_lo, s42
	v_mov_b32_e32 v69, s31
.LBB127_10:                             ;   in Loop: Header=BB127_12 Depth=1
	s_or_b32 exec_lo, exec_lo, s41
.LBB127_11:                             ;   in Loop: Header=BB127_12 Depth=1
	s_delay_alu instid0(SALU_CYCLE_1) | instskip(NEXT) | instid1(VALU_DEP_1)
	s_or_b32 exec_lo, exec_lo, s40
	v_cmp_le_u32_e32 vcc_lo, s22, v69
	s_or_b32 s23, vcc_lo, s23
	s_delay_alu instid0(SALU_CYCLE_1)
	s_and_not1_b32 exec_lo, exec_lo, s23
	s_cbranch_execz .LBB127_72
.LBB127_12:                             ; =>This Loop Header: Depth=1
                                        ;     Child Loop BB127_17 Depth 2
                                        ;       Child Loop BB127_22 Depth 3
                                        ;     Child Loop BB127_55 Depth 2
	v_mov_b32_e32 v102, v71
	v_mov_b32_e32 v101, v71
	;; [unrolled: 1-line block ×16, first 2 shown]
	s_and_not1_b32 vcc_lo, exec_lo, s25
	s_mov_b32 s3, 0
	s_cbranch_vccnz .LBB127_29
; %bb.13:                               ;   in Loop: Header=BB127_12 Depth=1
	v_dual_mov_b32 v95, 0 :: v_dual_add_nc_u32 v6, 2, v69
	v_add_nc_u32_e32 v5, 1, v69
	v_add_nc_u32_e32 v7, 3, v69
	v_min_u32_e32 v8, s28, v69
	s_delay_alu instid0(VALU_DEP_4) | instskip(SKIP_2) | instid1(VALU_DEP_4)
	v_min_u32_e32 v6, s28, v6
	v_dual_mov_b32 v10, v71 :: v_dual_mov_b32 v91, 0
	v_cmp_gt_u32_e64 s1, s19, v69
	v_mul_lo_u32 v70, v8, s17
	v_mov_b32_e32 v8, v71
	v_min_u32_e32 v9, s28, v7
	v_mul_lo_u32 v7, v6, s17
	v_mov_b32_e32 v6, v71
	v_min_u32_e32 v5, s28, v5
	v_dual_mov_b32 v94, 0 :: v_dual_mov_b32 v89, 0
	v_mul_lo_u32 v9, v9, s17
	v_lshlrev_b64 v[73:74], 1, v[70:71]
	s_delay_alu instid0(VALU_DEP_4)
	v_mul_lo_u32 v5, v5, s17
	v_lshlrev_b64 v[77:78], 1, v[7:8]
	v_dual_mov_b32 v96, 0 :: v_dual_mov_b32 v87, 0
	v_dual_mov_b32 v90, 0 :: v_dual_mov_b32 v93, 0
	v_lshlrev_b64 v[79:80], 1, v[9:10]
	v_dual_mov_b32 v88, 0 :: v_dual_mov_b32 v97, 0
	v_lshlrev_b64 v[75:76], 1, v[5:6]
	v_dual_mov_b32 v92, 0 :: v_dual_mov_b32 v99, 0
	v_dual_mov_b32 v98, 0 :: v_dual_mov_b32 v101, 0
	v_mov_b32_e32 v100, 0
	v_mov_b32_e32 v102, 0
	s_mov_b32 s4, 0
	s_branch .LBB127_17
.LBB127_14:                             ;   in Loop: Header=BB127_17 Depth=2
	s_or_b32 exec_lo, exec_lo, s40
.LBB127_15:                             ;   in Loop: Header=BB127_17 Depth=2
	s_delay_alu instid0(SALU_CYCLE_1)
	s_or_b32 exec_lo, exec_lo, s5
	s_waitcnt vmcnt(7) lgkmcnt(3)
	;;#ASMSTART
	v_dot2_f32_f16 v102, v65, v49, v102
	;;#ASMEND
	s_waitcnt vmcnt(6)
	;;#ASMSTART
	v_dot2_f32_f16 v101, v65, v41, v101
	;;#ASMEND
	s_waitcnt vmcnt(5)
	;; [unrolled: 4-line block ×3, first 2 shown]
	;;#ASMSTART
	v_dot2_f32_f16 v99, v65, v37, v99
	;;#ASMEND
	s_waitcnt lgkmcnt(2)
	;;#ASMSTART
	v_dot2_f32_f16 v98, v61, v49, v98
	;;#ASMEND
	;;#ASMSTART
	v_dot2_f32_f16 v97, v61, v41, v97
	;;#ASMEND
	;;#ASMSTART
	v_dot2_f32_f16 v93, v61, v45, v93
	;;#ASMEND
	;;#ASMSTART
	v_dot2_f32_f16 v92, v61, v37, v92
	;;#ASMEND
	s_waitcnt lgkmcnt(1)
	;;#ASMSTART
	v_dot2_f32_f16 v94, v57, v49, v94
	;;#ASMEND
	;;#ASMSTART
	v_dot2_f32_f16 v96, v57, v41, v96
	;;#ASMEND
	;;#ASMSTART
	v_dot2_f32_f16 v95, v57, v45, v95
	;;#ASMEND
	;; [unrolled: 13-line block ×3, first 2 shown]
	;;#ASMSTART
	v_dot2_f32_f16 v87, v53, v37, v87
	;;#ASMEND
	;;#ASMSTART
	v_dot2_f32_f16 v102, v66, v50, v102
	;;#ASMEND
	;; [unrolled: 3-line block ×49, first 2 shown]
	s_waitcnt vmcnt(3)
	;;#ASMSTART
	v_dot2_f32_f16 v102, v33, v17, v102
	;;#ASMEND
	s_waitcnt vmcnt(2)
	;;#ASMSTART
	v_dot2_f32_f16 v101, v33, v13, v101
	;;#ASMEND
	;; [unrolled: 4-line block ×4, first 2 shown]
	;;#ASMSTART
	v_dot2_f32_f16 v98, v29, v17, v98
	;;#ASMEND
	;;#ASMSTART
	v_dot2_f32_f16 v97, v29, v13, v97
	;;#ASMEND
	;; [unrolled: 3-line block ×60, first 2 shown]
.LBB127_16:                             ;   in Loop: Header=BB127_17 Depth=2
	s_or_b32 exec_lo, exec_lo, s2
	s_addk_i32 s4, 0x400
	s_delay_alu instid0(SALU_CYCLE_1)
	s_cmp_ge_u32 s4, s16
	s_cbranch_scc1 .LBB127_29
.LBB127_17:                             ;   Parent Loop BB127_12 Depth=1
                                        ; =>  This Loop Header: Depth=2
                                        ;       Child Loop BB127_22 Depth 3
	s_cmp_eq_u32 s4, 0
	s_cselect_b32 s5, -1, 0
	s_add_i32 s2, s3, s24
	s_delay_alu instid0(SALU_CYCLE_1) | instskip(SKIP_1) | instid1(SALU_CYCLE_1)
	s_cmp_eq_u32 s4, s2
	s_cselect_b32 s40, -1, 0
	s_or_b32 s40, s5, s40
	s_delay_alu instid0(SALU_CYCLE_1)
	s_and_not1_b32 vcc_lo, exec_lo, s40
	s_cbranch_vccz .LBB127_19
; %bb.18:                               ;   in Loop: Header=BB127_17 Depth=2
	s_and_saveexec_b32 s2, s1
	s_cbranch_execz .LBB127_16
	s_branch .LBB127_26
.LBB127_19:                             ;   in Loop: Header=BB127_17 Depth=2
	s_and_b32 s5, s5, exec_lo
	s_cselect_b32 s3, s3, s2
	s_and_not1_b32 vcc_lo, exec_lo, s21
	s_waitcnt vmcnt(0) lgkmcnt(0)
	s_waitcnt_vscnt null, 0x0
	s_barrier
	buffer_gl0_inv
	s_cbranch_vccnz .LBB127_25
; %bb.20:                               ;   in Loop: Header=BB127_17 Depth=2
	v_add_nc_u32_e32 v5, s3, v84
	v_dual_mov_b32 v9, v83 :: v_dual_add_nc_u32 v6, s3, v72
	v_add_nc_u32_e32 v7, s3, v85
	v_add_nc_u32_e32 v8, s3, v0
	s_mov_b32 s5, 0
	s_mov_b32 s40, 0
                                        ; implicit-def: $sgpr41
	s_branch .LBB127_22
.LBB127_21:                             ;   in Loop: Header=BB127_22 Depth=3
	s_or_b32 exec_lo, exec_lo, s2
	s_delay_alu instid0(SALU_CYCLE_1) | instskip(NEXT) | instid1(SALU_CYCLE_1)
	s_and_b32 s2, exec_lo, s41
	s_or_b32 s5, s2, s5
	s_delay_alu instid0(SALU_CYCLE_1)
	s_and_not1_b32 exec_lo, exec_lo, s5
	s_cbranch_execz .LBB127_24
.LBB127_22:                             ;   Parent Loop BB127_12 Depth=1
                                        ;     Parent Loop BB127_17 Depth=2
                                        ; =>    This Inner Loop Header: Depth=3
	s_delay_alu instid0(VALU_DEP_1) | instskip(SKIP_2) | instid1(VALU_DEP_2)
	v_add_nc_u32_e32 v70, s40, v8
	v_add_nc_u32_e32 v10, s40, v0
	s_or_b32 s41, s41, exec_lo
	v_cmp_gt_u32_e32 vcc_lo, s18, v70
	s_delay_alu instid0(VALU_DEP_2) | instskip(NEXT) | instid1(VALU_DEP_1)
	v_cmp_gt_u32_e64 s2, s24, v10
	s_and_b32 s42, s2, vcc_lo
	s_delay_alu instid0(SALU_CYCLE_1)
	s_and_saveexec_b32 s2, s42
	s_cbranch_execz .LBB127_21
; %bb.23:                               ;   in Loop: Header=BB127_22 Depth=3
	v_lshlrev_b64 v[10:11], 1, v[70:71]
	v_add_nc_u32_e32 v70, s40, v7
	v_add_nc_u32_e32 v26, s39, v9
	;; [unrolled: 1-line block ×3, first 2 shown]
	s_delay_alu instid0(VALU_DEP_3) | instskip(SKIP_3) | instid1(VALU_DEP_3)
	v_lshlrev_b64 v[12:13], 1, v[70:71]
	v_add_nc_u32_e32 v70, s40, v5
	v_add_co_u32 v10, vcc_lo, s12, v10
	v_add_co_ci_u32_e32 v11, vcc_lo, s13, v11, vcc_lo
	v_lshlrev_b64 v[18:19], 1, v[70:71]
	v_add_nc_u32_e32 v70, s40, v6
	v_add_co_u32 v14, vcc_lo, s12, v12
	v_add_co_ci_u32_e32 v15, vcc_lo, s13, v13, vcc_lo
	s_delay_alu instid0(VALU_DEP_3)
	v_lshlrev_b64 v[20:21], 1, v[70:71]
	v_add_co_u32 v18, vcc_lo, s12, v18
	v_add_co_ci_u32_e32 v19, vcc_lo, s13, v19, vcc_lo
	s_clause 0x1
	global_load_b128 v[10:13], v[10:11], off
	global_load_b128 v[14:17], v[14:15], off
	v_add_co_u32 v22, vcc_lo, s12, v20
	v_add_co_ci_u32_e32 v23, vcc_lo, s13, v21, vcc_lo
	s_clause 0x1
	global_load_b128 v[18:21], v[18:19], off
	global_load_b128 v[22:25], v[22:23], off
	s_add_i32 s40, s40, s26
	s_waitcnt vmcnt(3)
	ds_store_b128 v9, v[10:13]
	s_waitcnt vmcnt(2)
	ds_store_2addr_b64 v26, v[14:15], v[16:17] offset1:1
	s_cmp_ge_u32 s40, s24
	v_add_nc_u32_e32 v10, s9, v9
	s_cselect_b32 s42, -1, 0
	v_add_nc_u32_e32 v9, s20, v9
	s_and_not1_b32 s41, s41, exec_lo
	s_and_b32 s42, s42, exec_lo
	s_waitcnt vmcnt(1)
	ds_store_2addr_b32 v27, v18, v19 offset1:1
	ds_store_2addr_b32 v27, v20, v21 offset0:2 offset1:3
	s_or_b32 s41, s41, s42
	s_waitcnt vmcnt(0)
	ds_store_2addr_b64 v10, v[22:23], v[24:25] offset1:1
	s_branch .LBB127_21
.LBB127_24:                             ;   in Loop: Header=BB127_17 Depth=2
	s_or_b32 exec_lo, exec_lo, s5
.LBB127_25:                             ;   in Loop: Header=BB127_17 Depth=2
	s_waitcnt lgkmcnt(0)
	s_barrier
	buffer_gl0_inv
	s_and_saveexec_b32 s2, s1
	s_cbranch_execz .LBB127_16
.LBB127_26:                             ;   in Loop: Header=BB127_17 Depth=2
	v_dual_mov_b32 v66, 0 :: v_dual_add_nc_u32 v103, s4, v82
	v_dual_mov_b32 v67, 0 :: v_dual_mov_b32 v68, 0
	s_waitcnt lgkmcnt(4)
	v_dual_mov_b32 v33, 0 :: v_dual_mov_b32 v34, 0
	s_delay_alu instid0(VALU_DEP_3) | instskip(SKIP_2) | instid1(VALU_DEP_3)
	v_min_u32_e32 v70, s27, v103
	v_dual_mov_b32 v65, 0 :: v_dual_add_nc_u32 v104, 0x200, v103
	v_dual_mov_b32 v35, 0 :: v_dual_mov_b32 v36, 0
	v_lshlrev_b64 v[5:6], 1, v[70:71]
	s_delay_alu instid0(VALU_DEP_3) | instskip(SKIP_2) | instid1(VALU_DEP_4)
	v_min_u32_e32 v70, s27, v104
	v_dual_mov_b32 v61, 0 :: v_dual_mov_b32 v62, 0
	v_dual_mov_b32 v63, 0 :: v_dual_mov_b32 v64, 0
	v_add_co_u32 v13, vcc_lo, s10, v5
	v_add_co_ci_u32_e32 v14, vcc_lo, s11, v6, vcc_lo
	v_lshlrev_b64 v[5:6], 1, v[70:71]
	s_delay_alu instid0(VALU_DEP_3) | instskip(NEXT) | instid1(VALU_DEP_3)
	v_add_co_u32 v7, vcc_lo, v13, v73
	v_add_co_ci_u32_e32 v8, vcc_lo, v14, v74, vcc_lo
	v_add_co_u32 v9, vcc_lo, v13, v75
	v_add_co_ci_u32_e32 v10, vcc_lo, v14, v76, vcc_lo
	s_waitcnt lgkmcnt(2)
	v_add_co_u32 v11, vcc_lo, v13, v77
	v_add_co_ci_u32_e32 v12, vcc_lo, v14, v78, vcc_lo
	v_add_co_u32 v15, vcc_lo, s10, v5
	v_add_co_ci_u32_e32 v16, vcc_lo, s11, v6, vcc_lo
	;; [unrolled: 2-line block ×3, first 2 shown]
	s_clause 0x1
	global_load_b128 v[49:52], v[7:8], off slc dlc
	global_load_b128 v[41:44], v[9:10], off slc dlc
	v_add_co_u32 v7, vcc_lo, v15, v73
	v_add_co_ci_u32_e32 v8, vcc_lo, v16, v74, vcc_lo
	v_add_co_u32 v9, vcc_lo, v15, v75
	v_add_co_ci_u32_e32 v10, vcc_lo, v16, v76, vcc_lo
	;; [unrolled: 2-line block ×4, first 2 shown]
	s_clause 0x1
	global_load_b128 v[45:48], v[11:12], off slc dlc
	global_load_b128 v[37:40], v[5:6], off slc dlc
	s_waitcnt lgkmcnt(0)
	s_clause 0x3
	global_load_b128 v[17:20], v[7:8], off slc dlc
	global_load_b128 v[13:16], v[9:10], off slc dlc
	global_load_b128 v[9:12], v[21:22], off slc dlc
	global_load_b128 v[5:8], v[23:24], off slc dlc
	v_cmp_gt_u32_e32 vcc_lo, s16, v103
	v_dual_mov_b32 v29, 0 :: v_dual_mov_b32 v30, 0
	v_dual_mov_b32 v31, 0 :: v_dual_mov_b32 v32, 0
	;; [unrolled: 1-line block ×6, first 2 shown]
	s_waitcnt vmcnt(22)
	v_dual_mov_b32 v53, 0 :: v_dual_mov_b32 v54, 0
	v_dual_mov_b32 v55, 0 :: v_dual_mov_b32 v56, 0
	;; [unrolled: 1-line block ×4, first 2 shown]
	s_and_saveexec_b32 s5, vcc_lo
	s_cbranch_execz .LBB127_15
; %bb.27:                               ;   in Loop: Header=BB127_17 Depth=2
	v_subrev_nc_u32_e32 v21, s3, v103
	v_cmp_gt_u32_e32 vcc_lo, s16, v104
	v_dual_mov_b32 v28, 0 :: v_dual_mov_b32 v27, 0
	v_dual_mov_b32 v26, 0 :: v_dual_mov_b32 v25, 0
	s_delay_alu instid0(VALU_DEP_4) | instskip(SKIP_1) | instid1(VALU_DEP_2)
	v_dual_mov_b32 v23, 0 :: v_dual_lshlrev_b32 v106, 1, v21
	v_dual_mov_b32 v32, 0 :: v_dual_mov_b32 v31, 0
	v_dual_mov_b32 v24, 0 :: v_dual_add_nc_u32 v105, s39, v106
	v_dual_mov_b32 v30, 0 :: v_dual_mov_b32 v29, 0
	v_dual_mov_b32 v36, 0 :: v_dual_mov_b32 v35, 0
	s_delay_alu instid0(VALU_DEP_3) | instskip(SKIP_1) | instid1(VALU_DEP_2)
	v_dual_mov_b32 v22, 0 :: v_dual_add_nc_u32 v103, s39, v105
	v_dual_mov_b32 v34, 0 :: v_dual_mov_b32 v33, 0
	v_dual_mov_b32 v21, 0 :: v_dual_add_nc_u32 v70, s39, v103
	ds_load_b128 v[65:68], v106
	ds_load_b128 v[61:64], v105
	;; [unrolled: 1-line block ×4, first 2 shown]
	s_and_saveexec_b32 s40, vcc_lo
	s_cbranch_execz .LBB127_14
; %bb.28:                               ;   in Loop: Header=BB127_17 Depth=2
	ds_load_b128 v[33:36], v106 offset:1024
	ds_load_b128 v[29:32], v105 offset:1024
	;; [unrolled: 1-line block ×4, first 2 shown]
	s_branch .LBB127_14
.LBB127_29:                             ;   in Loop: Header=BB127_12 Depth=1
	s_mov_b32 s1, exec_lo
	v_cmpx_le_u32_e64 s19, v69
	s_xor_b32 s1, exec_lo, s1
; %bb.30:                               ;   in Loop: Header=BB127_12 Depth=1
	v_add_nc_u32_e32 v69, s29, v69
                                        ; implicit-def: $vgpr102
                                        ; implicit-def: $vgpr101
                                        ; implicit-def: $vgpr100
                                        ; implicit-def: $vgpr99
                                        ; implicit-def: $vgpr98
                                        ; implicit-def: $vgpr97
                                        ; implicit-def: $vgpr93
                                        ; implicit-def: $vgpr92
                                        ; implicit-def: $vgpr87
                                        ; implicit-def: $vgpr88
                                        ; implicit-def: $vgpr89
                                        ; implicit-def: $vgpr90
                                        ; implicit-def: $vgpr91
                                        ; implicit-def: $vgpr95
                                        ; implicit-def: $vgpr96
                                        ; implicit-def: $vgpr94
; %bb.31:                               ;   in Loop: Header=BB127_12 Depth=1
	s_and_not1_saveexec_b32 s40, s1
	s_cbranch_execz .LBB127_11
; %bb.32:                               ;   in Loop: Header=BB127_12 Depth=1
	v_cvt_i32_f32_e32 v5, v102
	v_xor_b32_e32 v6, 16, v81
	v_cvt_i32_f32_e32 v10, v98
	s_waitcnt lgkmcnt(2)
	v_cvt_i32_f32_e32 v11, v97
	v_cvt_i32_f32_e32 v7, v101
	v_cvt_f32_i32_dpp v5, v5 row_shr:8 row_mask:0xf bank_mask:0xf bound_ctrl:1
	v_cmp_gt_i32_e32 vcc_lo, 32, v6
	v_cvt_f32_i32_dpp v10, v10 row_shr:8 row_mask:0xf bank_mask:0xf bound_ctrl:1
	v_cvt_f32_i32_dpp v11, v11 row_shr:8 row_mask:0xf bank_mask:0xf bound_ctrl:1
	v_cvt_i32_f32_e32 v8, v100
	v_dual_add_f32 v5, v102, v5 :: v_dual_cndmask_b32 v6, v81, v6
	s_delay_alu instid0(VALU_DEP_3) | instskip(SKIP_1) | instid1(VALU_DEP_3)
	v_dual_add_f32 v10, v98, v10 :: v_dual_add_f32 v11, v97, v11
	v_cvt_i32_f32_e32 v9, v99
	v_cvt_i32_f32_e32 v12, v5
	v_cvt_f32_i32_dpp v7, v7 row_shr:8 row_mask:0xf bank_mask:0xf bound_ctrl:1
	s_delay_alu instid0(VALU_DEP_4)
	v_cvt_i32_f32_e32 v15, v10
	v_cvt_f32_i32_dpp v8, v8 row_shr:8 row_mask:0xf bank_mask:0xf bound_ctrl:1
	v_cvt_f32_i32_dpp v9, v9 row_shr:8 row_mask:0xf bank_mask:0xf bound_ctrl:1
	;; [unrolled: 1-line block ×3, first 2 shown]
	v_cvt_i32_f32_e32 v16, v11
	v_cvt_f32_i32_dpp v15, v15 row_shr:4 row_mask:0xf bank_mask:0xf bound_ctrl:1
	v_dual_add_f32 v7, v101, v7 :: v_dual_lshlrev_b32 v6, 2, v6
	s_delay_alu instid0(VALU_DEP_4) | instskip(SKIP_3) | instid1(VALU_DEP_4)
	v_add_f32_e32 v5, v5, v12
	v_dual_add_f32 v8, v100, v8 :: v_dual_add_f32 v9, v99, v9
	v_cvt_f32_i32_dpp v16, v16 row_shr:4 row_mask:0xf bank_mask:0xf bound_ctrl:1
	v_add_f32_e32 v10, v10, v15
	v_cvt_i32_f32_e32 v17, v5
	v_cvt_i32_f32_e32 v13, v7
	;; [unrolled: 1-line block ×4, first 2 shown]
	v_add_f32_e32 v11, v11, v16
	v_cvt_f32_i32_dpp v17, v17 row_shr:2 row_mask:0xf bank_mask:0xf bound_ctrl:1
	v_cvt_f32_i32_dpp v13, v13 row_shr:4 row_mask:0xf bank_mask:0xf bound_ctrl:1
	;; [unrolled: 1-line block ×4, first 2 shown]
	v_cvt_i32_f32_e32 v16, v10
	v_add_f32_e32 v5, v5, v17
	v_cvt_i32_f32_e32 v17, v11
	v_dual_add_f32 v7, v7, v13 :: v_dual_add_f32 v8, v8, v12
	s_delay_alu instid0(VALU_DEP_4) | instskip(NEXT) | instid1(VALU_DEP_3)
	v_cvt_f32_i32_dpp v16, v16 row_shr:2 row_mask:0xf bank_mask:0xf bound_ctrl:1
	v_cvt_f32_i32_dpp v17, v17 row_shr:2 row_mask:0xf bank_mask:0xf bound_ctrl:1
	v_add_f32_e32 v9, v9, v14
	s_delay_alu instid0(VALU_DEP_4) | instskip(SKIP_2) | instid1(VALU_DEP_4)
	v_cvt_i32_f32_e32 v12, v7
	v_cvt_i32_f32_e32 v13, v8
	;; [unrolled: 1-line block ×4, first 2 shown]
	s_delay_alu instid0(VALU_DEP_4) | instskip(NEXT) | instid1(VALU_DEP_4)
	v_cvt_f32_i32_dpp v12, v12 row_shr:2 row_mask:0xf bank_mask:0xf bound_ctrl:1
	v_cvt_f32_i32_dpp v13, v13 row_shr:2 row_mask:0xf bank_mask:0xf bound_ctrl:1
	s_delay_alu instid0(VALU_DEP_4) | instskip(NEXT) | instid1(VALU_DEP_4)
	v_cvt_f32_i32_dpp v14, v14 row_shr:1 row_mask:0xf bank_mask:0xf bound_ctrl:1
	v_cvt_f32_i32_dpp v15, v15 row_shr:2 row_mask:0xf bank_mask:0xf bound_ctrl:1
	s_delay_alu instid0(VALU_DEP_2) | instskip(SKIP_1) | instid1(VALU_DEP_3)
	v_add_f32_e32 v37, v5, v14
	v_add_f32_e32 v5, v7, v12
	v_dual_add_f32 v7, v8, v13 :: v_dual_add_f32 v8, v9, v15
	v_dual_add_f32 v9, v10, v16 :: v_dual_add_f32 v10, v11, v17
	s_delay_alu instid0(VALU_DEP_2) | instskip(NEXT) | instid1(VALU_DEP_2)
	v_cvt_i32_f32_e32 v13, v8
	v_cvt_i32_f32_e32 v14, v9
	s_delay_alu instid0(VALU_DEP_3) | instskip(NEXT) | instid1(VALU_DEP_3)
	v_cvt_i32_f32_e32 v15, v10
	v_cvt_f32_i32_dpp v13, v13 row_shr:1 row_mask:0xf bank_mask:0xf bound_ctrl:1
	s_delay_alu instid0(VALU_DEP_3) | instskip(NEXT) | instid1(VALU_DEP_3)
	v_cvt_f32_i32_dpp v14, v14 row_shr:1 row_mask:0xf bank_mask:0xf bound_ctrl:1
	v_cvt_f32_i32_dpp v15, v15 row_shr:1 row_mask:0xf bank_mask:0xf bound_ctrl:1
	s_delay_alu instid0(VALU_DEP_2) | instskip(SKIP_2) | instid1(VALU_DEP_4)
	v_add_f32_e32 v14, v9, v14
	v_cvt_i32_f32_e32 v9, v94
	v_cvt_i32_f32_e32 v11, v5
	v_add_f32_e32 v10, v10, v15
	ds_bpermute_b32 v17, v6, v14
	v_cvt_f32_i32_dpp v9, v9 row_shr:8 row_mask:0xf bank_mask:0xf bound_ctrl:1
	v_cvt_f32_i32_dpp v11, v11 row_shr:1 row_mask:0xf bank_mask:0xf bound_ctrl:1
	s_delay_alu instid0(VALU_DEP_1)
	v_dual_add_f32 v9, v94, v9 :: v_dual_add_f32 v32, v5, v11
	v_cvt_i32_f32_e32 v12, v7
	v_cvt_i32_f32_e32 v5, v93
	;; [unrolled: 1-line block ×3, first 2 shown]
	s_waitcnt lgkmcnt(1)
	v_cvt_i32_f32_e32 v18, v9
	ds_bpermute_b32 v35, v6, v32
	v_cvt_f32_i32_dpp v12, v12 row_shr:1 row_mask:0xf bank_mask:0xf bound_ctrl:1
	v_cvt_f32_i32_dpp v5, v5 row_shr:8 row_mask:0xf bank_mask:0xf bound_ctrl:1
	;; [unrolled: 1-line block ×4, first 2 shown]
	s_delay_alu instid0(VALU_DEP_1) | instskip(NEXT) | instid1(VALU_DEP_1)
	v_add_f32_e32 v9, v9, v18
	v_cvt_i32_f32_e32 v18, v9
	s_delay_alu instid0(VALU_DEP_1) | instskip(NEXT) | instid1(VALU_DEP_1)
	v_cvt_f32_i32_dpp v18, v18 row_shr:2 row_mask:0xf bank_mask:0xf bound_ctrl:1
	v_add_f32_e32 v9, v9, v18
	s_delay_alu instid0(VALU_DEP_1) | instskip(NEXT) | instid1(VALU_DEP_1)
	v_cvt_i32_f32_e32 v18, v9
	v_cvt_f32_i32_dpp v18, v18 row_shr:1 row_mask:0xf bank_mask:0xf bound_ctrl:1
	v_add_f32_e32 v7, v7, v12
	v_cvt_i32_f32_e32 v12, v95
	s_delay_alu instid0(VALU_DEP_1)
	v_cvt_f32_i32_dpp v12, v12 row_shr:8 row_mask:0xf bank_mask:0xf bound_ctrl:1
	v_add_f32_e32 v21, v8, v13
	v_cvt_i32_f32_e32 v8, v92
	ds_bpermute_b32 v13, v6, v10
	v_add_f32_e32 v12, v95, v12
	ds_bpermute_b32 v24, v6, v21
	v_cvt_f32_i32_dpp v8, v8 row_shr:8 row_mask:0xf bank_mask:0xf bound_ctrl:1
	v_cvt_i32_f32_e32 v20, v12
	s_delay_alu instid0(VALU_DEP_2) | instskip(SKIP_3) | instid1(VALU_DEP_2)
	v_add_f32_e32 v8, v92, v8
	ds_bpermute_b32 v38, v6, v37
	v_cvt_f32_i32_dpp v20, v20 row_shr:4 row_mask:0xf bank_mask:0xf bound_ctrl:1
	v_cvt_i32_f32_e32 v16, v8
	v_add_f32_e32 v12, v12, v20
	s_delay_alu instid0(VALU_DEP_2) | instskip(SKIP_1) | instid1(VALU_DEP_3)
	v_cvt_f32_i32_dpp v16, v16 row_shr:4 row_mask:0xf bank_mask:0xf bound_ctrl:1
	v_add_f32_e32 v5, v93, v5
	v_cvt_i32_f32_e32 v20, v12
	s_delay_alu instid0(VALU_DEP_3) | instskip(NEXT) | instid1(VALU_DEP_3)
	v_add_f32_e32 v8, v8, v16
	v_cvt_i32_f32_e32 v15, v5
	s_delay_alu instid0(VALU_DEP_3) | instskip(NEXT) | instid1(VALU_DEP_3)
	v_cvt_f32_i32_dpp v20, v20 row_shr:2 row_mask:0xf bank_mask:0xf bound_ctrl:1
	v_cvt_i32_f32_e32 v16, v8
	s_delay_alu instid0(VALU_DEP_3) | instskip(NEXT) | instid1(VALU_DEP_3)
	v_cvt_f32_i32_dpp v15, v15 row_shr:4 row_mask:0xf bank_mask:0xf bound_ctrl:1
	v_add_f32_e32 v12, v12, v20
	s_delay_alu instid0(VALU_DEP_3) | instskip(NEXT) | instid1(VALU_DEP_3)
	v_cvt_f32_i32_dpp v16, v16 row_shr:2 row_mask:0xf bank_mask:0xf bound_ctrl:1
	v_add_f32_e32 v5, v5, v15
	s_delay_alu instid0(VALU_DEP_3) | instskip(NEXT) | instid1(VALU_DEP_3)
	v_cvt_i32_f32_e32 v20, v12
	v_add_f32_e32 v8, v8, v16
	s_delay_alu instid0(VALU_DEP_3) | instskip(NEXT) | instid1(VALU_DEP_3)
	v_cvt_i32_f32_e32 v15, v5
	v_cvt_f32_i32_dpp v22, v20 row_shr:1 row_mask:0xf bank_mask:0xf bound_ctrl:1
	v_add_f32_e32 v20, v9, v18
	v_cvt_i32_f32_e32 v18, v87
	s_delay_alu instid0(VALU_DEP_4)
	v_cvt_f32_i32_dpp v15, v15 row_shr:2 row_mask:0xf bank_mask:0xf bound_ctrl:1
	v_cvt_i32_f32_e32 v16, v8
	ds_bpermute_b32 v29, v6, v7
	ds_bpermute_b32 v23, v6, v20
	v_cvt_f32_i32_dpp v18, v18 row_shr:8 row_mask:0xf bank_mask:0xf bound_ctrl:1
	v_add_f32_e32 v5, v5, v15
	v_cvt_f32_i32_dpp v16, v16 row_shr:1 row_mask:0xf bank_mask:0xf bound_ctrl:1
	s_delay_alu instid0(VALU_DEP_3) | instskip(NEXT) | instid1(VALU_DEP_3)
	v_add_f32_e32 v18, v87, v18
	v_cvt_i32_f32_e32 v15, v5
	s_delay_alu instid0(VALU_DEP_2) | instskip(NEXT) | instid1(VALU_DEP_2)
	v_cvt_i32_f32_e32 v31, v18
	v_cvt_f32_i32_dpp v15, v15 row_shr:1 row_mask:0xf bank_mask:0xf bound_ctrl:1
	s_delay_alu instid0(VALU_DEP_2) | instskip(NEXT) | instid1(VALU_DEP_1)
	v_cvt_f32_i32_dpp v31, v31 row_shr:4 row_mask:0xf bank_mask:0xf bound_ctrl:1
	v_add_f32_e32 v18, v18, v31
	s_delay_alu instid0(VALU_DEP_1) | instskip(NEXT) | instid1(VALU_DEP_1)
	v_cvt_i32_f32_e32 v31, v18
	v_cvt_f32_i32_dpp v31, v31 row_shr:2 row_mask:0xf bank_mask:0xf bound_ctrl:1
	v_add_f32_e32 v27, v8, v16
	v_cvt_i32_f32_e32 v8, v90
	s_delay_alu instid0(VALU_DEP_3) | instskip(SKIP_4) | instid1(VALU_DEP_3)
	v_add_f32_e32 v18, v18, v31
	ds_bpermute_b32 v30, v6, v27
	v_cvt_f32_i32_dpp v8, v8 row_shr:8 row_mask:0xf bank_mask:0xf bound_ctrl:1
	v_add_f32_e32 v11, v96, v11
	v_cvt_i32_f32_e32 v31, v18
	v_add_f32_e32 v8, v90, v8
	s_delay_alu instid0(VALU_DEP_3) | instskip(SKIP_1) | instid1(VALU_DEP_3)
	v_cvt_i32_f32_e32 v19, v11
	s_waitcnt vmcnt(0)
	v_cvt_f32_i32_dpp v39, v31 row_shr:1 row_mask:0xf bank_mask:0xf bound_ctrl:1
	v_add_f32_e32 v9, v12, v22
	v_cvt_i32_f32_e32 v25, v8
	v_cvt_f32_i32_dpp v19, v19 row_shr:4 row_mask:0xf bank_mask:0xf bound_ctrl:1
	s_delay_alu instid0(VALU_DEP_2) | instskip(NEXT) | instid1(VALU_DEP_1)
	v_cvt_f32_i32_dpp v25, v25 row_shr:4 row_mask:0xf bank_mask:0xf bound_ctrl:1
	v_dual_add_f32 v11, v11, v19 :: v_dual_add_f32 v8, v8, v25
	s_delay_alu instid0(VALU_DEP_1) | instskip(NEXT) | instid1(VALU_DEP_2)
	v_cvt_i32_f32_e32 v19, v11
	v_cvt_i32_f32_e32 v25, v8
	s_delay_alu instid0(VALU_DEP_2) | instskip(NEXT) | instid1(VALU_DEP_2)
	v_cvt_f32_i32_dpp v19, v19 row_shr:2 row_mask:0xf bank_mask:0xf bound_ctrl:1
	v_cvt_f32_i32_dpp v25, v25 row_shr:2 row_mask:0xf bank_mask:0xf bound_ctrl:1
	s_delay_alu instid0(VALU_DEP_1) | instskip(NEXT) | instid1(VALU_DEP_1)
	v_dual_add_f32 v11, v11, v19 :: v_dual_add_f32 v8, v8, v25
	v_cvt_i32_f32_e32 v19, v11
	s_delay_alu instid0(VALU_DEP_2) | instskip(NEXT) | instid1(VALU_DEP_2)
	v_cvt_i32_f32_e32 v25, v8
	v_cvt_f32_i32_dpp v19, v19 row_shr:1 row_mask:0xf bank_mask:0xf bound_ctrl:1
	s_delay_alu instid0(VALU_DEP_2) | instskip(SKIP_1) | instid1(VALU_DEP_3)
	v_cvt_f32_i32_dpp v25, v25 row_shr:1 row_mask:0xf bank_mask:0xf bound_ctrl:1
	v_add_f32_e32 v33, v5, v15
	v_add_f32_e32 v16, v11, v19
	v_cvt_i32_f32_e32 v5, v91
	v_cvt_i32_f32_e32 v11, v89
	;; [unrolled: 1-line block ×3, first 2 shown]
	ds_bpermute_b32 v19, v6, v16
	v_cvt_f32_i32_dpp v5, v5 row_shr:8 row_mask:0xf bank_mask:0xf bound_ctrl:1
	v_cvt_f32_i32_dpp v11, v11 row_shr:8 row_mask:0xf bank_mask:0xf bound_ctrl:1
	;; [unrolled: 1-line block ×3, first 2 shown]
	s_delay_alu instid0(VALU_DEP_3) | instskip(NEXT) | instid1(VALU_DEP_3)
	v_add_f32_e32 v5, v91, v5
	v_add_f32_e32 v11, v89, v11
	s_delay_alu instid0(VALU_DEP_2) | instskip(NEXT) | instid1(VALU_DEP_2)
	v_cvt_i32_f32_e32 v22, v5
	v_cvt_i32_f32_e32 v26, v11
	s_delay_alu instid0(VALU_DEP_2) | instskip(NEXT) | instid1(VALU_DEP_2)
	v_cvt_f32_i32_dpp v22, v22 row_shr:4 row_mask:0xf bank_mask:0xf bound_ctrl:1
	v_cvt_f32_i32_dpp v26, v26 row_shr:4 row_mask:0xf bank_mask:0xf bound_ctrl:1
	s_delay_alu instid0(VALU_DEP_2) | instskip(NEXT) | instid1(VALU_DEP_2)
	v_add_f32_e32 v5, v5, v22
	v_add_f32_e32 v11, v11, v26
	s_delay_alu instid0(VALU_DEP_2) | instskip(NEXT) | instid1(VALU_DEP_2)
	v_cvt_i32_f32_e32 v22, v5
	v_cvt_i32_f32_e32 v26, v11
	s_delay_alu instid0(VALU_DEP_2) | instskip(NEXT) | instid1(VALU_DEP_2)
	v_cvt_f32_i32_dpp v22, v22 row_shr:2 row_mask:0xf bank_mask:0xf bound_ctrl:1
	v_cvt_f32_i32_dpp v26, v26 row_shr:2 row_mask:0xf bank_mask:0xf bound_ctrl:1
	s_delay_alu instid0(VALU_DEP_2) | instskip(NEXT) | instid1(VALU_DEP_2)
	v_add_f32_e32 v5, v5, v22
	v_add_f32_e32 v11, v11, v26
	s_delay_alu instid0(VALU_DEP_2) | instskip(NEXT) | instid1(VALU_DEP_2)
	v_cvt_i32_f32_e32 v22, v5
	v_cvt_i32_f32_e32 v26, v11
	s_delay_alu instid0(VALU_DEP_2) | instskip(NEXT) | instid1(VALU_DEP_2)
	v_cvt_f32_i32_dpp v22, v22 row_shr:1 row_mask:0xf bank_mask:0xf bound_ctrl:1
	v_cvt_f32_i32_dpp v34, v26 row_shr:1 row_mask:0xf bank_mask:0xf bound_ctrl:1
	v_add_f32_e32 v26, v8, v25
	v_add_f32_e32 v15, v88, v15
	s_delay_alu instid0(VALU_DEP_4) | instskip(NEXT) | instid1(VALU_DEP_4)
	v_dual_add_f32 v8, v18, v39 :: v_dual_add_f32 v31, v5, v22
	v_add_f32_e32 v22, v11, v34
	ds_bpermute_b32 v36, v6, v33
	v_cvt_i32_f32_e32 v28, v15
	ds_bpermute_b32 v12, v6, v9
	ds_bpermute_b32 v34, v6, v31
	;; [unrolled: 1-line block ×4, first 2 shown]
	v_cvt_f32_i32_dpp v28, v28 row_shr:4 row_mask:0xf bank_mask:0xf bound_ctrl:1
	s_delay_alu instid0(VALU_DEP_1) | instskip(NEXT) | instid1(VALU_DEP_1)
	v_add_f32_e32 v15, v15, v28
	v_cvt_i32_f32_e32 v28, v15
	s_delay_alu instid0(VALU_DEP_1) | instskip(NEXT) | instid1(VALU_DEP_1)
	v_cvt_f32_i32_dpp v28, v28 row_shr:2 row_mask:0xf bank_mask:0xf bound_ctrl:1
	v_add_f32_e32 v15, v15, v28
	s_delay_alu instid0(VALU_DEP_1) | instskip(NEXT) | instid1(VALU_DEP_1)
	v_cvt_i32_f32_e32 v28, v15
	v_cvt_f32_i32_dpp v28, v28 row_shr:1 row_mask:0xf bank_mask:0xf bound_ctrl:1
	s_delay_alu instid0(VALU_DEP_1)
	v_add_f32_e32 v15, v15, v28
	ds_bpermute_b32 v28, v6, v26
	ds_bpermute_b32 v18, v6, v15
	s_and_saveexec_b32 s5, s0
	s_cbranch_execz .LBB127_52
; %bb.33:                               ;   in Loop: Header=BB127_12 Depth=1
	v_dual_mov_b32 v54, 0 :: v_dual_add_nc_u32 v5, 3, v69
	v_dual_mov_b32 v53, 0 :: v_dual_add_nc_u32 v6, 2, v69
	v_dual_mov_b32 v52, 0 :: v_dual_mov_b32 v51, 0
	v_dual_mov_b32 v50, 0 :: v_dual_mov_b32 v49, 0
	;; [unrolled: 1-line block ×7, first 2 shown]
	s_and_not1_b32 vcc_lo, exec_lo, s30
	s_cbranch_vccnz .LBB127_35
; %bb.34:                               ;   in Loop: Header=BB127_12 Depth=1
	v_mul_hi_u32 v39, v69, v86
	v_mul_hi_u32 v40, v6, v86
	v_add_nc_u32_e32 v41, 1, v69
	v_mul_hi_u32 v42, v5, v86
	v_mov_b32_e32 v64, v71
	v_mov_b32_e32 v56, v71
	;; [unrolled: 1-line block ×4, first 2 shown]
	v_mul_lo_u32 v39, v39, s8
	v_mul_lo_u32 v44, v40, s8
	v_mov_b32_e32 v40, v71
	v_mul_hi_u32 v43, v41, v86
	v_mul_lo_u32 v45, v42, s8
	v_mov_b32_e32 v58, v71
	v_sub_nc_u32_e32 v39, v69, v39
	v_sub_nc_u32_e32 v46, v6, v44
	v_mul_lo_u32 v43, v43, s8
	v_sub_nc_u32_e32 v45, v5, v45
	s_delay_alu instid0(VALU_DEP_4) | instskip(SKIP_1) | instid1(VALU_DEP_3)
	v_subrev_nc_u32_e32 v47, s8, v39
	v_cmp_le_u32_e32 vcc_lo, s8, v39
	v_subrev_nc_u32_e32 v48, s8, v45
	v_sub_nc_u32_e32 v41, v41, v43
	v_subrev_nc_u32_e32 v43, s8, v46
	v_cndmask_b32_e32 v39, v39, v47, vcc_lo
	v_cmp_le_u32_e32 vcc_lo, s8, v46
	v_mov_b32_e32 v42, v71
	v_subrev_nc_u32_e32 v47, s8, v41
	v_cndmask_b32_e32 v43, v46, v43, vcc_lo
	v_cmp_le_u32_e32 vcc_lo, s8, v45
	v_mov_b32_e32 v44, v71
	v_subrev_nc_u32_e32 v46, s8, v39
	v_cndmask_b32_e32 v45, v45, v48, vcc_lo
	v_cmp_le_u32_e32 vcc_lo, s8, v41
	s_delay_alu instid0(VALU_DEP_2)
	v_subrev_nc_u32_e32 v48, s8, v45
	v_cndmask_b32_e32 v47, v41, v47, vcc_lo
	v_cmp_le_u32_e32 vcc_lo, s8, v39
	v_subrev_nc_u32_e32 v41, s8, v43
	v_cndmask_b32_e32 v70, v39, v46, vcc_lo
	v_cmp_le_u32_e32 vcc_lo, s8, v43
	v_subrev_nc_u32_e32 v39, s8, v47
	s_delay_alu instid0(VALU_DEP_3) | instskip(SKIP_2) | instid1(VALU_DEP_3)
	v_add_nc_u32_e32 v61, s34, v70
	v_cndmask_b32_e32 v41, v43, v41, vcc_lo
	v_cmp_le_u32_e32 vcc_lo, s8, v45
	v_lshlrev_b64 v[61:62], 1, v[61:62]
	v_cndmask_b32_e32 v43, v45, v48, vcc_lo
	v_cmp_le_u32_e32 vcc_lo, s8, v47
	v_lshlrev_b64 v[45:46], 1, v[70:71]
	s_delay_alu instid0(VALU_DEP_3)
	v_lshlrev_b64 v[49:50], 1, v[43:44]
	v_add_nc_u32_e32 v44, s33, v70
	v_dual_cndmask_b32 v39, v47, v39 :: v_dual_add_nc_u32 v70, s38, v70
	v_lshlrev_b64 v[47:48], 1, v[41:42]
	v_add_co_u32 v53, vcc_lo, s14, v45
	v_mov_b32_e32 v45, v71
	s_delay_alu instid0(VALU_DEP_4) | instskip(SKIP_2) | instid1(VALU_DEP_4)
	v_lshlrev_b64 v[51:52], 1, v[39:40]
	v_add_co_ci_u32_e32 v54, vcc_lo, s15, v46, vcc_lo
	v_add_nc_u32_e32 v55, s33, v39
	v_lshlrev_b64 v[44:45], 1, v[44:45]
	v_add_nc_u32_e32 v57, s33, v41
	v_add_co_u32 v51, vcc_lo, s14, v51
	v_add_co_ci_u32_e32 v52, vcc_lo, s15, v52, vcc_lo
	v_add_co_u32 v46, vcc_lo, s14, v47
	v_add_co_ci_u32_e32 v47, vcc_lo, s15, v48, vcc_lo
	v_add_co_u32 v48, vcc_lo, s14, v49
	v_lshlrev_b64 v[55:56], 1, v[55:56]
	v_add_nc_u32_e32 v59, s33, v43
	v_add_co_ci_u32_e32 v49, vcc_lo, s15, v50, vcc_lo
	v_add_co_u32 v44, vcc_lo, s14, v44
	v_lshlrev_b64 v[57:58], 1, v[57:58]
	v_add_co_ci_u32_e32 v45, vcc_lo, s15, v45, vcc_lo
	v_add_co_u32 v55, vcc_lo, s14, v55
	v_lshlrev_b64 v[59:60], 1, v[59:60]
	v_add_co_ci_u32_e32 v56, vcc_lo, s15, v56, vcc_lo
	v_add_co_u32 v57, vcc_lo, s14, v57
	v_add_co_ci_u32_e32 v58, vcc_lo, s15, v58, vcc_lo
	v_add_nc_u32_e32 v63, s34, v39
	v_add_co_u32 v59, vcc_lo, s14, v59
	v_add_co_ci_u32_e32 v60, vcc_lo, s15, v60, vcc_lo
	s_clause 0x7
	global_load_u16 v54, v[53:54], off
	global_load_u16 v53, v[51:52], off
	;; [unrolled: 1-line block ×8, first 2 shown]
	v_dual_mov_b32 v58, v71 :: v_dual_add_nc_u32 v57, s34, v41
	v_add_co_u32 v59, vcc_lo, s14, v61
	v_lshlrev_b64 v[55:56], 1, v[63:64]
	v_add_co_ci_u32_e32 v60, vcc_lo, s15, v62, vcc_lo
	v_dual_mov_b32 v62, v71 :: v_dual_add_nc_u32 v61, s34, v43
	v_lshlrev_b64 v[57:58], 1, v[57:58]
	s_delay_alu instid0(VALU_DEP_4) | instskip(SKIP_1) | instid1(VALU_DEP_4)
	v_add_co_u32 v55, vcc_lo, s14, v55
	v_add_co_ci_u32_e32 v56, vcc_lo, s15, v56, vcc_lo
	v_lshlrev_b64 v[61:62], 1, v[61:62]
	s_delay_alu instid0(VALU_DEP_4)
	v_add_co_u32 v57, vcc_lo, s14, v57
	v_lshlrev_b64 v[63:64], 1, v[70:71]
	v_add_nc_u32_e32 v70, s38, v39
	v_add_co_ci_u32_e32 v58, vcc_lo, s15, v58, vcc_lo
	v_add_co_u32 v39, vcc_lo, s14, v61
	v_add_co_ci_u32_e32 v40, vcc_lo, s15, v62, vcc_lo
	s_delay_alu instid0(VALU_DEP_4) | instskip(SKIP_3) | instid1(VALU_DEP_3)
	v_lshlrev_b64 v[61:62], 1, v[70:71]
	v_add_nc_u32_e32 v70, s38, v41
	v_add_co_u32 v41, vcc_lo, s14, v63
	v_add_co_ci_u32_e32 v42, vcc_lo, s15, v64, vcc_lo
	v_lshlrev_b64 v[63:64], 1, v[70:71]
	v_add_nc_u32_e32 v70, s38, v43
	v_add_co_u32 v61, vcc_lo, s14, v61
	v_add_co_ci_u32_e32 v62, vcc_lo, s15, v62, vcc_lo
	s_delay_alu instid0(VALU_DEP_3) | instskip(SKIP_2) | instid1(VALU_DEP_3)
	v_lshlrev_b64 v[65:66], 1, v[70:71]
	v_add_co_u32 v63, vcc_lo, s14, v63
	v_add_co_ci_u32_e32 v64, vcc_lo, s15, v64, vcc_lo
	v_add_co_u32 v65, vcc_lo, s14, v65
	s_delay_alu instid0(VALU_DEP_4)
	v_add_co_ci_u32_e32 v66, vcc_lo, s15, v66, vcc_lo
	s_clause 0x7
	global_load_u16 v49, v[59:60], off
	global_load_u16 v47, v[55:56], off
	;; [unrolled: 1-line block ×8, first 2 shown]
.LBB127_35:                             ;   in Loop: Header=BB127_12 Depth=1
	v_cmp_ne_u32_e32 vcc_lo, 0, v1
	s_and_saveexec_b32 s2, vcc_lo
	s_cbranch_execnz .LBB127_57
; %bb.36:                               ;   in Loop: Header=BB127_12 Depth=1
	s_or_b32 exec_lo, exec_lo, s2
	v_cmp_ne_u32_e64 s1, 0, v2
	s_delay_alu instid0(VALU_DEP_1)
	s_and_saveexec_b32 s3, s1
	s_cbranch_execnz .LBB127_58
.LBB127_37:                             ;   in Loop: Header=BB127_12 Depth=1
	s_or_b32 exec_lo, exec_lo, s3
	v_cmp_ne_u32_e64 s2, 0, v3
	s_delay_alu instid0(VALU_DEP_1)
	s_and_saveexec_b32 s4, s2
	s_cbranch_execnz .LBB127_59
.LBB127_38:                             ;   in Loop: Header=BB127_12 Depth=1
	s_or_b32 exec_lo, exec_lo, s4
	v_cmp_ne_u32_e64 s3, 0, v4
	s_delay_alu instid0(VALU_DEP_1)
	s_and_saveexec_b32 s41, s3
	s_cbranch_execnz .LBB127_60
.LBB127_39:                             ;   in Loop: Header=BB127_12 Depth=1
	s_or_b32 exec_lo, exec_lo, s41
	v_add_nc_u32_e32 v70, s19, v69
	s_and_saveexec_b32 s41, vcc_lo
	s_cbranch_execnz .LBB127_61
.LBB127_40:                             ;   in Loop: Header=BB127_12 Depth=1
	s_or_b32 exec_lo, exec_lo, s41
	s_and_saveexec_b32 s41, s1
	s_cbranch_execnz .LBB127_62
.LBB127_41:                             ;   in Loop: Header=BB127_12 Depth=1
	s_or_b32 exec_lo, exec_lo, s41
	s_and_saveexec_b32 s41, s2
	s_cbranch_execnz .LBB127_63
.LBB127_42:                             ;   in Loop: Header=BB127_12 Depth=1
	s_or_b32 exec_lo, exec_lo, s41
	s_and_saveexec_b32 s41, s3
	s_cbranch_execnz .LBB127_64
.LBB127_43:                             ;   in Loop: Header=BB127_12 Depth=1
	s_or_b32 exec_lo, exec_lo, s41
	v_add_nc_u32_e32 v70, s19, v70
	s_and_saveexec_b32 s41, vcc_lo
	s_cbranch_execnz .LBB127_65
.LBB127_44:                             ;   in Loop: Header=BB127_12 Depth=1
	s_or_b32 exec_lo, exec_lo, s41
	s_and_saveexec_b32 s41, s1
	s_cbranch_execnz .LBB127_66
.LBB127_45:                             ;   in Loop: Header=BB127_12 Depth=1
	s_or_b32 exec_lo, exec_lo, s41
	s_and_saveexec_b32 s41, s2
	s_cbranch_execnz .LBB127_67
.LBB127_46:                             ;   in Loop: Header=BB127_12 Depth=1
	s_or_b32 exec_lo, exec_lo, s41
	s_and_saveexec_b32 s41, s3
	s_cbranch_execnz .LBB127_68
.LBB127_47:                             ;   in Loop: Header=BB127_12 Depth=1
	s_or_b32 exec_lo, exec_lo, s41
	v_add_nc_u32_e32 v70, s19, v70
	s_and_saveexec_b32 s4, vcc_lo
	s_cbranch_execnz .LBB127_69
.LBB127_48:                             ;   in Loop: Header=BB127_12 Depth=1
	s_or_b32 exec_lo, exec_lo, s4
	s_and_saveexec_b32 s4, s1
	s_cbranch_execnz .LBB127_70
.LBB127_49:                             ;   in Loop: Header=BB127_12 Depth=1
	s_or_b32 exec_lo, exec_lo, s4
	s_and_saveexec_b32 s1, s2
	s_cbranch_execnz .LBB127_71
.LBB127_50:                             ;   in Loop: Header=BB127_12 Depth=1
	s_or_b32 exec_lo, exec_lo, s1
	s_delay_alu instid0(SALU_CYCLE_1)
	s_and_b32 exec_lo, exec_lo, s3
	s_cbranch_execz .LBB127_52
.LBB127_51:                             ;   in Loop: Header=BB127_12 Depth=1
	s_waitcnt lgkmcnt(2)
	v_dual_add_f32 v5, v8, v11 :: v_dual_add_nc_u32 v70, 3, v70
	s_waitcnt vmcnt(0)
	v_cvt_f32_f16_e32 v6, v39
	s_delay_alu instid0(VALU_DEP_1) | instskip(NEXT) | instid1(VALU_DEP_3)
	v_add_f32_e32 v7, v5, v6
	v_lshlrev_b64 v[5:6], 1, v[70:71]
	s_delay_alu instid0(VALU_DEP_2) | instskip(NEXT) | instid1(VALU_DEP_2)
	v_cvt_f16_f32_e32 v7, v7
	v_add_co_u32 v5, vcc_lo, s6, v5
	s_delay_alu instid0(VALU_DEP_3)
	v_add_co_ci_u32_e32 v6, vcc_lo, s7, v6, vcc_lo
	global_store_b16 v[5:6], v7, off
.LBB127_52:                             ;   in Loop: Header=BB127_12 Depth=1
	s_or_b32 exec_lo, exec_lo, s5
	v_add_nc_u32_e32 v69, s29, v69
	s_delay_alu instid0(VALU_DEP_1) | instskip(SKIP_1) | instid1(VALU_DEP_2)
	v_add_nc_u32_e32 v5, 4, v69
	v_cmp_gt_u32_e32 vcc_lo, s19, v69
	v_cmp_le_u32_e64 s1, s19, v5
	s_delay_alu instid0(VALU_DEP_1) | instskip(NEXT) | instid1(SALU_CYCLE_1)
	s_and_b32 s1, vcc_lo, s1
	s_and_saveexec_b32 s41, s1
	s_cbranch_execz .LBB127_10
; %bb.53:                               ;   in Loop: Header=BB127_12 Depth=1
	s_mov_b32 s42, exec_lo
	v_cmpx_ne_u32_e64 s31, v69
	s_cbranch_execz .LBB127_9
; %bb.54:                               ;   in Loop: Header=BB127_12 Depth=1
	v_subrev_nc_u32_e32 v5, s31, v69
	s_mov_b32 s43, 0
	s_mov_b64 s[4:5], 0
	s_delay_alu instid0(VALU_DEP_1)
	v_cmp_lt_u32_e32 vcc_lo, 1, v5
	v_cndmask_b32_e32 v5, 1, v5, vcc_lo
	.p2align	6
.LBB127_55:                             ;   Parent Loop BB127_12 Depth=1
                                        ; =>  This Inner Loop Header: Depth=2
	s_cmp_lg_u32 s4, 3
	s_cselect_b32 vcc_lo, -1, 0
	s_cmp_lg_u32 s4, 2
	v_cndmask_b32_e32 v4, 0, v4, vcc_lo
	s_cselect_b32 s1, -1, 0
	s_cmp_lg_u32 s4, 1
	v_cndmask_b32_e64 v3, 0, v3, s1
	s_cselect_b32 s2, -1, 0
	s_cmp_lg_u32 s4, 0
	v_cndmask_b32_e64 v2, 0, v2, s2
	s_cselect_b32 s3, -1, 0
	s_add_u32 s4, s4, 1
	v_cndmask_b32_e64 v1, 0, v1, s3
	v_cmp_eq_u32_e32 vcc_lo, s4, v5
	s_addc_u32 s5, s5, 0
	s_or_b32 s43, vcc_lo, s43
	s_delay_alu instid0(SALU_CYCLE_1)
	s_and_not1_b32 exec_lo, exec_lo, s43
	s_cbranch_execnz .LBB127_55
; %bb.56:                               ;   in Loop: Header=BB127_12 Depth=1
	s_or_b32 exec_lo, exec_lo, s43
	s_branch .LBB127_9
.LBB127_57:                             ;   in Loop: Header=BB127_12 Depth=1
	s_waitcnt lgkmcnt(11)
	v_dual_add_f32 v37, v37, v38 :: v_dual_mov_b32 v70, v71
	s_waitcnt vmcnt(15)
	v_cvt_f32_f16_e32 v38, v54
	s_delay_alu instid0(VALU_DEP_1) | instskip(NEXT) | instid1(VALU_DEP_3)
	v_add_f32_e32 v54, v37, v38
	v_lshlrev_b64 v[37:38], 1, v[69:70]
	s_delay_alu instid0(VALU_DEP_2) | instskip(NEXT) | instid1(VALU_DEP_2)
	v_cvt_f16_f32_e32 v54, v54
	v_add_co_u32 v37, s1, s6, v37
	s_delay_alu instid0(VALU_DEP_1) | instskip(SKIP_3) | instid1(VALU_DEP_1)
	v_add_co_ci_u32_e64 v38, s1, s7, v38, s1
	global_store_b16 v[37:38], v54, off
	s_or_b32 exec_lo, exec_lo, s2
	v_cmp_ne_u32_e64 s1, 0, v2
	s_and_saveexec_b32 s3, s1
	s_cbranch_execz .LBB127_37
.LBB127_58:                             ;   in Loop: Header=BB127_12 Depth=1
	v_mov_b32_e32 v70, v71
	s_waitcnt lgkmcnt(14)
	v_add_f32_e32 v32, v32, v35
	s_waitcnt vmcnt(14)
	v_cvt_f32_f16_e32 v35, v53
	s_waitcnt lgkmcnt(11)
	v_lshlrev_b64 v[37:38], 1, v[69:70]
	s_delay_alu instid0(VALU_DEP_2) | instskip(NEXT) | instid1(VALU_DEP_2)
	v_add_f32_e32 v32, v32, v35
	v_add_co_u32 v37, s2, s35, v37
	s_delay_alu instid0(VALU_DEP_2) | instskip(NEXT) | instid1(VALU_DEP_4)
	v_cvt_f16_f32_e32 v32, v32
	v_add_co_ci_u32_e64 v38, s2, s36, v38, s2
	global_store_b16 v[37:38], v32, off
	s_or_b32 exec_lo, exec_lo, s3
	v_cmp_ne_u32_e64 s2, 0, v3
	s_delay_alu instid0(VALU_DEP_1)
	s_and_saveexec_b32 s4, s2
	s_cbranch_execz .LBB127_38
.LBB127_59:                             ;   in Loop: Header=BB127_12 Depth=1
	s_waitcnt lgkmcnt(10)
	v_add_f32_e32 v29, v7, v29
	v_mov_b32_e32 v7, v71
	s_waitcnt vmcnt(13)
	v_cvt_f32_f16_e32 v32, v52
	s_delay_alu instid0(VALU_DEP_2) | instskip(NEXT) | instid1(VALU_DEP_2)
	v_lshlrev_b64 v[6:7], 1, v[6:7]
	v_add_f32_e32 v29, v29, v32
	s_delay_alu instid0(VALU_DEP_1) | instskip(NEXT) | instid1(VALU_DEP_3)
	v_cvt_f16_f32_e32 v29, v29
	v_add_co_u32 v6, s3, s6, v6
	s_delay_alu instid0(VALU_DEP_1) | instskip(SKIP_3) | instid1(VALU_DEP_1)
	v_add_co_ci_u32_e64 v7, s3, s7, v7, s3
	global_store_b16 v[6:7], v29, off
	s_or_b32 exec_lo, exec_lo, s4
	v_cmp_ne_u32_e64 s3, 0, v4
	s_and_saveexec_b32 s41, s3
	s_cbranch_execz .LBB127_39
.LBB127_60:                             ;   in Loop: Header=BB127_12 Depth=1
	s_waitcnt lgkmcnt(12)
	v_dual_add_f32 v7, v21, v24 :: v_dual_mov_b32 v6, v71
	s_waitcnt vmcnt(12)
	v_cvt_f32_f16_e32 v21, v51
	s_delay_alu instid0(VALU_DEP_2) | instskip(NEXT) | instid1(VALU_DEP_2)
	v_lshlrev_b64 v[5:6], 1, v[5:6]
	v_add_f32_e32 v7, v7, v21
	s_delay_alu instid0(VALU_DEP_1) | instskip(NEXT) | instid1(VALU_DEP_3)
	v_cvt_f16_f32_e32 v7, v7
	v_add_co_u32 v5, s4, s6, v5
	s_delay_alu instid0(VALU_DEP_1)
	v_add_co_ci_u32_e64 v6, s4, s7, v6, s4
	global_store_b16 v[5:6], v7, off
	s_or_b32 exec_lo, exec_lo, s41
	v_add_nc_u32_e32 v70, s19, v69
	s_and_saveexec_b32 s41, vcc_lo
	s_cbranch_execz .LBB127_40
.LBB127_61:                             ;   in Loop: Header=BB127_12 Depth=1
	s_waitcnt lgkmcnt(15)
	v_add_f32_e32 v5, v14, v17
	s_waitcnt vmcnt(11)
	v_cvt_f32_f16_e32 v6, v50
	s_delay_alu instid0(VALU_DEP_1) | instskip(SKIP_1) | instid1(VALU_DEP_2)
	v_add_f32_e32 v7, v5, v6
	v_lshlrev_b64 v[5:6], 1, v[70:71]
	v_cvt_f16_f32_e32 v7, v7
	s_delay_alu instid0(VALU_DEP_2) | instskip(NEXT) | instid1(VALU_DEP_1)
	v_add_co_u32 v5, s4, s6, v5
	v_add_co_ci_u32_e64 v6, s4, s7, v6, s4
	global_store_b16 v[5:6], v7, off
	s_or_b32 exec_lo, exec_lo, s41
	s_and_saveexec_b32 s41, s1
	s_cbranch_execz .LBB127_41
.LBB127_62:                             ;   in Loop: Header=BB127_12 Depth=1
	s_waitcnt lgkmcnt(13)
	v_dual_add_f32 v7, v10, v13 :: v_dual_mov_b32 v6, v71
	v_add_nc_u32_e32 v5, 1, v70
	s_waitcnt vmcnt(10)
	v_cvt_f32_f16_e32 v10, v48
	s_delay_alu instid0(VALU_DEP_2) | instskip(NEXT) | instid1(VALU_DEP_2)
	v_lshlrev_b64 v[5:6], 1, v[5:6]
	v_add_f32_e32 v7, v7, v10
	s_delay_alu instid0(VALU_DEP_1) | instskip(NEXT) | instid1(VALU_DEP_3)
	v_cvt_f16_f32_e32 v7, v7
	v_add_co_u32 v5, s4, s6, v5
	s_delay_alu instid0(VALU_DEP_1)
	v_add_co_ci_u32_e64 v6, s4, s7, v6, s4
	global_store_b16 v[5:6], v7, off
	s_or_b32 exec_lo, exec_lo, s41
	s_and_saveexec_b32 s41, s2
	s_cbranch_execz .LBB127_42
.LBB127_63:                             ;   in Loop: Header=BB127_12 Depth=1
	s_waitcnt lgkmcnt(6)
	v_dual_add_f32 v7, v33, v36 :: v_dual_mov_b32 v6, v71
	v_add_nc_u32_e32 v5, 2, v70
	s_waitcnt vmcnt(9)
	v_cvt_f32_f16_e32 v10, v46
	s_delay_alu instid0(VALU_DEP_2) | instskip(NEXT) | instid1(VALU_DEP_2)
	v_lshlrev_b64 v[5:6], 1, v[5:6]
	v_add_f32_e32 v7, v7, v10
	s_delay_alu instid0(VALU_DEP_1) | instskip(NEXT) | instid1(VALU_DEP_3)
	v_cvt_f16_f32_e32 v7, v7
	v_add_co_u32 v5, s4, s6, v5
	s_delay_alu instid0(VALU_DEP_1)
	v_add_co_ci_u32_e64 v6, s4, s7, v6, s4
	global_store_b16 v[5:6], v7, off
	s_or_b32 exec_lo, exec_lo, s41
	s_and_saveexec_b32 s41, s3
	s_cbranch_execz .LBB127_43
.LBB127_64:                             ;   in Loop: Header=BB127_12 Depth=1
	v_dual_mov_b32 v6, v71 :: v_dual_add_nc_u32 v5, 3, v70
	s_waitcnt lgkmcnt(8)
	v_add_f32_e32 v7, v27, v30
	s_waitcnt vmcnt(8)
	v_cvt_f32_f16_e32 v10, v44
	v_lshlrev_b64 v[5:6], 1, v[5:6]
	s_delay_alu instid0(VALU_DEP_2) | instskip(NEXT) | instid1(VALU_DEP_2)
	v_add_f32_e32 v7, v7, v10
	v_add_co_u32 v5, s4, s6, v5
	s_delay_alu instid0(VALU_DEP_2) | instskip(NEXT) | instid1(VALU_DEP_4)
	v_cvt_f16_f32_e32 v7, v7
	v_add_co_ci_u32_e64 v6, s4, s7, v6, s4
	global_store_b16 v[5:6], v7, off
	s_or_b32 exec_lo, exec_lo, s41
	v_add_nc_u32_e32 v70, s19, v70
	s_and_saveexec_b32 s41, vcc_lo
	s_cbranch_execz .LBB127_44
.LBB127_65:                             ;   in Loop: Header=BB127_12 Depth=1
	s_waitcnt lgkmcnt(9)
	v_add_f32_e32 v5, v20, v23
	s_waitcnt vmcnt(7)
	v_cvt_f32_f16_e32 v6, v49
	s_delay_alu instid0(VALU_DEP_1) | instskip(SKIP_1) | instid1(VALU_DEP_2)
	v_add_f32_e32 v7, v5, v6
	v_lshlrev_b64 v[5:6], 1, v[70:71]
	v_cvt_f16_f32_e32 v7, v7
	s_delay_alu instid0(VALU_DEP_2) | instskip(NEXT) | instid1(VALU_DEP_1)
	v_add_co_u32 v5, s4, s6, v5
	v_add_co_ci_u32_e64 v6, s4, s7, v6, s4
	global_store_b16 v[5:6], v7, off
	s_or_b32 exec_lo, exec_lo, s41
	s_and_saveexec_b32 s41, s1
	s_cbranch_execz .LBB127_45
.LBB127_66:                             ;   in Loop: Header=BB127_12 Depth=1
	s_waitcnt lgkmcnt(7)
	v_dual_add_f32 v7, v16, v19 :: v_dual_mov_b32 v6, v71
	v_add_nc_u32_e32 v5, 1, v70
	s_waitcnt vmcnt(6)
	v_cvt_f32_f16_e32 v10, v47
	s_delay_alu instid0(VALU_DEP_2) | instskip(NEXT) | instid1(VALU_DEP_2)
	v_lshlrev_b64 v[5:6], 1, v[5:6]
	v_add_f32_e32 v7, v7, v10
	s_delay_alu instid0(VALU_DEP_1) | instskip(NEXT) | instid1(VALU_DEP_3)
	v_cvt_f16_f32_e32 v7, v7
	v_add_co_u32 v5, s4, s6, v5
	s_delay_alu instid0(VALU_DEP_1)
	v_add_co_ci_u32_e64 v6, s4, s7, v6, s4
	global_store_b16 v[5:6], v7, off
	s_or_b32 exec_lo, exec_lo, s41
	s_and_saveexec_b32 s41, s2
	s_cbranch_execz .LBB127_46
.LBB127_67:                             ;   in Loop: Header=BB127_12 Depth=1
	s_waitcnt lgkmcnt(5)
	v_dual_add_f32 v7, v9, v12 :: v_dual_mov_b32 v6, v71
	v_add_nc_u32_e32 v5, 2, v70
	s_waitcnt vmcnt(5)
	v_cvt_f32_f16_e32 v9, v45
	s_delay_alu instid0(VALU_DEP_2) | instskip(NEXT) | instid1(VALU_DEP_2)
	v_lshlrev_b64 v[5:6], 1, v[5:6]
	v_add_f32_e32 v7, v7, v9
	s_delay_alu instid0(VALU_DEP_1) | instskip(NEXT) | instid1(VALU_DEP_3)
	v_cvt_f16_f32_e32 v7, v7
	v_add_co_u32 v5, s4, s6, v5
	s_delay_alu instid0(VALU_DEP_1)
	v_add_co_ci_u32_e64 v6, s4, s7, v6, s4
	global_store_b16 v[5:6], v7, off
	s_or_b32 exec_lo, exec_lo, s41
	s_and_saveexec_b32 s41, s3
	s_cbranch_execz .LBB127_47
.LBB127_68:                             ;   in Loop: Header=BB127_12 Depth=1
	v_dual_mov_b32 v6, v71 :: v_dual_add_nc_u32 v5, 3, v70
	s_waitcnt lgkmcnt(4)
	v_add_f32_e32 v7, v31, v34
	s_waitcnt vmcnt(4)
	v_cvt_f32_f16_e32 v9, v43
	v_lshlrev_b64 v[5:6], 1, v[5:6]
	s_delay_alu instid0(VALU_DEP_2) | instskip(NEXT) | instid1(VALU_DEP_2)
	v_add_f32_e32 v7, v7, v9
	v_add_co_u32 v5, s4, s6, v5
	s_delay_alu instid0(VALU_DEP_2) | instskip(NEXT) | instid1(VALU_DEP_4)
	v_cvt_f16_f32_e32 v7, v7
	v_add_co_ci_u32_e64 v6, s4, s7, v6, s4
	global_store_b16 v[5:6], v7, off
	s_or_b32 exec_lo, exec_lo, s41
	v_add_nc_u32_e32 v70, s19, v70
	s_and_saveexec_b32 s4, vcc_lo
	s_cbranch_execz .LBB127_48
.LBB127_69:                             ;   in Loop: Header=BB127_12 Depth=1
	s_waitcnt lgkmcnt(1)
	v_add_f32_e32 v5, v26, v28
	s_waitcnt vmcnt(3)
	v_cvt_f32_f16_e32 v6, v42
	s_delay_alu instid0(VALU_DEP_1) | instskip(SKIP_1) | instid1(VALU_DEP_2)
	v_add_f32_e32 v7, v5, v6
	v_lshlrev_b64 v[5:6], 1, v[70:71]
	v_cvt_f16_f32_e32 v7, v7
	s_delay_alu instid0(VALU_DEP_2) | instskip(NEXT) | instid1(VALU_DEP_3)
	v_add_co_u32 v5, vcc_lo, s6, v5
	v_add_co_ci_u32_e32 v6, vcc_lo, s7, v6, vcc_lo
	global_store_b16 v[5:6], v7, off
	s_or_b32 exec_lo, exec_lo, s4
	s_and_saveexec_b32 s4, s1
	s_cbranch_execz .LBB127_49
.LBB127_70:                             ;   in Loop: Header=BB127_12 Depth=1
	s_waitcnt lgkmcnt(3)
	v_dual_add_f32 v7, v22, v25 :: v_dual_mov_b32 v6, v71
	v_add_nc_u32_e32 v5, 1, v70
	s_waitcnt vmcnt(2)
	v_cvt_f32_f16_e32 v9, v41
	s_delay_alu instid0(VALU_DEP_2) | instskip(NEXT) | instid1(VALU_DEP_2)
	v_lshlrev_b64 v[5:6], 1, v[5:6]
	v_add_f32_e32 v7, v7, v9
	s_delay_alu instid0(VALU_DEP_1) | instskip(NEXT) | instid1(VALU_DEP_3)
	v_cvt_f16_f32_e32 v7, v7
	v_add_co_u32 v5, vcc_lo, s6, v5
	s_delay_alu instid0(VALU_DEP_4)
	v_add_co_ci_u32_e32 v6, vcc_lo, s7, v6, vcc_lo
	global_store_b16 v[5:6], v7, off
	s_or_b32 exec_lo, exec_lo, s4
	s_and_saveexec_b32 s1, s2
	s_cbranch_execz .LBB127_50
.LBB127_71:                             ;   in Loop: Header=BB127_12 Depth=1
	v_dual_mov_b32 v6, v71 :: v_dual_add_nc_u32 v5, 2, v70
	s_waitcnt lgkmcnt(0)
	v_add_f32_e32 v7, v15, v18
	s_waitcnt vmcnt(1)
	v_cvt_f32_f16_e32 v9, v40
	v_lshlrev_b64 v[5:6], 1, v[5:6]
	s_delay_alu instid0(VALU_DEP_2) | instskip(NEXT) | instid1(VALU_DEP_2)
	v_add_f32_e32 v7, v7, v9
	v_add_co_u32 v5, vcc_lo, s6, v5
	s_delay_alu instid0(VALU_DEP_2) | instskip(NEXT) | instid1(VALU_DEP_4)
	v_cvt_f16_f32_e32 v7, v7
	v_add_co_ci_u32_e32 v6, vcc_lo, s7, v6, vcc_lo
	global_store_b16 v[5:6], v7, off
	s_or_b32 exec_lo, exec_lo, s1
	s_delay_alu instid0(SALU_CYCLE_1)
	s_and_b32 exec_lo, exec_lo, s3
	s_cbranch_execnz .LBB127_51
	s_branch .LBB127_52
.LBB127_72:
	s_nop 0
	s_sendmsg sendmsg(MSG_DEALLOC_VGPRS)
	s_endpgm
	.section	.rodata,"a",@progbits
	.p2align	6, 0x0
	.amdhsa_kernel _Z16wvSplitK_hf_big_I6__halfLi64ELi4ELi16ELi8ELi2ELi4EEviiiiiiPKT_S3_S3_PS1_ii
		.amdhsa_group_segment_fixed_size 65536
		.amdhsa_private_segment_fixed_size 0
		.amdhsa_kernarg_size 64
		.amdhsa_user_sgpr_count 15
		.amdhsa_user_sgpr_dispatch_ptr 0
		.amdhsa_user_sgpr_queue_ptr 0
		.amdhsa_user_sgpr_kernarg_segment_ptr 1
		.amdhsa_user_sgpr_dispatch_id 0
		.amdhsa_user_sgpr_private_segment_size 0
		.amdhsa_wavefront_size32 1
		.amdhsa_uses_dynamic_stack 0
		.amdhsa_enable_private_segment 0
		.amdhsa_system_sgpr_workgroup_id_x 1
		.amdhsa_system_sgpr_workgroup_id_y 0
		.amdhsa_system_sgpr_workgroup_id_z 0
		.amdhsa_system_sgpr_workgroup_info 0
		.amdhsa_system_vgpr_workitem_id 1
		.amdhsa_next_free_vgpr 107
		.amdhsa_next_free_sgpr 44
		.amdhsa_reserve_vcc 1
		.amdhsa_float_round_mode_32 0
		.amdhsa_float_round_mode_16_64 0
		.amdhsa_float_denorm_mode_32 3
		.amdhsa_float_denorm_mode_16_64 3
		.amdhsa_dx10_clamp 1
		.amdhsa_ieee_mode 1
		.amdhsa_fp16_overflow 0
		.amdhsa_workgroup_processor_mode 1
		.amdhsa_memory_ordered 1
		.amdhsa_forward_progress 0
		.amdhsa_shared_vgpr_count 0
		.amdhsa_exception_fp_ieee_invalid_op 0
		.amdhsa_exception_fp_denorm_src 0
		.amdhsa_exception_fp_ieee_div_zero 0
		.amdhsa_exception_fp_ieee_overflow 0
		.amdhsa_exception_fp_ieee_underflow 0
		.amdhsa_exception_fp_ieee_inexact 0
		.amdhsa_exception_int_div_zero 0
	.end_amdhsa_kernel
	.section	.text._Z16wvSplitK_hf_big_I6__halfLi64ELi4ELi16ELi8ELi2ELi4EEviiiiiiPKT_S3_S3_PS1_ii,"axG",@progbits,_Z16wvSplitK_hf_big_I6__halfLi64ELi4ELi16ELi8ELi2ELi4EEviiiiiiPKT_S3_S3_PS1_ii,comdat
.Lfunc_end127:
	.size	_Z16wvSplitK_hf_big_I6__halfLi64ELi4ELi16ELi8ELi2ELi4EEviiiiiiPKT_S3_S3_PS1_ii, .Lfunc_end127-_Z16wvSplitK_hf_big_I6__halfLi64ELi4ELi16ELi8ELi2ELi4EEviiiiiiPKT_S3_S3_PS1_ii
                                        ; -- End function
	.section	.AMDGPU.csdata,"",@progbits
; Kernel info:
; codeLenInByte = 8912
; NumSgprs: 46
; NumVgprs: 107
; ScratchSize: 0
; MemoryBound: 0
; FloatMode: 240
; IeeeMode: 1
; LDSByteSize: 65536 bytes/workgroup (compile time only)
; SGPRBlocks: 5
; VGPRBlocks: 13
; NumSGPRsForWavesPerEU: 46
; NumVGPRsForWavesPerEU: 107
; Occupancy: 12
; WaveLimiterHint : 0
; COMPUTE_PGM_RSRC2:SCRATCH_EN: 0
; COMPUTE_PGM_RSRC2:USER_SGPR: 15
; COMPUTE_PGM_RSRC2:TRAP_HANDLER: 0
; COMPUTE_PGM_RSRC2:TGID_X_EN: 1
; COMPUTE_PGM_RSRC2:TGID_Y_EN: 0
; COMPUTE_PGM_RSRC2:TGID_Z_EN: 0
; COMPUTE_PGM_RSRC2:TIDIG_COMP_CNT: 1
	.section	.text._Z16wvSplitK_hf_sml_I6__halfLi32ELi1ELi16ELi8ELi4ELi5EEviiiiiiPKT_S3_S3_PS1_ii,"axG",@progbits,_Z16wvSplitK_hf_sml_I6__halfLi32ELi1ELi16ELi8ELi4ELi5EEviiiiiiPKT_S3_S3_PS1_ii,comdat
	.protected	_Z16wvSplitK_hf_sml_I6__halfLi32ELi1ELi16ELi8ELi4ELi5EEviiiiiiPKT_S3_S3_PS1_ii ; -- Begin function _Z16wvSplitK_hf_sml_I6__halfLi32ELi1ELi16ELi8ELi4ELi5EEviiiiiiPKT_S3_S3_PS1_ii
	.globl	_Z16wvSplitK_hf_sml_I6__halfLi32ELi1ELi16ELi8ELi4ELi5EEviiiiiiPKT_S3_S3_PS1_ii
	.p2align	8
	.type	_Z16wvSplitK_hf_sml_I6__halfLi32ELi1ELi16ELi8ELi4ELi5EEviiiiiiPKT_S3_S3_PS1_ii,@function
_Z16wvSplitK_hf_sml_I6__halfLi32ELi1ELi16ELi8ELi4ELi5EEviiiiiiPKT_S3_S3_PS1_ii: ; @_Z16wvSplitK_hf_sml_I6__halfLi32ELi1ELi16ELi8ELi4ELi5EEviiiiiiPKT_S3_S3_PS1_ii
; %bb.0:
	s_load_b128 s[4:7], s[0:1], 0x0
	v_and_b32_e32 v1, 0x3ff, v0
	v_bfe_u32 v0, v0, 10, 10
	s_mov_b32 s8, exec_lo
	s_delay_alu instid0(VALU_DEP_2) | instskip(NEXT) | instid1(VALU_DEP_1)
	v_lshlrev_b32_e32 v98, 3, v1
	v_lshl_add_u32 v3, v0, 8, v98
	s_waitcnt lgkmcnt(0)
	s_mul_i32 s2, s6, 5
	s_delay_alu instid0(SALU_CYCLE_1)
	s_min_u32 s9, s2, 0x8000
	s_delay_alu instid0(VALU_DEP_1) | instid1(SALU_CYCLE_1)
	v_cmpx_gt_u32_e64 s9, v3
	s_cbranch_execz .LBB128_9
; %bb.1:
	s_load_b64 s[2:3], s[0:1], 0x20
	v_lshlrev_b32_e32 v2, 1, v3
	v_add_nc_u32_e32 v8, 0x1000, v3
	s_mov_b32 s10, exec_lo
	s_waitcnt lgkmcnt(0)
	global_load_b128 v[4:7], v2, s[2:3]
	s_waitcnt vmcnt(0)
	ds_store_b128 v2, v[4:7]
	v_cmpx_gt_u32_e64 s9, v8
	s_xor_b32 s10, exec_lo, s10
	s_cbranch_execz .LBB128_9
; %bb.2:
	v_add_co_u32 v4, s2, s2, v2
	s_delay_alu instid0(VALU_DEP_1) | instskip(SKIP_1) | instid1(VALU_DEP_3)
	v_add_co_ci_u32_e64 v5, null, s3, 0, s2
	v_add_nc_u32_e32 v10, 0x2000, v3
	v_add_co_u32 v6, vcc_lo, 0x2000, v4
	s_delay_alu instid0(VALU_DEP_3)
	v_add_co_ci_u32_e32 v7, vcc_lo, 0, v5, vcc_lo
	s_mov_b32 s2, exec_lo
	global_load_b128 v[6:9], v[6:7], off
	s_waitcnt vmcnt(0)
	ds_store_b128 v2, v[6:9] offset:8192
	v_cmpx_gt_u32_e64 s9, v10
	s_xor_b32 s2, exec_lo, s2
	s_cbranch_execz .LBB128_9
; %bb.3:
	v_add_co_u32 v6, vcc_lo, 0x4000, v4
	v_add_co_ci_u32_e32 v7, vcc_lo, 0, v5, vcc_lo
	v_add_nc_u32_e32 v10, 0x3000, v3
	s_mov_b32 s2, exec_lo
	global_load_b128 v[6:9], v[6:7], off
	s_waitcnt vmcnt(0)
	ds_store_b128 v2, v[6:9] offset:16384
	v_cmpx_gt_u32_e64 s9, v10
	s_xor_b32 s2, exec_lo, s2
	s_cbranch_execz .LBB128_9
; %bb.4:
	v_add_co_u32 v6, vcc_lo, 0x6000, v4
	v_add_co_ci_u32_e32 v7, vcc_lo, 0, v5, vcc_lo
	v_add_nc_u32_e32 v10, 0x4000, v3
	s_mov_b32 s2, exec_lo
	global_load_b128 v[6:9], v[6:7], off
	s_waitcnt vmcnt(0)
	ds_store_b128 v2, v[6:9] offset:24576
	v_cmpx_gt_u32_e64 s9, v10
	s_xor_b32 s2, exec_lo, s2
	s_cbranch_execz .LBB128_9
; %bb.5:
	v_add_co_u32 v6, vcc_lo, 0x8000, v4
	v_add_co_ci_u32_e32 v7, vcc_lo, 0, v5, vcc_lo
	v_add_nc_u32_e32 v10, 0x5000, v3
	s_mov_b32 s2, exec_lo
	global_load_b128 v[6:9], v[6:7], off
	s_waitcnt vmcnt(0)
	ds_store_b128 v2, v[6:9] offset:32768
	v_cmpx_gt_u32_e64 s9, v10
	s_xor_b32 s2, exec_lo, s2
	s_cbranch_execz .LBB128_9
; %bb.6:
	v_add_co_u32 v6, vcc_lo, 0xa000, v4
	v_add_co_ci_u32_e32 v7, vcc_lo, 0, v5, vcc_lo
	v_add_nc_u32_e32 v10, 0x6000, v3
	s_mov_b32 s2, exec_lo
	global_load_b128 v[6:9], v[6:7], off
	s_waitcnt vmcnt(0)
	ds_store_b128 v2, v[6:9] offset:40960
	v_cmpx_gt_u32_e64 s9, v10
	s_xor_b32 s2, exec_lo, s2
	s_cbranch_execz .LBB128_9
; %bb.7:
	v_add_co_u32 v6, vcc_lo, 0xc000, v4
	v_add_co_ci_u32_e32 v7, vcc_lo, 0, v5, vcc_lo
	v_add_nc_u32_e32 v3, 0x7000, v3
	s_mov_b32 s2, exec_lo
	global_load_b128 v[6:9], v[6:7], off
	s_waitcnt vmcnt(0)
	ds_store_b128 v2, v[6:9] offset:49152
	v_cmpx_gt_u32_e64 s9, v3
	s_xor_b32 s2, exec_lo, s2
	s_cbranch_execz .LBB128_9
; %bb.8:
	v_add_co_u32 v3, vcc_lo, 0xe000, v4
	v_add_co_ci_u32_e32 v4, vcc_lo, 0, v5, vcc_lo
	global_load_b128 v[3:6], v[3:4], off
	s_waitcnt vmcnt(0)
	ds_store_b128 v2, v[3:6] offset:57344
.LBB128_9:
	s_or_b32 exec_lo, exec_lo, s8
	s_load_b64 s[16:17], s[0:1], 0x38
	s_waitcnt lgkmcnt(0)
	s_barrier
	buffer_gl0_inv
	s_mov_b32 s2, exec_lo
	v_cmpx_gt_u32_e64 s16, v0
	s_cbranch_execz .LBB128_30
; %bb.10:
	s_load_b64 s[2:3], s[0:1], 0x10
	v_mad_u64_u32 v[80:81], null, s15, s16, v[0:1]
	s_delay_alu instid0(VALU_DEP_1)
	v_cmp_gt_u32_e32 vcc_lo, s7, v80
	s_and_b32 exec_lo, exec_lo, vcc_lo
	s_cbranch_execz .LBB128_30
; %bb.11:
	s_clause 0x1
	s_load_b128 s[8:11], s[0:1], 0x28
	s_load_b64 s[12:13], s[0:1], 0x18
	s_cmp_lg_u32 s4, 0
	s_waitcnt lgkmcnt(0)
	v_cvt_f32_u32_e32 v2, s2
	s_cselect_b32 s1, -1, 0
	s_add_i32 s14, s4, -8
	s_add_i32 s15, s7, -1
	s_mul_i32 s16, s17, s16
	v_mbcnt_lo_u32_b32 v100, -1, 0
	v_mov_b32_e32 v83, 0
	v_lshlrev_b32_e32 v99, 4, v1
	s_cmp_lg_u64 s[8:9], 0
	s_cselect_b32 s18, -1, 0
	s_abs_i32 s21, s3
	s_sub_i32 s19, 0, s2
	v_cvt_f32_u32_e32 v0, s21
	s_sub_i32 s3, 0, s21
	s_sub_i32 s20, 1, s21
	s_delay_alu instid0(VALU_DEP_1) | instskip(SKIP_2) | instid1(VALU_DEP_1)
	v_rcp_iflag_f32_e32 v0, v0
	s_waitcnt_depctr 0xfff
	v_mul_f32_e32 v0, 0x4f7ffffe, v0
	v_cvt_u32_f32_e32 v0, v0
	s_delay_alu instid0(VALU_DEP_1) | instskip(SKIP_1) | instid1(VALU_DEP_1)
	v_readfirstlane_b32 s0, v0
	v_rcp_iflag_f32_e32 v0, v2
	s_mul_i32 s3, s3, s0
	s_delay_alu instid0(SALU_CYCLE_1) | instskip(NEXT) | instid1(SALU_CYCLE_1)
	s_mul_hi_u32 s3, s0, s3
	s_add_i32 s22, s0, s3
	s_cmp_lt_u32 s21, 2
	s_waitcnt_depctr 0xfff
	v_mul_f32_e32 v0, 0x4f7ffffe, v0
	s_cselect_b32 s0, s20, 1
	s_mov_b32 s3, 0
	s_sub_i32 s20, s0, s21
	s_cmp_ge_u32 s0, s21
	v_cvt_u32_f32_e32 v0, v0
	s_cselect_b32 s20, s20, s0
	s_lshr_b32 s23, s22, 31
	v_cmp_eq_u32_e64 s0, 31, v1
	s_mul_i32 s23, s23, s21
	v_mul_lo_u32 v2, s19, v0
	s_sub_i32 s23, 2, s23
	s_mul_hi_u32 s19, s22, 3
	s_sub_i32 s17, s23, s21
	s_cmp_ge_u32 s23, s21
	s_mul_i32 s19, s19, s21
	s_cselect_b32 s17, s17, s23
	s_delay_alu instid0(SALU_CYCLE_1) | instskip(SKIP_4) | instid1(SALU_CYCLE_1)
	s_sub_i32 s23, s17, s21
	s_cmp_ge_u32 s17, s21
	v_mul_hi_u32 v1, v0, v2
	s_cselect_b32 s23, s23, s17
	s_sub_i32 s17, 3, s19
	s_sub_i32 s19, s17, s21
	s_cmp_ge_u32 s17, s21
	s_cselect_b32 s19, s19, s17
	s_delay_alu instid0(VALU_DEP_1)
	v_add_nc_u32_e32 v101, v0, v1
	s_sub_i32 s24, s19, s21
	s_cmp_ge_u32 s19, s21
	s_mul_i32 s17, s6, 6
	s_cselect_b32 s24, s24, s19
	s_lshr_b32 s19, s22, 30
	s_delay_alu instid0(SALU_CYCLE_1) | instskip(NEXT) | instid1(SALU_CYCLE_1)
	s_mul_i32 s19, s19, s21
	s_sub_i32 s22, 4, s19
	s_mul_i32 s19, s20, s2
	s_sub_i32 s25, s22, s21
	s_cmp_ge_u32 s22, s21
	s_mul_i32 s20, s23, s2
	s_cselect_b32 s22, s25, s22
	s_delay_alu instid0(SALU_CYCLE_1)
	s_sub_i32 s23, s22, s21
	s_cmp_ge_u32 s22, s21
	s_mul_i32 s21, s24, s2
	s_cselect_b32 s24, s23, s22
	s_lshl_b32 s22, s6, 3
	s_lshl_b32 s23, s6, 2
	s_mul_i32 s24, s24, s2
	s_lshl_b32 s6, s6, 1
	s_branch .LBB128_14
.LBB128_12:                             ;   in Loop: Header=BB128_14 Depth=1
	s_waitcnt lgkmcnt(4)
	v_add_f32_e32 v8, v8, v9
	s_waitcnt vmcnt(4)
	v_cvt_f32_f16_e32 v9, v14
	s_waitcnt lgkmcnt(2)
	v_dual_add_f32 v2, v2, v5 :: v_dual_add_f32 v5, v3, v6
	s_waitcnt lgkmcnt(1)
	v_add_f32_e32 v6, v4, v7
	s_waitcnt vmcnt(3)
	v_cvt_f32_f16_e32 v4, v13
	v_dual_add_f32 v3, v8, v9 :: v_dual_add_nc_u32 v82, s7, v80
	s_waitcnt vmcnt(2)
	v_cvt_f32_f16_e32 v7, v12
	s_waitcnt vmcnt(1)
	v_cvt_f32_f16_e32 v9, v11
	s_waitcnt lgkmcnt(0)
	v_add_f32_e32 v8, v0, v1
	v_cvt_f16_f32_e32 v13, v3
	v_lshlrev_b64 v[0:1], 1, v[80:81]
	v_dual_add_f32 v7, v5, v7 :: v_dual_add_f32 v4, v2, v4
	v_lshlrev_b64 v[2:3], 1, v[82:83]
	v_dual_add_f32 v9, v6, v9 :: v_dual_add_nc_u32 v82, s7, v82
	s_delay_alu instid0(VALU_DEP_4) | instskip(NEXT) | instid1(VALU_DEP_4)
	v_add_co_u32 v0, vcc_lo, s10, v0
	v_cvt_f16_f32_e32 v12, v4
	s_delay_alu instid0(VALU_DEP_3)
	v_lshlrev_b64 v[4:5], 1, v[82:83]
	v_add_nc_u32_e32 v82, s7, v82
	v_cvt_f16_f32_e32 v11, v7
	s_waitcnt vmcnt(0)
	v_cvt_f32_f16_e32 v10, v10
	v_add_co_ci_u32_e32 v1, vcc_lo, s11, v1, vcc_lo
	v_lshlrev_b64 v[6:7], 1, v[82:83]
	v_add_nc_u32_e32 v82, s7, v82
	v_add_co_u32 v2, vcc_lo, s10, v2
	v_add_co_ci_u32_e32 v3, vcc_lo, s11, v3, vcc_lo
	v_add_co_u32 v4, vcc_lo, s10, v4
	v_cvt_f16_f32_e32 v14, v9
	v_add_f32_e32 v10, v8, v10
	v_lshlrev_b64 v[8:9], 1, v[82:83]
	v_add_co_ci_u32_e32 v5, vcc_lo, s11, v5, vcc_lo
	v_add_co_u32 v6, vcc_lo, s10, v6
	v_add_co_ci_u32_e32 v7, vcc_lo, s11, v7, vcc_lo
	s_delay_alu instid0(VALU_DEP_4)
	v_add_co_u32 v8, vcc_lo, s10, v8
	v_cvt_f16_f32_e32 v10, v10
	v_add_co_ci_u32_e32 v9, vcc_lo, s11, v9, vcc_lo
	s_clause 0x4
	global_store_b16 v[0:1], v13, off
	global_store_b16 v[2:3], v12, off
	;; [unrolled: 1-line block ×5, first 2 shown]
.LBB128_13:                             ;   in Loop: Header=BB128_14 Depth=1
	s_or_b32 exec_lo, exec_lo, s25
	v_add_nc_u32_e32 v80, s16, v80
	s_delay_alu instid0(VALU_DEP_1) | instskip(SKIP_1) | instid1(SALU_CYCLE_1)
	v_cmp_le_u32_e32 vcc_lo, s7, v80
	s_or_b32 s3, vcc_lo, s3
	s_and_not1_b32 exec_lo, exec_lo, s3
	s_cbranch_execz .LBB128_30
.LBB128_14:                             ; =>This Loop Header: Depth=1
                                        ;     Child Loop BB128_20 Depth 2
	v_mov_b32_e32 v106, v83
	v_mov_b32_e32 v105, v83
	;; [unrolled: 1-line block ×5, first 2 shown]
	s_and_not1_b32 vcc_lo, exec_lo, s1
	s_cbranch_vccnz .LBB128_25
; %bb.15:                               ;   in Loop: Header=BB128_14 Depth=1
	v_min_u32_e32 v0, s15, v80
	v_dual_mov_b32 v102, 0 :: v_dual_mov_b32 v107, v99
	v_dual_mov_b32 v103, 0 :: v_dual_mov_b32 v104, 0
	s_delay_alu instid0(VALU_DEP_3) | instskip(SKIP_3) | instid1(VALU_DEP_2)
	v_mul_lo_u32 v82, v0, s5
	v_dual_mov_b32 v105, 0 :: v_dual_mov_b32 v106, 0
	s_mov_b32 s25, 0
	s_waitcnt lgkmcnt(0)
	v_lshlrev_b64 v[0:1], 1, v[82:83]
	s_delay_alu instid0(VALU_DEP_1) | instskip(NEXT) | instid1(VALU_DEP_2)
	v_add_co_u32 v108, vcc_lo, s12, v0
	v_add_co_ci_u32_e32 v109, vcc_lo, s13, v1, vcc_lo
	s_branch .LBB128_20
.LBB128_16:                             ;   in Loop: Header=BB128_20 Depth=2
	s_or_b32 exec_lo, exec_lo, s29
.LBB128_17:                             ;   in Loop: Header=BB128_20 Depth=2
	s_delay_alu instid0(SALU_CYCLE_1)
	s_or_b32 exec_lo, exec_lo, s28
.LBB128_18:                             ;   in Loop: Header=BB128_20 Depth=2
	s_delay_alu instid0(SALU_CYCLE_1)
	s_or_b32 exec_lo, exec_lo, s27
.LBB128_19:                             ;   in Loop: Header=BB128_20 Depth=2
	s_delay_alu instid0(SALU_CYCLE_1)
	s_or_b32 exec_lo, exec_lo, s26
	s_waitcnt vmcnt(3) lgkmcnt(1)
	;;#ASMSTART
	v_dot2_f32_f16 v106, v36, v16, v106
	;;#ASMEND
	;;#ASMSTART
	v_dot2_f32_f16 v105, v40, v16, v105
	;;#ASMEND
	;; [unrolled: 3-line block ×4, first 2 shown]
	s_waitcnt lgkmcnt(0)
	;;#ASMSTART
	v_dot2_f32_f16 v102, v76, v16, v102
	;;#ASMEND
	;;#ASMSTART
	v_dot2_f32_f16 v106, v37, v17, v106
	;;#ASMEND
	;; [unrolled: 3-line block ×16, first 2 shown]
	s_waitcnt vmcnt(2)
	;;#ASMSTART
	v_dot2_f32_f16 v106, v68, v8, v106
	;;#ASMEND
	;;#ASMSTART
	v_dot2_f32_f16 v105, v56, v8, v105
	;;#ASMEND
	;; [unrolled: 3-line block ×20, first 2 shown]
	s_waitcnt vmcnt(1)
	;;#ASMSTART
	v_dot2_f32_f16 v106, v72, v4, v106
	;;#ASMEND
	;;#ASMSTART
	v_dot2_f32_f16 v105, v52, v4, v105
	;;#ASMEND
	;; [unrolled: 3-line block ×15, first 2 shown]
	v_add_nc_u32_e32 v107, 0x800, v107
	;;#ASMSTART
	v_dot2_f32_f16 v106, v75, v7, v106
	;;#ASMEND
	;;#ASMSTART
	v_dot2_f32_f16 v105, v55, v7, v105
	;;#ASMEND
	;; [unrolled: 3-line block ×5, first 2 shown]
	s_addk_i32 s25, 0x400
	s_waitcnt vmcnt(0)
	;;#ASMSTART
	v_dot2_f32_f16 v106, v60, v0, v106
	;;#ASMEND
	;;#ASMSTART
	v_dot2_f32_f16 v105, v32, v0, v105
	;;#ASMEND
	;; [unrolled: 3-line block ×10, first 2 shown]
	s_cmp_ge_u32 s25, s4
	;;#ASMSTART
	v_dot2_f32_f16 v106, v62, v2, v106
	;;#ASMEND
	;;#ASMSTART
	v_dot2_f32_f16 v105, v34, v2, v105
	;;#ASMEND
	;; [unrolled: 3-line block ×10, first 2 shown]
	s_cbranch_scc1 .LBB128_25
.LBB128_20:                             ;   Parent Loop BB128_14 Depth=1
                                        ; =>  This Inner Loop Header: Depth=2
	v_dual_mov_b32 v37, 0 :: v_dual_add_nc_u32 v14, s25, v98
	v_dual_mov_b32 v38, 0 :: v_dual_mov_b32 v71, 0
	v_dual_mov_b32 v68, 0 :: v_dual_mov_b32 v73, 0
	s_delay_alu instid0(VALU_DEP_3) | instskip(SKIP_2) | instid1(VALU_DEP_3)
	v_min_u32_e32 v82, s14, v14
	v_dual_mov_b32 v39, 0 :: v_dual_add_nc_u32 v116, 0x100, v14
	v_dual_mov_b32 v36, 0 :: v_dual_add_nc_u32 v111, 0x200, v14
	v_lshlrev_b64 v[0:1], 1, v[82:83]
	s_delay_alu instid0(VALU_DEP_3) | instskip(SKIP_2) | instid1(VALU_DEP_3)
	v_min_u32_e32 v82, s14, v116
	v_dual_mov_b32 v69, 0 :: v_dual_add_nc_u32 v110, 0x300, v14
	v_dual_mov_b32 v70, 0 :: v_dual_mov_b32 v75, 0
	v_lshlrev_b64 v[2:3], 1, v[82:83]
	v_min_u32_e32 v82, s14, v111
	v_add_co_u32 v0, vcc_lo, v108, v0
	v_add_co_ci_u32_e32 v1, vcc_lo, v109, v1, vcc_lo
	s_delay_alu instid0(VALU_DEP_3) | instskip(SKIP_3) | instid1(VALU_DEP_3)
	v_lshlrev_b64 v[4:5], 1, v[82:83]
	v_min_u32_e32 v82, s14, v110
	v_add_co_u32 v2, vcc_lo, v108, v2
	v_add_co_ci_u32_e32 v3, vcc_lo, v109, v3, vcc_lo
	v_lshlrev_b64 v[6:7], 1, v[82:83]
	v_add_co_u32 v4, vcc_lo, v108, v4
	v_add_co_ci_u32_e32 v5, vcc_lo, v109, v5, vcc_lo
	v_dual_mov_b32 v72, 0 :: v_dual_mov_b32 v61, 0
	s_delay_alu instid0(VALU_DEP_4)
	v_add_co_u32 v12, vcc_lo, v108, v6
	v_add_co_ci_u32_e32 v13, vcc_lo, v109, v7, vcc_lo
	s_clause 0x3
	global_load_b128 v[16:19], v[0:1], off slc dlc
	global_load_b128 v[8:11], v[2:3], off slc dlc
	;; [unrolled: 1-line block ×4, first 2 shown]
	v_cmp_gt_u32_e32 vcc_lo, s4, v14
	v_dual_mov_b32 v74, 0 :: v_dual_mov_b32 v63, 0
	v_dual_mov_b32 v60, 0 :: v_dual_mov_b32 v41, 0
	;; [unrolled: 1-line block ×33, first 2 shown]
	v_mov_b32_e32 v12, 0
	v_mov_b32_e32 v14, 0
	s_and_saveexec_b32 s26, vcc_lo
	s_cbranch_execz .LBB128_19
; %bb.21:                               ;   in Loop: Header=BB128_20 Depth=2
	v_dual_mov_b32 v14, 0 :: v_dual_add_nc_u32 v113, s6, v107
	v_dual_mov_b32 v12, 0 :: v_dual_add_nc_u32 v115, s23, v107
	;; [unrolled: 1-line block ×4, first 2 shown]
	ds_load_b128 v[40:43], v113
	ds_load_2addr_b32 v[94:95], v115 offset1:1
	ds_load_2addr_b32 v[92:93], v115 offset0:2 offset1:3
	ds_load_b128 v[64:67], v114
	ds_load_b128 v[36:39], v107
	ds_load_2addr_b64 v[76:79], v112 offset1:1
	v_cmp_gt_u32_e32 vcc_lo, s4, v116
	v_dual_mov_b32 v27, 0 :: v_dual_mov_b32 v26, 0
	v_dual_mov_b32 v25, 0 :: v_dual_mov_b32 v24, 0
	;; [unrolled: 1-line block ×28, first 2 shown]
	s_and_saveexec_b32 s27, vcc_lo
	s_cbranch_execz .LBB128_18
; %bb.22:                               ;   in Loop: Header=BB128_20 Depth=2
	ds_load_b128 v[56:59], v113 offset:512
	ds_load_2addr_b32 v[96:97], v115 offset0:128 offset1:129
	ds_load_2addr_b32 v[90:91], v115 offset0:130 offset1:131
	ds_load_b128 v[48:51], v114 offset:512
	ds_load_b128 v[68:71], v107 offset:512
	ds_load_2addr_b64 v[44:47], v112 offset0:64 offset1:65
	v_cmp_gt_u32_e32 vcc_lo, s4, v111
	v_dual_mov_b32 v15, 0 :: v_dual_mov_b32 v14, 0
	v_dual_mov_b32 v13, 0 :: v_dual_mov_b32 v12, 0
	;; [unrolled: 1-line block ×20, first 2 shown]
	s_and_saveexec_b32 s28, vcc_lo
	s_cbranch_execz .LBB128_17
; %bb.23:                               ;   in Loop: Header=BB128_20 Depth=2
	v_dual_mov_b32 v15, 0 :: v_dual_add_nc_u32 v12, 0x408, v115
	v_dual_mov_b32 v14, 0 :: v_dual_add_nc_u32 v13, 0x400, v115
	ds_load_b128 v[52:55], v113 offset:1024
	ds_load_b128 v[28:31], v114 offset:1024
	;; [unrolled: 1-line block ×3, first 2 shown]
	ds_load_2addr_b32 v[86:87], v12 offset1:1
	ds_load_2addr_b32 v[88:89], v13 offset1:1
	ds_load_2addr_b64 v[24:27], v112 offset0:128 offset1:129
	v_cmp_gt_u32_e32 vcc_lo, s4, v110
	v_dual_mov_b32 v13, 0 :: v_dual_mov_b32 v12, 0
	v_dual_mov_b32 v23, 0 :: v_dual_mov_b32 v22, 0
	;; [unrolled: 1-line block ×9, first 2 shown]
	s_and_saveexec_b32 s29, vcc_lo
	s_cbranch_execz .LBB128_16
; %bb.24:                               ;   in Loop: Header=BB128_20 Depth=2
	v_add_nc_u32_e32 v12, 0x608, v115
	v_add_nc_u32_e32 v13, 0x600, v115
	ds_load_b128 v[32:35], v113 offset:1536
	ds_load_b128 v[20:23], v114 offset:1536
	;; [unrolled: 1-line block ×3, first 2 shown]
	ds_load_2addr_b32 v[81:82], v12 offset1:1
	ds_load_2addr_b32 v[84:85], v13 offset1:1
	ds_load_2addr_b64 v[12:15], v112 offset0:192 offset1:193
	s_branch .LBB128_16
.LBB128_25:                             ;   in Loop: Header=BB128_14 Depth=1
	; sched_barrier mask(0x00000000)
	v_xor_b32_e32 v0, 16, v100
	s_waitcnt lgkmcnt(0)
	v_cvt_i32_f32_e32 v1, v106
	v_cvt_i32_f32_e32 v3, v104
	;; [unrolled: 1-line block ×4, first 2 shown]
	v_cmp_gt_i32_e32 vcc_lo, 32, v0
	v_cvt_f32_i32_dpp v1, v1 row_shr:8 row_mask:0xf bank_mask:0xf bound_ctrl:1
	v_cvt_i32_f32_e32 v2, v105
	s_delay_alu instid0(VALU_DEP_2) | instskip(NEXT) | instid1(VALU_DEP_2)
	v_dual_cndmask_b32 v0, v100, v0 :: v_dual_add_f32 v1, v106, v1
	v_cvt_f32_i32_dpp v2, v2 row_shr:8 row_mask:0xf bank_mask:0xf bound_ctrl:1
	s_delay_alu instid0(VALU_DEP_2) | instskip(SKIP_4) | instid1(VALU_DEP_3)
	v_lshlrev_b32_e32 v10, 2, v0
	v_cvt_f32_i32_dpp v0, v3 row_shr:8 row_mask:0xf bank_mask:0xf bound_ctrl:1
	v_cvt_f32_i32_dpp v3, v4 row_shr:8 row_mask:0xf bank_mask:0xf bound_ctrl:1
	v_cvt_f32_i32_dpp v4, v5 row_shr:8 row_mask:0xf bank_mask:0xf bound_ctrl:1
	v_cvt_i32_f32_e32 v5, v1
	v_add_f32_e32 v3, v103, v3
	s_delay_alu instid0(VALU_DEP_2) | instskip(SKIP_1) | instid1(VALU_DEP_3)
	v_cvt_f32_i32_dpp v5, v5 row_shr:4 row_mask:0xf bank_mask:0xf bound_ctrl:1
	v_add_f32_e32 v0, v104, v0
	v_cvt_i32_f32_e32 v8, v3
	s_delay_alu instid0(VALU_DEP_3) | instskip(NEXT) | instid1(VALU_DEP_3)
	v_add_f32_e32 v1, v1, v5
	v_cvt_i32_f32_e32 v7, v0
	s_delay_alu instid0(VALU_DEP_3) | instskip(SKIP_1) | instid1(VALU_DEP_4)
	v_cvt_f32_i32_dpp v8, v8 row_shr:4 row_mask:0xf bank_mask:0xf bound_ctrl:1
	v_add_f32_e32 v2, v105, v2
	v_cvt_i32_f32_e32 v5, v1
	s_delay_alu instid0(VALU_DEP_4) | instskip(NEXT) | instid1(VALU_DEP_4)
	v_cvt_f32_i32_dpp v7, v7 row_shr:4 row_mask:0xf bank_mask:0xf bound_ctrl:1
	v_add_f32_e32 v3, v3, v8
	s_delay_alu instid0(VALU_DEP_4) | instskip(NEXT) | instid1(VALU_DEP_4)
	v_cvt_i32_f32_e32 v6, v2
	v_cvt_f32_i32_dpp v5, v5 row_shr:2 row_mask:0xf bank_mask:0xf bound_ctrl:1
	v_add_f32_e32 v4, v102, v4
	v_add_f32_e32 v0, v0, v7
	v_cvt_i32_f32_e32 v8, v3
	v_cvt_f32_i32_dpp v6, v6 row_shr:4 row_mask:0xf bank_mask:0xf bound_ctrl:1
	v_add_f32_e32 v1, v1, v5
	v_cvt_i32_f32_e32 v9, v4
	v_cvt_i32_f32_e32 v7, v0
	v_cvt_f32_i32_dpp v8, v8 row_shr:2 row_mask:0xf bank_mask:0xf bound_ctrl:1
	v_add_f32_e32 v2, v2, v6
	s_delay_alu instid0(VALU_DEP_4) | instskip(NEXT) | instid1(VALU_DEP_4)
	v_cvt_f32_i32_dpp v9, v9 row_shr:4 row_mask:0xf bank_mask:0xf bound_ctrl:1
	v_cvt_f32_i32_dpp v7, v7 row_shr:2 row_mask:0xf bank_mask:0xf bound_ctrl:1
	s_delay_alu instid0(VALU_DEP_4) | instskip(NEXT) | instid1(VALU_DEP_4)
	v_add_f32_e32 v5, v3, v8
	v_cvt_i32_f32_e32 v6, v2
	v_cvt_i32_f32_e32 v3, v1
	v_add_f32_e32 v4, v4, v9
	v_add_f32_e32 v0, v0, v7
	v_cvt_i32_f32_e32 v8, v5
	v_cvt_f32_i32_dpp v6, v6 row_shr:2 row_mask:0xf bank_mask:0xf bound_ctrl:1
	v_cvt_f32_i32_dpp v3, v3 row_shr:1 row_mask:0xf bank_mask:0xf bound_ctrl:1
	v_cvt_i32_f32_e32 v9, v4
	v_cvt_i32_f32_e32 v7, v0
	v_cvt_f32_i32_dpp v11, v8 row_shr:1 row_mask:0xf bank_mask:0xf bound_ctrl:1
	s_delay_alu instid0(VALU_DEP_4) | instskip(NEXT) | instid1(VALU_DEP_4)
	v_add_f32_e32 v8, v1, v3
	v_cvt_f32_i32_dpp v9, v9 row_shr:2 row_mask:0xf bank_mask:0xf bound_ctrl:1
	s_delay_alu instid0(VALU_DEP_4) | instskip(SKIP_1) | instid1(VALU_DEP_3)
	v_cvt_f32_i32_dpp v7, v7 row_shr:1 row_mask:0xf bank_mask:0xf bound_ctrl:1
	v_add_f32_e32 v2, v2, v6
	v_add_f32_e32 v6, v4, v9
	s_delay_alu instid0(VALU_DEP_3) | instskip(NEXT) | instid1(VALU_DEP_3)
	v_add_f32_e32 v3, v0, v7
	v_cvt_i32_f32_e32 v4, v2
	s_delay_alu instid0(VALU_DEP_3) | instskip(NEXT) | instid1(VALU_DEP_2)
	v_cvt_i32_f32_e32 v9, v6
	v_cvt_f32_i32_dpp v4, v4 row_shr:1 row_mask:0xf bank_mask:0xf bound_ctrl:1
	s_delay_alu instid0(VALU_DEP_2) | instskip(NEXT) | instid1(VALU_DEP_2)
	v_cvt_f32_i32_dpp v9, v9 row_shr:1 row_mask:0xf bank_mask:0xf bound_ctrl:1
	v_add_f32_e32 v2, v2, v4
	v_add_f32_e32 v4, v5, v11
	s_delay_alu instid0(VALU_DEP_3)
	v_add_f32_e32 v0, v6, v9
	ds_bpermute_b32 v9, v10, v8
	ds_bpermute_b32 v5, v10, v2
	;; [unrolled: 1-line block ×5, first 2 shown]
	s_and_saveexec_b32 s25, s0
	s_cbranch_execz .LBB128_13
; %bb.26:                               ;   in Loop: Header=BB128_14 Depth=1
	s_and_b32 vcc_lo, exec_lo, s18
	s_cbranch_vccz .LBB128_28
; %bb.27:                               ;   in Loop: Header=BB128_14 Depth=1
	v_mul_hi_u32 v10, v80, v101
	v_mov_b32_e32 v13, v83
	v_mov_b32_e32 v81, v83
	s_delay_alu instid0(VALU_DEP_3) | instskip(NEXT) | instid1(VALU_DEP_1)
	v_mul_lo_u32 v10, v10, s2
	v_sub_nc_u32_e32 v10, v80, v10
	s_delay_alu instid0(VALU_DEP_1) | instskip(SKIP_1) | instid1(VALU_DEP_2)
	v_subrev_nc_u32_e32 v11, s2, v10
	v_cmp_le_u32_e32 vcc_lo, s2, v10
	v_cndmask_b32_e32 v10, v10, v11, vcc_lo
	s_delay_alu instid0(VALU_DEP_1) | instskip(SKIP_1) | instid1(VALU_DEP_2)
	v_subrev_nc_u32_e32 v11, s2, v10
	v_cmp_le_u32_e32 vcc_lo, s2, v10
	v_dual_cndmask_b32 v82, v10, v11 :: v_dual_mov_b32 v11, v83
	s_delay_alu instid0(VALU_DEP_1)
	v_dual_mov_b32 v15, v83 :: v_dual_add_nc_u32 v10, s19, v82
	v_lshlrev_b64 v[16:17], 1, v[82:83]
	v_add_nc_u32_e32 v12, s20, v82
	v_add_nc_u32_e32 v14, s21, v82
	;; [unrolled: 1-line block ×3, first 2 shown]
	v_lshlrev_b64 v[10:11], 1, v[10:11]
	s_delay_alu instid0(VALU_DEP_4)
	v_lshlrev_b64 v[12:13], 1, v[12:13]
	v_add_co_u32 v16, vcc_lo, s8, v16
	v_add_co_ci_u32_e32 v17, vcc_lo, s9, v17, vcc_lo
	v_lshlrev_b64 v[14:15], 1, v[14:15]
	v_add_co_u32 v10, vcc_lo, s8, v10
	v_add_co_ci_u32_e32 v11, vcc_lo, s9, v11, vcc_lo
	;; [unrolled: 3-line block ×3, first 2 shown]
	v_add_co_u32 v22, vcc_lo, s8, v14
	v_add_co_ci_u32_e32 v23, vcc_lo, s9, v15, vcc_lo
	v_add_co_u32 v18, vcc_lo, s8, v18
	v_add_co_ci_u32_e32 v19, vcc_lo, s9, v19, vcc_lo
	s_clause 0x4
	global_load_u16 v14, v[16:17], off
	global_load_u16 v13, v[10:11], off
	;; [unrolled: 1-line block ×5, first 2 shown]
	s_cbranch_execnz .LBB128_12
	s_branch .LBB128_29
.LBB128_28:                             ;   in Loop: Header=BB128_14 Depth=1
                                        ; implicit-def: $vgpr10
                                        ; implicit-def: $vgpr11
                                        ; implicit-def: $vgpr12
                                        ; implicit-def: $vgpr13
                                        ; implicit-def: $vgpr14
.LBB128_29:                             ;   in Loop: Header=BB128_14 Depth=1
	s_waitcnt vmcnt(4)
	v_dual_mov_b32 v81, v83 :: v_dual_mov_b32 v14, 0
	s_waitcnt vmcnt(2)
	v_dual_mov_b32 v13, 0 :: v_dual_mov_b32 v12, 0
	;; [unrolled: 2-line block ×3, first 2 shown]
	s_branch .LBB128_12
.LBB128_30:
	s_nop 0
	s_sendmsg sendmsg(MSG_DEALLOC_VGPRS)
	s_endpgm
	.section	.rodata,"a",@progbits
	.p2align	6, 0x0
	.amdhsa_kernel _Z16wvSplitK_hf_sml_I6__halfLi32ELi1ELi16ELi8ELi4ELi5EEviiiiiiPKT_S3_S3_PS1_ii
		.amdhsa_group_segment_fixed_size 65536
		.amdhsa_private_segment_fixed_size 0
		.amdhsa_kernarg_size 64
		.amdhsa_user_sgpr_count 15
		.amdhsa_user_sgpr_dispatch_ptr 0
		.amdhsa_user_sgpr_queue_ptr 0
		.amdhsa_user_sgpr_kernarg_segment_ptr 1
		.amdhsa_user_sgpr_dispatch_id 0
		.amdhsa_user_sgpr_private_segment_size 0
		.amdhsa_wavefront_size32 1
		.amdhsa_uses_dynamic_stack 0
		.amdhsa_enable_private_segment 0
		.amdhsa_system_sgpr_workgroup_id_x 1
		.amdhsa_system_sgpr_workgroup_id_y 0
		.amdhsa_system_sgpr_workgroup_id_z 0
		.amdhsa_system_sgpr_workgroup_info 0
		.amdhsa_system_vgpr_workitem_id 1
		.amdhsa_next_free_vgpr 117
		.amdhsa_next_free_sgpr 30
		.amdhsa_reserve_vcc 1
		.amdhsa_float_round_mode_32 0
		.amdhsa_float_round_mode_16_64 0
		.amdhsa_float_denorm_mode_32 3
		.amdhsa_float_denorm_mode_16_64 3
		.amdhsa_dx10_clamp 1
		.amdhsa_ieee_mode 1
		.amdhsa_fp16_overflow 0
		.amdhsa_workgroup_processor_mode 1
		.amdhsa_memory_ordered 1
		.amdhsa_forward_progress 0
		.amdhsa_shared_vgpr_count 0
		.amdhsa_exception_fp_ieee_invalid_op 0
		.amdhsa_exception_fp_denorm_src 0
		.amdhsa_exception_fp_ieee_div_zero 0
		.amdhsa_exception_fp_ieee_overflow 0
		.amdhsa_exception_fp_ieee_underflow 0
		.amdhsa_exception_fp_ieee_inexact 0
		.amdhsa_exception_int_div_zero 0
	.end_amdhsa_kernel
	.section	.text._Z16wvSplitK_hf_sml_I6__halfLi32ELi1ELi16ELi8ELi4ELi5EEviiiiiiPKT_S3_S3_PS1_ii,"axG",@progbits,_Z16wvSplitK_hf_sml_I6__halfLi32ELi1ELi16ELi8ELi4ELi5EEviiiiiiPKT_S3_S3_PS1_ii,comdat
.Lfunc_end128:
	.size	_Z16wvSplitK_hf_sml_I6__halfLi32ELi1ELi16ELi8ELi4ELi5EEviiiiiiPKT_S3_S3_PS1_ii, .Lfunc_end128-_Z16wvSplitK_hf_sml_I6__halfLi32ELi1ELi16ELi8ELi4ELi5EEviiiiiiPKT_S3_S3_PS1_ii
                                        ; -- End function
	.section	.AMDGPU.csdata,"",@progbits
; Kernel info:
; codeLenInByte = 5148
; NumSgprs: 32
; NumVgprs: 117
; ScratchSize: 0
; MemoryBound: 0
; FloatMode: 240
; IeeeMode: 1
; LDSByteSize: 65536 bytes/workgroup (compile time only)
; SGPRBlocks: 3
; VGPRBlocks: 14
; NumSGPRsForWavesPerEU: 32
; NumVGPRsForWavesPerEU: 117
; Occupancy: 8
; WaveLimiterHint : 0
; COMPUTE_PGM_RSRC2:SCRATCH_EN: 0
; COMPUTE_PGM_RSRC2:USER_SGPR: 15
; COMPUTE_PGM_RSRC2:TRAP_HANDLER: 0
; COMPUTE_PGM_RSRC2:TGID_X_EN: 1
; COMPUTE_PGM_RSRC2:TGID_Y_EN: 0
; COMPUTE_PGM_RSRC2:TGID_Z_EN: 0
; COMPUTE_PGM_RSRC2:TIDIG_COMP_CNT: 1
	.section	.text._Z12wvSplitK_hf_I6__halfLi32ELi1ELi16ELi8ELi4ELi5EEviiiiiiPKT_S3_S3_PS1_ii,"axG",@progbits,_Z12wvSplitK_hf_I6__halfLi32ELi1ELi16ELi8ELi4ELi5EEviiiiiiPKT_S3_S3_PS1_ii,comdat
	.protected	_Z12wvSplitK_hf_I6__halfLi32ELi1ELi16ELi8ELi4ELi5EEviiiiiiPKT_S3_S3_PS1_ii ; -- Begin function _Z12wvSplitK_hf_I6__halfLi32ELi1ELi16ELi8ELi4ELi5EEviiiiiiPKT_S3_S3_PS1_ii
	.globl	_Z12wvSplitK_hf_I6__halfLi32ELi1ELi16ELi8ELi4ELi5EEviiiiiiPKT_S3_S3_PS1_ii
	.p2align	8
	.type	_Z12wvSplitK_hf_I6__halfLi32ELi1ELi16ELi8ELi4ELi5EEviiiiiiPKT_S3_S3_PS1_ii,@function
_Z12wvSplitK_hf_I6__halfLi32ELi1ELi16ELi8ELi4ELi5EEviiiiiiPKT_S3_S3_PS1_ii: ; @_Z12wvSplitK_hf_I6__halfLi32ELi1ELi16ELi8ELi4ELi5EEviiiiiiPKT_S3_S3_PS1_ii
; %bb.0:
	s_clause 0x1
	s_load_b64 s[18:19], s[0:1], 0x38
	s_load_b128 s[4:7], s[0:1], 0x0
	v_bfe_u32 v1, v0, 10, 10
	s_clause 0x1
	s_load_b64 s[12:13], s[0:1], 0x20
	s_load_b64 s[16:17], s[0:1], 0x10
	v_mov_b32_e32 v113, 1
	s_waitcnt lgkmcnt(0)
	v_mad_u64_u32 v[96:97], null, s15, s18, v[1:2]
	s_delay_alu instid0(VALU_DEP_1) | instskip(SKIP_1) | instid1(VALU_DEP_2)
	v_add_nc_u32_e32 v2, 1, v96
	v_cmp_gt_u32_e32 vcc_lo, s7, v96
	v_cmp_le_u32_e64 s2, s7, v2
	s_delay_alu instid0(VALU_DEP_1) | instskip(NEXT) | instid1(SALU_CYCLE_1)
	s_and_b32 s3, vcc_lo, s2
	s_and_saveexec_b32 s2, s3
; %bb.1:
	v_subrev_nc_u32_e32 v2, s7, v96
	s_add_i32 s3, s7, -1
	s_delay_alu instid0(SALU_CYCLE_1) | instskip(NEXT) | instid1(VALU_DEP_2)
	v_mov_b32_e32 v96, s3
	v_cmp_eq_u32_e32 vcc_lo, -1, v2
	v_cndmask_b32_e64 v113, 0, 1, vcc_lo
; %bb.2:
	s_or_b32 exec_lo, exec_lo, s2
	v_and_b32_e32 v0, 0x3ff, v0
	s_mul_i32 s2, s6, 5
	s_delay_alu instid0(SALU_CYCLE_1) | instskip(SKIP_1) | instid1(VALU_DEP_1)
	s_min_u32 s3, s2, 0x8000
	s_mov_b32 s2, exec_lo
	v_lshlrev_b32_e32 v98, 3, v0
	s_delay_alu instid0(VALU_DEP_1) | instskip(NEXT) | instid1(VALU_DEP_1)
	v_lshl_add_u32 v3, v1, 8, v98
	v_cmpx_gt_u32_e64 s3, v3
	s_cbranch_execz .LBB129_11
; %bb.3:
	v_lshlrev_b32_e32 v2, 1, v3
	v_add_nc_u32_e32 v8, 0x1000, v3
	s_mov_b32 s8, exec_lo
	global_load_b128 v[4:7], v2, s[12:13]
	s_waitcnt vmcnt(0)
	ds_store_b128 v2, v[4:7]
	v_cmpx_gt_u32_e64 s3, v8
	s_xor_b32 s8, exec_lo, s8
	s_cbranch_execz .LBB129_11
; %bb.4:
	v_add_co_u32 v4, s8, s12, v2
	s_delay_alu instid0(VALU_DEP_1) | instskip(SKIP_1) | instid1(VALU_DEP_3)
	v_add_co_ci_u32_e64 v5, null, s13, 0, s8
	v_add_nc_u32_e32 v10, 0x2000, v3
	v_add_co_u32 v6, vcc_lo, 0x2000, v4
	s_delay_alu instid0(VALU_DEP_3)
	v_add_co_ci_u32_e32 v7, vcc_lo, 0, v5, vcc_lo
	s_mov_b32 s8, exec_lo
	global_load_b128 v[6:9], v[6:7], off
	s_waitcnt vmcnt(0)
	ds_store_b128 v2, v[6:9] offset:8192
	v_cmpx_gt_u32_e64 s3, v10
	s_xor_b32 s8, exec_lo, s8
	s_cbranch_execz .LBB129_11
; %bb.5:
	v_add_co_u32 v6, vcc_lo, 0x4000, v4
	v_add_co_ci_u32_e32 v7, vcc_lo, 0, v5, vcc_lo
	v_add_nc_u32_e32 v10, 0x3000, v3
	s_mov_b32 s8, exec_lo
	global_load_b128 v[6:9], v[6:7], off
	s_waitcnt vmcnt(0)
	ds_store_b128 v2, v[6:9] offset:16384
	v_cmpx_gt_u32_e64 s3, v10
	s_xor_b32 s8, exec_lo, s8
	s_cbranch_execz .LBB129_11
; %bb.6:
	v_add_co_u32 v6, vcc_lo, 0x6000, v4
	v_add_co_ci_u32_e32 v7, vcc_lo, 0, v5, vcc_lo
	v_add_nc_u32_e32 v10, 0x4000, v3
	;; [unrolled: 11-line block ×5, first 2 shown]
	global_load_b128 v[6:9], v[6:7], off
	v_cmp_gt_u32_e32 vcc_lo, s3, v3
	s_waitcnt vmcnt(0)
	ds_store_b128 v2, v[6:9] offset:49152
	s_and_saveexec_b32 s3, vcc_lo
	s_delay_alu instid0(SALU_CYCLE_1)
	s_xor_b32 s3, exec_lo, s3
	s_cbranch_execz .LBB129_11
; %bb.10:
	v_add_co_u32 v3, vcc_lo, 0xe000, v4
	v_add_co_ci_u32_e32 v4, vcc_lo, 0, v5, vcc_lo
	global_load_b128 v[3:6], v[3:4], off
	s_waitcnt vmcnt(0)
	ds_store_b128 v2, v[3:6] offset:57344
.LBB129_11:
	s_or_b32 exec_lo, exec_lo, s2
	v_cmp_gt_u32_e32 vcc_lo, s18, v1
	v_cmp_gt_u32_e64 s2, s7, v96
	s_waitcnt lgkmcnt(0)
	s_barrier
	buffer_gl0_inv
	s_and_b32 s2, vcc_lo, s2
	s_delay_alu instid0(SALU_CYCLE_1)
	s_and_saveexec_b32 s3, s2
	s_cbranch_execz .LBB129_110
; %bb.12:
	s_clause 0x1
	s_load_b128 s[8:11], s[0:1], 0x28
	s_load_b64 s[14:15], s[0:1], 0x18
	s_cmp_lg_u32 s4, 0
	v_cvt_f32_u32_e32 v2, s16
	s_cselect_b32 s3, -1, 0
	s_add_i32 s20, s4, -8
	s_add_i32 s21, s7, -1
	s_mul_i32 s18, s19, s18
	v_rcp_iflag_f32_e32 v2, v2
	v_mad_u64_u32 v[101:102], null, s6, 3, v[98:99]
	v_add_nc_u32_e32 v115, s6, v98
	v_mbcnt_lo_u32_b32 v116, -1, 0
	v_mov_b32_e32 v100, 0
	v_lshlrev_b32_e32 v114, 4, v0
	s_waitcnt lgkmcnt(0)
	s_cmp_lg_u64 s[8:9], 0
	s_cselect_b32 s22, -1, 0
	s_abs_i32 s1, s17
	s_sub_i32 s24, s18, s7
	v_cvt_f32_u32_e32 v1, s1
	s_sub_i32 s2, 0, s1
	s_lshl_b32 s19, s6, 1
	s_lshl_b32 s23, s6, 2
	s_sub_i32 s25, 0, s16
	v_rcp_iflag_f32_e32 v1, v1
	s_add_i32 s24, s24, 2
	s_sub_i32 s26, 1, s1
	v_add_nc_u32_e32 v117, s19, v98
	v_add_nc_u32_e32 v118, s23, v98
	s_mov_b32 s17, 0
	s_waitcnt_depctr 0xfff
	v_mul_f32_e32 v1, 0x4f7ffffe, v1
	s_delay_alu instid0(VALU_DEP_1) | instskip(NEXT) | instid1(VALU_DEP_1)
	v_cvt_u32_f32_e32 v1, v1
	v_readfirstlane_b32 s0, v1
	v_mul_f32_e32 v1, 0x4f7ffffe, v2
	s_delay_alu instid0(VALU_DEP_2) | instskip(NEXT) | instid1(SALU_CYCLE_1)
	s_mul_i32 s2, s2, s0
	s_mul_hi_u32 s2, s0, s2
	s_delay_alu instid0(SALU_CYCLE_1)
	s_add_i32 s2, s0, s2
	s_cmp_lt_u32 s1, 2
	v_cmp_eq_u32_e64 s0, 31, v0
	s_cselect_b32 s26, s26, 1
	v_cvt_u32_f32_e32 v0, v1
	s_sub_i32 s27, s26, s1
	s_cmp_ge_u32 s26, s1
	s_cselect_b32 s26, s27, s26
	s_lshr_b32 s27, s2, 31
	v_mul_lo_u32 v1, s25, v0
	s_mul_i32 s27, s27, s1
	s_delay_alu instid0(SALU_CYCLE_1) | instskip(NEXT) | instid1(SALU_CYCLE_1)
	s_sub_i32 s27, 2, s27
	s_sub_i32 s28, s27, s1
	s_cmp_ge_u32 s27, s1
	s_cselect_b32 s25, s28, s27
	s_mul_hi_u32 s27, s2, 3
	s_sub_i32 s28, s25, s1
	s_cmp_ge_u32 s25, s1
	s_mul_i32 s27, s27, s1
	s_cselect_b32 s28, s28, s25
	s_sub_i32 s25, 3, s27
	v_mul_hi_u32 v1, v0, v1
	s_sub_i32 s27, s25, s1
	s_cmp_ge_u32 s25, s1
	s_cselect_b32 s25, s27, s25
	s_delay_alu instid0(SALU_CYCLE_1) | instskip(SKIP_1) | instid1(VALU_DEP_1)
	s_sub_i32 s27, s25, s1
	s_cmp_ge_u32 s25, s1
	v_add_nc_u32_e32 v119, v0, v1
	s_cselect_b32 s27, s27, s25
	s_lshr_b32 s2, s2, 30
	s_mul_i32 s25, s26, s16
	s_mul_i32 s2, s2, s1
	;; [unrolled: 1-line block ×3, first 2 shown]
	s_sub_i32 s2, 4, s2
	s_mul_i32 s27, s27, s16
	s_sub_i32 s29, s2, s1
	s_cmp_ge_u32 s2, s1
	s_cselect_b32 s2, s29, s2
	s_delay_alu instid0(SALU_CYCLE_1)
	s_sub_i32 s28, s2, s1
	s_cmp_ge_u32 s2, s1
	s_cselect_b32 s29, s28, s2
	s_lshl_b32 s28, s6, 3
	s_mul_i32 s29, s29, s16
	s_mul_i32 s6, s6, 6
	s_branch .LBB129_14
.LBB129_13:                             ;   in Loop: Header=BB129_14 Depth=1
	s_or_b32 exec_lo, exec_lo, s1
	v_add_nc_u32_e32 v0, s18, v96
	s_waitcnt lgkmcnt(0)
	s_delay_alu instid0(VALU_DEP_1) | instskip(SKIP_1) | instid1(VALU_DEP_2)
	v_add_nc_u32_e32 v1, 1, v0
	v_cmp_le_u32_e32 vcc_lo, s7, v0
	v_cmp_gt_u32_e64 s1, s7, v1
	v_add_nc_u32_e32 v1, s24, v96
	s_delay_alu instid0(VALU_DEP_2) | instskip(NEXT) | instid1(VALU_DEP_1)
	s_or_b32 vcc_lo, vcc_lo, s1
	v_cmp_eq_u32_e64 s1, 1, v1
	v_cndmask_b32_e32 v96, s21, v0, vcc_lo
	s_delay_alu instid0(VALU_DEP_2) | instskip(NEXT) | instid1(VALU_DEP_1)
	s_or_b32 vcc_lo, vcc_lo, s1
	v_cmp_le_u32_e64 s2, s7, v96
	v_cndmask_b32_e32 v113, 0, v113, vcc_lo
	s_delay_alu instid0(VALU_DEP_2) | instskip(NEXT) | instid1(SALU_CYCLE_1)
	s_or_b32 s17, s2, s17
	s_and_not1_b32 exec_lo, exec_lo, s17
	s_cbranch_execz .LBB129_110
.LBB129_14:                             ; =>This Loop Header: Depth=1
                                        ;     Child Loop BB129_21 Depth 2
	v_mov_b32_e32 v123, v100
	v_mov_b32_e32 v122, v100
	;; [unrolled: 1-line block ×5, first 2 shown]
	s_and_not1_b32 vcc_lo, exec_lo, s3
	s_cbranch_vccnz .LBB129_105
; %bb.15:                               ;   in Loop: Header=BB129_14 Depth=1
	v_min_u32_e32 v0, s21, v96
	v_dual_mov_b32 v97, 0 :: v_dual_mov_b32 v124, v114
	v_dual_mov_b32 v120, 0 :: v_dual_mov_b32 v121, 0
	s_delay_alu instid0(VALU_DEP_3) | instskip(SKIP_2) | instid1(VALU_DEP_2)
	v_mul_lo_u32 v99, v0, s5
	v_dual_mov_b32 v122, 0 :: v_dual_mov_b32 v123, 0
	s_mov_b32 s1, 0
	v_lshlrev_b64 v[0:1], 1, v[99:100]
	s_delay_alu instid0(VALU_DEP_1) | instskip(NEXT) | instid1(VALU_DEP_2)
	v_add_co_u32 v125, vcc_lo, s14, v0
	v_add_co_ci_u32_e32 v126, vcc_lo, s15, v1, vcc_lo
	s_branch .LBB129_21
.LBB129_16:                             ;   in Loop: Header=BB129_21 Depth=2
	s_or_b32 exec_lo, exec_lo, s34
.LBB129_17:                             ;   in Loop: Header=BB129_21 Depth=2
	s_delay_alu instid0(SALU_CYCLE_1)
	s_or_b32 exec_lo, exec_lo, s33
.LBB129_18:                             ;   in Loop: Header=BB129_21 Depth=2
	s_delay_alu instid0(SALU_CYCLE_1)
	s_or_b32 exec_lo, exec_lo, s31
.LBB129_19:                             ;   in Loop: Header=BB129_21 Depth=2
	s_delay_alu instid0(SALU_CYCLE_1)
	s_or_b32 exec_lo, exec_lo, s30
.LBB129_20:                             ;   in Loop: Header=BB129_21 Depth=2
	s_delay_alu instid0(SALU_CYCLE_1)
	s_or_b32 exec_lo, exec_lo, s2
	s_waitcnt vmcnt(0) lgkmcnt(0)
	;;#ASMSTART
	v_dot2_f32_f16 v123, v24, v12, v123
	;;#ASMEND
	;;#ASMSTART
	v_dot2_f32_f16 v122, v20, v12, v122
	;;#ASMEND
	;; [unrolled: 3-line block ×55, first 2 shown]
	v_add_nc_u32_e32 v124, 0x800, v124
	;;#ASMSTART
	v_dot2_f32_f16 v123, v75, v7, v123
	;;#ASMEND
	;;#ASMSTART
	v_dot2_f32_f16 v122, v71, v7, v122
	;;#ASMEND
	;;#ASMSTART
	v_dot2_f32_f16 v121, v67, v7, v121
	;;#ASMEND
	;;#ASMSTART
	v_dot2_f32_f16 v120, v63, v7, v120
	;;#ASMEND
	;;#ASMSTART
	v_dot2_f32_f16 v97, v59, v7, v97
	;;#ASMEND
	s_addk_i32 s1, 0x400
	;;#ASMSTART
	v_dot2_f32_f16 v123, v92, v0, v123
	;;#ASMEND
	;;#ASMSTART
	v_dot2_f32_f16 v122, v88, v0, v122
	;;#ASMEND
	;; [unrolled: 3-line block ×10, first 2 shown]
	s_cmp_ge_u32 s1, s4
	;;#ASMSTART
	v_dot2_f32_f16 v123, v94, v2, v123
	;;#ASMEND
	;;#ASMSTART
	v_dot2_f32_f16 v122, v90, v2, v122
	;;#ASMEND
	;; [unrolled: 3-line block ×10, first 2 shown]
	s_cbranch_scc1 .LBB129_105
.LBB129_21:                             ;   Parent Loop BB129_14 Depth=1
                                        ; =>  This Inner Loop Header: Depth=2
	v_dual_mov_b32 v78, 0 :: v_dual_add_nc_u32 v103, s1, v98
	v_dual_mov_b32 v59, 0 :: v_dual_mov_b32 v58, 0
	v_dual_mov_b32 v57, 0 :: v_dual_mov_b32 v56, 0
	s_delay_alu instid0(VALU_DEP_3) | instskip(SKIP_2) | instid1(VALU_DEP_3)
	v_min_u32_e32 v99, s20, v103
	v_dual_mov_b32 v76, 0 :: v_dual_add_nc_u32 v111, 0x100, v103
	v_dual_mov_b32 v79, 0 :: v_dual_add_nc_u32 v110, 0x200, v103
	v_lshlrev_b64 v[0:1], 1, v[99:100]
	s_delay_alu instid0(VALU_DEP_3) | instskip(SKIP_2) | instid1(VALU_DEP_3)
	v_min_u32_e32 v99, s20, v111
	v_dual_mov_b32 v77, 0 :: v_dual_add_nc_u32 v102, 0x300, v103
	v_dual_mov_b32 v39, 0 :: v_dual_mov_b32 v38, 0
	v_lshlrev_b64 v[2:3], 1, v[99:100]
	v_min_u32_e32 v99, s20, v110
	v_add_co_u32 v0, vcc_lo, v125, v0
	v_add_co_ci_u32_e32 v1, vcc_lo, v126, v1, vcc_lo
	s_delay_alu instid0(VALU_DEP_3) | instskip(SKIP_3) | instid1(VALU_DEP_3)
	v_lshlrev_b64 v[4:5], 1, v[99:100]
	v_min_u32_e32 v99, s20, v102
	v_add_co_u32 v2, vcc_lo, v125, v2
	v_add_co_ci_u32_e32 v3, vcc_lo, v126, v3, vcc_lo
	v_lshlrev_b64 v[6:7], 1, v[99:100]
	v_add_co_u32 v4, vcc_lo, v125, v4
	v_add_co_ci_u32_e32 v5, vcc_lo, v126, v5, vcc_lo
	v_dual_mov_b32 v37, 0 :: v_dual_mov_b32 v36, 0
	s_delay_alu instid0(VALU_DEP_4)
	v_add_co_u32 v16, vcc_lo, v125, v6
	v_add_co_ci_u32_e32 v17, vcc_lo, v126, v7, vcc_lo
	s_clause 0x3
	global_load_b128 v[12:15], v[0:1], off slc dlc
	global_load_b128 v[8:11], v[2:3], off slc dlc
	;; [unrolled: 1-line block ×4, first 2 shown]
	v_cmp_gt_u32_e32 vcc_lo, s4, v103
	v_dual_mov_b32 v35, 0 :: v_dual_mov_b32 v34, 0
	v_dual_mov_b32 v33, 0 :: v_dual_mov_b32 v32, 0
	;; [unrolled: 1-line block ×34, first 2 shown]
	s_and_saveexec_b32 s2, vcc_lo
	s_cbranch_execz .LBB129_20
; %bb.22:                               ;   in Loop: Header=BB129_21 Depth=2
	s_mov_b32 s30, exec_lo
                                        ; implicit-def: $vgpr27
	v_cmpx_lt_u32_e32 0x7fff, v103
	s_xor_b32 s30, exec_lo, s30
	s_cbranch_execz .LBB129_24
; %bb.23:                               ;   in Loop: Header=BB129_21 Depth=2
	v_mov_b32_e32 v104, v100
	s_delay_alu instid0(VALU_DEP_1) | instskip(NEXT) | instid1(VALU_DEP_1)
	v_lshlrev_b64 v[16:17], 1, v[103:104]
	v_add_co_u32 v16, vcc_lo, s12, v16
	s_delay_alu instid0(VALU_DEP_2)
	v_add_co_ci_u32_e32 v17, vcc_lo, s13, v17, vcc_lo
	global_load_b128 v[24:27], v[16:17], off
.LBB129_24:                             ;   in Loop: Header=BB129_21 Depth=2
	s_and_not1_saveexec_b32 s30, s30
	s_cbranch_execz .LBB129_26
; %bb.25:                               ;   in Loop: Header=BB129_21 Depth=2
	s_waitcnt vmcnt(0)
	ds_load_b128 v[24:27], v124
.LBB129_26:                             ;   in Loop: Header=BB129_21 Depth=2
	s_or_b32 exec_lo, exec_lo, s30
	v_add_nc_u32_e32 v99, s1, v115
	s_mov_b32 s30, exec_lo
                                        ; implicit-def: $vgpr23
	s_delay_alu instid0(VALU_DEP_1)
	v_cmpx_lt_u32_e32 0x7fff, v99
	s_xor_b32 s30, exec_lo, s30
	s_cbranch_execz .LBB129_28
; %bb.27:                               ;   in Loop: Header=BB129_21 Depth=2
	v_lshlrev_b64 v[16:17], 1, v[99:100]
	s_delay_alu instid0(VALU_DEP_1) | instskip(NEXT) | instid1(VALU_DEP_2)
	v_add_co_u32 v16, vcc_lo, s12, v16
	v_add_co_ci_u32_e32 v17, vcc_lo, s13, v17, vcc_lo
	global_load_b128 v[20:23], v[16:17], off
.LBB129_28:                             ;   in Loop: Header=BB129_21 Depth=2
	s_and_not1_saveexec_b32 s30, s30
	s_cbranch_execz .LBB129_30
; %bb.29:                               ;   in Loop: Header=BB129_21 Depth=2
	v_add_nc_u32_e32 v16, s19, v124
	s_waitcnt vmcnt(0)
	ds_load_b128 v[20:23], v16
.LBB129_30:                             ;   in Loop: Header=BB129_21 Depth=2
	s_or_b32 exec_lo, exec_lo, s30
	v_add_nc_u32_e32 v108, s1, v117
	s_mov_b32 s30, exec_lo
                                        ; implicit-def: $vgpr19
	s_delay_alu instid0(VALU_DEP_1)
	v_cmpx_lt_u32_e32 0x7fff, v108
	s_xor_b32 s30, exec_lo, s30
	s_cbranch_execz .LBB129_32
; %bb.31:                               ;   in Loop: Header=BB129_21 Depth=2
	v_mov_b32_e32 v109, v100
	s_delay_alu instid0(VALU_DEP_1) | instskip(NEXT) | instid1(VALU_DEP_1)
	v_lshlrev_b64 v[16:17], 1, v[108:109]
	v_add_co_u32 v16, vcc_lo, s12, v16
	s_delay_alu instid0(VALU_DEP_2)
	v_add_co_ci_u32_e32 v17, vcc_lo, s13, v17, vcc_lo
	global_load_b128 v[16:19], v[16:17], off
.LBB129_32:                             ;   in Loop: Header=BB129_21 Depth=2
	s_and_not1_saveexec_b32 s30, s30
	s_cbranch_execz .LBB129_34
; %bb.33:                               ;   in Loop: Header=BB129_21 Depth=2
	s_waitcnt vmcnt(0)
	v_add_nc_u32_e32 v18, s23, v124
	ds_load_2addr_b32 v[16:17], v18 offset1:1
	ds_load_2addr_b32 v[18:19], v18 offset0:2 offset1:3
.LBB129_34:                             ;   in Loop: Header=BB129_21 Depth=2
	s_or_b32 exec_lo, exec_lo, s30
	v_add_nc_u32_e32 v106, s1, v101
	s_mov_b32 s30, exec_lo
                                        ; implicit-def: $vgpr31
	s_delay_alu instid0(VALU_DEP_1)
	v_cmpx_lt_u32_e32 0x7fff, v106
	s_xor_b32 s30, exec_lo, s30
	s_cbranch_execz .LBB129_36
; %bb.35:                               ;   in Loop: Header=BB129_21 Depth=2
	v_mov_b32_e32 v107, v100
	s_delay_alu instid0(VALU_DEP_1) | instskip(NEXT) | instid1(VALU_DEP_1)
	v_lshlrev_b64 v[28:29], 1, v[106:107]
	v_add_co_u32 v28, vcc_lo, s12, v28
	s_delay_alu instid0(VALU_DEP_2)
	v_add_co_ci_u32_e32 v29, vcc_lo, s13, v29, vcc_lo
	global_load_b128 v[28:31], v[28:29], off
.LBB129_36:                             ;   in Loop: Header=BB129_21 Depth=2
	s_and_not1_saveexec_b32 s30, s30
	s_cbranch_execz .LBB129_38
; %bb.37:                               ;   in Loop: Header=BB129_21 Depth=2
	s_waitcnt vmcnt(0)
	v_add_nc_u32_e32 v28, s6, v124
	ds_load_b128 v[28:31], v28
.LBB129_38:                             ;   in Loop: Header=BB129_21 Depth=2
	s_or_b32 exec_lo, exec_lo, s30
	v_add_nc_u32_e32 v104, s1, v118
	s_mov_b32 s30, exec_lo
                                        ; implicit-def: $vgpr35
	s_delay_alu instid0(VALU_DEP_1)
	v_cmpx_lt_u32_e32 0x7fff, v104
	s_xor_b32 s30, exec_lo, s30
	s_cbranch_execz .LBB129_40
; %bb.39:                               ;   in Loop: Header=BB129_21 Depth=2
	v_mov_b32_e32 v105, v100
	s_delay_alu instid0(VALU_DEP_1) | instskip(NEXT) | instid1(VALU_DEP_1)
	v_lshlrev_b64 v[32:33], 1, v[104:105]
	v_add_co_u32 v32, vcc_lo, s12, v32
	s_delay_alu instid0(VALU_DEP_2)
	v_add_co_ci_u32_e32 v33, vcc_lo, s13, v33, vcc_lo
	global_load_b128 v[32:35], v[32:33], off
.LBB129_40:                             ;   in Loop: Header=BB129_21 Depth=2
	s_and_not1_saveexec_b32 s30, s30
	s_cbranch_execz .LBB129_42
; %bb.41:                               ;   in Loop: Header=BB129_21 Depth=2
	s_waitcnt vmcnt(0)
	v_add_nc_u32_e32 v32, s28, v124
	ds_load_2addr_b64 v[32:35], v32 offset1:1
.LBB129_42:                             ;   in Loop: Header=BB129_21 Depth=2
	s_or_b32 exec_lo, exec_lo, s30
	v_cmp_gt_u32_e32 vcc_lo, s4, v111
	v_dual_mov_b32 v79, 0 :: v_dual_mov_b32 v78, 0
	v_dual_mov_b32 v77, 0 :: v_dual_mov_b32 v76, 0
	v_dual_mov_b32 v59, 0 :: v_dual_mov_b32 v58, 0
	v_dual_mov_b32 v57, 0 :: v_dual_mov_b32 v56, 0
	v_dual_mov_b32 v39, 0 :: v_dual_mov_b32 v38, 0
	v_dual_mov_b32 v37, 0 :: v_dual_mov_b32 v36, 0
	v_dual_mov_b32 v83, 0 :: v_dual_mov_b32 v82, 0
	v_dual_mov_b32 v81, 0 :: v_dual_mov_b32 v80, 0
	v_dual_mov_b32 v63, 0 :: v_dual_mov_b32 v62, 0
	v_dual_mov_b32 v61, 0 :: v_dual_mov_b32 v60, 0
	v_dual_mov_b32 v43, 0 :: v_dual_mov_b32 v42, 0
	v_dual_mov_b32 v41, 0 :: v_dual_mov_b32 v40, 0
	v_dual_mov_b32 v87, 0 :: v_dual_mov_b32 v86, 0
	v_dual_mov_b32 v85, 0 :: v_dual_mov_b32 v84, 0
	v_dual_mov_b32 v67, 0 :: v_dual_mov_b32 v66, 0
	v_dual_mov_b32 v65, 0 :: v_dual_mov_b32 v64, 0
	v_dual_mov_b32 v47, 0 :: v_dual_mov_b32 v46, 0
	v_dual_mov_b32 v45, 0 :: v_dual_mov_b32 v44, 0
	v_dual_mov_b32 v91, 0 :: v_dual_mov_b32 v90, 0
	v_dual_mov_b32 v89, 0 :: v_dual_mov_b32 v88, 0
	v_dual_mov_b32 v71, 0 :: v_dual_mov_b32 v70, 0
	v_dual_mov_b32 v69, 0 :: v_dual_mov_b32 v68, 0
	v_dual_mov_b32 v51, 0 :: v_dual_mov_b32 v50, 0
	v_dual_mov_b32 v49, 0 :: v_dual_mov_b32 v48, 0
	v_dual_mov_b32 v95, 0 :: v_dual_mov_b32 v94, 0
	v_dual_mov_b32 v93, 0 :: v_dual_mov_b32 v92, 0
	v_dual_mov_b32 v75, 0 :: v_dual_mov_b32 v74, 0
	v_dual_mov_b32 v73, 0 :: v_dual_mov_b32 v72, 0
	v_dual_mov_b32 v55, 0 :: v_dual_mov_b32 v54, 0
	v_dual_mov_b32 v53, 0 :: v_dual_mov_b32 v52, 0
	s_and_saveexec_b32 s30, vcc_lo
	s_cbranch_execz .LBB129_19
; %bb.43:                               ;   in Loop: Header=BB129_21 Depth=2
	s_mov_b32 s31, exec_lo
                                        ; implicit-def: $vgpr55
	v_cmpx_lt_u32_e32 0x7fff, v111
	s_xor_b32 s31, exec_lo, s31
	s_cbranch_execz .LBB129_45
; %bb.44:                               ;   in Loop: Header=BB129_21 Depth=2
	v_mov_b32_e32 v112, v100
	s_delay_alu instid0(VALU_DEP_1) | instskip(NEXT) | instid1(VALU_DEP_1)
	v_lshlrev_b64 v[36:37], 1, v[111:112]
	v_add_co_u32 v36, vcc_lo, s12, v36
	s_delay_alu instid0(VALU_DEP_2)
	v_add_co_ci_u32_e32 v37, vcc_lo, s13, v37, vcc_lo
	global_load_b128 v[52:55], v[36:37], off
.LBB129_45:                             ;   in Loop: Header=BB129_21 Depth=2
	s_and_not1_saveexec_b32 s31, s31
	s_cbranch_execz .LBB129_47
; %bb.46:                               ;   in Loop: Header=BB129_21 Depth=2
	s_waitcnt vmcnt(0)
	ds_load_b128 v[52:55], v124 offset:512
.LBB129_47:                             ;   in Loop: Header=BB129_21 Depth=2
	s_or_b32 exec_lo, exec_lo, s31
	v_add_nc_u32_e32 v36, 0x100, v99
	s_mov_b32 s31, exec_lo
                                        ; implicit-def: $vgpr51
	s_delay_alu instid0(VALU_DEP_1)
	v_cmpx_lt_u32_e32 0x7fff, v36
	s_xor_b32 s31, exec_lo, s31
	s_cbranch_execz .LBB129_49
; %bb.48:                               ;   in Loop: Header=BB129_21 Depth=2
	v_mov_b32_e32 v37, v100
	s_delay_alu instid0(VALU_DEP_1) | instskip(NEXT) | instid1(VALU_DEP_1)
	v_lshlrev_b64 v[36:37], 1, v[36:37]
	v_add_co_u32 v36, vcc_lo, s12, v36
	s_delay_alu instid0(VALU_DEP_2)
	v_add_co_ci_u32_e32 v37, vcc_lo, s13, v37, vcc_lo
	global_load_b128 v[48:51], v[36:37], off
.LBB129_49:                             ;   in Loop: Header=BB129_21 Depth=2
	s_and_not1_saveexec_b32 s31, s31
	s_cbranch_execz .LBB129_51
; %bb.50:                               ;   in Loop: Header=BB129_21 Depth=2
	v_add_nc_u32_e32 v36, s19, v124
	s_waitcnt vmcnt(0)
	ds_load_b128 v[48:51], v36 offset:512
.LBB129_51:                             ;   in Loop: Header=BB129_21 Depth=2
	s_or_b32 exec_lo, exec_lo, s31
	v_add_nc_u32_e32 v36, 0x100, v108
	s_mov_b32 s31, exec_lo
                                        ; implicit-def: $vgpr47
	s_delay_alu instid0(VALU_DEP_1)
	v_cmpx_lt_u32_e32 0x7fff, v36
	s_xor_b32 s31, exec_lo, s31
	s_cbranch_execz .LBB129_53
; %bb.52:                               ;   in Loop: Header=BB129_21 Depth=2
	v_mov_b32_e32 v37, v100
	s_delay_alu instid0(VALU_DEP_1) | instskip(NEXT) | instid1(VALU_DEP_1)
	v_lshlrev_b64 v[36:37], 1, v[36:37]
	v_add_co_u32 v36, vcc_lo, s12, v36
	s_delay_alu instid0(VALU_DEP_2)
	v_add_co_ci_u32_e32 v37, vcc_lo, s13, v37, vcc_lo
	global_load_b128 v[44:47], v[36:37], off
.LBB129_53:                             ;   in Loop: Header=BB129_21 Depth=2
	s_and_not1_saveexec_b32 s31, s31
	s_cbranch_execz .LBB129_55
; %bb.54:                               ;   in Loop: Header=BB129_21 Depth=2
	v_add_nc_u32_e32 v36, s23, v124
	s_waitcnt vmcnt(0)
	ds_load_2addr_b32 v[44:45], v36 offset0:128 offset1:129
	ds_load_2addr_b32 v[46:47], v36 offset0:130 offset1:131
.LBB129_55:                             ;   in Loop: Header=BB129_21 Depth=2
	s_or_b32 exec_lo, exec_lo, s31
	v_add_nc_u32_e32 v36, 0x100, v106
	s_mov_b32 s31, exec_lo
                                        ; implicit-def: $vgpr43
	s_delay_alu instid0(VALU_DEP_1)
	v_cmpx_lt_u32_e32 0x7fff, v36
	s_xor_b32 s31, exec_lo, s31
	s_cbranch_execz .LBB129_57
; %bb.56:                               ;   in Loop: Header=BB129_21 Depth=2
	v_mov_b32_e32 v37, v100
	s_delay_alu instid0(VALU_DEP_1) | instskip(NEXT) | instid1(VALU_DEP_1)
	v_lshlrev_b64 v[36:37], 1, v[36:37]
	v_add_co_u32 v36, vcc_lo, s12, v36
	s_delay_alu instid0(VALU_DEP_2)
	v_add_co_ci_u32_e32 v37, vcc_lo, s13, v37, vcc_lo
	global_load_b128 v[40:43], v[36:37], off
.LBB129_57:                             ;   in Loop: Header=BB129_21 Depth=2
	s_and_not1_saveexec_b32 s31, s31
	s_cbranch_execz .LBB129_59
; %bb.58:                               ;   in Loop: Header=BB129_21 Depth=2
	v_add_nc_u32_e32 v36, s6, v124
	s_waitcnt vmcnt(0)
	ds_load_b128 v[40:43], v36 offset:512
.LBB129_59:                             ;   in Loop: Header=BB129_21 Depth=2
	s_or_b32 exec_lo, exec_lo, s31
	v_add_nc_u32_e32 v36, 0x100, v104
	s_mov_b32 s31, exec_lo
                                        ; implicit-def: $vgpr39
	s_delay_alu instid0(VALU_DEP_1)
	v_cmpx_lt_u32_e32 0x7fff, v36
	s_xor_b32 s31, exec_lo, s31
	s_cbranch_execz .LBB129_61
; %bb.60:                               ;   in Loop: Header=BB129_21 Depth=2
	v_mov_b32_e32 v37, v100
	s_delay_alu instid0(VALU_DEP_1) | instskip(NEXT) | instid1(VALU_DEP_1)
	v_lshlrev_b64 v[36:37], 1, v[36:37]
	v_add_co_u32 v36, vcc_lo, s12, v36
	s_delay_alu instid0(VALU_DEP_2)
	v_add_co_ci_u32_e32 v37, vcc_lo, s13, v37, vcc_lo
	global_load_b128 v[36:39], v[36:37], off
.LBB129_61:                             ;   in Loop: Header=BB129_21 Depth=2
	s_and_not1_saveexec_b32 s31, s31
	s_cbranch_execz .LBB129_63
; %bb.62:                               ;   in Loop: Header=BB129_21 Depth=2
	s_waitcnt vmcnt(0)
	v_add_nc_u32_e32 v36, s28, v124
	ds_load_2addr_b64 v[36:39], v36 offset0:64 offset1:65
.LBB129_63:                             ;   in Loop: Header=BB129_21 Depth=2
	s_or_b32 exec_lo, exec_lo, s31
	v_cmp_gt_u32_e32 vcc_lo, s4, v110
	v_dual_mov_b32 v79, 0 :: v_dual_mov_b32 v78, 0
	v_dual_mov_b32 v77, 0 :: v_dual_mov_b32 v76, 0
	;; [unrolled: 1-line block ×20, first 2 shown]
	s_and_saveexec_b32 s31, vcc_lo
	s_cbranch_execz .LBB129_18
; %bb.64:                               ;   in Loop: Header=BB129_21 Depth=2
	s_mov_b32 s33, exec_lo
                                        ; implicit-def: $vgpr75
	v_cmpx_lt_u32_e32 0x7fff, v110
	s_xor_b32 s33, exec_lo, s33
	s_cbranch_execz .LBB129_66
; %bb.65:                               ;   in Loop: Header=BB129_21 Depth=2
	v_mov_b32_e32 v111, v100
	s_delay_alu instid0(VALU_DEP_1) | instskip(NEXT) | instid1(VALU_DEP_1)
	v_lshlrev_b64 v[56:57], 1, v[110:111]
	v_add_co_u32 v56, vcc_lo, s12, v56
	s_delay_alu instid0(VALU_DEP_2)
	v_add_co_ci_u32_e32 v57, vcc_lo, s13, v57, vcc_lo
	global_load_b128 v[72:75], v[56:57], off
.LBB129_66:                             ;   in Loop: Header=BB129_21 Depth=2
	s_and_not1_saveexec_b32 s33, s33
	s_cbranch_execz .LBB129_68
; %bb.67:                               ;   in Loop: Header=BB129_21 Depth=2
	s_waitcnt vmcnt(0)
	ds_load_b128 v[72:75], v124 offset:1024
.LBB129_68:                             ;   in Loop: Header=BB129_21 Depth=2
	s_or_b32 exec_lo, exec_lo, s33
	v_add_nc_u32_e32 v56, 0x200, v99
	s_mov_b32 s33, exec_lo
                                        ; implicit-def: $vgpr71
	s_delay_alu instid0(VALU_DEP_1)
	v_cmpx_lt_u32_e32 0x7fff, v56
	s_xor_b32 s33, exec_lo, s33
	s_cbranch_execz .LBB129_70
; %bb.69:                               ;   in Loop: Header=BB129_21 Depth=2
	v_mov_b32_e32 v57, v100
	s_delay_alu instid0(VALU_DEP_1) | instskip(NEXT) | instid1(VALU_DEP_1)
	v_lshlrev_b64 v[56:57], 1, v[56:57]
	v_add_co_u32 v56, vcc_lo, s12, v56
	s_delay_alu instid0(VALU_DEP_2)
	v_add_co_ci_u32_e32 v57, vcc_lo, s13, v57, vcc_lo
	global_load_b128 v[68:71], v[56:57], off
.LBB129_70:                             ;   in Loop: Header=BB129_21 Depth=2
	s_and_not1_saveexec_b32 s33, s33
	s_cbranch_execz .LBB129_72
; %bb.71:                               ;   in Loop: Header=BB129_21 Depth=2
	v_add_nc_u32_e32 v56, s19, v124
	s_waitcnt vmcnt(0)
	ds_load_b128 v[68:71], v56 offset:1024
.LBB129_72:                             ;   in Loop: Header=BB129_21 Depth=2
	s_or_b32 exec_lo, exec_lo, s33
	v_add_nc_u32_e32 v56, 0x200, v108
	s_mov_b32 s33, exec_lo
                                        ; implicit-def: $vgpr67
	s_delay_alu instid0(VALU_DEP_1)
	v_cmpx_lt_u32_e32 0x7fff, v56
	s_xor_b32 s33, exec_lo, s33
	s_cbranch_execz .LBB129_74
; %bb.73:                               ;   in Loop: Header=BB129_21 Depth=2
	v_mov_b32_e32 v57, v100
	s_delay_alu instid0(VALU_DEP_1) | instskip(NEXT) | instid1(VALU_DEP_1)
	v_lshlrev_b64 v[56:57], 1, v[56:57]
	v_add_co_u32 v56, vcc_lo, s12, v56
	s_delay_alu instid0(VALU_DEP_2)
	v_add_co_ci_u32_e32 v57, vcc_lo, s13, v57, vcc_lo
	global_load_b128 v[64:67], v[56:57], off
.LBB129_74:                             ;   in Loop: Header=BB129_21 Depth=2
	s_and_not1_saveexec_b32 s33, s33
	s_cbranch_execz .LBB129_76
; %bb.75:                               ;   in Loop: Header=BB129_21 Depth=2
	v_add_nc_u32_e32 v56, s23, v124
	s_delay_alu instid0(VALU_DEP_1)
	v_add_nc_u32_e32 v57, 0x400, v56
	v_add_nc_u32_e32 v56, 0x408, v56
	s_waitcnt vmcnt(0)
	ds_load_2addr_b32 v[64:65], v57 offset1:1
	ds_load_2addr_b32 v[66:67], v56 offset1:1
.LBB129_76:                             ;   in Loop: Header=BB129_21 Depth=2
	s_or_b32 exec_lo, exec_lo, s33
	v_add_nc_u32_e32 v56, 0x200, v106
	s_mov_b32 s33, exec_lo
                                        ; implicit-def: $vgpr63
	s_delay_alu instid0(VALU_DEP_1)
	v_cmpx_lt_u32_e32 0x7fff, v56
	s_xor_b32 s33, exec_lo, s33
	s_cbranch_execz .LBB129_78
; %bb.77:                               ;   in Loop: Header=BB129_21 Depth=2
	v_mov_b32_e32 v57, v100
	s_delay_alu instid0(VALU_DEP_1) | instskip(NEXT) | instid1(VALU_DEP_1)
	v_lshlrev_b64 v[56:57], 1, v[56:57]
	v_add_co_u32 v56, vcc_lo, s12, v56
	s_delay_alu instid0(VALU_DEP_2)
	v_add_co_ci_u32_e32 v57, vcc_lo, s13, v57, vcc_lo
	global_load_b128 v[60:63], v[56:57], off
.LBB129_78:                             ;   in Loop: Header=BB129_21 Depth=2
	s_and_not1_saveexec_b32 s33, s33
	s_cbranch_execz .LBB129_80
; %bb.79:                               ;   in Loop: Header=BB129_21 Depth=2
	v_add_nc_u32_e32 v56, s6, v124
	s_waitcnt vmcnt(0)
	ds_load_b128 v[60:63], v56 offset:1024
.LBB129_80:                             ;   in Loop: Header=BB129_21 Depth=2
	s_or_b32 exec_lo, exec_lo, s33
	v_add_nc_u32_e32 v56, 0x200, v104
	s_mov_b32 s33, exec_lo
                                        ; implicit-def: $vgpr59
	s_delay_alu instid0(VALU_DEP_1)
	v_cmpx_lt_u32_e32 0x7fff, v56
	s_xor_b32 s33, exec_lo, s33
	s_cbranch_execz .LBB129_82
; %bb.81:                               ;   in Loop: Header=BB129_21 Depth=2
	v_mov_b32_e32 v57, v100
	s_delay_alu instid0(VALU_DEP_1) | instskip(NEXT) | instid1(VALU_DEP_1)
	v_lshlrev_b64 v[56:57], 1, v[56:57]
	v_add_co_u32 v56, vcc_lo, s12, v56
	s_delay_alu instid0(VALU_DEP_2)
	v_add_co_ci_u32_e32 v57, vcc_lo, s13, v57, vcc_lo
	global_load_b128 v[56:59], v[56:57], off
.LBB129_82:                             ;   in Loop: Header=BB129_21 Depth=2
	s_and_not1_saveexec_b32 s33, s33
	s_cbranch_execz .LBB129_84
; %bb.83:                               ;   in Loop: Header=BB129_21 Depth=2
	s_waitcnt vmcnt(0)
	v_add_nc_u32_e32 v56, s28, v124
	ds_load_2addr_b64 v[56:59], v56 offset0:128 offset1:129
.LBB129_84:                             ;   in Loop: Header=BB129_21 Depth=2
	s_or_b32 exec_lo, exec_lo, s33
	v_cmp_gt_u32_e32 vcc_lo, s4, v102
	v_dual_mov_b32 v79, 0 :: v_dual_mov_b32 v78, 0
	v_dual_mov_b32 v77, 0 :: v_dual_mov_b32 v76, 0
	;; [unrolled: 1-line block ×10, first 2 shown]
	s_and_saveexec_b32 s33, vcc_lo
	s_cbranch_execz .LBB129_17
; %bb.85:                               ;   in Loop: Header=BB129_21 Depth=2
	s_mov_b32 s34, exec_lo
                                        ; implicit-def: $vgpr95
	v_cmpx_lt_u32_e32 0x7fff, v102
	s_xor_b32 s34, exec_lo, s34
	s_cbranch_execz .LBB129_87
; %bb.86:                               ;   in Loop: Header=BB129_21 Depth=2
	v_mov_b32_e32 v103, v100
	s_delay_alu instid0(VALU_DEP_1) | instskip(NEXT) | instid1(VALU_DEP_1)
	v_lshlrev_b64 v[76:77], 1, v[102:103]
	v_add_co_u32 v76, vcc_lo, s12, v76
	s_delay_alu instid0(VALU_DEP_2)
	v_add_co_ci_u32_e32 v77, vcc_lo, s13, v77, vcc_lo
	global_load_b128 v[92:95], v[76:77], off
.LBB129_87:                             ;   in Loop: Header=BB129_21 Depth=2
	s_and_not1_saveexec_b32 s34, s34
	s_cbranch_execz .LBB129_89
; %bb.88:                               ;   in Loop: Header=BB129_21 Depth=2
	s_waitcnt vmcnt(0)
	ds_load_b128 v[92:95], v124 offset:1536
.LBB129_89:                             ;   in Loop: Header=BB129_21 Depth=2
	s_or_b32 exec_lo, exec_lo, s34
	v_add_nc_u32_e32 v99, 0x300, v99
	s_mov_b32 s34, exec_lo
                                        ; implicit-def: $vgpr91
	s_delay_alu instid0(VALU_DEP_1)
	v_cmpx_lt_u32_e32 0x7fff, v99
	s_xor_b32 s34, exec_lo, s34
	s_cbranch_execz .LBB129_91
; %bb.90:                               ;   in Loop: Header=BB129_21 Depth=2
	v_lshlrev_b64 v[76:77], 1, v[99:100]
	s_delay_alu instid0(VALU_DEP_1) | instskip(NEXT) | instid1(VALU_DEP_2)
	v_add_co_u32 v76, vcc_lo, s12, v76
	v_add_co_ci_u32_e32 v77, vcc_lo, s13, v77, vcc_lo
	global_load_b128 v[88:91], v[76:77], off
.LBB129_91:                             ;   in Loop: Header=BB129_21 Depth=2
	s_and_not1_saveexec_b32 s34, s34
	s_cbranch_execz .LBB129_93
; %bb.92:                               ;   in Loop: Header=BB129_21 Depth=2
	v_add_nc_u32_e32 v76, s19, v124
	s_waitcnt vmcnt(0)
	ds_load_b128 v[88:91], v76 offset:1536
.LBB129_93:                             ;   in Loop: Header=BB129_21 Depth=2
	s_or_b32 exec_lo, exec_lo, s34
	v_add_nc_u32_e32 v99, 0x300, v108
	s_mov_b32 s34, exec_lo
                                        ; implicit-def: $vgpr87
	s_delay_alu instid0(VALU_DEP_1)
	v_cmpx_lt_u32_e32 0x7fff, v99
	s_xor_b32 s34, exec_lo, s34
	s_cbranch_execz .LBB129_95
; %bb.94:                               ;   in Loop: Header=BB129_21 Depth=2
	v_lshlrev_b64 v[76:77], 1, v[99:100]
	s_delay_alu instid0(VALU_DEP_1) | instskip(NEXT) | instid1(VALU_DEP_2)
	v_add_co_u32 v76, vcc_lo, s12, v76
	v_add_co_ci_u32_e32 v77, vcc_lo, s13, v77, vcc_lo
	global_load_b128 v[84:87], v[76:77], off
.LBB129_95:                             ;   in Loop: Header=BB129_21 Depth=2
	s_and_not1_saveexec_b32 s34, s34
	s_cbranch_execz .LBB129_97
; %bb.96:                               ;   in Loop: Header=BB129_21 Depth=2
	v_add_nc_u32_e32 v76, s23, v124
	s_delay_alu instid0(VALU_DEP_1)
	v_add_nc_u32_e32 v77, 0x600, v76
	v_add_nc_u32_e32 v76, 0x608, v76
	s_waitcnt vmcnt(0)
	ds_load_2addr_b32 v[84:85], v77 offset1:1
	ds_load_2addr_b32 v[86:87], v76 offset1:1
.LBB129_97:                             ;   in Loop: Header=BB129_21 Depth=2
	s_or_b32 exec_lo, exec_lo, s34
	v_add_nc_u32_e32 v99, 0x300, v106
	s_mov_b32 s34, exec_lo
                                        ; implicit-def: $vgpr83
	s_delay_alu instid0(VALU_DEP_1)
	v_cmpx_lt_u32_e32 0x7fff, v99
	s_xor_b32 s34, exec_lo, s34
	s_cbranch_execz .LBB129_99
; %bb.98:                               ;   in Loop: Header=BB129_21 Depth=2
	v_lshlrev_b64 v[76:77], 1, v[99:100]
	s_delay_alu instid0(VALU_DEP_1) | instskip(NEXT) | instid1(VALU_DEP_2)
	v_add_co_u32 v76, vcc_lo, s12, v76
	v_add_co_ci_u32_e32 v77, vcc_lo, s13, v77, vcc_lo
	global_load_b128 v[80:83], v[76:77], off
.LBB129_99:                             ;   in Loop: Header=BB129_21 Depth=2
	s_and_not1_saveexec_b32 s34, s34
	s_cbranch_execz .LBB129_101
; %bb.100:                              ;   in Loop: Header=BB129_21 Depth=2
	v_add_nc_u32_e32 v76, s6, v124
	s_waitcnt vmcnt(0)
	ds_load_b128 v[80:83], v76 offset:1536
.LBB129_101:                            ;   in Loop: Header=BB129_21 Depth=2
	s_or_b32 exec_lo, exec_lo, s34
	v_add_nc_u32_e32 v99, 0x300, v104
	s_mov_b32 s34, exec_lo
                                        ; implicit-def: $vgpr79
	s_delay_alu instid0(VALU_DEP_1)
	v_cmpx_lt_u32_e32 0x7fff, v99
	s_xor_b32 s34, exec_lo, s34
	s_cbranch_execz .LBB129_103
; %bb.102:                              ;   in Loop: Header=BB129_21 Depth=2
	v_lshlrev_b64 v[76:77], 1, v[99:100]
	s_delay_alu instid0(VALU_DEP_1) | instskip(NEXT) | instid1(VALU_DEP_2)
	v_add_co_u32 v76, vcc_lo, s12, v76
	v_add_co_ci_u32_e32 v77, vcc_lo, s13, v77, vcc_lo
	global_load_b128 v[76:79], v[76:77], off
.LBB129_103:                            ;   in Loop: Header=BB129_21 Depth=2
	s_and_not1_saveexec_b32 s34, s34
	s_cbranch_execz .LBB129_16
; %bb.104:                              ;   in Loop: Header=BB129_21 Depth=2
	s_waitcnt vmcnt(0)
	v_add_nc_u32_e32 v76, s28, v124
	ds_load_2addr_b64 v[76:79], v76 offset0:192 offset1:193
	s_branch .LBB129_16
.LBB129_105:                            ;   in Loop: Header=BB129_14 Depth=1
	v_xor_b32_e32 v0, 16, v116
	v_cvt_i32_f32_e32 v1, v123
	v_cvt_i32_f32_e32 v3, v121
	;; [unrolled: 1-line block ×4, first 2 shown]
	v_cmp_gt_i32_e32 vcc_lo, 32, v0
	v_cvt_f32_i32_dpp v1, v1 row_shr:8 row_mask:0xf bank_mask:0xf bound_ctrl:1
	v_cvt_i32_f32_e32 v2, v122
	s_delay_alu instid0(VALU_DEP_2) | instskip(NEXT) | instid1(VALU_DEP_2)
	v_dual_cndmask_b32 v0, v116, v0 :: v_dual_add_f32 v1, v123, v1
	v_cvt_f32_i32_dpp v2, v2 row_shr:8 row_mask:0xf bank_mask:0xf bound_ctrl:1
	s_waitcnt vmcnt(0)
	s_delay_alu instid0(VALU_DEP_2) | instskip(SKIP_4) | instid1(VALU_DEP_3)
	v_lshlrev_b32_e32 v10, 2, v0
	v_cvt_f32_i32_dpp v0, v3 row_shr:8 row_mask:0xf bank_mask:0xf bound_ctrl:1
	v_cvt_f32_i32_dpp v3, v4 row_shr:8 row_mask:0xf bank_mask:0xf bound_ctrl:1
	;; [unrolled: 1-line block ×3, first 2 shown]
	v_cvt_i32_f32_e32 v5, v1
	v_dual_add_f32 v0, v121, v0 :: v_dual_add_f32 v3, v120, v3
	s_delay_alu instid0(VALU_DEP_2) | instskip(SKIP_1) | instid1(VALU_DEP_3)
	v_cvt_f32_i32_dpp v5, v5 row_shr:4 row_mask:0xf bank_mask:0xf bound_ctrl:1
	v_add_f32_e32 v2, v122, v2
	v_cvt_i32_f32_e32 v7, v0
	s_delay_alu instid0(VALU_DEP_4) | instskip(NEXT) | instid1(VALU_DEP_4)
	v_cvt_i32_f32_e32 v8, v3
	v_add_f32_e32 v1, v1, v5
	s_delay_alu instid0(VALU_DEP_4) | instskip(NEXT) | instid1(VALU_DEP_4)
	v_cvt_i32_f32_e32 v6, v2
	v_cvt_f32_i32_dpp v7, v7 row_shr:4 row_mask:0xf bank_mask:0xf bound_ctrl:1
	s_delay_alu instid0(VALU_DEP_4) | instskip(NEXT) | instid1(VALU_DEP_4)
	v_cvt_f32_i32_dpp v8, v8 row_shr:4 row_mask:0xf bank_mask:0xf bound_ctrl:1
	v_cvt_i32_f32_e32 v5, v1
	s_delay_alu instid0(VALU_DEP_4) | instskip(NEXT) | instid1(VALU_DEP_3)
	v_cvt_f32_i32_dpp v6, v6 row_shr:4 row_mask:0xf bank_mask:0xf bound_ctrl:1
	v_add_f32_e32 v3, v3, v8
	s_delay_alu instid0(VALU_DEP_3) | instskip(SKIP_1) | instid1(VALU_DEP_4)
	v_cvt_f32_i32_dpp v5, v5 row_shr:2 row_mask:0xf bank_mask:0xf bound_ctrl:1
	v_add_f32_e32 v0, v0, v7
	v_add_f32_e32 v2, v2, v6
	s_delay_alu instid0(VALU_DEP_4) | instskip(NEXT) | instid1(VALU_DEP_4)
	v_cvt_i32_f32_e32 v8, v3
	v_add_f32_e32 v1, v1, v5
	s_delay_alu instid0(VALU_DEP_4) | instskip(NEXT) | instid1(VALU_DEP_4)
	v_cvt_i32_f32_e32 v7, v0
	v_cvt_i32_f32_e32 v6, v2
	s_delay_alu instid0(VALU_DEP_4) | instskip(NEXT) | instid1(VALU_DEP_3)
	v_cvt_f32_i32_dpp v8, v8 row_shr:2 row_mask:0xf bank_mask:0xf bound_ctrl:1
	v_cvt_f32_i32_dpp v7, v7 row_shr:2 row_mask:0xf bank_mask:0xf bound_ctrl:1
	s_delay_alu instid0(VALU_DEP_3) | instskip(NEXT) | instid1(VALU_DEP_3)
	v_cvt_f32_i32_dpp v6, v6 row_shr:2 row_mask:0xf bank_mask:0xf bound_ctrl:1
	v_add_f32_e32 v5, v3, v8
	v_cvt_i32_f32_e32 v3, v1
	s_delay_alu instid0(VALU_DEP_4) | instskip(NEXT) | instid1(VALU_DEP_4)
	v_add_f32_e32 v0, v0, v7
	v_add_f32_e32 v2, v2, v6
	s_delay_alu instid0(VALU_DEP_4) | instskip(NEXT) | instid1(VALU_DEP_4)
	v_cvt_i32_f32_e32 v8, v5
	v_cvt_f32_i32_dpp v3, v3 row_shr:1 row_mask:0xf bank_mask:0xf bound_ctrl:1
	s_delay_alu instid0(VALU_DEP_4) | instskip(NEXT) | instid1(VALU_DEP_3)
	v_cvt_i32_f32_e32 v7, v0
	v_cvt_f32_i32_dpp v11, v8 row_shr:1 row_mask:0xf bank_mask:0xf bound_ctrl:1
	s_delay_alu instid0(VALU_DEP_3) | instskip(NEXT) | instid1(VALU_DEP_3)
	v_add_f32_e32 v8, v1, v3
	v_cvt_f32_i32_dpp v7, v7 row_shr:1 row_mask:0xf bank_mask:0xf bound_ctrl:1
	s_delay_alu instid0(VALU_DEP_1) | instskip(NEXT) | instid1(VALU_DEP_1)
	v_dual_add_f32 v4, v97, v4 :: v_dual_add_f32 v3, v0, v7
	v_cvt_i32_f32_e32 v9, v4
	s_delay_alu instid0(VALU_DEP_1) | instskip(NEXT) | instid1(VALU_DEP_1)
	v_cvt_f32_i32_dpp v9, v9 row_shr:4 row_mask:0xf bank_mask:0xf bound_ctrl:1
	v_add_f32_e32 v4, v4, v9
	s_delay_alu instid0(VALU_DEP_1) | instskip(NEXT) | instid1(VALU_DEP_1)
	v_cvt_i32_f32_e32 v9, v4
	v_cvt_f32_i32_dpp v9, v9 row_shr:2 row_mask:0xf bank_mask:0xf bound_ctrl:1
	s_delay_alu instid0(VALU_DEP_1) | instskip(SKIP_1) | instid1(VALU_DEP_2)
	v_add_f32_e32 v6, v4, v9
	v_cvt_i32_f32_e32 v4, v2
	v_cvt_i32_f32_e32 v9, v6
	s_delay_alu instid0(VALU_DEP_2) | instskip(NEXT) | instid1(VALU_DEP_2)
	v_cvt_f32_i32_dpp v4, v4 row_shr:1 row_mask:0xf bank_mask:0xf bound_ctrl:1
	v_cvt_f32_i32_dpp v9, v9 row_shr:1 row_mask:0xf bank_mask:0xf bound_ctrl:1
	s_delay_alu instid0(VALU_DEP_2) | instskip(SKIP_1) | instid1(VALU_DEP_3)
	v_add_f32_e32 v2, v2, v4
	v_add_f32_e32 v4, v5, v11
	;; [unrolled: 1-line block ×3, first 2 shown]
	ds_bpermute_b32 v9, v10, v8
	ds_bpermute_b32 v5, v10, v2
	;; [unrolled: 1-line block ×5, first 2 shown]
	s_and_saveexec_b32 s1, s0
	s_cbranch_execz .LBB129_13
; %bb.106:                              ;   in Loop: Header=BB129_14 Depth=1
	v_dual_mov_b32 v14, 0 :: v_dual_mov_b32 v13, 0
	v_dual_mov_b32 v12, 0 :: v_dual_mov_b32 v11, 0
	v_mov_b32_e32 v10, 0
	s_and_not1_b32 vcc_lo, exec_lo, s22
	s_cbranch_vccnz .LBB129_108
; %bb.107:                              ;   in Loop: Header=BB129_14 Depth=1
	v_mul_hi_u32 v10, v96, v119
	s_delay_alu instid0(VALU_DEP_1) | instskip(NEXT) | instid1(VALU_DEP_1)
	v_mul_lo_u32 v10, v10, s16
	v_sub_nc_u32_e32 v10, v96, v10
	s_delay_alu instid0(VALU_DEP_1) | instskip(SKIP_1) | instid1(VALU_DEP_2)
	v_subrev_nc_u32_e32 v11, s16, v10
	v_cmp_le_u32_e32 vcc_lo, s16, v10
	v_cndmask_b32_e32 v10, v10, v11, vcc_lo
	s_delay_alu instid0(VALU_DEP_1) | instskip(SKIP_1) | instid1(VALU_DEP_2)
	v_subrev_nc_u32_e32 v11, s16, v10
	v_cmp_le_u32_e32 vcc_lo, s16, v10
	v_cndmask_b32_e32 v99, v10, v11, vcc_lo
	v_mov_b32_e32 v11, v100
	v_mov_b32_e32 v13, v100
	s_delay_alu instid0(VALU_DEP_3)
	v_dual_mov_b32 v15, v100 :: v_dual_add_nc_u32 v12, s26, v99
	v_add_nc_u32_e32 v10, s25, v99
	v_lshlrev_b64 v[16:17], 1, v[99:100]
	v_add_nc_u32_e32 v14, s27, v99
	v_add_nc_u32_e32 v99, s29, v99
	v_lshlrev_b64 v[12:13], 1, v[12:13]
	v_lshlrev_b64 v[10:11], 1, v[10:11]
	v_add_co_u32 v16, vcc_lo, s8, v16
	v_add_co_ci_u32_e32 v17, vcc_lo, s9, v17, vcc_lo
	v_lshlrev_b64 v[14:15], 1, v[14:15]
	s_delay_alu instid0(VALU_DEP_4)
	v_add_co_u32 v10, vcc_lo, s8, v10
	v_add_co_ci_u32_e32 v11, vcc_lo, s9, v11, vcc_lo
	v_lshlrev_b64 v[18:19], 1, v[99:100]
	v_add_co_u32 v20, vcc_lo, s8, v12
	v_add_co_ci_u32_e32 v21, vcc_lo, s9, v13, vcc_lo
	v_add_co_u32 v22, vcc_lo, s8, v14
	v_add_co_ci_u32_e32 v23, vcc_lo, s9, v15, vcc_lo
	;; [unrolled: 2-line block ×3, first 2 shown]
	s_clause 0x4
	global_load_u16 v14, v[16:17], off
	global_load_u16 v13, v[10:11], off
	;; [unrolled: 1-line block ×5, first 2 shown]
.LBB129_108:                            ;   in Loop: Header=BB129_14 Depth=1
	v_cmp_ne_u32_e32 vcc_lo, 0, v113
	s_and_b32 exec_lo, exec_lo, vcc_lo
	s_cbranch_execz .LBB129_13
; %bb.109:                              ;   in Loop: Header=BB129_14 Depth=1
	s_waitcnt lgkmcnt(4)
	v_add_f32_e32 v8, v8, v9
	s_waitcnt vmcnt(4)
	v_cvt_f32_f16_e32 v9, v14
	s_waitcnt lgkmcnt(3)
	v_dual_add_f32 v2, v2, v5 :: v_dual_mov_b32 v97, v100
	s_waitcnt lgkmcnt(1)
	v_dual_add_f32 v5, v3, v6 :: v_dual_add_f32 v6, v4, v7
	v_add_nc_u32_e32 v99, s7, v96
	s_waitcnt vmcnt(3)
	v_cvt_f32_f16_e32 v4, v13
	v_add_f32_e32 v3, v8, v9
	s_waitcnt lgkmcnt(0)
	v_add_f32_e32 v8, v0, v1
	s_waitcnt vmcnt(2)
	v_cvt_f32_f16_e32 v7, v12
	v_lshlrev_b64 v[0:1], 1, v[96:97]
	v_add_f32_e32 v4, v2, v4
	v_cvt_f16_f32_e32 v13, v3
	v_lshlrev_b64 v[2:3], 1, v[99:100]
	v_add_nc_u32_e32 v99, s7, v99
	s_waitcnt vmcnt(1)
	v_cvt_f32_f16_e32 v9, v11
	v_cvt_f16_f32_e32 v12, v4
	s_waitcnt vmcnt(0)
	v_cvt_f32_f16_e32 v10, v10
	v_add_f32_e32 v7, v5, v7
	v_lshlrev_b64 v[4:5], 1, v[99:100]
	v_add_nc_u32_e32 v99, s7, v99
	v_add_co_u32 v0, vcc_lo, s10, v0
	v_add_f32_e32 v10, v8, v10
	v_cvt_f16_f32_e32 v11, v7
	v_add_f32_e32 v9, v6, v9
	v_lshlrev_b64 v[6:7], 1, v[99:100]
	v_add_nc_u32_e32 v99, s7, v99
	v_add_co_ci_u32_e32 v1, vcc_lo, s11, v1, vcc_lo
	v_add_co_u32 v2, vcc_lo, s10, v2
	v_add_co_ci_u32_e32 v3, vcc_lo, s11, v3, vcc_lo
	v_add_co_u32 v4, vcc_lo, s10, v4
	v_cvt_f16_f32_e32 v14, v9
	v_lshlrev_b64 v[8:9], 1, v[99:100]
	v_add_co_ci_u32_e32 v5, vcc_lo, s11, v5, vcc_lo
	v_add_co_u32 v6, vcc_lo, s10, v6
	v_add_co_ci_u32_e32 v7, vcc_lo, s11, v7, vcc_lo
	s_delay_alu instid0(VALU_DEP_4)
	v_add_co_u32 v8, vcc_lo, s10, v8
	v_cvt_f16_f32_e32 v10, v10
	v_add_co_ci_u32_e32 v9, vcc_lo, s11, v9, vcc_lo
	s_clause 0x4
	global_store_b16 v[0:1], v13, off
	global_store_b16 v[2:3], v12, off
	;; [unrolled: 1-line block ×5, first 2 shown]
	s_branch .LBB129_13
.LBB129_110:
	s_nop 0
	s_sendmsg sendmsg(MSG_DEALLOC_VGPRS)
	s_endpgm
	.section	.rodata,"a",@progbits
	.p2align	6, 0x0
	.amdhsa_kernel _Z12wvSplitK_hf_I6__halfLi32ELi1ELi16ELi8ELi4ELi5EEviiiiiiPKT_S3_S3_PS1_ii
		.amdhsa_group_segment_fixed_size 65536
		.amdhsa_private_segment_fixed_size 0
		.amdhsa_kernarg_size 64
		.amdhsa_user_sgpr_count 15
		.amdhsa_user_sgpr_dispatch_ptr 0
		.amdhsa_user_sgpr_queue_ptr 0
		.amdhsa_user_sgpr_kernarg_segment_ptr 1
		.amdhsa_user_sgpr_dispatch_id 0
		.amdhsa_user_sgpr_private_segment_size 0
		.amdhsa_wavefront_size32 1
		.amdhsa_uses_dynamic_stack 0
		.amdhsa_enable_private_segment 0
		.amdhsa_system_sgpr_workgroup_id_x 1
		.amdhsa_system_sgpr_workgroup_id_y 0
		.amdhsa_system_sgpr_workgroup_id_z 0
		.amdhsa_system_sgpr_workgroup_info 0
		.amdhsa_system_vgpr_workitem_id 1
		.amdhsa_next_free_vgpr 127
		.amdhsa_next_free_sgpr 35
		.amdhsa_reserve_vcc 1
		.amdhsa_float_round_mode_32 0
		.amdhsa_float_round_mode_16_64 0
		.amdhsa_float_denorm_mode_32 3
		.amdhsa_float_denorm_mode_16_64 3
		.amdhsa_dx10_clamp 1
		.amdhsa_ieee_mode 1
		.amdhsa_fp16_overflow 0
		.amdhsa_workgroup_processor_mode 1
		.amdhsa_memory_ordered 1
		.amdhsa_forward_progress 0
		.amdhsa_shared_vgpr_count 0
		.amdhsa_exception_fp_ieee_invalid_op 0
		.amdhsa_exception_fp_denorm_src 0
		.amdhsa_exception_fp_ieee_div_zero 0
		.amdhsa_exception_fp_ieee_overflow 0
		.amdhsa_exception_fp_ieee_underflow 0
		.amdhsa_exception_fp_ieee_inexact 0
		.amdhsa_exception_int_div_zero 0
	.end_amdhsa_kernel
	.section	.text._Z12wvSplitK_hf_I6__halfLi32ELi1ELi16ELi8ELi4ELi5EEviiiiiiPKT_S3_S3_PS1_ii,"axG",@progbits,_Z12wvSplitK_hf_I6__halfLi32ELi1ELi16ELi8ELi4ELi5EEviiiiiiPKT_S3_S3_PS1_ii,comdat
.Lfunc_end129:
	.size	_Z12wvSplitK_hf_I6__halfLi32ELi1ELi16ELi8ELi4ELi5EEviiiiiiPKT_S3_S3_PS1_ii, .Lfunc_end129-_Z12wvSplitK_hf_I6__halfLi32ELi1ELi16ELi8ELi4ELi5EEviiiiiiPKT_S3_S3_PS1_ii
                                        ; -- End function
	.section	.AMDGPU.csdata,"",@progbits
; Kernel info:
; codeLenInByte = 7000
; NumSgprs: 37
; NumVgprs: 127
; ScratchSize: 0
; MemoryBound: 0
; FloatMode: 240
; IeeeMode: 1
; LDSByteSize: 65536 bytes/workgroup (compile time only)
; SGPRBlocks: 4
; VGPRBlocks: 15
; NumSGPRsForWavesPerEU: 37
; NumVGPRsForWavesPerEU: 127
; Occupancy: 8
; WaveLimiterHint : 0
; COMPUTE_PGM_RSRC2:SCRATCH_EN: 0
; COMPUTE_PGM_RSRC2:USER_SGPR: 15
; COMPUTE_PGM_RSRC2:TRAP_HANDLER: 0
; COMPUTE_PGM_RSRC2:TGID_X_EN: 1
; COMPUTE_PGM_RSRC2:TGID_Y_EN: 0
; COMPUTE_PGM_RSRC2:TGID_Z_EN: 0
; COMPUTE_PGM_RSRC2:TIDIG_COMP_CNT: 1
	.section	.text._Z16wvSplitK_hf_big_I6__halfLi32ELi1ELi16ELi8ELi4ELi5EEviiiiiiPKT_S3_S3_PS1_ii,"axG",@progbits,_Z16wvSplitK_hf_big_I6__halfLi32ELi1ELi16ELi8ELi4ELi5EEviiiiiiPKT_S3_S3_PS1_ii,comdat
	.protected	_Z16wvSplitK_hf_big_I6__halfLi32ELi1ELi16ELi8ELi4ELi5EEviiiiiiPKT_S3_S3_PS1_ii ; -- Begin function _Z16wvSplitK_hf_big_I6__halfLi32ELi1ELi16ELi8ELi4ELi5EEviiiiiiPKT_S3_S3_PS1_ii
	.globl	_Z16wvSplitK_hf_big_I6__halfLi32ELi1ELi16ELi8ELi4ELi5EEviiiiiiPKT_S3_S3_PS1_ii
	.p2align	8
	.type	_Z16wvSplitK_hf_big_I6__halfLi32ELi1ELi16ELi8ELi4ELi5EEviiiiiiPKT_S3_S3_PS1_ii,@function
_Z16wvSplitK_hf_big_I6__halfLi32ELi1ELi16ELi8ELi4ELi5EEviiiiiiPKT_S3_S3_PS1_ii: ; @_Z16wvSplitK_hf_big_I6__halfLi32ELi1ELi16ELi8ELi4ELi5EEviiiiiiPKT_S3_S3_PS1_ii
; %bb.0:
	s_load_b64 s[20:21], s[0:1], 0x38
	v_bfe_u32 v1, v0, 10, 10
	s_mov_b32 s2, exec_lo
	s_waitcnt lgkmcnt(0)
	s_delay_alu instid0(VALU_DEP_1)
	v_cmpx_gt_u32_e64 s20, v1
	s_cbranch_execz .LBB130_38
; %bb.1:
	s_load_b128 s[16:19], s[0:1], 0x0
	v_mad_u64_u32 v[93:94], null, s15, s20, v[1:2]
	v_mov_b32_e32 v100, 1
	s_delay_alu instid0(VALU_DEP_2) | instskip(SKIP_2) | instid1(VALU_DEP_2)
	v_add_nc_u32_e32 v2, 1, v93
	s_waitcnt lgkmcnt(0)
	v_cmp_gt_u32_e32 vcc_lo, s19, v93
	v_cmp_le_u32_e64 s2, s19, v2
	s_delay_alu instid0(VALU_DEP_1) | instskip(NEXT) | instid1(SALU_CYCLE_1)
	s_and_b32 s3, vcc_lo, s2
	s_and_saveexec_b32 s2, s3
; %bb.2:
	v_subrev_nc_u32_e32 v2, s19, v93
	s_add_i32 s3, s19, -1
	s_delay_alu instid0(SALU_CYCLE_1) | instskip(NEXT) | instid1(VALU_DEP_2)
	v_mov_b32_e32 v93, s3
	v_cmp_eq_u32_e32 vcc_lo, -1, v2
	v_cndmask_b32_e64 v100, 0, 1, vcc_lo
; %bb.3:
	s_or_b32 exec_lo, exec_lo, s2
	s_abs_i32 s2, s20
	s_abs_i32 s5, s19
	v_cvt_f32_u32_e32 v2, s2
	s_sub_i32 s4, 0, s2
	s_mov_b32 s14, 0
	s_delay_alu instid0(VALU_DEP_1) | instskip(SKIP_2) | instid1(VALU_DEP_1)
	v_rcp_iflag_f32_e32 v2, v2
	s_waitcnt_depctr 0xfff
	v_mul_f32_e32 v2, 0x4f7ffffe, v2
	v_cvt_u32_f32_e32 v2, v2
	s_delay_alu instid0(VALU_DEP_1) | instskip(NEXT) | instid1(VALU_DEP_1)
	v_readfirstlane_b32 s3, v2
	s_mul_i32 s4, s4, s3
	s_delay_alu instid0(SALU_CYCLE_1) | instskip(NEXT) | instid1(SALU_CYCLE_1)
	s_mul_hi_u32 s4, s3, s4
	s_add_i32 s3, s3, s4
	s_ashr_i32 s4, s19, 31
	s_mul_hi_u32 s3, s5, s3
	s_delay_alu instid0(SALU_CYCLE_1) | instskip(NEXT) | instid1(SALU_CYCLE_1)
	s_mul_i32 s3, s3, s2
	s_sub_i32 s3, s5, s3
	s_delay_alu instid0(SALU_CYCLE_1) | instskip(SKIP_2) | instid1(SALU_CYCLE_1)
	s_sub_i32 s5, s3, s2
	s_cmp_ge_u32 s3, s2
	s_cselect_b32 s3, s5, s3
	s_sub_i32 s5, s3, s2
	s_cmp_ge_u32 s3, s2
	s_cselect_b32 s2, s5, s3
	s_add_i32 s3, s20, s19
	s_xor_b32 s2, s2, s4
	s_delay_alu instid0(SALU_CYCLE_1) | instskip(NEXT) | instid1(SALU_CYCLE_1)
	s_sub_i32 s2, s2, s4
	s_sub_i32 s3, s3, s2
	s_cmp_eq_u32 s2, 0
	s_cselect_b32 s3, s19, s3
	s_delay_alu instid0(SALU_CYCLE_1)
	v_cmp_gt_u32_e32 vcc_lo, s3, v93
	s_and_b32 exec_lo, exec_lo, vcc_lo
	s_cbranch_execz .LBB130_38
; %bb.4:
	s_load_b256 s[4:11], s[0:1], 0x10
	s_min_u32 s15, s18, 0x1800
	s_cmp_lg_u32 s16, 0
	v_and_b32_e32 v0, 0x3ff, v0
	s_cselect_b32 s22, -1, 0
	s_cmp_lg_u32 s18, 0
	s_load_b64 s[12:13], s[0:1], 0x30
	s_cselect_b32 s23, -1, 0
	s_lshl_b32 s24, s20, 8
	s_add_i32 s25, s16, -8
	s_add_i32 s26, s19, -1
	v_lshlrev_b32_e32 v102, 3, v0
	v_mov_b32_e32 v96, 0
	v_mbcnt_lo_u32_b32 v101, -1, 0
	s_delay_alu instid0(VALU_DEP_3)
	v_lshl_add_u32 v97, v1, 8, v102
	s_waitcnt lgkmcnt(0)
	s_cmp_lg_u64 s[10:11], 0
	v_cvt_f32_u32_e32 v3, s4
	s_cselect_b32 s27, -1, 0
	s_abs_i32 s2, s5
	s_mul_i32 s5, s21, s20
	v_cvt_f32_u32_e32 v2, s2
	s_sub_i32 s29, 0, s2
	s_sub_i32 s28, s5, s19
	;; [unrolled: 1-line block ×3, first 2 shown]
	s_add_i32 s28, s28, 2
	v_rcp_iflag_f32_e32 v2, v2
	s_sub_i32 s30, 1, s2
	v_mad_u64_u32 v[98:99], null, s18, 3, v[97:98]
	v_lshl_add_u32 v104, s18, 1, v97
	v_lshl_add_u32 v99, s18, 2, v97
	s_mul_i32 s21, s15, 6
	s_waitcnt_depctr 0xfff
	v_dual_mul_f32 v2, 0x4f7ffffe, v2 :: v_dual_add_nc_u32 v105, s18, v97
	s_delay_alu instid0(VALU_DEP_1) | instskip(NEXT) | instid1(VALU_DEP_1)
	v_cvt_u32_f32_e32 v2, v2
	v_readfirstlane_b32 s0, v2
	v_rcp_iflag_f32_e32 v2, v3
	s_delay_alu instid0(VALU_DEP_1) | instskip(NEXT) | instid1(SALU_CYCLE_1)
	s_mul_i32 s29, s29, s0
	s_mul_hi_u32 s29, s0, s29
	s_delay_alu instid0(SALU_CYCLE_1)
	s_add_i32 s29, s0, s29
	s_cmp_lt_u32 s2, 2
	s_waitcnt_depctr 0xfff
	v_mul_f32_e32 v2, 0x4f7ffffe, v2
	s_cselect_b32 s30, s30, 1
	v_cmp_eq_u32_e64 s0, 31, v0
	s_sub_i32 s31, s30, s2
	s_cmp_ge_u32 s30, s2
	v_cvt_u32_f32_e32 v2, v2
	s_cselect_b32 s30, s31, s30
	s_lshr_b32 s31, s29, 31
	v_lshlrev_b32_e32 v0, 4, v0
	s_mul_i32 s31, s31, s2
	v_mul_lo_u32 v3, s1, v2
	s_sub_i32 s31, 2, s31
	s_delay_alu instid0(SALU_CYCLE_1)
	s_sub_i32 s33, s31, s2
	s_cmp_ge_u32 s31, s2
	v_lshl_add_u32 v103, v1, 9, v0
	s_cselect_b32 s1, s33, s31
	s_mul_hi_u32 s31, s29, 3
	s_sub_i32 s33, s1, s2
	s_cmp_ge_u32 s1, s2
	s_mul_i32 s31, s31, s2
	s_cselect_b32 s1, s33, s1
	s_sub_i32 s31, 3, s31
	v_mul_hi_u32 v0, v2, v3
	s_sub_i32 s33, s31, s2
	s_cmp_ge_u32 s31, s2
	s_cselect_b32 s31, s33, s31
	s_delay_alu instid0(SALU_CYCLE_1) | instskip(SKIP_1) | instid1(VALU_DEP_1)
	s_sub_i32 s33, s31, s2
	s_cmp_ge_u32 s31, s2
	v_add_nc_u32_e32 v106, v2, v0
	s_cselect_b32 s31, s33, s31
	s_lshr_b32 s29, s29, 30
	s_mul_i32 s31, s31, s4
	s_mul_i32 s29, s29, s2
	s_delay_alu instid0(SALU_CYCLE_1)
	s_sub_i32 s33, 4, s29
	s_mul_i32 s29, s30, s4
	s_sub_i32 s34, s33, s2
	s_cmp_ge_u32 s33, s2
	s_mul_i32 s30, s1, s4
	s_cselect_b32 s33, s34, s33
	s_delay_alu instid0(SALU_CYCLE_1)
	s_sub_i32 s1, s33, s2
	s_cmp_ge_u32 s33, s2
	s_cselect_b32 s35, s1, s33
	s_lshl_b32 s33, s15, 3
	s_lshl_b32 s20, s20, 9
	;; [unrolled: 1-line block ×3, first 2 shown]
	s_mul_i32 s35, s35, s4
	s_lshl_b32 s36, s15, 1
	s_branch .LBB130_7
.LBB130_5:                              ;   in Loop: Header=BB130_7 Depth=1
	s_or_b32 exec_lo, exec_lo, s1
.LBB130_6:                              ;   in Loop: Header=BB130_7 Depth=1
	s_delay_alu instid0(SALU_CYCLE_1) | instskip(NEXT) | instid1(VALU_DEP_1)
	s_or_b32 exec_lo, exec_lo, s2
	v_cmp_le_u32_e32 vcc_lo, s3, v0
	v_mov_b32_e32 v93, v0
	s_or_b32 s14, vcc_lo, s14
	s_delay_alu instid0(SALU_CYCLE_1)
	s_and_not1_b32 exec_lo, exec_lo, s14
	s_cbranch_execz .LBB130_38
.LBB130_7:                              ; =>This Loop Header: Depth=1
                                        ;     Child Loop BB130_14 Depth 2
                                        ;       Child Loop BB130_19 Depth 3
	v_mov_b32_e32 v110, v96
	v_mov_b32_e32 v109, v96
	;; [unrolled: 1-line block ×5, first 2 shown]
	s_and_not1_b32 vcc_lo, exec_lo, s22
	s_mov_b32 s37, 0
	s_cbranch_vccnz .LBB130_28
; %bb.8:                                ;   in Loop: Header=BB130_7 Depth=1
	v_min_u32_e32 v0, s26, v93
	v_cmp_gt_u32_e64 s1, s19, v93
	v_dual_mov_b32 v94, 0 :: v_dual_mov_b32 v107, 0
	v_dual_mov_b32 v108, 0 :: v_dual_mov_b32 v109, 0
	s_delay_alu instid0(VALU_DEP_4) | instskip(SKIP_2) | instid1(VALU_DEP_2)
	v_mul_lo_u32 v95, v0, s17
	v_mov_b32_e32 v110, 0
	s_mov_b32 s38, 0
	v_lshlrev_b64 v[0:1], 1, v[95:96]
	s_delay_alu instid0(VALU_DEP_1) | instskip(NEXT) | instid1(VALU_DEP_2)
	v_add_co_u32 v111, vcc_lo, s6, v0
	v_add_co_ci_u32_e32 v112, vcc_lo, s7, v1, vcc_lo
	s_branch .LBB130_14
.LBB130_9:                              ;   in Loop: Header=BB130_14 Depth=2
	s_or_b32 exec_lo, exec_lo, s42
.LBB130_10:                             ;   in Loop: Header=BB130_14 Depth=2
	s_delay_alu instid0(SALU_CYCLE_1)
	s_or_b32 exec_lo, exec_lo, s41
.LBB130_11:                             ;   in Loop: Header=BB130_14 Depth=2
	s_delay_alu instid0(SALU_CYCLE_1)
	s_or_b32 exec_lo, exec_lo, s40
.LBB130_12:                             ;   in Loop: Header=BB130_14 Depth=2
	s_delay_alu instid0(SALU_CYCLE_1)
	s_or_b32 exec_lo, exec_lo, s39
	s_waitcnt vmcnt(3) lgkmcnt(4)
	;;#ASMSTART
	v_dot2_f32_f16 v110, v72, v36, v110
	;;#ASMEND
	s_waitcnt lgkmcnt(3)
	;;#ASMSTART
	v_dot2_f32_f16 v109, v64, v36, v109
	;;#ASMEND
	s_waitcnt lgkmcnt(2)
	;; [unrolled: 4-line block ×4, first 2 shown]
	;;#ASMSTART
	v_dot2_f32_f16 v94, v80, v36, v94
	;;#ASMEND
	;;#ASMSTART
	v_dot2_f32_f16 v110, v73, v37, v110
	;;#ASMEND
	;;#ASMSTART
	v_dot2_f32_f16 v109, v65, v37, v109
	;;#ASMEND
	;;#ASMSTART
	v_dot2_f32_f16 v108, v69, v37, v108
	;;#ASMEND
	;;#ASMSTART
	v_dot2_f32_f16 v107, v77, v37, v107
	;;#ASMEND
	;;#ASMSTART
	v_dot2_f32_f16 v94, v81, v37, v94
	;;#ASMEND
	;;#ASMSTART
	v_dot2_f32_f16 v110, v74, v38, v110
	;;#ASMEND
	;;#ASMSTART
	v_dot2_f32_f16 v109, v66, v38, v109
	;;#ASMEND
	;;#ASMSTART
	v_dot2_f32_f16 v108, v70, v38, v108
	;;#ASMEND
	;;#ASMSTART
	v_dot2_f32_f16 v107, v78, v38, v107
	;;#ASMEND
	;;#ASMSTART
	v_dot2_f32_f16 v94, v82, v38, v94
	;;#ASMEND
	;;#ASMSTART
	v_dot2_f32_f16 v110, v75, v39, v110
	;;#ASMEND
	;;#ASMSTART
	v_dot2_f32_f16 v109, v67, v39, v109
	;;#ASMEND
	;;#ASMSTART
	v_dot2_f32_f16 v108, v71, v39, v108
	;;#ASMEND
	;;#ASMSTART
	v_dot2_f32_f16 v107, v79, v39, v107
	;;#ASMEND
	;;#ASMSTART
	v_dot2_f32_f16 v94, v83, v39, v94
	;;#ASMEND
	s_waitcnt vmcnt(2)
	;;#ASMSTART
	v_dot2_f32_f16 v110, v60, v12, v110
	;;#ASMEND
	;;#ASMSTART
	v_dot2_f32_f16 v109, v56, v12, v109
	;;#ASMEND
	;;#ASMSTART
	v_dot2_f32_f16 v108, v52, v12, v108
	;;#ASMEND
	;;#ASMSTART
	v_dot2_f32_f16 v107, v48, v12, v107
	;;#ASMEND
	;;#ASMSTART
	v_dot2_f32_f16 v94, v114, v12, v94
	;;#ASMEND
	;;#ASMSTART
	v_dot2_f32_f16 v110, v61, v13, v110
	;;#ASMEND
	;;#ASMSTART
	v_dot2_f32_f16 v109, v57, v13, v109
	;;#ASMEND
	;;#ASMSTART
	v_dot2_f32_f16 v108, v53, v13, v108
	;;#ASMEND
	;;#ASMSTART
	v_dot2_f32_f16 v107, v49, v13, v107
	;;#ASMEND
	;;#ASMSTART
	v_dot2_f32_f16 v94, v90, v13, v94
	;;#ASMEND
	;;#ASMSTART
	v_dot2_f32_f16 v110, v62, v14, v110
	;;#ASMEND
	;;#ASMSTART
	v_dot2_f32_f16 v109, v58, v14, v109
	;;#ASMEND
	;;#ASMSTART
	v_dot2_f32_f16 v108, v54, v14, v108
	;;#ASMEND
	;;#ASMSTART
	v_dot2_f32_f16 v107, v50, v14, v107
	;;#ASMEND
	;;#ASMSTART
	v_dot2_f32_f16 v94, v91, v14, v94
	;;#ASMEND
	;;#ASMSTART
	v_dot2_f32_f16 v110, v63, v15, v110
	;;#ASMEND
	;;#ASMSTART
	v_dot2_f32_f16 v109, v59, v15, v109
	;;#ASMEND
	;;#ASMSTART
	v_dot2_f32_f16 v108, v55, v15, v108
	;;#ASMEND
	;;#ASMSTART
	v_dot2_f32_f16 v107, v51, v15, v107
	;;#ASMEND
	;;#ASMSTART
	v_dot2_f32_f16 v94, v92, v15, v94
	;;#ASMEND
	s_waitcnt vmcnt(1)
	;;#ASMSTART
	v_dot2_f32_f16 v110, v44, v4, v110
	;;#ASMEND
	;;#ASMSTART
	v_dot2_f32_f16 v109, v40, v4, v109
	;;#ASMEND
	;;#ASMSTART
	v_dot2_f32_f16 v108, v32, v4, v108
	;;#ASMEND
	;;#ASMSTART
	v_dot2_f32_f16 v107, v24, v4, v107
	;;#ASMEND
	;; [unrolled: 61-line block ×3, first 2 shown]
	;;#ASMSTART
	v_dot2_f32_f16 v94, v95, v0, v94
	;;#ASMEND
	;;#ASMSTART
	v_dot2_f32_f16 v110, v29, v1, v110
	;;#ASMEND
	;; [unrolled: 3-line block ×16, first 2 shown]
.LBB130_13:                             ;   in Loop: Header=BB130_14 Depth=2
	s_or_b32 exec_lo, exec_lo, s2
	s_addk_i32 s38, 0x400
	s_delay_alu instid0(SALU_CYCLE_1)
	s_cmp_ge_u32 s38, s16
	s_cbranch_scc1 .LBB130_28
.LBB130_14:                             ;   Parent Loop BB130_7 Depth=1
                                        ; =>  This Loop Header: Depth=2
                                        ;       Child Loop BB130_19 Depth 3
	s_cmp_eq_u32 s38, 0
	s_cselect_b32 s39, -1, 0
	s_add_i32 s2, s37, s15
	s_delay_alu instid0(SALU_CYCLE_1) | instskip(SKIP_1) | instid1(SALU_CYCLE_1)
	s_cmp_eq_u32 s38, s2
	s_cselect_b32 s40, -1, 0
	s_or_b32 s40, s39, s40
	s_delay_alu instid0(SALU_CYCLE_1)
	s_and_not1_b32 vcc_lo, exec_lo, s40
	s_cbranch_vccz .LBB130_16
; %bb.15:                               ;   in Loop: Header=BB130_14 Depth=2
	s_and_saveexec_b32 s2, s1
	s_cbranch_execz .LBB130_13
	s_branch .LBB130_23
.LBB130_16:                             ;   in Loop: Header=BB130_14 Depth=2
	s_and_b32 s39, s39, exec_lo
	s_cselect_b32 s37, s37, s2
	s_and_not1_b32 vcc_lo, exec_lo, s23
	s_waitcnt vmcnt(0)
	s_waitcnt_vscnt null, 0x0
	s_barrier
	buffer_gl0_inv
	s_cbranch_vccnz .LBB130_22
; %bb.17:                               ;   in Loop: Header=BB130_14 Depth=2
	v_dual_mov_b32 v5, v103 :: v_dual_add_nc_u32 v0, s37, v104
	v_add_nc_u32_e32 v1, s37, v98
	v_add_nc_u32_e32 v2, s37, v99
	;; [unrolled: 1-line block ×4, first 2 shown]
	s_mov_b32 s39, 0
	s_mov_b32 s40, 0
                                        ; implicit-def: $sgpr41
	s_branch .LBB130_19
.LBB130_18:                             ;   in Loop: Header=BB130_19 Depth=3
	s_or_b32 exec_lo, exec_lo, s2
	s_delay_alu instid0(SALU_CYCLE_1) | instskip(NEXT) | instid1(SALU_CYCLE_1)
	s_and_b32 s2, exec_lo, s41
	s_or_b32 s39, s2, s39
	s_delay_alu instid0(SALU_CYCLE_1)
	s_and_not1_b32 exec_lo, exec_lo, s39
	s_cbranch_execz .LBB130_21
.LBB130_19:                             ;   Parent Loop BB130_7 Depth=1
                                        ;     Parent Loop BB130_14 Depth=2
                                        ; =>    This Inner Loop Header: Depth=3
	s_delay_alu instid0(VALU_DEP_1) | instskip(SKIP_2) | instid1(VALU_DEP_2)
	v_add_nc_u32_e32 v95, s40, v4
	v_add_nc_u32_e32 v6, s40, v97
	s_or_b32 s41, s41, exec_lo
	v_cmp_gt_u32_e32 vcc_lo, s18, v95
	s_delay_alu instid0(VALU_DEP_2) | instskip(NEXT) | instid1(VALU_DEP_1)
	v_cmp_gt_u32_e64 s2, s15, v6
	s_and_b32 s42, s2, vcc_lo
	s_delay_alu instid0(SALU_CYCLE_1)
	s_and_saveexec_b32 s2, s42
	s_cbranch_execz .LBB130_18
; %bb.20:                               ;   in Loop: Header=BB130_19 Depth=3
	v_lshlrev_b64 v[6:7], 1, v[95:96]
	v_add_nc_u32_e32 v95, s40, v3
	v_add_nc_u32_e32 v26, s36, v5
	;; [unrolled: 1-line block ×3, first 2 shown]
	s_delay_alu instid0(VALU_DEP_3) | instskip(SKIP_3) | instid1(VALU_DEP_3)
	v_lshlrev_b64 v[8:9], 1, v[95:96]
	v_add_nc_u32_e32 v95, s40, v0
	v_add_co_u32 v6, vcc_lo, s8, v6
	v_add_co_ci_u32_e32 v7, vcc_lo, s9, v7, vcc_lo
	v_lshlrev_b64 v[10:11], 1, v[95:96]
	v_add_nc_u32_e32 v95, s40, v1
	v_add_co_u32 v12, vcc_lo, s8, v8
	v_add_co_ci_u32_e32 v13, vcc_lo, s9, v9, vcc_lo
	s_delay_alu instid0(VALU_DEP_3) | instskip(SKIP_3) | instid1(VALU_DEP_3)
	v_lshlrev_b64 v[18:19], 1, v[95:96]
	v_add_nc_u32_e32 v95, s40, v2
	v_add_co_u32 v14, vcc_lo, s8, v10
	v_add_co_ci_u32_e32 v15, vcc_lo, s9, v11, vcc_lo
	v_lshlrev_b64 v[20:21], 1, v[95:96]
	v_add_co_u32 v18, vcc_lo, s8, v18
	v_add_co_ci_u32_e32 v19, vcc_lo, s9, v19, vcc_lo
	s_clause 0x2
	global_load_b128 v[6:9], v[6:7], off
	global_load_b128 v[10:13], v[12:13], off
	;; [unrolled: 1-line block ×3, first 2 shown]
	v_add_co_u32 v22, vcc_lo, s8, v20
	v_add_co_ci_u32_e32 v23, vcc_lo, s9, v21, vcc_lo
	s_clause 0x1
	global_load_b128 v[18:21], v[18:19], off
	global_load_b128 v[22:25], v[22:23], off
	s_add_i32 s40, s40, s24
	s_waitcnt vmcnt(4)
	ds_store_b128 v5, v[6:9]
	s_waitcnt vmcnt(3)
	ds_store_2addr_b64 v26, v[10:11], v[12:13] offset1:1
	s_waitcnt vmcnt(2)
	ds_store_2addr_b32 v27, v14, v15 offset1:1
	ds_store_2addr_b32 v27, v16, v17 offset0:2 offset1:3
	s_cmp_ge_u32 s40, s15
	v_add_nc_u32_e32 v6, s21, v5
	s_cselect_b32 s42, -1, 0
	v_add_nc_u32_e32 v7, s33, v5
	v_add_nc_u32_e32 v5, s20, v5
	s_and_not1_b32 s41, s41, exec_lo
	s_and_b32 s42, s42, exec_lo
	s_waitcnt vmcnt(1)
	ds_store_2addr_b64 v6, v[18:19], v[20:21] offset1:1
	s_or_b32 s41, s41, s42
	s_waitcnt vmcnt(0)
	ds_store_2addr_b64 v7, v[22:23], v[24:25] offset1:1
	s_branch .LBB130_18
.LBB130_21:                             ;   in Loop: Header=BB130_14 Depth=2
	s_or_b32 exec_lo, exec_lo, s39
.LBB130_22:                             ;   in Loop: Header=BB130_14 Depth=2
	s_waitcnt lgkmcnt(0)
	s_barrier
	buffer_gl0_inv
	s_and_saveexec_b32 s2, s1
	s_cbranch_execz .LBB130_13
.LBB130_23:                             ;   in Loop: Header=BB130_14 Depth=2
	v_dual_mov_b32 v73, 0 :: v_dual_add_nc_u32 v118, s38, v102
	v_dual_mov_b32 v60, 0 :: v_dual_mov_b32 v61, 0
	v_dual_mov_b32 v62, 0 :: v_dual_mov_b32 v63, 0
	s_delay_alu instid0(VALU_DEP_3) | instskip(SKIP_2) | instid1(VALU_DEP_3)
	v_min_u32_e32 v95, s25, v118
	v_dual_mov_b32 v72, 0 :: v_dual_add_nc_u32 v117, 0x100, v118
	v_dual_mov_b32 v75, 0 :: v_dual_add_nc_u32 v116, 0x200, v118
	v_lshlrev_b64 v[0:1], 1, v[95:96]
	s_delay_alu instid0(VALU_DEP_3) | instskip(SKIP_2) | instid1(VALU_DEP_3)
	v_min_u32_e32 v95, s25, v117
	v_dual_mov_b32 v74, 0 :: v_dual_add_nc_u32 v115, 0x300, v118
	v_dual_mov_b32 v44, 0 :: v_dual_mov_b32 v45, 0
	v_lshlrev_b64 v[2:3], 1, v[95:96]
	v_min_u32_e32 v95, s25, v116
	v_add_co_u32 v0, vcc_lo, v111, v0
	v_add_co_ci_u32_e32 v1, vcc_lo, v112, v1, vcc_lo
	s_delay_alu instid0(VALU_DEP_3) | instskip(SKIP_3) | instid1(VALU_DEP_3)
	v_lshlrev_b64 v[4:5], 1, v[95:96]
	v_min_u32_e32 v95, s25, v115
	v_add_co_u32 v2, vcc_lo, v111, v2
	v_add_co_ci_u32_e32 v3, vcc_lo, v112, v3, vcc_lo
	v_lshlrev_b64 v[6:7], 1, v[95:96]
	v_add_co_u32 v4, vcc_lo, v111, v4
	v_add_co_ci_u32_e32 v5, vcc_lo, v112, v5, vcc_lo
	v_dual_mov_b32 v46, 0 :: v_dual_mov_b32 v47, 0
	s_delay_alu instid0(VALU_DEP_4)
	v_add_co_u32 v8, vcc_lo, v111, v6
	v_add_co_ci_u32_e32 v9, vcc_lo, v112, v7, vcc_lo
	s_clause 0x3
	global_load_b128 v[36:39], v[0:1], off slc dlc
	global_load_b128 v[12:15], v[2:3], off slc dlc
	;; [unrolled: 1-line block ×4, first 2 shown]
	v_cmp_gt_u32_e32 vcc_lo, s16, v118
	v_dual_mov_b32 v28, 0 :: v_dual_mov_b32 v29, 0
	v_dual_mov_b32 v30, 0 :: v_dual_mov_b32 v31, 0
	;; [unrolled: 1-line block ×25, first 2 shown]
	s_waitcnt vmcnt(4)
	v_dual_mov_b32 v10, 0 :: v_dual_mov_b32 v11, 0
	v_dual_mov_b32 v80, 0 :: v_dual_mov_b32 v81, 0
	;; [unrolled: 1-line block ×9, first 2 shown]
	s_and_saveexec_b32 s39, vcc_lo
	s_cbranch_execz .LBB130_12
; %bb.24:                               ;   in Loop: Header=BB130_14 Depth=2
	v_subrev_nc_u32_e32 v8, s37, v118
	v_cmp_gt_u32_e32 vcc_lo, s16, v117
	v_dual_mov_b32 v86, 0 :: v_dual_mov_b32 v85, 0
	v_dual_mov_b32 v84, 0 :: v_dual_mov_b32 v95, 0
	s_delay_alu instid0(VALU_DEP_4) | instskip(SKIP_1) | instid1(VALU_DEP_2)
	v_dual_mov_b32 v89, 0 :: v_dual_lshlrev_b32 v118, 1, v8
	v_dual_mov_b32 v88, 0 :: v_dual_mov_b32 v87, 0
	v_dual_mov_b32 v92, 0 :: v_dual_add_nc_u32 v119, s36, v118
	v_mov_b32_e32 v91, 0
	v_dual_mov_b32 v113, 0 :: v_dual_mov_b32 v90, 0
	v_dual_mov_b32 v114, 0 :: v_dual_mov_b32 v11, 0
	s_delay_alu instid0(VALU_DEP_4) | instskip(SKIP_2) | instid1(VALU_DEP_3)
	v_add_nc_u32_e32 v120, s36, v119
	v_dual_mov_b32 v10, 0 :: v_dual_mov_b32 v9, 0
	v_dual_mov_b32 v8, 0 :: v_dual_mov_b32 v27, 0
	v_dual_mov_b32 v26, 0 :: v_dual_add_nc_u32 v121, s36, v120
	v_dual_mov_b32 v25, 0 :: v_dual_mov_b32 v24, 0
	v_dual_mov_b32 v50, 0 :: v_dual_mov_b32 v51, 0
	s_delay_alu instid0(VALU_DEP_3)
	v_dual_mov_b32 v48, 0 :: v_dual_add_nc_u32 v117, s36, v121
	ds_load_b128 v[72:75], v118
	ds_load_b128 v[64:67], v119
	;; [unrolled: 1-line block ×5, first 2 shown]
	v_dual_mov_b32 v49, 0 :: v_dual_mov_b32 v18, 0
	v_dual_mov_b32 v19, 0 :: v_dual_mov_b32 v16, 0
	;; [unrolled: 1-line block ×18, first 2 shown]
	v_mov_b32_e32 v61, 0
	s_and_saveexec_b32 s40, vcc_lo
	s_cbranch_execz .LBB130_11
; %bb.25:                               ;   in Loop: Header=BB130_14 Depth=2
	ds_load_b128 v[60:63], v118 offset:512
	ds_load_b128 v[56:59], v119 offset:512
	;; [unrolled: 1-line block ×4, first 2 shown]
	ds_load_b32 v114, v117 offset:512
	ds_load_b96 v[90:92], v117 offset:516
	v_cmp_gt_u32_e32 vcc_lo, s16, v116
	v_dual_mov_b32 v86, 0 :: v_dual_mov_b32 v85, 0
	v_dual_mov_b32 v84, 0 :: v_dual_mov_b32 v95, 0
	;; [unrolled: 1-line block ×19, first 2 shown]
	v_mov_b32_e32 v47, 0
	v_mov_b32_e32 v45, 0
	s_and_saveexec_b32 s41, vcc_lo
	s_cbranch_execz .LBB130_10
; %bb.26:                               ;   in Loop: Header=BB130_14 Depth=2
	ds_load_b128 v[44:47], v118 offset:1024
	ds_load_b128 v[40:43], v119 offset:1024
	;; [unrolled: 1-line block ×4, first 2 shown]
	ds_load_b32 v113, v117 offset:1024
	ds_load_b96 v[87:89], v117 offset:1028
	v_cmp_gt_u32_e32 vcc_lo, s16, v115
	v_dual_mov_b32 v86, 0 :: v_dual_mov_b32 v85, 0
	v_dual_mov_b32 v84, 0 :: v_dual_mov_b32 v95, 0
	;; [unrolled: 1-line block ×10, first 2 shown]
	s_and_saveexec_b32 s42, vcc_lo
	s_cbranch_execz .LBB130_9
; %bb.27:                               ;   in Loop: Header=BB130_14 Depth=2
	ds_load_b128 v[28:31], v118 offset:1536
	ds_load_b128 v[20:23], v119 offset:1536
	;; [unrolled: 1-line block ×4, first 2 shown]
	ds_load_b32 v95, v117 offset:1536
	ds_load_b96 v[84:86], v117 offset:1540
	s_branch .LBB130_9
.LBB130_28:                             ;   in Loop: Header=BB130_7 Depth=1
	s_mov_b32 s1, exec_lo
                                        ; implicit-def: $vgpr0
	v_cmpx_le_u32_e64 s19, v93
	s_xor_b32 s1, exec_lo, s1
; %bb.29:                               ;   in Loop: Header=BB130_7 Depth=1
	v_add_nc_u32_e32 v0, s5, v93
                                        ; implicit-def: $vgpr93
                                        ; implicit-def: $vgpr110
                                        ; implicit-def: $vgpr109
                                        ; implicit-def: $vgpr108
                                        ; implicit-def: $vgpr107
                                        ; implicit-def: $vgpr94
; %bb.30:                               ;   in Loop: Header=BB130_7 Depth=1
	s_and_not1_saveexec_b32 s2, s1
	s_cbranch_execz .LBB130_6
; %bb.31:                               ;   in Loop: Header=BB130_7 Depth=1
	v_xor_b32_e32 v0, 16, v101
	v_cvt_i32_f32_e32 v1, v110
	v_cvt_i32_f32_e32 v3, v108
	;; [unrolled: 1-line block ×4, first 2 shown]
	v_cmp_gt_i32_e32 vcc_lo, 32, v0
	v_cvt_f32_i32_dpp v1, v1 row_shr:8 row_mask:0xf bank_mask:0xf bound_ctrl:1
	v_cvt_i32_f32_e32 v2, v109
	s_delay_alu instid0(VALU_DEP_2) | instskip(NEXT) | instid1(VALU_DEP_2)
	v_dual_cndmask_b32 v0, v101, v0 :: v_dual_add_f32 v1, v110, v1
	v_cvt_f32_i32_dpp v2, v2 row_shr:8 row_mask:0xf bank_mask:0xf bound_ctrl:1
	s_waitcnt vmcnt(0)
	s_delay_alu instid0(VALU_DEP_2) | instskip(SKIP_4) | instid1(VALU_DEP_3)
	v_lshlrev_b32_e32 v10, 2, v0
	v_cvt_f32_i32_dpp v0, v3 row_shr:8 row_mask:0xf bank_mask:0xf bound_ctrl:1
	v_cvt_f32_i32_dpp v3, v4 row_shr:8 row_mask:0xf bank_mask:0xf bound_ctrl:1
	;; [unrolled: 1-line block ×3, first 2 shown]
	v_cvt_i32_f32_e32 v5, v1
	v_add_f32_e32 v3, v107, v3
	s_delay_alu instid0(VALU_DEP_2) | instskip(SKIP_1) | instid1(VALU_DEP_3)
	v_cvt_f32_i32_dpp v5, v5 row_shr:4 row_mask:0xf bank_mask:0xf bound_ctrl:1
	v_add_f32_e32 v0, v108, v0
	v_cvt_i32_f32_e32 v8, v3
	s_delay_alu instid0(VALU_DEP_3) | instskip(NEXT) | instid1(VALU_DEP_3)
	v_add_f32_e32 v1, v1, v5
	v_cvt_i32_f32_e32 v7, v0
	s_delay_alu instid0(VALU_DEP_3) | instskip(SKIP_1) | instid1(VALU_DEP_4)
	v_cvt_f32_i32_dpp v8, v8 row_shr:4 row_mask:0xf bank_mask:0xf bound_ctrl:1
	v_add_f32_e32 v2, v109, v2
	v_cvt_i32_f32_e32 v5, v1
	s_delay_alu instid0(VALU_DEP_4) | instskip(NEXT) | instid1(VALU_DEP_4)
	v_cvt_f32_i32_dpp v7, v7 row_shr:4 row_mask:0xf bank_mask:0xf bound_ctrl:1
	v_add_f32_e32 v3, v3, v8
	s_delay_alu instid0(VALU_DEP_4) | instskip(NEXT) | instid1(VALU_DEP_4)
	v_cvt_i32_f32_e32 v6, v2
	v_cvt_f32_i32_dpp v5, v5 row_shr:2 row_mask:0xf bank_mask:0xf bound_ctrl:1
	v_add_f32_e32 v4, v94, v4
	v_add_f32_e32 v0, v0, v7
	v_cvt_i32_f32_e32 v8, v3
	v_cvt_f32_i32_dpp v6, v6 row_shr:4 row_mask:0xf bank_mask:0xf bound_ctrl:1
	v_add_f32_e32 v1, v1, v5
	v_cvt_i32_f32_e32 v9, v4
	v_cvt_i32_f32_e32 v7, v0
	v_cvt_f32_i32_dpp v8, v8 row_shr:2 row_mask:0xf bank_mask:0xf bound_ctrl:1
	v_add_f32_e32 v2, v2, v6
	s_delay_alu instid0(VALU_DEP_4) | instskip(NEXT) | instid1(VALU_DEP_4)
	v_cvt_f32_i32_dpp v9, v9 row_shr:4 row_mask:0xf bank_mask:0xf bound_ctrl:1
	v_cvt_f32_i32_dpp v7, v7 row_shr:2 row_mask:0xf bank_mask:0xf bound_ctrl:1
	s_delay_alu instid0(VALU_DEP_4) | instskip(NEXT) | instid1(VALU_DEP_4)
	v_add_f32_e32 v5, v3, v8
	v_cvt_i32_f32_e32 v6, v2
	v_cvt_i32_f32_e32 v3, v1
	v_add_f32_e32 v4, v4, v9
	v_add_f32_e32 v0, v0, v7
	v_cvt_i32_f32_e32 v8, v5
	v_cvt_f32_i32_dpp v6, v6 row_shr:2 row_mask:0xf bank_mask:0xf bound_ctrl:1
	v_cvt_f32_i32_dpp v3, v3 row_shr:1 row_mask:0xf bank_mask:0xf bound_ctrl:1
	v_cvt_i32_f32_e32 v9, v4
	v_cvt_i32_f32_e32 v7, v0
	v_cvt_f32_i32_dpp v11, v8 row_shr:1 row_mask:0xf bank_mask:0xf bound_ctrl:1
	s_delay_alu instid0(VALU_DEP_4) | instskip(NEXT) | instid1(VALU_DEP_4)
	v_add_f32_e32 v8, v1, v3
	v_cvt_f32_i32_dpp v9, v9 row_shr:2 row_mask:0xf bank_mask:0xf bound_ctrl:1
	s_delay_alu instid0(VALU_DEP_4) | instskip(SKIP_1) | instid1(VALU_DEP_3)
	v_cvt_f32_i32_dpp v7, v7 row_shr:1 row_mask:0xf bank_mask:0xf bound_ctrl:1
	v_add_f32_e32 v2, v2, v6
	v_add_f32_e32 v6, v4, v9
	s_delay_alu instid0(VALU_DEP_3) | instskip(NEXT) | instid1(VALU_DEP_3)
	v_add_f32_e32 v3, v0, v7
	v_cvt_i32_f32_e32 v4, v2
	s_delay_alu instid0(VALU_DEP_3) | instskip(NEXT) | instid1(VALU_DEP_2)
	v_cvt_i32_f32_e32 v9, v6
	v_cvt_f32_i32_dpp v4, v4 row_shr:1 row_mask:0xf bank_mask:0xf bound_ctrl:1
	s_delay_alu instid0(VALU_DEP_2) | instskip(NEXT) | instid1(VALU_DEP_2)
	v_cvt_f32_i32_dpp v9, v9 row_shr:1 row_mask:0xf bank_mask:0xf bound_ctrl:1
	v_add_f32_e32 v2, v2, v4
	v_add_f32_e32 v4, v5, v11
	s_delay_alu instid0(VALU_DEP_3)
	v_add_f32_e32 v0, v6, v9
	ds_bpermute_b32 v9, v10, v8
	ds_bpermute_b32 v5, v10, v2
	;; [unrolled: 1-line block ×5, first 2 shown]
	s_and_saveexec_b32 s1, s0
	s_cbranch_execz .LBB130_36
; %bb.32:                               ;   in Loop: Header=BB130_7 Depth=1
	v_dual_mov_b32 v14, 0 :: v_dual_mov_b32 v13, 0
	v_dual_mov_b32 v12, 0 :: v_dual_mov_b32 v11, 0
	v_mov_b32_e32 v10, 0
	s_and_not1_b32 vcc_lo, exec_lo, s27
	s_cbranch_vccnz .LBB130_34
; %bb.33:                               ;   in Loop: Header=BB130_7 Depth=1
	v_mul_hi_u32 v10, v93, v106
	s_delay_alu instid0(VALU_DEP_1) | instskip(NEXT) | instid1(VALU_DEP_1)
	v_mul_lo_u32 v10, v10, s4
	v_sub_nc_u32_e32 v10, v93, v10
	s_delay_alu instid0(VALU_DEP_1) | instskip(SKIP_1) | instid1(VALU_DEP_2)
	v_subrev_nc_u32_e32 v11, s4, v10
	v_cmp_le_u32_e32 vcc_lo, s4, v10
	v_cndmask_b32_e32 v10, v10, v11, vcc_lo
	s_delay_alu instid0(VALU_DEP_1) | instskip(SKIP_1) | instid1(VALU_DEP_2)
	v_subrev_nc_u32_e32 v11, s4, v10
	v_cmp_le_u32_e32 vcc_lo, s4, v10
	v_cndmask_b32_e32 v95, v10, v11, vcc_lo
	v_mov_b32_e32 v11, v96
	v_mov_b32_e32 v13, v96
	s_delay_alu instid0(VALU_DEP_3)
	v_dual_mov_b32 v15, v96 :: v_dual_add_nc_u32 v12, s30, v95
	v_add_nc_u32_e32 v10, s29, v95
	v_lshlrev_b64 v[16:17], 1, v[95:96]
	v_add_nc_u32_e32 v14, s31, v95
	v_add_nc_u32_e32 v95, s35, v95
	v_lshlrev_b64 v[12:13], 1, v[12:13]
	v_lshlrev_b64 v[10:11], 1, v[10:11]
	v_add_co_u32 v16, vcc_lo, s10, v16
	v_add_co_ci_u32_e32 v17, vcc_lo, s11, v17, vcc_lo
	v_lshlrev_b64 v[14:15], 1, v[14:15]
	s_delay_alu instid0(VALU_DEP_4)
	v_add_co_u32 v10, vcc_lo, s10, v10
	v_add_co_ci_u32_e32 v11, vcc_lo, s11, v11, vcc_lo
	v_lshlrev_b64 v[18:19], 1, v[95:96]
	v_add_co_u32 v20, vcc_lo, s10, v12
	v_add_co_ci_u32_e32 v21, vcc_lo, s11, v13, vcc_lo
	v_add_co_u32 v22, vcc_lo, s10, v14
	v_add_co_ci_u32_e32 v23, vcc_lo, s11, v15, vcc_lo
	;; [unrolled: 2-line block ×3, first 2 shown]
	s_clause 0x4
	global_load_u16 v14, v[16:17], off
	global_load_u16 v13, v[10:11], off
	;; [unrolled: 1-line block ×5, first 2 shown]
.LBB130_34:                             ;   in Loop: Header=BB130_7 Depth=1
	v_cmp_ne_u32_e32 vcc_lo, 0, v100
	s_and_b32 exec_lo, exec_lo, vcc_lo
	s_cbranch_execz .LBB130_36
; %bb.35:                               ;   in Loop: Header=BB130_7 Depth=1
	s_waitcnt lgkmcnt(4)
	v_add_f32_e32 v8, v8, v9
	s_waitcnt vmcnt(4)
	v_cvt_f32_f16_e32 v9, v14
	v_dual_mov_b32 v94, v96 :: v_dual_add_nc_u32 v95, s19, v93
	s_waitcnt lgkmcnt(2)
	v_dual_add_f32 v2, v2, v5 :: v_dual_add_f32 v5, v3, v6
	s_waitcnt lgkmcnt(1)
	v_add_f32_e32 v6, v4, v7
	s_waitcnt vmcnt(3)
	v_cvt_f32_f16_e32 v4, v13
	v_add_f32_e32 v3, v8, v9
	s_waitcnt vmcnt(2)
	v_cvt_f32_f16_e32 v7, v12
	s_waitcnt lgkmcnt(0)
	v_add_f32_e32 v8, v0, v1
	v_lshlrev_b64 v[0:1], 1, v[93:94]
	v_add_f32_e32 v4, v2, v4
	v_cvt_f16_f32_e32 v13, v3
	v_add_f32_e32 v7, v5, v7
	v_lshlrev_b64 v[2:3], 1, v[95:96]
	v_add_nc_u32_e32 v95, s19, v95
	v_cvt_f16_f32_e32 v12, v4
	s_waitcnt vmcnt(1)
	v_cvt_f32_f16_e32 v9, v11
	s_waitcnt vmcnt(0)
	v_cvt_f32_f16_e32 v10, v10
	v_add_co_u32 v0, vcc_lo, s12, v0
	v_lshlrev_b64 v[4:5], 1, v[95:96]
	s_delay_alu instid0(VALU_DEP_3) | instskip(SKIP_3) | instid1(VALU_DEP_4)
	v_dual_add_f32 v10, v8, v10 :: v_dual_add_nc_u32 v95, s19, v95
	v_cvt_f16_f32_e32 v11, v7
	v_add_f32_e32 v9, v6, v9
	v_add_co_ci_u32_e32 v1, vcc_lo, s13, v1, vcc_lo
	v_lshlrev_b64 v[6:7], 1, v[95:96]
	v_add_nc_u32_e32 v95, s19, v95
	v_add_co_u32 v2, vcc_lo, s12, v2
	v_add_co_ci_u32_e32 v3, vcc_lo, s13, v3, vcc_lo
	v_add_co_u32 v4, vcc_lo, s12, v4
	v_cvt_f16_f32_e32 v14, v9
	v_lshlrev_b64 v[8:9], 1, v[95:96]
	v_add_co_ci_u32_e32 v5, vcc_lo, s13, v5, vcc_lo
	v_add_co_u32 v6, vcc_lo, s12, v6
	v_add_co_ci_u32_e32 v7, vcc_lo, s13, v7, vcc_lo
	s_delay_alu instid0(VALU_DEP_4)
	v_add_co_u32 v8, vcc_lo, s12, v8
	v_cvt_f16_f32_e32 v10, v10
	v_add_co_ci_u32_e32 v9, vcc_lo, s13, v9, vcc_lo
	s_clause 0x4
	global_store_b16 v[0:1], v13, off
	global_store_b16 v[2:3], v12, off
	;; [unrolled: 1-line block ×5, first 2 shown]
.LBB130_36:                             ;   in Loop: Header=BB130_7 Depth=1
	s_or_b32 exec_lo, exec_lo, s1
	v_add_nc_u32_e32 v0, s5, v93
	s_waitcnt lgkmcnt(0)
	s_delay_alu instid0(VALU_DEP_1) | instskip(SKIP_1) | instid1(VALU_DEP_2)
	v_add_nc_u32_e32 v1, 1, v0
	v_cmp_gt_u32_e32 vcc_lo, s19, v0
	v_cmp_le_u32_e64 s1, s19, v1
	s_delay_alu instid0(VALU_DEP_1) | instskip(NEXT) | instid1(SALU_CYCLE_1)
	s_and_b32 s37, vcc_lo, s1
	s_and_saveexec_b32 s1, s37
	s_cbranch_execz .LBB130_5
; %bb.37:                               ;   in Loop: Header=BB130_7 Depth=1
	v_add_nc_u32_e32 v0, s28, v93
	s_delay_alu instid0(VALU_DEP_1)
	v_cmp_eq_u32_e32 vcc_lo, 1, v0
	v_mov_b32_e32 v0, s26
	v_cndmask_b32_e32 v100, 0, v100, vcc_lo
	s_branch .LBB130_5
.LBB130_38:
	s_nop 0
	s_sendmsg sendmsg(MSG_DEALLOC_VGPRS)
	s_endpgm
	.section	.rodata,"a",@progbits
	.p2align	6, 0x0
	.amdhsa_kernel _Z16wvSplitK_hf_big_I6__halfLi32ELi1ELi16ELi8ELi4ELi5EEviiiiiiPKT_S3_S3_PS1_ii
		.amdhsa_group_segment_fixed_size 65536
		.amdhsa_private_segment_fixed_size 0
		.amdhsa_kernarg_size 64
		.amdhsa_user_sgpr_count 15
		.amdhsa_user_sgpr_dispatch_ptr 0
		.amdhsa_user_sgpr_queue_ptr 0
		.amdhsa_user_sgpr_kernarg_segment_ptr 1
		.amdhsa_user_sgpr_dispatch_id 0
		.amdhsa_user_sgpr_private_segment_size 0
		.amdhsa_wavefront_size32 1
		.amdhsa_uses_dynamic_stack 0
		.amdhsa_enable_private_segment 0
		.amdhsa_system_sgpr_workgroup_id_x 1
		.amdhsa_system_sgpr_workgroup_id_y 0
		.amdhsa_system_sgpr_workgroup_id_z 0
		.amdhsa_system_sgpr_workgroup_info 0
		.amdhsa_system_vgpr_workitem_id 1
		.amdhsa_next_free_vgpr 122
		.amdhsa_next_free_sgpr 43
		.amdhsa_reserve_vcc 1
		.amdhsa_float_round_mode_32 0
		.amdhsa_float_round_mode_16_64 0
		.amdhsa_float_denorm_mode_32 3
		.amdhsa_float_denorm_mode_16_64 3
		.amdhsa_dx10_clamp 1
		.amdhsa_ieee_mode 1
		.amdhsa_fp16_overflow 0
		.amdhsa_workgroup_processor_mode 1
		.amdhsa_memory_ordered 1
		.amdhsa_forward_progress 0
		.amdhsa_shared_vgpr_count 0
		.amdhsa_exception_fp_ieee_invalid_op 0
		.amdhsa_exception_fp_denorm_src 0
		.amdhsa_exception_fp_ieee_div_zero 0
		.amdhsa_exception_fp_ieee_overflow 0
		.amdhsa_exception_fp_ieee_underflow 0
		.amdhsa_exception_fp_ieee_inexact 0
		.amdhsa_exception_int_div_zero 0
	.end_amdhsa_kernel
	.section	.text._Z16wvSplitK_hf_big_I6__halfLi32ELi1ELi16ELi8ELi4ELi5EEviiiiiiPKT_S3_S3_PS1_ii,"axG",@progbits,_Z16wvSplitK_hf_big_I6__halfLi32ELi1ELi16ELi8ELi4ELi5EEviiiiiiPKT_S3_S3_PS1_ii,comdat
.Lfunc_end130:
	.size	_Z16wvSplitK_hf_big_I6__halfLi32ELi1ELi16ELi8ELi4ELi5EEviiiiiiPKT_S3_S3_PS1_ii, .Lfunc_end130-_Z16wvSplitK_hf_big_I6__halfLi32ELi1ELi16ELi8ELi4ELi5EEviiiiiiPKT_S3_S3_PS1_ii
                                        ; -- End function
	.section	.AMDGPU.csdata,"",@progbits
; Kernel info:
; codeLenInByte = 5460
; NumSgprs: 45
; NumVgprs: 122
; ScratchSize: 0
; MemoryBound: 0
; FloatMode: 240
; IeeeMode: 1
; LDSByteSize: 65536 bytes/workgroup (compile time only)
; SGPRBlocks: 5
; VGPRBlocks: 15
; NumSGPRsForWavesPerEU: 45
; NumVGPRsForWavesPerEU: 122
; Occupancy: 8
; WaveLimiterHint : 0
; COMPUTE_PGM_RSRC2:SCRATCH_EN: 0
; COMPUTE_PGM_RSRC2:USER_SGPR: 15
; COMPUTE_PGM_RSRC2:TRAP_HANDLER: 0
; COMPUTE_PGM_RSRC2:TGID_X_EN: 1
; COMPUTE_PGM_RSRC2:TGID_Y_EN: 0
; COMPUTE_PGM_RSRC2:TGID_Z_EN: 0
; COMPUTE_PGM_RSRC2:TIDIG_COMP_CNT: 1
	.section	.text._Z16wvSplitK_hf_sml_I6__halfLi32ELi2ELi16ELi8ELi2ELi5EEviiiiiiPKT_S3_S3_PS1_ii,"axG",@progbits,_Z16wvSplitK_hf_sml_I6__halfLi32ELi2ELi16ELi8ELi2ELi5EEviiiiiiPKT_S3_S3_PS1_ii,comdat
	.protected	_Z16wvSplitK_hf_sml_I6__halfLi32ELi2ELi16ELi8ELi2ELi5EEviiiiiiPKT_S3_S3_PS1_ii ; -- Begin function _Z16wvSplitK_hf_sml_I6__halfLi32ELi2ELi16ELi8ELi2ELi5EEviiiiiiPKT_S3_S3_PS1_ii
	.globl	_Z16wvSplitK_hf_sml_I6__halfLi32ELi2ELi16ELi8ELi2ELi5EEviiiiiiPKT_S3_S3_PS1_ii
	.p2align	8
	.type	_Z16wvSplitK_hf_sml_I6__halfLi32ELi2ELi16ELi8ELi2ELi5EEviiiiiiPKT_S3_S3_PS1_ii,@function
_Z16wvSplitK_hf_sml_I6__halfLi32ELi2ELi16ELi8ELi2ELi5EEviiiiiiPKT_S3_S3_PS1_ii: ; @_Z16wvSplitK_hf_sml_I6__halfLi32ELi2ELi16ELi8ELi2ELi5EEviiiiiiPKT_S3_S3_PS1_ii
; %bb.0:
	s_load_b128 s[4:7], s[0:1], 0x0
	v_and_b32_e32 v1, 0x3ff, v0
	v_bfe_u32 v0, v0, 10, 10
	s_mov_b32 s8, exec_lo
	s_delay_alu instid0(VALU_DEP_2) | instskip(NEXT) | instid1(VALU_DEP_1)
	v_lshlrev_b32_e32 v63, 3, v1
	v_lshl_add_u32 v3, v0, 8, v63
	s_waitcnt lgkmcnt(0)
	s_mul_i32 s2, s6, 5
	s_delay_alu instid0(SALU_CYCLE_1)
	s_min_u32 s9, s2, 0x8000
	s_delay_alu instid0(VALU_DEP_1) | instid1(SALU_CYCLE_1)
	v_cmpx_gt_u32_e64 s9, v3
	s_cbranch_execz .LBB131_9
; %bb.1:
	s_load_b64 s[2:3], s[0:1], 0x20
	v_lshlrev_b32_e32 v2, 1, v3
	v_add_nc_u32_e32 v8, 0x1000, v3
	s_mov_b32 s10, exec_lo
	s_waitcnt lgkmcnt(0)
	global_load_b128 v[4:7], v2, s[2:3]
	s_waitcnt vmcnt(0)
	ds_store_b128 v2, v[4:7]
	v_cmpx_gt_u32_e64 s9, v8
	s_xor_b32 s10, exec_lo, s10
	s_cbranch_execz .LBB131_9
; %bb.2:
	v_add_co_u32 v4, s2, s2, v2
	s_delay_alu instid0(VALU_DEP_1) | instskip(SKIP_1) | instid1(VALU_DEP_3)
	v_add_co_ci_u32_e64 v5, null, s3, 0, s2
	v_add_nc_u32_e32 v10, 0x2000, v3
	v_add_co_u32 v6, vcc_lo, 0x2000, v4
	s_delay_alu instid0(VALU_DEP_3)
	v_add_co_ci_u32_e32 v7, vcc_lo, 0, v5, vcc_lo
	s_mov_b32 s2, exec_lo
	global_load_b128 v[6:9], v[6:7], off
	s_waitcnt vmcnt(0)
	ds_store_b128 v2, v[6:9] offset:8192
	v_cmpx_gt_u32_e64 s9, v10
	s_xor_b32 s2, exec_lo, s2
	s_cbranch_execz .LBB131_9
; %bb.3:
	v_add_co_u32 v6, vcc_lo, 0x4000, v4
	v_add_co_ci_u32_e32 v7, vcc_lo, 0, v5, vcc_lo
	v_add_nc_u32_e32 v10, 0x3000, v3
	s_mov_b32 s2, exec_lo
	global_load_b128 v[6:9], v[6:7], off
	s_waitcnt vmcnt(0)
	ds_store_b128 v2, v[6:9] offset:16384
	v_cmpx_gt_u32_e64 s9, v10
	s_xor_b32 s2, exec_lo, s2
	s_cbranch_execz .LBB131_9
; %bb.4:
	v_add_co_u32 v6, vcc_lo, 0x6000, v4
	v_add_co_ci_u32_e32 v7, vcc_lo, 0, v5, vcc_lo
	v_add_nc_u32_e32 v10, 0x4000, v3
	;; [unrolled: 11-line block ×5, first 2 shown]
	s_mov_b32 s2, exec_lo
	global_load_b128 v[6:9], v[6:7], off
	s_waitcnt vmcnt(0)
	ds_store_b128 v2, v[6:9] offset:49152
	v_cmpx_gt_u32_e64 s9, v3
	s_xor_b32 s2, exec_lo, s2
	s_cbranch_execz .LBB131_9
; %bb.8:
	v_add_co_u32 v3, vcc_lo, 0xe000, v4
	v_add_co_ci_u32_e32 v4, vcc_lo, 0, v5, vcc_lo
	global_load_b128 v[3:6], v[3:4], off
	s_waitcnt vmcnt(0)
	ds_store_b128 v2, v[3:6] offset:57344
.LBB131_9:
	s_or_b32 exec_lo, exec_lo, s8
	s_load_b64 s[16:17], s[0:1], 0x38
	s_waitcnt lgkmcnt(0)
	s_barrier
	buffer_gl0_inv
	s_mov_b32 s2, exec_lo
	v_cmpx_gt_u32_e64 s16, v0
	s_cbranch_execz .LBB131_26
; %bb.10:
	s_load_b64 s[2:3], s[0:1], 0x10
	s_mul_i32 s15, s15, s16
	s_delay_alu instid0(SALU_CYCLE_1) | instskip(NEXT) | instid1(VALU_DEP_1)
	v_add_lshl_u32 v48, s15, v0, 1
	v_cmp_gt_u32_e32 vcc_lo, s7, v48
	s_and_b32 exec_lo, exec_lo, vcc_lo
	s_cbranch_execz .LBB131_26
; %bb.11:
	s_clause 0x1
	s_load_b128 s[8:11], s[0:1], 0x28
	s_load_b64 s[12:13], s[0:1], 0x18
	s_cmp_lg_u32 s4, 0
	s_waitcnt lgkmcnt(0)
	v_cvt_f32_u32_e32 v2, s2
	s_cselect_b32 s1, -1, 0
	s_add_i32 s14, s4, -8
	s_add_i32 s15, s7, -1
	v_lshlrev_b32_e32 v64, 4, v1
	v_mov_b32_e32 v50, 0
	v_mbcnt_lo_u32_b32 v65, -1, 0
	s_cmp_lg_u64 s[8:9], 0
	s_cselect_b32 s18, -1, 0
	s_abs_i32 s21, s3
	s_mul_i32 s3, s16, s17
	v_cvt_f32_u32_e32 v0, s21
	s_sub_i32 s16, 0, s21
	s_lshl_b32 s3, s3, 1
	s_sub_i32 s17, 0, s2
	s_sub_i32 s19, 1, s21
	v_rcp_iflag_f32_e32 v0, v0
	s_waitcnt_depctr 0xfff
	v_mul_f32_e32 v0, 0x4f7ffffe, v0
	s_delay_alu instid0(VALU_DEP_1) | instskip(NEXT) | instid1(VALU_DEP_1)
	v_cvt_u32_f32_e32 v0, v0
	v_readfirstlane_b32 s0, v0
	v_rcp_iflag_f32_e32 v0, v2
	s_delay_alu instid0(VALU_DEP_1) | instskip(NEXT) | instid1(SALU_CYCLE_1)
	s_mul_i32 s16, s16, s0
	s_mul_hi_u32 s16, s0, s16
	s_delay_alu instid0(SALU_CYCLE_1) | instskip(SKIP_4) | instid1(SALU_CYCLE_1)
	s_add_i32 s20, s0, s16
	s_cmp_lt_u32 s21, 2
	s_waitcnt_depctr 0xfff
	v_mul_f32_e32 v0, 0x4f7ffffe, v0
	s_cselect_b32 s0, s19, 1
	s_sub_i32 s16, s0, s21
	s_cmp_ge_u32 s0, s21
	s_delay_alu instid0(VALU_DEP_1)
	v_cvt_u32_f32_e32 v0, v0
	s_cselect_b32 s19, s16, s0
	s_lshr_b32 s0, s20, 31
	s_mov_b32 s16, 0
	s_mul_i32 s0, s0, s21
	v_mul_lo_u32 v2, s17, v0
	s_sub_i32 s22, 2, s0
	v_cmp_eq_u32_e64 s0, 31, v1
	s_sub_i32 s23, s22, s21
	s_cmp_ge_u32 s22, s21
	s_mul_i32 s19, s19, s2
	s_cselect_b32 s17, s23, s22
	s_mul_hi_u32 s22, s20, 3
	s_sub_i32 s23, s17, s21
	s_cmp_ge_u32 s17, s21
	s_mul_i32 s22, s22, s21
	s_cselect_b32 s23, s23, s17
	s_sub_i32 s17, 3, s22
	v_mul_hi_u32 v1, v0, v2
	s_sub_i32 s22, s17, s21
	s_cmp_ge_u32 s17, s21
	s_cselect_b32 s22, s22, s17
	s_mul_i32 s17, s6, 6
	s_sub_i32 s24, s22, s21
	s_cmp_ge_u32 s22, s21
	s_delay_alu instid0(VALU_DEP_1) | instskip(SKIP_2) | instid1(SALU_CYCLE_1)
	v_add_nc_u32_e32 v66, v0, v1
	s_cselect_b32 s22, s24, s22
	s_lshr_b32 s20, s20, 30
	s_mul_i32 s20, s20, s21
	s_delay_alu instid0(SALU_CYCLE_1) | instskip(NEXT) | instid1(SALU_CYCLE_1)
	s_sub_i32 s20, 4, s20
	s_sub_i32 s24, s20, s21
	s_cmp_ge_u32 s20, s21
	s_cselect_b32 s24, s24, s20
	s_mul_i32 s20, s23, s2
	s_sub_i32 s23, s24, s21
	s_cmp_ge_u32 s24, s21
	s_mul_i32 s21, s22, s2
	s_cselect_b32 s24, s23, s24
	s_lshl_b32 s22, s6, 3
	s_lshl_b32 s23, s6, 2
	s_mul_i32 s24, s24, s2
	s_lshl_b32 s6, s6, 1
	s_branch .LBB131_14
.LBB131_12:                             ;   in Loop: Header=BB131_14 Depth=1
	s_waitcnt lgkmcnt(8)
	v_dual_add_f32 v4, v4, v7 :: v_dual_add_f32 v5, v5, v8
	s_waitcnt vmcnt(9)
	v_cvt_f32_f16_e32 v7, v29
	s_waitcnt vmcnt(8)
	v_cvt_f32_f16_e32 v8, v28
	s_waitcnt lgkmcnt(6)
	v_dual_add_f32 v6, v6, v9 :: v_dual_add_f32 v9, v0, v2
	s_waitcnt lgkmcnt(5)
	v_add_f32_e32 v28, v1, v3
	s_waitcnt lgkmcnt(4)
	v_dual_add_f32 v16, v16, v19 :: v_dual_add_f32 v3, v5, v8
	v_add_f32_e32 v2, v4, v7
	v_lshlrev_b64 v[0:1], 1, v[48:49]
	v_add_nc_u32_e32 v49, s7, v48
	s_waitcnt vmcnt(7)
	v_cvt_f32_f16_e32 v4, v27
	v_cvt_f16_f32_e32 v3, v3
	v_cvt_f16_f32_e32 v2, v2
	s_waitcnt lgkmcnt(1)
	v_add_f32_e32 v11, v11, v13
	v_add_co_u32 v0, vcc_lo, s10, v0
	v_add_co_ci_u32_e32 v1, vcc_lo, s11, v1, vcc_lo
	v_pack_b32_f16 v5, v2, v3
	v_add_f32_e32 v4, v6, v4
	v_lshlrev_b64 v[2:3], 1, v[49:50]
	s_waitcnt vmcnt(4)
	v_cvt_f32_f16_e32 v6, v24
	v_add_f32_e32 v7, v14, v17
	global_store_b32 v[0:1], v5, off
	v_cvt_f16_f32_e32 v13, v4
	v_cvt_f32_f16_e32 v4, v26
	v_cvt_f32_f16_e32 v5, v25
	s_waitcnt lgkmcnt(0)
	v_add_f32_e32 v12, v10, v12
	v_add_co_u32 v0, vcc_lo, s10, v2
	v_add_nc_u32_e32 v2, 1, v49
	v_dual_add_f32 v4, v9, v4 :: v_dual_add_nc_u32 v49, s7, v49
	v_add_f32_e32 v8, v28, v5
	s_waitcnt vmcnt(3)
	v_cvt_f32_f16_e32 v9, v23
	v_add_f32_e32 v6, v16, v6
	v_add_f32_e32 v14, v15, v18
	v_add_co_ci_u32_e32 v1, vcc_lo, s11, v3, vcc_lo
	v_mov_b32_e32 v3, v50
	v_cvt_f16_f32_e32 v8, v8
	v_add_f32_e32 v9, v7, v9
	v_cvt_f16_f32_e32 v10, v6
	v_cvt_f16_f32_e32 v15, v4
	v_lshlrev_b64 v[4:5], 1, v[49:50]
	v_add_nc_u32_e32 v49, s7, v49
	v_cvt_f16_f32_e32 v17, v9
	v_pack_b32_f16 v16, v8, v10
	s_waitcnt vmcnt(2)
	v_cvt_f32_f16_e32 v10, v22
	v_mov_b32_e32 v9, v50
	v_lshlrev_b64 v[2:3], 1, v[2:3]
	v_add_nc_u32_e32 v8, 1, v49
	s_waitcnt vmcnt(0)
	v_cvt_f32_f16_e32 v18, v20
	v_add_f32_e32 v10, v14, v10
	v_cvt_f32_f16_e32 v14, v21
	v_lshlrev_b64 v[6:7], 1, v[49:50]
	v_add_nc_u32_e32 v49, s7, v49
	v_add_co_u32 v2, vcc_lo, s10, v2
	v_add_co_ci_u32_e32 v3, vcc_lo, s11, v3, vcc_lo
	v_add_co_u32 v4, vcc_lo, s10, v4
	v_lshlrev_b64 v[8:9], 1, v[8:9]
	v_add_f32_e32 v14, v11, v14
	v_add_f32_e32 v12, v12, v18
	v_add_co_ci_u32_e32 v5, vcc_lo, s11, v5, vcc_lo
	v_add_co_u32 v6, vcc_lo, s10, v6
	v_cvt_f16_f32_e32 v19, v10
	v_lshlrev_b64 v[10:11], 1, v[49:50]
	v_add_co_ci_u32_e32 v7, vcc_lo, s11, v7, vcc_lo
	v_add_co_u32 v8, vcc_lo, s10, v8
	v_cvt_f16_f32_e32 v14, v14
	v_cvt_f16_f32_e32 v12, v12
	v_add_co_ci_u32_e32 v9, vcc_lo, s11, v9, vcc_lo
	v_add_co_u32 v10, vcc_lo, s10, v10
	v_add_co_ci_u32_e32 v11, vcc_lo, s11, v11, vcc_lo
	s_delay_alu instid0(VALU_DEP_4)
	v_pack_b32_f16 v12, v14, v12
	s_clause 0x5
	global_store_b16 v[0:1], v13, off
	global_store_b16 v[2:3], v15, off
	global_store_b32 v[4:5], v16, off
	global_store_b16 v[6:7], v17, off
	global_store_b16 v[8:9], v19, off
	global_store_b32 v[10:11], v12, off
.LBB131_13:                             ;   in Loop: Header=BB131_14 Depth=1
	s_or_b32 exec_lo, exec_lo, s25
	v_add_nc_u32_e32 v48, s3, v48
	s_delay_alu instid0(VALU_DEP_1) | instskip(SKIP_1) | instid1(SALU_CYCLE_1)
	v_cmp_le_u32_e32 vcc_lo, s7, v48
	s_or_b32 s16, vcc_lo, s16
	s_and_not1_b32 exec_lo, exec_lo, s16
	s_cbranch_execz .LBB131_26
.LBB131_14:                             ; =>This Loop Header: Depth=1
                                        ;     Child Loop BB131_18 Depth 2
	v_mov_b32_e32 v76, v50
	v_mov_b32_e32 v75, v50
	;; [unrolled: 1-line block ×10, first 2 shown]
	s_and_not1_b32 vcc_lo, exec_lo, s1
	s_cbranch_vccnz .LBB131_21
; %bb.15:                               ;   in Loop: Header=BB131_14 Depth=1
	v_or_b32_e32 v0, 1, v48
	s_waitcnt lgkmcnt(6)
	v_min_u32_e32 v2, s15, v48
	v_dual_mov_b32 v1, v50 :: v_dual_mov_b32 v72, 0
	v_dual_mov_b32 v77, v64 :: v_dual_mov_b32 v70, 0
	v_min_u32_e32 v0, s15, v0
	s_delay_alu instid0(VALU_DEP_4) | instskip(SKIP_2) | instid1(VALU_DEP_4)
	v_mul_lo_u32 v49, v2, s5
	v_dual_mov_b32 v69, 0 :: v_dual_mov_b32 v68, 0
	v_dual_mov_b32 v71, 0 :: v_dual_mov_b32 v74, 0
	v_mul_lo_u32 v0, v0, s5
	v_dual_mov_b32 v67, 0 :: v_dual_mov_b32 v76, 0
	v_lshlrev_b64 v[51:52], 1, v[49:50]
	v_mov_b32_e32 v73, 0
	v_mov_b32_e32 v75, 0
	s_mov_b32 s25, 0
	v_lshlrev_b64 v[53:54], 1, v[0:1]
	s_branch .LBB131_18
.LBB131_16:                             ;   in Loop: Header=BB131_18 Depth=2
	s_or_b32 exec_lo, exec_lo, s27
.LBB131_17:                             ;   in Loop: Header=BB131_18 Depth=2
	s_delay_alu instid0(SALU_CYCLE_1)
	s_or_b32 exec_lo, exec_lo, s26
	s_waitcnt vmcnt(3) lgkmcnt(1)
	;;#ASMSTART
	v_dot2_f32_f16 v76, v44, v24, v76
	;;#ASMEND
	s_waitcnt vmcnt(2)
	;;#ASMSTART
	v_dot2_f32_f16 v75, v44, v20, v75
	;;#ASMEND
	;;#ASMSTART
	v_dot2_f32_f16 v74, v40, v24, v74
	;;#ASMEND
	;; [unrolled: 3-line block ×7, first 2 shown]
	s_waitcnt lgkmcnt(0)
	;;#ASMSTART
	v_dot2_f32_f16 v68, v32, v24, v68
	;;#ASMEND
	;;#ASMSTART
	v_dot2_f32_f16 v67, v32, v20, v67
	;;#ASMEND
	;; [unrolled: 3-line block ×22, first 2 shown]
	v_add_nc_u32_e32 v77, 0x400, v77
	;;#ASMSTART
	v_dot2_f32_f16 v76, v47, v27, v76
	;;#ASMEND
	;;#ASMSTART
	v_dot2_f32_f16 v75, v47, v23, v75
	;;#ASMEND
	;; [unrolled: 3-line block ×10, first 2 shown]
	s_addk_i32 s25, 0x200
	s_waitcnt vmcnt(1)
	;;#ASMSTART
	v_dot2_f32_f16 v76, v28, v4, v76
	;;#ASMEND
	s_waitcnt vmcnt(0)
	;;#ASMSTART
	v_dot2_f32_f16 v75, v28, v0, v75
	;;#ASMEND
	;;#ASMSTART
	v_dot2_f32_f16 v74, v16, v4, v74
	;;#ASMEND
	;; [unrolled: 3-line block ×19, first 2 shown]
	s_cmp_ge_u32 s25, s4
	;;#ASMSTART
	v_dot2_f32_f16 v76, v30, v6, v76
	;;#ASMEND
	;;#ASMSTART
	v_dot2_f32_f16 v75, v30, v2, v75
	;;#ASMEND
	;; [unrolled: 3-line block ×20, first 2 shown]
	s_cbranch_scc1 .LBB131_21
.LBB131_18:                             ;   Parent Loop BB131_14 Depth=1
                                        ; =>  This Inner Loop Header: Depth=2
	v_dual_mov_b32 v45, 0 :: v_dual_add_nc_u32 v10, s25, v63
	v_dual_mov_b32 v44, 0 :: v_dual_mov_b32 v29, 0
	v_dual_mov_b32 v46, 0 :: v_dual_mov_b32 v31, 0
	s_delay_alu instid0(VALU_DEP_3) | instskip(SKIP_2) | instid1(VALU_DEP_3)
	v_min_u32_e32 v49, s14, v10
	v_dual_mov_b32 v47, 0 :: v_dual_add_nc_u32 v78, 0x100, v10
	v_dual_mov_b32 v28, 0 :: v_dual_mov_b32 v41, 0
	v_lshlrev_b64 v[0:1], 1, v[49:50]
	s_delay_alu instid0(VALU_DEP_3) | instskip(SKIP_3) | instid1(VALU_DEP_4)
	v_min_u32_e32 v49, s14, v78
	v_dual_mov_b32 v30, 0 :: v_dual_mov_b32 v43, 0
	s_waitcnt lgkmcnt(3)
	v_dual_mov_b32 v40, 0 :: v_dual_mov_b32 v17, 0
	v_add_co_u32 v4, vcc_lo, s12, v0
	v_add_co_ci_u32_e32 v5, vcc_lo, s13, v1, vcc_lo
	v_lshlrev_b64 v[0:1], 1, v[49:50]
	s_delay_alu instid0(VALU_DEP_3) | instskip(NEXT) | instid1(VALU_DEP_3)
	v_add_co_u32 v2, vcc_lo, v4, v51
	v_add_co_ci_u32_e32 v3, vcc_lo, v5, v52, vcc_lo
	v_dual_mov_b32 v42, 0 :: v_dual_mov_b32 v19, 0
	s_delay_alu instid0(VALU_DEP_4) | instskip(SKIP_3) | instid1(VALU_DEP_4)
	v_add_co_u32 v6, vcc_lo, s12, v0
	v_add_co_ci_u32_e32 v7, vcc_lo, s13, v1, vcc_lo
	v_add_co_u32 v0, vcc_lo, v4, v53
	v_add_co_ci_u32_e32 v1, vcc_lo, v5, v54, vcc_lo
	v_add_co_u32 v4, vcc_lo, v6, v51
	s_delay_alu instid0(VALU_DEP_4)
	v_add_co_ci_u32_e32 v5, vcc_lo, v7, v52, vcc_lo
	v_add_co_u32 v8, vcc_lo, v6, v53
	v_add_co_ci_u32_e32 v9, vcc_lo, v7, v54, vcc_lo
	s_clause 0x3
	global_load_b128 v[24:27], v[2:3], off slc dlc
	global_load_b128 v[20:23], v[0:1], off slc dlc
	;; [unrolled: 1-line block ×4, first 2 shown]
	v_cmp_gt_u32_e32 vcc_lo, s4, v10
	v_dual_mov_b32 v16, 0 :: v_dual_mov_b32 v61, 0
	s_waitcnt lgkmcnt(2)
	v_dual_mov_b32 v18, 0 :: v_dual_mov_b32 v59, 0
	v_dual_mov_b32 v62, 0 :: v_dual_mov_b32 v57, 0
	v_dual_mov_b32 v60, 0 :: v_dual_mov_b32 v55, 0
	v_dual_mov_b32 v58, 0 :: v_dual_mov_b32 v37, 0
	v_dual_mov_b32 v56, 0 :: v_dual_mov_b32 v39, 0
	s_waitcnt lgkmcnt(1)
	v_dual_mov_b32 v36, 0 :: v_dual_mov_b32 v13, 0
	v_dual_mov_b32 v38, 0 :: v_dual_mov_b32 v15, 0
	s_waitcnt lgkmcnt(0)
	v_dual_mov_b32 v12, 0 :: v_dual_mov_b32 v33, 0
	v_dual_mov_b32 v14, 0 :: v_dual_mov_b32 v35, 0
	;; [unrolled: 1-line block ×4, first 2 shown]
	v_mov_b32_e32 v8, 0
	v_mov_b32_e32 v10, 0
	s_and_saveexec_b32 s26, vcc_lo
	s_cbranch_execz .LBB131_17
; %bb.19:                               ;   in Loop: Header=BB131_18 Depth=2
	v_dual_mov_b32 v10, 0 :: v_dual_add_nc_u32 v81, s6, v77
	v_dual_mov_b32 v8, 0 :: v_dual_add_nc_u32 v79, s23, v77
	;; [unrolled: 1-line block ×4, first 2 shown]
	ds_load_b128 v[40:43], v81
	ds_load_2addr_b32 v[61:62], v79 offset1:1
	ds_load_2addr_b32 v[59:60], v79 offset0:2 offset1:3
	ds_load_b128 v[36:39], v80
	ds_load_b128 v[44:47], v77
	ds_load_2addr_b64 v[32:35], v49 offset1:1
	v_cmp_gt_u32_e32 vcc_lo, s4, v78
	v_dual_mov_b32 v9, 0 :: v_dual_mov_b32 v12, 0
	v_dual_mov_b32 v15, 0 :: v_dual_mov_b32 v56, 0
	;; [unrolled: 1-line block ×7, first 2 shown]
	v_mov_b32_e32 v31, 0
	v_mov_b32_e32 v29, 0
	s_and_saveexec_b32 s27, vcc_lo
	s_cbranch_execz .LBB131_16
; %bb.20:                               ;   in Loop: Header=BB131_18 Depth=2
	ds_load_b128 v[16:19], v81 offset:512
	ds_load_2addr_b32 v[57:58], v79 offset0:128 offset1:129
	ds_load_2addr_b32 v[55:56], v79 offset0:130 offset1:131
	ds_load_b128 v[12:15], v80 offset:512
	ds_load_b128 v[28:31], v77 offset:512
	ds_load_2addr_b64 v[8:11], v49 offset0:64 offset1:65
	s_branch .LBB131_16
.LBB131_21:                             ;   in Loop: Header=BB131_14 Depth=1
	; sched_barrier mask(0x00000000)
	v_xor_b32_e32 v0, 16, v65
	v_cvt_i32_f32_e32 v1, v76
	s_waitcnt lgkmcnt(6)
	v_cvt_i32_f32_e32 v2, v75
	s_waitcnt lgkmcnt(5)
	v_cvt_i32_f32_e32 v3, v74
	v_cvt_i32_f32_e32 v4, v73
	v_cmp_gt_i32_e32 vcc_lo, 32, v0
	v_cvt_f32_i32_dpp v1, v1 row_shr:8 row_mask:0xf bank_mask:0xf bound_ctrl:1
	v_cvt_i32_f32_e32 v5, v72
	v_cvt_f32_i32_dpp v2, v2 row_shr:8 row_mask:0xf bank_mask:0xf bound_ctrl:1
	v_cvt_i32_f32_e32 v11, v71
	s_delay_alu instid0(VALU_DEP_4)
	v_dual_cndmask_b32 v0, v65, v0 :: v_dual_add_f32 v1, v76, v1
	s_waitcnt lgkmcnt(1)
	v_cvt_i32_f32_e32 v13, v70
	v_cvt_i32_f32_e32 v15, v67
	v_cvt_f32_i32_dpp v11, v11 row_shr:8 row_mask:0xf bank_mask:0xf bound_ctrl:1
	s_waitcnt lgkmcnt(0)
	v_lshlrev_b32_e32 v12, 2, v0
	v_cvt_f32_i32_dpp v0, v3 row_shr:8 row_mask:0xf bank_mask:0xf bound_ctrl:1
	v_cvt_f32_i32_dpp v3, v4 row_shr:8 row_mask:0xf bank_mask:0xf bound_ctrl:1
	;; [unrolled: 1-line block ×3, first 2 shown]
	v_cvt_i32_f32_e32 v5, v1
	v_cvt_f32_i32_dpp v13, v13 row_shr:8 row_mask:0xf bank_mask:0xf bound_ctrl:1
	v_cvt_f32_i32_dpp v15, v15 row_shr:8 row_mask:0xf bank_mask:0xf bound_ctrl:1
	v_add_f32_e32 v3, v73, v3
	v_cvt_i32_f32_e32 v10, v69
	v_cvt_f32_i32_dpp v5, v5 row_shr:4 row_mask:0xf bank_mask:0xf bound_ctrl:1
	v_add_f32_e32 v2, v75, v2
	v_cvt_i32_f32_e32 v14, v68
	v_cvt_i32_f32_e32 v8, v3
	v_cvt_f32_i32_dpp v10, v10 row_shr:8 row_mask:0xf bank_mask:0xf bound_ctrl:1
	v_add_f32_e32 v1, v1, v5
	v_cvt_i32_f32_e32 v6, v2
	v_cvt_f32_i32_dpp v14, v14 row_shr:8 row_mask:0xf bank_mask:0xf bound_ctrl:1
	v_cvt_f32_i32_dpp v8, v8 row_shr:4 row_mask:0xf bank_mask:0xf bound_ctrl:1
	v_add_f32_e32 v11, v71, v11
	v_cvt_i32_f32_e32 v5, v1
	v_cvt_f32_i32_dpp v6, v6 row_shr:4 row_mask:0xf bank_mask:0xf bound_ctrl:1
	v_add_f32_e32 v13, v70, v13
	v_add_f32_e32 v3, v3, v8
	v_cvt_i32_f32_e32 v17, v11
	v_cvt_f32_i32_dpp v5, v5 row_shr:2 row_mask:0xf bank_mask:0xf bound_ctrl:1
	v_add_f32_e32 v2, v2, v6
	;; [unrolled: 4-line block ×3, first 2 shown]
	v_cvt_i32_f32_e32 v6, v2
	v_cvt_i32_f32_e32 v7, v0
	v_cvt_f32_i32_dpp v8, v8 row_shr:2 row_mask:0xf bank_mask:0xf bound_ctrl:1
	v_dual_add_f32 v10, v69, v10 :: v_dual_add_f32 v11, v11, v17
	s_delay_alu instid0(VALU_DEP_4) | instskip(NEXT) | instid1(VALU_DEP_4)
	v_cvt_f32_i32_dpp v6, v6 row_shr:2 row_mask:0xf bank_mask:0xf bound_ctrl:1
	v_cvt_f32_i32_dpp v7, v7 row_shr:4 row_mask:0xf bank_mask:0xf bound_ctrl:1
	s_delay_alu instid0(VALU_DEP_4) | instskip(NEXT) | instid1(VALU_DEP_4)
	v_add_f32_e32 v3, v3, v8
	v_cvt_i32_f32_e32 v16, v10
	v_cvt_i32_f32_e32 v17, v11
	v_add_f32_e32 v2, v2, v6
	v_add_f32_e32 v0, v0, v7
	v_cvt_i32_f32_e32 v8, v3
	v_cvt_f32_i32_dpp v16, v16 row_shr:4 row_mask:0xf bank_mask:0xf bound_ctrl:1
	v_cvt_f32_i32_dpp v17, v17 row_shr:2 row_mask:0xf bank_mask:0xf bound_ctrl:1
	v_cvt_i32_f32_e32 v5, v2
	v_cvt_i32_f32_e32 v7, v0
	v_cvt_f32_i32_dpp v8, v8 row_shr:1 row_mask:0xf bank_mask:0xf bound_ctrl:1
	s_delay_alu instid0(VALU_DEP_4) | instskip(NEXT) | instid1(VALU_DEP_4)
	v_dual_add_f32 v10, v10, v16 :: v_dual_add_f32 v11, v11, v17
	v_cvt_f32_i32_dpp v5, v5 row_shr:1 row_mask:0xf bank_mask:0xf bound_ctrl:1
	v_add_f32_e32 v4, v72, v4
	v_cvt_f32_i32_dpp v7, v7 row_shr:2 row_mask:0xf bank_mask:0xf bound_ctrl:1
	v_cvt_i32_f32_e32 v18, v13
	v_cvt_i32_f32_e32 v16, v10
	v_add_f32_e32 v5, v2, v5
	v_cvt_i32_f32_e32 v9, v4
	v_add_f32_e32 v0, v0, v7
	v_cvt_f32_i32_dpp v18, v18 row_shr:4 row_mask:0xf bank_mask:0xf bound_ctrl:1
	v_cvt_f32_i32_dpp v16, v16 row_shr:2 row_mask:0xf bank_mask:0xf bound_ctrl:1
	v_add_f32_e32 v15, v67, v15
	v_cvt_f32_i32_dpp v9, v9 row_shr:4 row_mask:0xf bank_mask:0xf bound_ctrl:1
	s_delay_alu instid0(VALU_DEP_4) | instskip(NEXT) | instid1(VALU_DEP_3)
	v_add_f32_e32 v13, v13, v18
	v_cvt_i32_f32_e32 v20, v15
	s_delay_alu instid0(VALU_DEP_3) | instskip(NEXT) | instid1(VALU_DEP_3)
	v_add_f32_e32 v4, v4, v9
	v_cvt_i32_f32_e32 v18, v13
	s_delay_alu instid0(VALU_DEP_3) | instskip(NEXT) | instid1(VALU_DEP_3)
	v_cvt_f32_i32_dpp v20, v20 row_shr:4 row_mask:0xf bank_mask:0xf bound_ctrl:1
	v_cvt_i32_f32_e32 v9, v4
	v_add_f32_e32 v14, v68, v14
	s_delay_alu instid0(VALU_DEP_4) | instskip(NEXT) | instid1(VALU_DEP_4)
	v_cvt_f32_i32_dpp v18, v18 row_shr:2 row_mask:0xf bank_mask:0xf bound_ctrl:1
	v_add_f32_e32 v15, v15, v20
	s_delay_alu instid0(VALU_DEP_4) | instskip(NEXT) | instid1(VALU_DEP_4)
	v_cvt_f32_i32_dpp v9, v9 row_shr:2 row_mask:0xf bank_mask:0xf bound_ctrl:1
	v_cvt_i32_f32_e32 v19, v14
	s_delay_alu instid0(VALU_DEP_4) | instskip(NEXT) | instid1(VALU_DEP_4)
	v_dual_add_f32 v13, v13, v18 :: v_dual_add_f32 v10, v10, v16
	v_cvt_i32_f32_e32 v20, v15
	s_delay_alu instid0(VALU_DEP_4)
	v_add_f32_e32 v7, v4, v9
	v_cvt_i32_f32_e32 v4, v1
	v_cvt_f32_i32_dpp v19, v19 row_shr:4 row_mask:0xf bank_mask:0xf bound_ctrl:1
	v_cvt_i32_f32_e32 v16, v13
	v_cvt_f32_i32_dpp v20, v20 row_shr:2 row_mask:0xf bank_mask:0xf bound_ctrl:1
	;; [unrolled: 2-line block ×3, first 2 shown]
	v_add_f32_e32 v14, v14, v19
	v_cvt_f32_i32_dpp v21, v16 row_shr:1 row_mask:0xf bank_mask:0xf bound_ctrl:1
	v_add_f32_e32 v18, v15, v20
	v_cvt_f32_i32_dpp v9, v9 row_shr:1 row_mask:0xf bank_mask:0xf bound_ctrl:1
	v_add_f32_e32 v4, v1, v4
	v_cvt_i32_f32_e32 v19, v14
	v_cvt_i32_f32_e32 v15, v11
	v_cvt_i32_f32_e32 v20, v18
	v_add_f32_e32 v1, v7, v9
	v_cvt_i32_f32_e32 v6, v0
	v_cvt_f32_i32_dpp v19, v19 row_shr:2 row_mask:0xf bank_mask:0xf bound_ctrl:1
	v_cvt_f32_i32_dpp v15, v15 row_shr:1 row_mask:0xf bank_mask:0xf bound_ctrl:1
	ds_bpermute_b32 v7, v12, v4
	v_cvt_f32_i32_dpp v20, v20 row_shr:1 row_mask:0xf bank_mask:0xf bound_ctrl:1
	v_cvt_f32_i32_dpp v6, v6 row_shr:1 row_mask:0xf bank_mask:0xf bound_ctrl:1
	v_add_f32_e32 v17, v14, v19
	v_cvt_i32_f32_e32 v14, v10
	s_delay_alu instid0(VALU_DEP_3) | instskip(SKIP_1) | instid1(VALU_DEP_4)
	v_add_f32_e32 v6, v0, v6
	v_add_f32_e32 v0, v3, v8
	v_cvt_i32_f32_e32 v19, v17
	s_delay_alu instid0(VALU_DEP_4)
	v_cvt_f32_i32_dpp v14, v14 row_shr:1 row_mask:0xf bank_mask:0xf bound_ctrl:1
	ds_bpermute_b32 v8, v12, v5
	ds_bpermute_b32 v9, v12, v6
	;; [unrolled: 1-line block ×3, first 2 shown]
	v_cvt_f32_i32_dpp v19, v19 row_shr:1 row_mask:0xf bank_mask:0xf bound_ctrl:1
	v_add_f32_e32 v16, v10, v14
	v_dual_add_f32 v14, v11, v15 :: v_dual_add_f32 v15, v13, v21
	ds_bpermute_b32 v3, v12, v1
	v_dual_add_f32 v11, v17, v19 :: v_dual_add_f32 v10, v18, v20
	ds_bpermute_b32 v19, v12, v16
	ds_bpermute_b32 v17, v12, v14
	;; [unrolled: 1-line block ×5, first 2 shown]
	s_and_saveexec_b32 s25, s0
	s_cbranch_execz .LBB131_13
; %bb.22:                               ;   in Loop: Header=BB131_14 Depth=1
	s_and_b32 vcc_lo, exec_lo, s18
	s_cbranch_vccz .LBB131_24
; %bb.23:                               ;   in Loop: Header=BB131_14 Depth=1
	v_or_b32_e32 v20, 1, v48
	v_mul_hi_u32 v21, v48, v66
	s_delay_alu instid0(VALU_DEP_2) | instskip(NEXT) | instid1(VALU_DEP_2)
	v_mul_hi_u32 v22, v20, v66
	v_mul_lo_u32 v21, v21, s2
	s_delay_alu instid0(VALU_DEP_2) | instskip(NEXT) | instid1(VALU_DEP_2)
	v_mul_lo_u32 v22, v22, s2
	v_sub_nc_u32_e32 v21, v48, v21
	s_delay_alu instid0(VALU_DEP_2) | instskip(NEXT) | instid1(VALU_DEP_2)
	v_sub_nc_u32_e32 v20, v20, v22
	v_subrev_nc_u32_e32 v22, s2, v21
	v_cmp_le_u32_e32 vcc_lo, s2, v21
	s_delay_alu instid0(VALU_DEP_3) | instskip(NEXT) | instid1(VALU_DEP_3)
	v_subrev_nc_u32_e32 v23, s2, v20
	v_dual_cndmask_b32 v22, v21, v22 :: v_dual_mov_b32 v21, v50
	v_cmp_le_u32_e32 vcc_lo, s2, v20
	s_delay_alu instid0(VALU_DEP_2) | instskip(NEXT) | instid1(VALU_DEP_4)
	v_subrev_nc_u32_e32 v25, s2, v22
	v_dual_cndmask_b32 v20, v20, v23 :: v_dual_mov_b32 v23, v50
	v_cmp_le_u32_e32 vcc_lo, s2, v22
	s_delay_alu instid0(VALU_DEP_2) | instskip(NEXT) | instid1(VALU_DEP_4)
	v_subrev_nc_u32_e32 v28, s2, v20
	v_cndmask_b32_e32 v49, v22, v25, vcc_lo
	v_cmp_le_u32_e32 vcc_lo, s2, v20
	s_delay_alu instid0(VALU_DEP_3) | instskip(NEXT) | instid1(VALU_DEP_3)
	v_dual_mov_b32 v29, v50 :: v_dual_cndmask_b32 v20, v20, v28
	v_add_nc_u32_e32 v28, s21, v49
	v_lshlrev_b64 v[30:31], 1, v[49:50]
	v_dual_mov_b32 v27, v50 :: v_dual_add_nc_u32 v22, s19, v49
	s_delay_alu instid0(VALU_DEP_4) | instskip(SKIP_2) | instid1(VALU_DEP_4)
	v_lshlrev_b64 v[32:33], 1, v[20:21]
	v_dual_mov_b32 v24, v50 :: v_dual_add_nc_u32 v25, s20, v49
	v_mov_b32_e32 v26, v50
	v_lshlrev_b64 v[21:22], 1, v[22:23]
	v_add_nc_u32_e32 v23, s19, v20
	v_add_co_u32 v30, vcc_lo, s8, v30
	v_add_co_ci_u32_e32 v31, vcc_lo, s9, v31, vcc_lo
	v_lshlrev_b64 v[34:35], 1, v[25:26]
	v_add_co_u32 v32, vcc_lo, s8, v32
	v_add_nc_u32_e32 v26, s20, v20
	v_add_co_ci_u32_e32 v33, vcc_lo, s9, v33, vcc_lo
	v_lshlrev_b64 v[23:24], 1, v[23:24]
	v_add_co_u32 v21, vcc_lo, s8, v21
	v_add_co_ci_u32_e32 v22, vcc_lo, s9, v22, vcc_lo
	v_lshlrev_b64 v[36:37], 1, v[26:27]
	v_add_co_u32 v34, vcc_lo, s8, v34
	v_dual_mov_b32 v26, v50 :: v_dual_add_nc_u32 v25, s21, v20
	v_add_co_ci_u32_e32 v35, vcc_lo, s9, v35, vcc_lo
	v_lshlrev_b64 v[28:29], 1, v[28:29]
	v_add_co_u32 v23, vcc_lo, s8, v23
	v_add_nc_u32_e32 v49, s24, v49
	v_add_co_ci_u32_e32 v24, vcc_lo, s9, v24, vcc_lo
	v_add_co_u32 v36, vcc_lo, s8, v36
	v_lshlrev_b64 v[25:26], 1, v[25:26]
	v_add_co_ci_u32_e32 v37, vcc_lo, s9, v37, vcc_lo
	v_add_co_u32 v38, vcc_lo, s8, v28
	v_lshlrev_b64 v[27:28], 1, v[49:50]
	v_add_nc_u32_e32 v49, s24, v20
	v_add_co_ci_u32_e32 v39, vcc_lo, s9, v29, vcc_lo
	v_add_co_u32 v40, vcc_lo, s8, v25
	v_add_co_ci_u32_e32 v41, vcc_lo, s9, v26, vcc_lo
	s_delay_alu instid0(VALU_DEP_4) | instskip(SKIP_3) | instid1(VALU_DEP_4)
	v_lshlrev_b64 v[25:26], 1, v[49:50]
	v_add_co_u32 v42, vcc_lo, s8, v27
	v_add_co_ci_u32_e32 v43, vcc_lo, s9, v28, vcc_lo
	v_mov_b32_e32 v49, v50
	v_add_co_u32 v44, vcc_lo, s8, v25
	v_add_co_ci_u32_e32 v45, vcc_lo, s9, v26, vcc_lo
	s_clause 0x9
	global_load_u16 v29, v[30:31], off
	global_load_u16 v28, v[32:33], off
	;; [unrolled: 1-line block ×10, first 2 shown]
	s_cbranch_execnz .LBB131_12
	s_branch .LBB131_25
.LBB131_24:                             ;   in Loop: Header=BB131_14 Depth=1
                                        ; implicit-def: $vgpr20
                                        ; implicit-def: $vgpr21
                                        ; implicit-def: $vgpr22
                                        ; implicit-def: $vgpr23
                                        ; implicit-def: $vgpr24
                                        ; implicit-def: $vgpr25
                                        ; implicit-def: $vgpr26
                                        ; implicit-def: $vgpr27
                                        ; implicit-def: $vgpr28
                                        ; implicit-def: $vgpr29
.LBB131_25:                             ;   in Loop: Header=BB131_14 Depth=1
	s_waitcnt vmcnt(8)
	v_dual_mov_b32 v49, v50 :: v_dual_mov_b32 v28, 0
	s_waitcnt vmcnt(6)
	v_dual_mov_b32 v29, 0 :: v_dual_mov_b32 v26, 0
	;; [unrolled: 2-line block ×5, first 2 shown]
	v_mov_b32_e32 v21, 0
	s_branch .LBB131_12
.LBB131_26:
	s_nop 0
	s_sendmsg sendmsg(MSG_DEALLOC_VGPRS)
	s_endpgm
	.section	.rodata,"a",@progbits
	.p2align	6, 0x0
	.amdhsa_kernel _Z16wvSplitK_hf_sml_I6__halfLi32ELi2ELi16ELi8ELi2ELi5EEviiiiiiPKT_S3_S3_PS1_ii
		.amdhsa_group_segment_fixed_size 65536
		.amdhsa_private_segment_fixed_size 0
		.amdhsa_kernarg_size 64
		.amdhsa_user_sgpr_count 15
		.amdhsa_user_sgpr_dispatch_ptr 0
		.amdhsa_user_sgpr_queue_ptr 0
		.amdhsa_user_sgpr_kernarg_segment_ptr 1
		.amdhsa_user_sgpr_dispatch_id 0
		.amdhsa_user_sgpr_private_segment_size 0
		.amdhsa_wavefront_size32 1
		.amdhsa_uses_dynamic_stack 0
		.amdhsa_enable_private_segment 0
		.amdhsa_system_sgpr_workgroup_id_x 1
		.amdhsa_system_sgpr_workgroup_id_y 0
		.amdhsa_system_sgpr_workgroup_id_z 0
		.amdhsa_system_sgpr_workgroup_info 0
		.amdhsa_system_vgpr_workitem_id 1
		.amdhsa_next_free_vgpr 82
		.amdhsa_next_free_sgpr 28
		.amdhsa_reserve_vcc 1
		.amdhsa_float_round_mode_32 0
		.amdhsa_float_round_mode_16_64 0
		.amdhsa_float_denorm_mode_32 3
		.amdhsa_float_denorm_mode_16_64 3
		.amdhsa_dx10_clamp 1
		.amdhsa_ieee_mode 1
		.amdhsa_fp16_overflow 0
		.amdhsa_workgroup_processor_mode 1
		.amdhsa_memory_ordered 1
		.amdhsa_forward_progress 0
		.amdhsa_shared_vgpr_count 0
		.amdhsa_exception_fp_ieee_invalid_op 0
		.amdhsa_exception_fp_denorm_src 0
		.amdhsa_exception_fp_ieee_div_zero 0
		.amdhsa_exception_fp_ieee_overflow 0
		.amdhsa_exception_fp_ieee_underflow 0
		.amdhsa_exception_fp_ieee_inexact 0
		.amdhsa_exception_int_div_zero 0
	.end_amdhsa_kernel
	.section	.text._Z16wvSplitK_hf_sml_I6__halfLi32ELi2ELi16ELi8ELi2ELi5EEviiiiiiPKT_S3_S3_PS1_ii,"axG",@progbits,_Z16wvSplitK_hf_sml_I6__halfLi32ELi2ELi16ELi8ELi2ELi5EEviiiiiiPKT_S3_S3_PS1_ii,comdat
.Lfunc_end131:
	.size	_Z16wvSplitK_hf_sml_I6__halfLi32ELi2ELi16ELi8ELi2ELi5EEviiiiiiPKT_S3_S3_PS1_ii, .Lfunc_end131-_Z16wvSplitK_hf_sml_I6__halfLi32ELi2ELi16ELi8ELi2ELi5EEviiiiiiPKT_S3_S3_PS1_ii
                                        ; -- End function
	.section	.AMDGPU.csdata,"",@progbits
; Kernel info:
; codeLenInByte = 5292
; NumSgprs: 30
; NumVgprs: 82
; ScratchSize: 0
; MemoryBound: 0
; FloatMode: 240
; IeeeMode: 1
; LDSByteSize: 65536 bytes/workgroup (compile time only)
; SGPRBlocks: 3
; VGPRBlocks: 10
; NumSGPRsForWavesPerEU: 30
; NumVGPRsForWavesPerEU: 82
; Occupancy: 8
; WaveLimiterHint : 0
; COMPUTE_PGM_RSRC2:SCRATCH_EN: 0
; COMPUTE_PGM_RSRC2:USER_SGPR: 15
; COMPUTE_PGM_RSRC2:TRAP_HANDLER: 0
; COMPUTE_PGM_RSRC2:TGID_X_EN: 1
; COMPUTE_PGM_RSRC2:TGID_Y_EN: 0
; COMPUTE_PGM_RSRC2:TGID_Z_EN: 0
; COMPUTE_PGM_RSRC2:TIDIG_COMP_CNT: 1
	.section	.text._Z12wvSplitK_hf_I6__halfLi32ELi2ELi16ELi8ELi2ELi5EEviiiiiiPKT_S3_S3_PS1_ii,"axG",@progbits,_Z12wvSplitK_hf_I6__halfLi32ELi2ELi16ELi8ELi2ELi5EEviiiiiiPKT_S3_S3_PS1_ii,comdat
	.protected	_Z12wvSplitK_hf_I6__halfLi32ELi2ELi16ELi8ELi2ELi5EEviiiiiiPKT_S3_S3_PS1_ii ; -- Begin function _Z12wvSplitK_hf_I6__halfLi32ELi2ELi16ELi8ELi2ELi5EEviiiiiiPKT_S3_S3_PS1_ii
	.globl	_Z12wvSplitK_hf_I6__halfLi32ELi2ELi16ELi8ELi2ELi5EEviiiiiiPKT_S3_S3_PS1_ii
	.p2align	8
	.type	_Z12wvSplitK_hf_I6__halfLi32ELi2ELi16ELi8ELi2ELi5EEviiiiiiPKT_S3_S3_PS1_ii,@function
_Z12wvSplitK_hf_I6__halfLi32ELi2ELi16ELi8ELi2ELi5EEviiiiiiPKT_S3_S3_PS1_ii: ; @_Z12wvSplitK_hf_I6__halfLi32ELi2ELi16ELi8ELi2ELi5EEviiiiiiPKT_S3_S3_PS1_ii
; %bb.0:
	s_clause 0x1
	s_load_b64 s[18:19], s[0:1], 0x38
	s_load_b128 s[4:7], s[0:1], 0x0
	v_bfe_u32 v1, v0, 10, 10
	s_clause 0x1
	s_load_b64 s[12:13], s[0:1], 0x20
	s_load_b64 s[16:17], s[0:1], 0x10
	s_mov_b32 s8, 1
	s_delay_alu instid0(SALU_CYCLE_1) | instskip(NEXT) | instid1(SALU_CYCLE_1)
	s_mov_b32 s9, s8
	v_dual_mov_b32 v57, s9 :: v_dual_mov_b32 v56, s8
	s_waitcnt lgkmcnt(0)
	s_mul_i32 s15, s15, s18
	s_delay_alu instid0(SALU_CYCLE_1) | instskip(NEXT) | instid1(VALU_DEP_1)
	v_add_lshl_u32 v58, s15, v1, 1
	v_add_nc_u32_e32 v2, 2, v58
	v_cmp_gt_u32_e32 vcc_lo, s7, v58
	s_delay_alu instid0(VALU_DEP_2) | instskip(NEXT) | instid1(VALU_DEP_1)
	v_cmp_le_u32_e64 s2, s7, v2
	s_and_b32 s2, vcc_lo, s2
	s_delay_alu instid0(SALU_CYCLE_1)
	s_and_saveexec_b32 s10, s2
	s_cbranch_execz .LBB132_6
; %bb.1:
	v_dual_mov_b32 v57, s9 :: v_dual_mov_b32 v56, s8
	s_add_i32 s11, s7, -2
	s_mov_b32 s14, exec_lo
	v_cmpx_ne_u32_e64 s11, v58
	s_cbranch_execz .LBB132_5
; %bb.2:
	v_subrev_nc_u32_e32 v2, s11, v58
	s_mov_b32 s2, 1
	s_mov_b32 s15, 0
	s_mov_b64 s[8:9], 0
	s_mov_b32 s3, s2
	v_cmp_lt_u32_e32 vcc_lo, 1, v2
	v_cndmask_b32_e32 v2, 1, v2, vcc_lo
.LBB132_3:                              ; =>This Inner Loop Header: Depth=1
	s_cmp_lg_u32 s8, 1
	s_cselect_b32 s3, s3, 0
	s_cmp_lg_u32 s8, 0
	s_cselect_b32 s2, s2, 0
	s_add_u32 s8, s8, 1
	v_dual_mov_b32 v57, s3 :: v_dual_mov_b32 v56, s2
	v_cmp_eq_u32_e32 vcc_lo, s8, v2
	s_addc_u32 s9, s9, 0
	s_or_b32 s15, vcc_lo, s15
	s_delay_alu instid0(SALU_CYCLE_1)
	s_and_not1_b32 exec_lo, exec_lo, s15
	s_cbranch_execnz .LBB132_3
; %bb.4:
	s_or_b32 exec_lo, exec_lo, s15
	v_mov_b32_e32 v58, s11
.LBB132_5:
	s_or_b32 exec_lo, exec_lo, s14
.LBB132_6:
	s_delay_alu instid0(SALU_CYCLE_1) | instskip(SKIP_2) | instid1(SALU_CYCLE_1)
	s_or_b32 exec_lo, exec_lo, s10
	v_and_b32_e32 v0, 0x3ff, v0
	s_mul_i32 s2, s6, 5
	s_min_u32 s3, s2, 0x8000
	s_mov_b32 s2, exec_lo
	s_delay_alu instid0(VALU_DEP_1) | instskip(NEXT) | instid1(VALU_DEP_1)
	v_lshlrev_b32_e32 v60, 3, v0
	v_lshl_add_u32 v3, v1, 8, v60
	s_delay_alu instid0(VALU_DEP_1)
	v_cmpx_gt_u32_e64 s3, v3
	s_cbranch_execz .LBB132_15
; %bb.7:
	v_lshlrev_b32_e32 v2, 1, v3
	v_add_nc_u32_e32 v8, 0x1000, v3
	s_mov_b32 s8, exec_lo
	global_load_b128 v[4:7], v2, s[12:13]
	s_waitcnt vmcnt(0)
	ds_store_b128 v2, v[4:7]
	v_cmpx_gt_u32_e64 s3, v8
	s_xor_b32 s8, exec_lo, s8
	s_cbranch_execz .LBB132_15
; %bb.8:
	v_add_co_u32 v4, s8, s12, v2
	s_delay_alu instid0(VALU_DEP_1) | instskip(SKIP_1) | instid1(VALU_DEP_3)
	v_add_co_ci_u32_e64 v5, null, s13, 0, s8
	v_add_nc_u32_e32 v10, 0x2000, v3
	v_add_co_u32 v6, vcc_lo, 0x2000, v4
	s_delay_alu instid0(VALU_DEP_3)
	v_add_co_ci_u32_e32 v7, vcc_lo, 0, v5, vcc_lo
	s_mov_b32 s8, exec_lo
	global_load_b128 v[6:9], v[6:7], off
	s_waitcnt vmcnt(0)
	ds_store_b128 v2, v[6:9] offset:8192
	v_cmpx_gt_u32_e64 s3, v10
	s_xor_b32 s8, exec_lo, s8
	s_cbranch_execz .LBB132_15
; %bb.9:
	v_add_co_u32 v6, vcc_lo, 0x4000, v4
	v_add_co_ci_u32_e32 v7, vcc_lo, 0, v5, vcc_lo
	v_add_nc_u32_e32 v10, 0x3000, v3
	s_mov_b32 s8, exec_lo
	global_load_b128 v[6:9], v[6:7], off
	s_waitcnt vmcnt(0)
	ds_store_b128 v2, v[6:9] offset:16384
	v_cmpx_gt_u32_e64 s3, v10
	s_xor_b32 s8, exec_lo, s8
	s_cbranch_execz .LBB132_15
; %bb.10:
	v_add_co_u32 v6, vcc_lo, 0x6000, v4
	v_add_co_ci_u32_e32 v7, vcc_lo, 0, v5, vcc_lo
	v_add_nc_u32_e32 v10, 0x4000, v3
	;; [unrolled: 11-line block ×5, first 2 shown]
	global_load_b128 v[6:9], v[6:7], off
	v_cmp_gt_u32_e32 vcc_lo, s3, v3
	s_waitcnt vmcnt(0)
	ds_store_b128 v2, v[6:9] offset:49152
	s_and_saveexec_b32 s3, vcc_lo
	s_delay_alu instid0(SALU_CYCLE_1)
	s_xor_b32 s3, exec_lo, s3
	s_cbranch_execz .LBB132_15
; %bb.14:
	v_add_co_u32 v3, vcc_lo, 0xe000, v4
	v_add_co_ci_u32_e32 v4, vcc_lo, 0, v5, vcc_lo
	global_load_b128 v[3:6], v[3:4], off
	s_waitcnt vmcnt(0)
	ds_store_b128 v2, v[3:6] offset:57344
.LBB132_15:
	s_or_b32 exec_lo, exec_lo, s2
	v_cmp_gt_u32_e32 vcc_lo, s18, v1
	v_cmp_gt_u32_e64 s2, s7, v58
	s_waitcnt lgkmcnt(0)
	s_barrier
	buffer_gl0_inv
	s_and_b32 s2, vcc_lo, s2
	s_delay_alu instid0(SALU_CYCLE_1)
	s_and_saveexec_b32 s3, s2
	s_cbranch_execz .LBB132_94
; %bb.16:
	s_clause 0x1
	s_load_b128 s[8:11], s[0:1], 0x28
	s_load_b64 s[14:15], s[0:1], 0x18
	s_cmp_lg_u32 s4, 0
	s_mul_i32 s0, s18, s19
	s_cselect_b32 s3, -1, 0
	s_add_i32 s20, s4, -8
	s_add_i32 s21, s7, -1
	v_cvt_f32_u32_e32 v2, s16
	v_lshlrev_b32_e32 v77, 4, v0
	v_mad_u64_u32 v[63:64], null, s6, 3, v[60:61]
	v_mbcnt_lo_u32_b32 v82, -1, 0
	s_mov_b32 s25, 0
	s_mul_i32 s31, s6, 6
	v_mov_b32_e32 v62, 0
	v_add_nc_u32_e32 v78, s6, v60
	s_waitcnt lgkmcnt(0)
	s_cmp_lg_u64 s[8:9], 0
	s_cselect_b32 s22, -1, 0
	s_abs_i32 s1, s17
	s_lshl_b32 s17, s0, 1
	v_cvt_f32_u32_e32 v1, s1
	s_sub_i32 s0, 0, s1
	s_add_i32 s23, s7, -2
	s_lshl_b32 s24, s6, 1
	s_sub_i32 s18, 0, s16
	v_rcp_iflag_f32_e32 v1, v1
	s_sub_i32 s19, 1, s1
	v_add_nc_u32_e32 v79, s24, v60
	s_waitcnt_depctr 0xfff
	v_mul_f32_e32 v1, 0x4f7ffffe, v1
	s_delay_alu instid0(VALU_DEP_1) | instskip(NEXT) | instid1(VALU_DEP_1)
	v_cvt_u32_f32_e32 v1, v1
	v_readfirstlane_b32 s2, v1
	v_rcp_iflag_f32_e32 v1, v2
	s_delay_alu instid0(VALU_DEP_1) | instskip(NEXT) | instid1(SALU_CYCLE_1)
	s_mul_i32 s0, s0, s2
	s_mul_hi_u32 s0, s2, s0
	s_delay_alu instid0(SALU_CYCLE_1) | instskip(SKIP_4) | instid1(SALU_CYCLE_1)
	s_add_i32 s2, s2, s0
	s_cmp_lt_u32 s1, 2
	s_waitcnt_depctr 0xfff
	v_mul_f32_e32 v1, 0x4f7ffffe, v1
	s_cselect_b32 s0, s19, 1
	s_sub_i32 s19, s0, s1
	s_cmp_ge_u32 s0, s1
	s_delay_alu instid0(VALU_DEP_1)
	v_cvt_u32_f32_e32 v1, v1
	s_cselect_b32 s26, s19, s0
	s_lshr_b32 s19, s2, 31
	v_cmp_eq_u32_e64 s0, 31, v0
	s_mul_i32 s19, s19, s1
	v_mul_lo_u32 v2, s18, v1
	s_sub_i32 s19, 2, s19
	s_mul_i32 s26, s26, s16
	s_sub_i32 s27, s19, s1
	s_cmp_ge_u32 s19, s1
	s_cselect_b32 s19, s27, s19
	s_mul_hi_u32 s27, s2, 3
	s_sub_i32 s28, s19, s1
	s_cmp_ge_u32 s19, s1
	s_mul_i32 s27, s27, s1
	s_cselect_b32 s19, s28, s19
	s_sub_i32 s27, 3, s27
	v_mul_hi_u32 v0, v1, v2
	s_sub_i32 s18, s27, s1
	s_cmp_ge_u32 s27, s1
	s_cselect_b32 s18, s18, s27
	s_delay_alu instid0(SALU_CYCLE_1) | instskip(SKIP_1) | instid1(VALU_DEP_1)
	s_sub_i32 s27, s18, s1
	s_cmp_ge_u32 s18, s1
	v_add_nc_u32_e32 v80, v1, v0
	s_cselect_b32 s29, s27, s18
	s_lshr_b32 s2, s2, 30
	s_mul_i32 s27, s19, s16
	s_mul_i32 s2, s2, s1
	;; [unrolled: 1-line block ×3, first 2 shown]
	s_sub_i32 s2, 4, s2
	s_delay_alu instid0(SALU_CYCLE_1) | instskip(SKIP_2) | instid1(SALU_CYCLE_1)
	s_sub_i32 s18, s2, s1
	s_cmp_ge_u32 s2, s1
	s_cselect_b32 s2, s18, s2
	s_sub_i32 s18, s2, s1
	s_cmp_ge_u32 s2, s1
	s_cselect_b32 s30, s18, s2
	s_lshl_b32 s28, s6, 2
	s_mul_i32 s30, s30, s16
	v_add_nc_u32_e32 v81, s28, v60
	s_lshl_b32 s6, s6, 3
	s_branch .LBB132_19
.LBB132_17:                             ;   in Loop: Header=BB132_19 Depth=1
	s_or_b32 exec_lo, exec_lo, s34
	v_mov_b32_e32 v58, s23
.LBB132_18:                             ;   in Loop: Header=BB132_19 Depth=1
	s_or_b32 exec_lo, exec_lo, s33
	s_delay_alu instid0(VALU_DEP_1) | instskip(SKIP_1) | instid1(SALU_CYCLE_1)
	v_cmp_le_u32_e32 vcc_lo, s7, v58
	s_or_b32 s25, vcc_lo, s25
	s_and_not1_b32 exec_lo, exec_lo, s25
	s_cbranch_execz .LBB132_94
.LBB132_19:                             ; =>This Loop Header: Depth=1
                                        ;     Child Loop BB132_24 Depth 2
                                        ;     Child Loop BB132_83 Depth 2
	v_dual_mov_b32 v91, v62 :: v_dual_add_nc_u32 v64, 1, v58
	v_mov_b32_e32 v90, v62
	v_mov_b32_e32 v89, v62
	;; [unrolled: 1-line block ×9, first 2 shown]
	s_and_not1_b32 vcc_lo, exec_lo, s3
	s_cbranch_vccnz .LBB132_66
; %bb.20:                               ;   in Loop: Header=BB132_19 Depth=1
	v_min_u32_e32 v0, s21, v58
	s_waitcnt lgkmcnt(6)
	v_min_u32_e32 v2, s21, v64
	v_dual_mov_b32 v1, v62 :: v_dual_mov_b32 v92, v77
	v_dual_mov_b32 v87, 0 :: v_dual_mov_b32 v86, 0
	v_mul_lo_u32 v61, v0, s5
	s_delay_alu instid0(VALU_DEP_4)
	v_mul_lo_u32 v0, v2, s5
	v_dual_mov_b32 v85, 0 :: v_dual_mov_b32 v84, 0
	v_dual_mov_b32 v83, 0 :: v_dual_mov_b32 v88, 0
	;; [unrolled: 1-line block ×3, first 2 shown]
	v_lshlrev_b64 v[65:66], 1, v[61:62]
	v_lshlrev_b64 v[67:68], 1, v[0:1]
	v_mov_b32_e32 v89, 0
	v_mov_b32_e32 v91, 0
	s_mov_b32 s1, 0
	s_branch .LBB132_24
.LBB132_21:                             ;   in Loop: Header=BB132_24 Depth=2
	s_or_b32 exec_lo, exec_lo, s19
.LBB132_22:                             ;   in Loop: Header=BB132_24 Depth=2
	s_delay_alu instid0(SALU_CYCLE_1)
	s_or_b32 exec_lo, exec_lo, s18
.LBB132_23:                             ;   in Loop: Header=BB132_24 Depth=2
	s_delay_alu instid0(SALU_CYCLE_1)
	s_or_b32 exec_lo, exec_lo, s2
	s_waitcnt vmcnt(0) lgkmcnt(0)
	;;#ASMSTART
	v_dot2_f32_f16 v91, v24, v12, v91
	;;#ASMEND
	;;#ASMSTART
	v_dot2_f32_f16 v90, v24, v8, v90
	;;#ASMEND
	;; [unrolled: 3-line block ×30, first 2 shown]
	v_add_nc_u32_e32 v92, 0x400, v92
	;;#ASMSTART
	v_dot2_f32_f16 v91, v27, v15, v91
	;;#ASMEND
	;;#ASMSTART
	v_dot2_f32_f16 v90, v27, v11, v90
	;;#ASMEND
	;; [unrolled: 3-line block ×10, first 2 shown]
	s_addk_i32 s1, 0x200
	;;#ASMSTART
	v_dot2_f32_f16 v91, v52, v4, v91
	;;#ASMEND
	;;#ASMSTART
	v_dot2_f32_f16 v90, v52, v0, v90
	;;#ASMEND
	;; [unrolled: 3-line block ×20, first 2 shown]
	s_cmp_ge_u32 s1, s4
	;;#ASMSTART
	v_dot2_f32_f16 v91, v54, v6, v91
	;;#ASMEND
	;;#ASMSTART
	v_dot2_f32_f16 v90, v54, v2, v90
	;;#ASMEND
	;; [unrolled: 3-line block ×20, first 2 shown]
	s_cbranch_scc1 .LBB132_66
.LBB132_24:                             ;   Parent Loop BB132_19 Depth=1
                                        ; =>  This Inner Loop Header: Depth=2
	v_dual_mov_b32 v39, 0 :: v_dual_add_nc_u32 v70, s1, v60
	v_dual_mov_b32 v37, 0 :: v_dual_mov_b32 v36, 0
	v_dual_mov_b32 v35, 0 :: v_dual_mov_b32 v34, 0
	s_delay_alu instid0(VALU_DEP_3) | instskip(SKIP_2) | instid1(VALU_DEP_3)
	v_min_u32_e32 v61, s20, v70
	v_dual_mov_b32 v38, 0 :: v_dual_add_nc_u32 v69, 0x100, v70
	v_dual_mov_b32 v33, 0 :: v_dual_mov_b32 v32, 0
	v_lshlrev_b64 v[0:1], 1, v[61:62]
	s_delay_alu instid0(VALU_DEP_3) | instskip(SKIP_2) | instid1(VALU_DEP_4)
	v_min_u32_e32 v61, s20, v69
	v_dual_mov_b32 v51, 0 :: v_dual_mov_b32 v50, 0
	v_dual_mov_b32 v49, 0 :: v_dual_mov_b32 v48, 0
	v_add_co_u32 v4, vcc_lo, s14, v0
	v_add_co_ci_u32_e32 v5, vcc_lo, s15, v1, vcc_lo
	v_lshlrev_b64 v[0:1], 1, v[61:62]
	s_delay_alu instid0(VALU_DEP_3) | instskip(SKIP_1) | instid1(VALU_DEP_3)
	v_add_co_u32 v2, vcc_lo, v4, v65
	s_waitcnt lgkmcnt(4)
	v_add_co_ci_u32_e32 v3, vcc_lo, v5, v66, vcc_lo
	v_dual_mov_b32 v31, 0 :: v_dual_mov_b32 v30, 0
	s_waitcnt lgkmcnt(0)
	v_add_co_u32 v6, vcc_lo, s14, v0
	v_add_co_ci_u32_e32 v7, vcc_lo, s15, v1, vcc_lo
	v_add_co_u32 v0, vcc_lo, v4, v67
	v_add_co_ci_u32_e32 v1, vcc_lo, v5, v68, vcc_lo
	s_delay_alu instid0(VALU_DEP_4) | instskip(NEXT) | instid1(VALU_DEP_4)
	v_add_co_u32 v4, vcc_lo, v6, v65
	v_add_co_ci_u32_e32 v5, vcc_lo, v7, v66, vcc_lo
	v_add_co_u32 v16, vcc_lo, v6, v67
	v_add_co_ci_u32_e32 v17, vcc_lo, v7, v68, vcc_lo
	s_clause 0x3
	global_load_b128 v[12:15], v[2:3], off slc dlc
	global_load_b128 v[8:11], v[0:1], off slc dlc
	;; [unrolled: 1-line block ×4, first 2 shown]
	v_cmp_gt_u32_e32 vcc_lo, s4, v70
	s_waitcnt vmcnt(12)
	v_dual_mov_b32 v29, 0 :: v_dual_mov_b32 v28, 0
	v_dual_mov_b32 v47, 0 :: v_dual_mov_b32 v46, 0
	;; [unrolled: 1-line block ×3, first 2 shown]
	s_waitcnt vmcnt(6)
	v_dual_mov_b32 v23, 0 :: v_dual_mov_b32 v22, 0
	s_waitcnt vmcnt(4)
	v_dual_mov_b32 v21, 0 :: v_dual_mov_b32 v20, 0
	v_dual_mov_b32 v43, 0 :: v_dual_mov_b32 v42, 0
	;; [unrolled: 1-line block ×9, first 2 shown]
	s_and_saveexec_b32 s2, vcc_lo
	s_cbranch_execz .LBB132_23
; %bb.25:                               ;   in Loop: Header=BB132_24 Depth=2
	s_mov_b32 s18, exec_lo
                                        ; implicit-def: $vgpr27
	v_cmpx_lt_u32_e32 0x7fff, v70
	s_xor_b32 s18, exec_lo, s18
	s_cbranch_execz .LBB132_27
; %bb.26:                               ;   in Loop: Header=BB132_24 Depth=2
	v_mov_b32_e32 v71, v62
	s_delay_alu instid0(VALU_DEP_1) | instskip(NEXT) | instid1(VALU_DEP_1)
	v_lshlrev_b64 v[16:17], 1, v[70:71]
	v_add_co_u32 v16, vcc_lo, s12, v16
	s_delay_alu instid0(VALU_DEP_2)
	v_add_co_ci_u32_e32 v17, vcc_lo, s13, v17, vcc_lo
	global_load_b128 v[24:27], v[16:17], off
.LBB132_27:                             ;   in Loop: Header=BB132_24 Depth=2
	s_and_not1_saveexec_b32 s18, s18
	s_cbranch_execz .LBB132_29
; %bb.28:                               ;   in Loop: Header=BB132_24 Depth=2
	s_waitcnt vmcnt(0)
	ds_load_b128 v[24:27], v92
.LBB132_29:                             ;   in Loop: Header=BB132_24 Depth=2
	s_or_b32 exec_lo, exec_lo, s18
	v_add_nc_u32_e32 v61, s1, v78
	s_mov_b32 s18, exec_lo
                                        ; implicit-def: $vgpr19
	s_delay_alu instid0(VALU_DEP_1)
	v_cmpx_lt_u32_e32 0x7fff, v61
	s_xor_b32 s18, exec_lo, s18
	s_cbranch_execz .LBB132_31
; %bb.30:                               ;   in Loop: Header=BB132_24 Depth=2
	v_lshlrev_b64 v[16:17], 1, v[61:62]
	s_delay_alu instid0(VALU_DEP_1) | instskip(NEXT) | instid1(VALU_DEP_2)
	v_add_co_u32 v16, vcc_lo, s12, v16
	v_add_co_ci_u32_e32 v17, vcc_lo, s13, v17, vcc_lo
	global_load_b128 v[16:19], v[16:17], off
.LBB132_31:                             ;   in Loop: Header=BB132_24 Depth=2
	s_and_not1_saveexec_b32 s18, s18
	s_cbranch_execz .LBB132_33
; %bb.32:                               ;   in Loop: Header=BB132_24 Depth=2
	s_waitcnt vmcnt(0)
	v_add_nc_u32_e32 v16, s24, v92
	ds_load_b128 v[16:19], v16
.LBB132_33:                             ;   in Loop: Header=BB132_24 Depth=2
	s_or_b32 exec_lo, exec_lo, s18
	v_add_nc_u32_e32 v75, s1, v79
	s_mov_b32 s18, exec_lo
                                        ; implicit-def: $vgpr23
	s_delay_alu instid0(VALU_DEP_1)
	v_cmpx_lt_u32_e32 0x7fff, v75
	s_xor_b32 s18, exec_lo, s18
	s_cbranch_execz .LBB132_35
; %bb.34:                               ;   in Loop: Header=BB132_24 Depth=2
	v_mov_b32_e32 v76, v62
	s_delay_alu instid0(VALU_DEP_1) | instskip(NEXT) | instid1(VALU_DEP_1)
	v_lshlrev_b64 v[20:21], 1, v[75:76]
	v_add_co_u32 v20, vcc_lo, s12, v20
	s_delay_alu instid0(VALU_DEP_2)
	v_add_co_ci_u32_e32 v21, vcc_lo, s13, v21, vcc_lo
	global_load_b128 v[20:23], v[20:21], off
.LBB132_35:                             ;   in Loop: Header=BB132_24 Depth=2
	s_and_not1_saveexec_b32 s18, s18
	s_cbranch_execz .LBB132_37
; %bb.36:                               ;   in Loop: Header=BB132_24 Depth=2
	s_waitcnt vmcnt(0)
	v_add_nc_u32_e32 v22, s28, v92
	ds_load_2addr_b32 v[20:21], v22 offset1:1
	ds_load_2addr_b32 v[22:23], v22 offset0:2 offset1:3
.LBB132_37:                             ;   in Loop: Header=BB132_24 Depth=2
	s_or_b32 exec_lo, exec_lo, s18
	v_add_nc_u32_e32 v73, s1, v63
	s_mov_b32 s18, exec_lo
                                        ; implicit-def: $vgpr31
	s_delay_alu instid0(VALU_DEP_1)
	v_cmpx_lt_u32_e32 0x7fff, v73
	s_xor_b32 s18, exec_lo, s18
	s_cbranch_execz .LBB132_39
; %bb.38:                               ;   in Loop: Header=BB132_24 Depth=2
	v_mov_b32_e32 v74, v62
	s_delay_alu instid0(VALU_DEP_1) | instskip(NEXT) | instid1(VALU_DEP_1)
	v_lshlrev_b64 v[28:29], 1, v[73:74]
	v_add_co_u32 v28, vcc_lo, s12, v28
	s_delay_alu instid0(VALU_DEP_2)
	v_add_co_ci_u32_e32 v29, vcc_lo, s13, v29, vcc_lo
	global_load_b128 v[28:31], v[28:29], off
.LBB132_39:                             ;   in Loop: Header=BB132_24 Depth=2
	s_and_not1_saveexec_b32 s18, s18
	s_cbranch_execz .LBB132_41
; %bb.40:                               ;   in Loop: Header=BB132_24 Depth=2
	s_waitcnt vmcnt(0)
	v_add_nc_u32_e32 v28, s31, v92
	ds_load_b128 v[28:31], v28
.LBB132_41:                             ;   in Loop: Header=BB132_24 Depth=2
	s_or_b32 exec_lo, exec_lo, s18
	v_add_nc_u32_e32 v71, s1, v81
	s_mov_b32 s18, exec_lo
                                        ; implicit-def: $vgpr35
	s_delay_alu instid0(VALU_DEP_1)
	v_cmpx_lt_u32_e32 0x7fff, v71
	s_xor_b32 s18, exec_lo, s18
	s_cbranch_execz .LBB132_43
; %bb.42:                               ;   in Loop: Header=BB132_24 Depth=2
	v_mov_b32_e32 v72, v62
	s_delay_alu instid0(VALU_DEP_1) | instskip(NEXT) | instid1(VALU_DEP_1)
	v_lshlrev_b64 v[32:33], 1, v[71:72]
	v_add_co_u32 v32, vcc_lo, s12, v32
	s_delay_alu instid0(VALU_DEP_2)
	v_add_co_ci_u32_e32 v33, vcc_lo, s13, v33, vcc_lo
	global_load_b128 v[32:35], v[32:33], off
.LBB132_43:                             ;   in Loop: Header=BB132_24 Depth=2
	s_and_not1_saveexec_b32 s18, s18
	s_cbranch_execz .LBB132_45
; %bb.44:                               ;   in Loop: Header=BB132_24 Depth=2
	s_waitcnt vmcnt(0)
	v_add_nc_u32_e32 v32, s6, v92
	ds_load_2addr_b64 v[32:35], v32 offset1:1
.LBB132_45:                             ;   in Loop: Header=BB132_24 Depth=2
	s_or_b32 exec_lo, exec_lo, s18
	v_cmp_gt_u32_e32 vcc_lo, s4, v69
	v_dual_mov_b32 v39, 0 :: v_dual_mov_b32 v38, 0
	v_dual_mov_b32 v37, 0 :: v_dual_mov_b32 v36, 0
	;; [unrolled: 1-line block ×10, first 2 shown]
	s_and_saveexec_b32 s18, vcc_lo
	s_cbranch_execz .LBB132_22
; %bb.46:                               ;   in Loop: Header=BB132_24 Depth=2
	s_mov_b32 s19, exec_lo
                                        ; implicit-def: $vgpr55
	v_cmpx_lt_u32_e32 0x7fff, v69
	s_xor_b32 s19, exec_lo, s19
	s_cbranch_execz .LBB132_48
; %bb.47:                               ;   in Loop: Header=BB132_24 Depth=2
	v_mov_b32_e32 v70, v62
	s_delay_alu instid0(VALU_DEP_1) | instskip(NEXT) | instid1(VALU_DEP_1)
	v_lshlrev_b64 v[36:37], 1, v[69:70]
	v_add_co_u32 v36, vcc_lo, s12, v36
	s_delay_alu instid0(VALU_DEP_2)
	v_add_co_ci_u32_e32 v37, vcc_lo, s13, v37, vcc_lo
	global_load_b128 v[52:55], v[36:37], off
.LBB132_48:                             ;   in Loop: Header=BB132_24 Depth=2
	s_and_not1_saveexec_b32 s19, s19
	s_cbranch_execz .LBB132_50
; %bb.49:                               ;   in Loop: Header=BB132_24 Depth=2
	s_waitcnt vmcnt(0)
	ds_load_b128 v[52:55], v92 offset:512
.LBB132_50:                             ;   in Loop: Header=BB132_24 Depth=2
	s_or_b32 exec_lo, exec_lo, s19
	v_add_nc_u32_e32 v61, 0x100, v61
	s_mov_b32 s19, exec_lo
                                        ; implicit-def: $vgpr43
	s_delay_alu instid0(VALU_DEP_1)
	v_cmpx_lt_u32_e32 0x7fff, v61
	s_xor_b32 s19, exec_lo, s19
	s_cbranch_execz .LBB132_52
; %bb.51:                               ;   in Loop: Header=BB132_24 Depth=2
	v_lshlrev_b64 v[36:37], 1, v[61:62]
	s_delay_alu instid0(VALU_DEP_1) | instskip(NEXT) | instid1(VALU_DEP_2)
	v_add_co_u32 v36, vcc_lo, s12, v36
	v_add_co_ci_u32_e32 v37, vcc_lo, s13, v37, vcc_lo
	global_load_b128 v[40:43], v[36:37], off
.LBB132_52:                             ;   in Loop: Header=BB132_24 Depth=2
	s_and_not1_saveexec_b32 s19, s19
	s_cbranch_execz .LBB132_54
; %bb.53:                               ;   in Loop: Header=BB132_24 Depth=2
	v_add_nc_u32_e32 v36, s24, v92
	s_waitcnt vmcnt(0)
	ds_load_b128 v[40:43], v36 offset:512
.LBB132_54:                             ;   in Loop: Header=BB132_24 Depth=2
	s_or_b32 exec_lo, exec_lo, s19
	v_add_nc_u32_e32 v61, 0x100, v75
	s_mov_b32 s19, exec_lo
                                        ; implicit-def: $vgpr47
	s_delay_alu instid0(VALU_DEP_1)
	v_cmpx_lt_u32_e32 0x7fff, v61
	s_xor_b32 s19, exec_lo, s19
	s_cbranch_execz .LBB132_56
; %bb.55:                               ;   in Loop: Header=BB132_24 Depth=2
	v_lshlrev_b64 v[36:37], 1, v[61:62]
	s_delay_alu instid0(VALU_DEP_1) | instskip(NEXT) | instid1(VALU_DEP_2)
	v_add_co_u32 v36, vcc_lo, s12, v36
	v_add_co_ci_u32_e32 v37, vcc_lo, s13, v37, vcc_lo
	global_load_b128 v[44:47], v[36:37], off
.LBB132_56:                             ;   in Loop: Header=BB132_24 Depth=2
	s_and_not1_saveexec_b32 s19, s19
	s_cbranch_execz .LBB132_58
; %bb.57:                               ;   in Loop: Header=BB132_24 Depth=2
	v_add_nc_u32_e32 v36, s28, v92
	s_waitcnt vmcnt(0)
	ds_load_2addr_b32 v[44:45], v36 offset0:128 offset1:129
	ds_load_2addr_b32 v[46:47], v36 offset0:130 offset1:131
.LBB132_58:                             ;   in Loop: Header=BB132_24 Depth=2
	s_or_b32 exec_lo, exec_lo, s19
	v_add_nc_u32_e32 v61, 0x100, v73
	s_mov_b32 s19, exec_lo
                                        ; implicit-def: $vgpr51
	s_delay_alu instid0(VALU_DEP_1)
	v_cmpx_lt_u32_e32 0x7fff, v61
	s_xor_b32 s19, exec_lo, s19
	s_cbranch_execz .LBB132_60
; %bb.59:                               ;   in Loop: Header=BB132_24 Depth=2
	v_lshlrev_b64 v[36:37], 1, v[61:62]
	s_delay_alu instid0(VALU_DEP_1) | instskip(NEXT) | instid1(VALU_DEP_2)
	v_add_co_u32 v36, vcc_lo, s12, v36
	v_add_co_ci_u32_e32 v37, vcc_lo, s13, v37, vcc_lo
	global_load_b128 v[48:51], v[36:37], off
.LBB132_60:                             ;   in Loop: Header=BB132_24 Depth=2
	s_and_not1_saveexec_b32 s19, s19
	s_cbranch_execz .LBB132_62
; %bb.61:                               ;   in Loop: Header=BB132_24 Depth=2
	v_add_nc_u32_e32 v36, s31, v92
	s_waitcnt vmcnt(0)
	ds_load_b128 v[48:51], v36 offset:512
.LBB132_62:                             ;   in Loop: Header=BB132_24 Depth=2
	s_or_b32 exec_lo, exec_lo, s19
	v_add_nc_u32_e32 v61, 0x100, v71
	s_mov_b32 s19, exec_lo
                                        ; implicit-def: $vgpr39
	s_delay_alu instid0(VALU_DEP_1)
	v_cmpx_lt_u32_e32 0x7fff, v61
	s_xor_b32 s19, exec_lo, s19
	s_cbranch_execz .LBB132_64
; %bb.63:                               ;   in Loop: Header=BB132_24 Depth=2
	v_lshlrev_b64 v[36:37], 1, v[61:62]
	s_delay_alu instid0(VALU_DEP_1) | instskip(NEXT) | instid1(VALU_DEP_2)
	v_add_co_u32 v36, vcc_lo, s12, v36
	v_add_co_ci_u32_e32 v37, vcc_lo, s13, v37, vcc_lo
	global_load_b128 v[36:39], v[36:37], off
.LBB132_64:                             ;   in Loop: Header=BB132_24 Depth=2
	s_and_not1_saveexec_b32 s19, s19
	s_cbranch_execz .LBB132_21
; %bb.65:                               ;   in Loop: Header=BB132_24 Depth=2
	s_waitcnt vmcnt(0)
	v_add_nc_u32_e32 v36, s6, v92
	ds_load_2addr_b64 v[36:39], v36 offset0:64 offset1:65
	s_branch .LBB132_21
.LBB132_66:                             ;   in Loop: Header=BB132_19 Depth=1
	v_xor_b32_e32 v0, 16, v82
	v_cvt_i32_f32_e32 v1, v91
	s_waitcnt lgkmcnt(6)
	v_cvt_i32_f32_e32 v2, v90
	s_waitcnt lgkmcnt(4)
	v_cvt_i32_f32_e32 v3, v89
	v_cvt_i32_f32_e32 v4, v88
	v_cmp_gt_i32_e32 vcc_lo, 32, v0
	v_cvt_f32_i32_dpp v1, v1 row_shr:8 row_mask:0xf bank_mask:0xf bound_ctrl:1
	v_cvt_i32_f32_e32 v5, v87
	v_cvt_f32_i32_dpp v2, v2 row_shr:8 row_mask:0xf bank_mask:0xf bound_ctrl:1
	s_delay_alu instid0(VALU_DEP_3) | instskip(SKIP_1) | instid1(VALU_DEP_1)
	v_dual_cndmask_b32 v0, v82, v0 :: v_dual_add_f32 v1, v91, v1
	s_waitcnt vmcnt(0)
	v_lshlrev_b32_e32 v20, 2, v0
	v_cvt_f32_i32_dpp v0, v3 row_shr:8 row_mask:0xf bank_mask:0xf bound_ctrl:1
	v_cvt_f32_i32_dpp v3, v4 row_shr:8 row_mask:0xf bank_mask:0xf bound_ctrl:1
	v_cvt_f32_i32_dpp v4, v5 row_shr:8 row_mask:0xf bank_mask:0xf bound_ctrl:1
	v_cvt_i32_f32_e32 v5, v1
	s_delay_alu instid0(VALU_DEP_3) | instskip(NEXT) | instid1(VALU_DEP_2)
	v_add_f32_e32 v3, v88, v3
	v_cvt_f32_i32_dpp v5, v5 row_shr:4 row_mask:0xf bank_mask:0xf bound_ctrl:1
	v_add_f32_e32 v2, v90, v2
	s_delay_alu instid0(VALU_DEP_3) | instskip(NEXT) | instid1(VALU_DEP_3)
	v_cvt_i32_f32_e32 v8, v3
	v_add_f32_e32 v1, v1, v5
	s_waitcnt lgkmcnt(0)
	s_delay_alu instid0(VALU_DEP_3) | instskip(NEXT) | instid1(VALU_DEP_3)
	v_cvt_i32_f32_e32 v6, v2
	v_cvt_f32_i32_dpp v8, v8 row_shr:4 row_mask:0xf bank_mask:0xf bound_ctrl:1
	s_delay_alu instid0(VALU_DEP_3) | instskip(NEXT) | instid1(VALU_DEP_3)
	v_cvt_i32_f32_e32 v5, v1
	v_cvt_f32_i32_dpp v6, v6 row_shr:4 row_mask:0xf bank_mask:0xf bound_ctrl:1
	s_delay_alu instid0(VALU_DEP_3) | instskip(NEXT) | instid1(VALU_DEP_3)
	v_add_f32_e32 v3, v3, v8
	v_cvt_f32_i32_dpp v5, v5 row_shr:2 row_mask:0xf bank_mask:0xf bound_ctrl:1
	v_add_f32_e32 v4, v87, v4
	s_delay_alu instid0(VALU_DEP_4) | instskip(NEXT) | instid1(VALU_DEP_4)
	v_add_f32_e32 v2, v2, v6
	v_cvt_i32_f32_e32 v8, v3
	s_delay_alu instid0(VALU_DEP_4) | instskip(NEXT) | instid1(VALU_DEP_4)
	v_add_f32_e32 v1, v1, v5
	v_cvt_i32_f32_e32 v9, v4
	s_delay_alu instid0(VALU_DEP_4) | instskip(NEXT) | instid1(VALU_DEP_4)
	v_cvt_i32_f32_e32 v6, v2
	v_cvt_f32_i32_dpp v8, v8 row_shr:2 row_mask:0xf bank_mask:0xf bound_ctrl:1
	s_delay_alu instid0(VALU_DEP_4) | instskip(NEXT) | instid1(VALU_DEP_4)
	v_cvt_i32_f32_e32 v5, v1
	v_cvt_f32_i32_dpp v9, v9 row_shr:4 row_mask:0xf bank_mask:0xf bound_ctrl:1
	s_delay_alu instid0(VALU_DEP_4) | instskip(NEXT) | instid1(VALU_DEP_4)
	v_cvt_f32_i32_dpp v6, v6 row_shr:2 row_mask:0xf bank_mask:0xf bound_ctrl:1
	v_add_f32_e32 v3, v3, v8
	s_delay_alu instid0(VALU_DEP_4) | instskip(NEXT) | instid1(VALU_DEP_4)
	v_cvt_f32_i32_dpp v5, v5 row_shr:1 row_mask:0xf bank_mask:0xf bound_ctrl:1
	v_add_f32_e32 v4, v4, v9
	s_delay_alu instid0(VALU_DEP_3) | instskip(NEXT) | instid1(VALU_DEP_3)
	v_cvt_i32_f32_e32 v8, v3
	v_add_f32_e32 v16, v1, v5
	v_cvt_i32_f32_e32 v1, v86
	s_delay_alu instid0(VALU_DEP_4) | instskip(NEXT) | instid1(VALU_DEP_4)
	v_cvt_i32_f32_e32 v9, v4
	v_cvt_f32_i32_dpp v10, v8 row_shr:1 row_mask:0xf bank_mask:0xf bound_ctrl:1
	v_add_f32_e32 v0, v89, v0
	s_delay_alu instid0(VALU_DEP_4) | instskip(NEXT) | instid1(VALU_DEP_4)
	v_cvt_f32_i32_dpp v1, v1 row_shr:8 row_mask:0xf bank_mask:0xf bound_ctrl:1
	v_cvt_f32_i32_dpp v9, v9 row_shr:2 row_mask:0xf bank_mask:0xf bound_ctrl:1
	s_delay_alu instid0(VALU_DEP_4) | instskip(NEXT) | instid1(VALU_DEP_4)
	v_add_f32_e32 v5, v3, v10
	v_cvt_i32_f32_e32 v7, v0
	v_cvt_i32_f32_e32 v3, v85
	v_add_f32_e32 v1, v86, v1
	s_delay_alu instid0(VALU_DEP_3) | instskip(NEXT) | instid1(VALU_DEP_3)
	v_cvt_f32_i32_dpp v7, v7 row_shr:4 row_mask:0xf bank_mask:0xf bound_ctrl:1
	v_cvt_f32_i32_dpp v3, v3 row_shr:8 row_mask:0xf bank_mask:0xf bound_ctrl:1
	v_add_f32_e32 v2, v2, v6
	s_delay_alu instid0(VALU_DEP_4) | instskip(NEXT) | instid1(VALU_DEP_4)
	v_cvt_i32_f32_e32 v11, v1
	v_add_f32_e32 v0, v0, v7
	s_delay_alu instid0(VALU_DEP_4) | instskip(NEXT) | instid1(VALU_DEP_4)
	v_add_f32_e32 v3, v85, v3
	v_cvt_i32_f32_e32 v6, v2
	s_delay_alu instid0(VALU_DEP_4)
	v_cvt_f32_i32_dpp v11, v11 row_shr:4 row_mask:0xf bank_mask:0xf bound_ctrl:1
	v_add_f32_e32 v4, v4, v9
	v_cvt_i32_f32_e32 v7, v0
	v_cvt_i32_f32_e32 v13, v3
	v_cvt_f32_i32_dpp v6, v6 row_shr:1 row_mask:0xf bank_mask:0xf bound_ctrl:1
	v_add_f32_e32 v1, v1, v11
	v_cvt_i32_f32_e32 v9, v4
	v_cvt_f32_i32_dpp v7, v7 row_shr:2 row_mask:0xf bank_mask:0xf bound_ctrl:1
	v_cvt_f32_i32_dpp v13, v13 row_shr:4 row_mask:0xf bank_mask:0xf bound_ctrl:1
	v_add_f32_e32 v12, v2, v6
	v_cvt_i32_f32_e32 v6, v83
	v_cvt_f32_i32_dpp v9, v9 row_shr:1 row_mask:0xf bank_mask:0xf bound_ctrl:1
	s_delay_alu instid0(VALU_DEP_4) | instskip(SKIP_1) | instid1(VALU_DEP_4)
	v_dual_add_f32 v0, v0, v7 :: v_dual_add_f32 v3, v3, v13
	v_cvt_i32_f32_e32 v11, v1
	v_cvt_f32_i32_dpp v6, v6 row_shr:8 row_mask:0xf bank_mask:0xf bound_ctrl:1
	ds_bpermute_b32 v14, v20, v12
	v_cvt_i32_f32_e32 v7, v0
	v_cvt_i32_f32_e32 v13, v3
	v_cvt_f32_i32_dpp v11, v11 row_shr:2 row_mask:0xf bank_mask:0xf bound_ctrl:1
	s_delay_alu instid0(VALU_DEP_3) | instskip(NEXT) | instid1(VALU_DEP_3)
	v_cvt_f32_i32_dpp v7, v7 row_shr:1 row_mask:0xf bank_mask:0xf bound_ctrl:1
	v_cvt_f32_i32_dpp v13, v13 row_shr:2 row_mask:0xf bank_mask:0xf bound_ctrl:1
	s_delay_alu instid0(VALU_DEP_3) | instskip(NEXT) | instid1(VALU_DEP_2)
	v_add_f32_e32 v1, v1, v11
	v_dual_add_f32 v8, v0, v7 :: v_dual_add_f32 v3, v3, v13
	v_add_f32_e32 v0, v4, v9
	v_cvt_i32_f32_e32 v9, v59
	v_cvt_i32_f32_e32 v4, v84
	ds_bpermute_b32 v10, v20, v8
	v_cvt_i32_f32_e32 v13, v3
	ds_bpermute_b32 v7, v20, v5
	v_cvt_f32_i32_dpp v9, v9 row_shr:8 row_mask:0xf bank_mask:0xf bound_ctrl:1
	v_cvt_f32_i32_dpp v4, v4 row_shr:8 row_mask:0xf bank_mask:0xf bound_ctrl:1
	;; [unrolled: 1-line block ×3, first 2 shown]
	s_delay_alu instid0(VALU_DEP_2) | instskip(NEXT) | instid1(VALU_DEP_2)
	v_dual_add_f32 v9, v59, v9 :: v_dual_add_f32 v4, v84, v4
	v_add_f32_e32 v13, v3, v13
	s_delay_alu instid0(VALU_DEP_2) | instskip(NEXT) | instid1(VALU_DEP_3)
	v_cvt_i32_f32_e32 v19, v9
	v_cvt_i32_f32_e32 v15, v4
	s_delay_alu instid0(VALU_DEP_2) | instskip(NEXT) | instid1(VALU_DEP_2)
	v_cvt_f32_i32_dpp v19, v19 row_shr:4 row_mask:0xf bank_mask:0xf bound_ctrl:1
	v_cvt_f32_i32_dpp v15, v15 row_shr:4 row_mask:0xf bank_mask:0xf bound_ctrl:1
	s_delay_alu instid0(VALU_DEP_2) | instskip(SKIP_2) | instid1(VALU_DEP_1)
	v_add_f32_e32 v9, v9, v19
	ds_bpermute_b32 v2, v20, v0
	v_cvt_i32_f32_e32 v19, v9
	v_cvt_f32_i32_dpp v19, v19 row_shr:2 row_mask:0xf bank_mask:0xf bound_ctrl:1
	s_delay_alu instid0(VALU_DEP_1) | instskip(NEXT) | instid1(VALU_DEP_1)
	v_dual_add_f32 v6, v83, v6 :: v_dual_add_f32 v11, v9, v19
	v_cvt_i32_f32_e32 v17, v6
	v_cvt_i32_f32_e32 v9, v1
	s_delay_alu instid0(VALU_DEP_3) | instskip(NEXT) | instid1(VALU_DEP_3)
	v_cvt_i32_f32_e32 v19, v11
	v_cvt_f32_i32_dpp v17, v17 row_shr:4 row_mask:0xf bank_mask:0xf bound_ctrl:1
	s_delay_alu instid0(VALU_DEP_3) | instskip(SKIP_1) | instid1(VALU_DEP_4)
	v_cvt_f32_i32_dpp v9, v9 row_shr:1 row_mask:0xf bank_mask:0xf bound_ctrl:1
	v_add_f32_e32 v4, v4, v15
	v_cvt_f32_i32_dpp v19, v19 row_shr:1 row_mask:0xf bank_mask:0xf bound_ctrl:1
	s_delay_alu instid0(VALU_DEP_4) | instskip(NEXT) | instid1(VALU_DEP_1)
	v_add_f32_e32 v6, v6, v17
	v_cvt_i32_f32_e32 v17, v6
	s_delay_alu instid0(VALU_DEP_1) | instskip(NEXT) | instid1(VALU_DEP_1)
	v_cvt_f32_i32_dpp v17, v17 row_shr:2 row_mask:0xf bank_mask:0xf bound_ctrl:1
	v_add_f32_e32 v6, v6, v17
	s_delay_alu instid0(VALU_DEP_1) | instskip(NEXT) | instid1(VALU_DEP_1)
	v_cvt_i32_f32_e32 v17, v6
	v_cvt_f32_i32_dpp v21, v17 row_shr:1 row_mask:0xf bank_mask:0xf bound_ctrl:1
	v_add_f32_e32 v17, v1, v9
	v_add_f32_e32 v1, v11, v19
	v_cvt_i32_f32_e32 v15, v4
	ds_bpermute_b32 v19, v20, v17
	ds_bpermute_b32 v3, v20, v1
	v_cvt_f32_i32_dpp v15, v15 row_shr:2 row_mask:0xf bank_mask:0xf bound_ctrl:1
	s_delay_alu instid0(VALU_DEP_1) | instskip(NEXT) | instid1(VALU_DEP_1)
	v_add_f32_e32 v4, v4, v15
	v_cvt_i32_f32_e32 v15, v4
	s_delay_alu instid0(VALU_DEP_1) | instskip(NEXT) | instid1(VALU_DEP_1)
	v_cvt_f32_i32_dpp v15, v15 row_shr:1 row_mask:0xf bank_mask:0xf bound_ctrl:1
	v_dual_add_f32 v9, v4, v15 :: v_dual_add_f32 v4, v6, v21
	ds_bpermute_b32 v18, v20, v16
	ds_bpermute_b32 v15, v20, v13
	;; [unrolled: 1-line block ×4, first 2 shown]
	s_and_saveexec_b32 s18, s0
	s_cbranch_execz .LBB132_80
; %bb.67:                               ;   in Loop: Header=BB132_19 Depth=1
	v_dual_mov_b32 v29, 0 :: v_dual_mov_b32 v28, 0
	v_dual_mov_b32 v27, 0 :: v_dual_mov_b32 v26, 0
	;; [unrolled: 1-line block ×5, first 2 shown]
	s_and_not1_b32 vcc_lo, exec_lo, s22
	s_cbranch_vccnz .LBB132_69
; %bb.68:                               ;   in Loop: Header=BB132_19 Depth=1
	v_mul_hi_u32 v20, v58, v80
	v_mul_hi_u32 v21, v64, v80
	s_delay_alu instid0(VALU_DEP_2) | instskip(NEXT) | instid1(VALU_DEP_2)
	v_mul_lo_u32 v20, v20, s16
	v_mul_lo_u32 v21, v21, s16
	s_delay_alu instid0(VALU_DEP_2) | instskip(NEXT) | instid1(VALU_DEP_2)
	v_sub_nc_u32_e32 v20, v58, v20
	v_sub_nc_u32_e32 v21, v64, v21
	s_delay_alu instid0(VALU_DEP_2) | instskip(SKIP_1) | instid1(VALU_DEP_3)
	v_subrev_nc_u32_e32 v22, s16, v20
	v_cmp_le_u32_e32 vcc_lo, s16, v20
	v_subrev_nc_u32_e32 v23, s16, v21
	s_delay_alu instid0(VALU_DEP_3) | instskip(SKIP_1) | instid1(VALU_DEP_3)
	v_cndmask_b32_e32 v20, v20, v22, vcc_lo
	v_cmp_le_u32_e32 vcc_lo, s16, v21
	v_cndmask_b32_e32 v23, v21, v23, vcc_lo
	s_delay_alu instid0(VALU_DEP_3) | instskip(SKIP_2) | instid1(VALU_DEP_4)
	v_subrev_nc_u32_e32 v25, s16, v20
	v_cmp_le_u32_e32 vcc_lo, s16, v20
	v_mov_b32_e32 v22, v62
	v_subrev_nc_u32_e32 v26, s16, v23
	s_delay_alu instid0(VALU_DEP_4) | instskip(SKIP_3) | instid1(VALU_DEP_4)
	v_cndmask_b32_e32 v61, v20, v25, vcc_lo
	v_cmp_le_u32_e32 vcc_lo, s16, v23
	v_mov_b32_e32 v21, v62
	v_mov_b32_e32 v24, v62
	v_dual_mov_b32 v28, v62 :: v_dual_add_nc_u32 v25, s27, v61
	v_cndmask_b32_e32 v20, v23, v26, vcc_lo
	v_lshlrev_b64 v[31:32], 1, v[61:62]
	v_mov_b32_e32 v26, v62
	v_dual_mov_b32 v30, v62 :: v_dual_add_nc_u32 v29, s29, v61
	s_delay_alu instid0(VALU_DEP_4)
	v_add_nc_u32_e32 v27, s27, v20
	v_lshlrev_b64 v[33:34], 1, v[20:21]
	v_add_nc_u32_e32 v21, s26, v61
	v_add_nc_u32_e32 v23, s26, v20
	v_add_co_u32 v31, vcc_lo, s8, v31
	v_add_co_ci_u32_e32 v32, vcc_lo, s9, v32, vcc_lo
	s_delay_alu instid0(VALU_DEP_4) | instskip(NEXT) | instid1(VALU_DEP_4)
	v_lshlrev_b64 v[21:22], 1, v[21:22]
	v_lshlrev_b64 v[23:24], 1, v[23:24]
	v_add_co_u32 v33, vcc_lo, s8, v33
	v_add_co_ci_u32_e32 v34, vcc_lo, s9, v34, vcc_lo
	v_lshlrev_b64 v[25:26], 1, v[25:26]
	v_add_co_u32 v21, vcc_lo, s8, v21
	v_add_co_ci_u32_e32 v22, vcc_lo, s9, v22, vcc_lo
	v_add_co_u32 v23, vcc_lo, s8, v23
	v_lshlrev_b64 v[27:28], 1, v[27:28]
	v_add_co_ci_u32_e32 v24, vcc_lo, s9, v24, vcc_lo
	v_add_co_u32 v35, vcc_lo, s8, v25
	v_add_co_ci_u32_e32 v36, vcc_lo, s9, v26, vcc_lo
	v_lshlrev_b64 v[25:26], 1, v[29:30]
	v_add_nc_u32_e32 v29, s29, v20
	v_add_co_u32 v37, vcc_lo, s8, v27
	v_add_nc_u32_e32 v61, s30, v61
	v_add_co_ci_u32_e32 v38, vcc_lo, s9, v28, vcc_lo
	s_delay_alu instid0(VALU_DEP_4)
	v_lshlrev_b64 v[27:28], 1, v[29:30]
	v_add_co_u32 v39, vcc_lo, s8, v25
	v_add_co_ci_u32_e32 v40, vcc_lo, s9, v26, vcc_lo
	v_lshlrev_b64 v[25:26], 1, v[61:62]
	v_add_nc_u32_e32 v61, s30, v20
	v_add_co_u32 v41, vcc_lo, s8, v27
	v_add_co_ci_u32_e32 v42, vcc_lo, s9, v28, vcc_lo
	s_delay_alu instid0(VALU_DEP_3) | instskip(SKIP_2) | instid1(VALU_DEP_3)
	v_lshlrev_b64 v[27:28], 1, v[61:62]
	v_add_co_u32 v43, vcc_lo, s8, v25
	v_add_co_ci_u32_e32 v44, vcc_lo, s9, v26, vcc_lo
	v_add_co_u32 v45, vcc_lo, s8, v27
	s_delay_alu instid0(VALU_DEP_4)
	v_add_co_ci_u32_e32 v46, vcc_lo, s9, v28, vcc_lo
	s_clause 0x9
	global_load_u16 v29, v[31:32], off
	global_load_u16 v28, v[33:34], off
	;; [unrolled: 1-line block ×10, first 2 shown]
.LBB132_69:                             ;   in Loop: Header=BB132_19 Depth=1
	v_cmp_ne_u32_e32 vcc_lo, 0, v56
	s_and_saveexec_b32 s2, vcc_lo
	s_cbranch_execnz .LBB132_85
; %bb.70:                               ;   in Loop: Header=BB132_19 Depth=1
	s_or_b32 exec_lo, exec_lo, s2
	v_cmp_ne_u32_e64 s1, 0, v57
	s_delay_alu instid0(VALU_DEP_1)
	s_and_saveexec_b32 s19, s1
	s_cbranch_execnz .LBB132_86
.LBB132_71:                             ;   in Loop: Header=BB132_19 Depth=1
	s_or_b32 exec_lo, exec_lo, s19
	v_add_nc_u32_e32 v61, s7, v58
	s_and_saveexec_b32 s19, vcc_lo
	s_cbranch_execnz .LBB132_87
.LBB132_72:                             ;   in Loop: Header=BB132_19 Depth=1
	s_or_b32 exec_lo, exec_lo, s19
	s_and_saveexec_b32 s19, s1
	s_cbranch_execnz .LBB132_88
.LBB132_73:                             ;   in Loop: Header=BB132_19 Depth=1
	s_or_b32 exec_lo, exec_lo, s19
	v_add_nc_u32_e32 v61, s7, v61
	s_and_saveexec_b32 s19, vcc_lo
	s_cbranch_execnz .LBB132_89
.LBB132_74:                             ;   in Loop: Header=BB132_19 Depth=1
	s_or_b32 exec_lo, exec_lo, s19
	s_and_saveexec_b32 s19, s1
	s_cbranch_execnz .LBB132_90
.LBB132_75:                             ;   in Loop: Header=BB132_19 Depth=1
	s_or_b32 exec_lo, exec_lo, s19
	v_add_nc_u32_e32 v61, s7, v61
	s_and_saveexec_b32 s19, vcc_lo
	s_cbranch_execnz .LBB132_91
.LBB132_76:                             ;   in Loop: Header=BB132_19 Depth=1
	s_or_b32 exec_lo, exec_lo, s19
	s_and_saveexec_b32 s19, s1
	s_cbranch_execnz .LBB132_92
.LBB132_77:                             ;   in Loop: Header=BB132_19 Depth=1
	s_or_b32 exec_lo, exec_lo, s19
	v_add_nc_u32_e32 v61, s7, v61
	s_and_saveexec_b32 s2, vcc_lo
	s_cbranch_execnz .LBB132_93
.LBB132_78:                             ;   in Loop: Header=BB132_19 Depth=1
	s_or_b32 exec_lo, exec_lo, s2
	s_delay_alu instid0(SALU_CYCLE_1)
	s_and_b32 exec_lo, exec_lo, s1
	s_cbranch_execz .LBB132_80
.LBB132_79:                             ;   in Loop: Header=BB132_19 Depth=1
	s_waitcnt lgkmcnt(4)
	v_dual_add_f32 v0, v1, v3 :: v_dual_add_nc_u32 v61, 1, v61
	s_waitcnt vmcnt(0)
	v_cvt_f32_f16_e32 v1, v20
	s_delay_alu instid0(VALU_DEP_1) | instskip(NEXT) | instid1(VALU_DEP_3)
	v_add_f32_e32 v2, v0, v1
	v_lshlrev_b64 v[0:1], 1, v[61:62]
	s_delay_alu instid0(VALU_DEP_2) | instskip(NEXT) | instid1(VALU_DEP_2)
	v_cvt_f16_f32_e32 v2, v2
	v_add_co_u32 v0, vcc_lo, s10, v0
	s_delay_alu instid0(VALU_DEP_3)
	v_add_co_ci_u32_e32 v1, vcc_lo, s11, v1, vcc_lo
	global_store_b16 v[0:1], v2, off
.LBB132_80:                             ;   in Loop: Header=BB132_19 Depth=1
	s_or_b32 exec_lo, exec_lo, s18
	v_add_nc_u32_e32 v58, s17, v58
	s_delay_alu instid0(VALU_DEP_1) | instskip(SKIP_1) | instid1(VALU_DEP_2)
	v_add_nc_u32_e32 v0, 2, v58
	v_cmp_gt_u32_e32 vcc_lo, s7, v58
	v_cmp_le_u32_e64 s1, s7, v0
	s_delay_alu instid0(VALU_DEP_1) | instskip(NEXT) | instid1(SALU_CYCLE_1)
	s_and_b32 s1, vcc_lo, s1
	s_and_saveexec_b32 s33, s1
	s_cbranch_execz .LBB132_18
; %bb.81:                               ;   in Loop: Header=BB132_19 Depth=1
	s_mov_b32 s34, exec_lo
	v_cmpx_ne_u32_e64 s23, v58
	s_cbranch_execz .LBB132_17
; %bb.82:                               ;   in Loop: Header=BB132_19 Depth=1
	v_subrev_nc_u32_e32 v0, s23, v58
	s_mov_b32 s35, 0
	s_mov_b64 s[18:19], 0
	s_delay_alu instid0(VALU_DEP_1)
	v_cmp_lt_u32_e32 vcc_lo, 1, v0
	v_cndmask_b32_e32 v0, 1, v0, vcc_lo
.LBB132_83:                             ;   Parent Loop BB132_19 Depth=1
                                        ; =>  This Inner Loop Header: Depth=2
	s_cmp_lg_u32 s18, 1
	s_cselect_b32 vcc_lo, -1, 0
	s_cmp_lg_u32 s18, 0
	v_cndmask_b32_e32 v57, 0, v57, vcc_lo
	s_cselect_b32 s1, -1, 0
	s_add_u32 s18, s18, 1
	v_cndmask_b32_e64 v56, 0, v56, s1
	v_cmp_eq_u32_e64 s2, s18, v0
	s_addc_u32 s19, s19, 0
	s_delay_alu instid0(VALU_DEP_1) | instskip(NEXT) | instid1(SALU_CYCLE_1)
	s_or_b32 s35, s2, s35
	s_and_not1_b32 exec_lo, exec_lo, s35
	s_cbranch_execnz .LBB132_83
; %bb.84:                               ;   in Loop: Header=BB132_19 Depth=1
	s_or_b32 exec_lo, exec_lo, s35
	s_branch .LBB132_17
.LBB132_85:                             ;   in Loop: Header=BB132_19 Depth=1
	s_waitcnt lgkmcnt(3)
	v_dual_add_f32 v16, v16, v18 :: v_dual_mov_b32 v59, v62
	s_waitcnt vmcnt(9)
	v_cvt_f32_f16_e32 v18, v29
	s_delay_alu instid0(VALU_DEP_2) | instskip(NEXT) | instid1(VALU_DEP_2)
	v_lshlrev_b64 v[29:30], 1, v[58:59]
	v_add_f32_e32 v16, v16, v18
	s_delay_alu instid0(VALU_DEP_1) | instskip(NEXT) | instid1(VALU_DEP_3)
	v_cvt_f16_f32_e32 v16, v16
	v_add_co_u32 v29, s1, s10, v29
	s_delay_alu instid0(VALU_DEP_1) | instskip(SKIP_3) | instid1(VALU_DEP_1)
	v_add_co_ci_u32_e64 v30, s1, s11, v30, s1
	global_store_b16 v[29:30], v16, off
	s_or_b32 exec_lo, exec_lo, s2
	v_cmp_ne_u32_e64 s1, 0, v57
	s_and_saveexec_b32 s19, s1
	s_cbranch_execz .LBB132_71
.LBB132_86:                             ;   in Loop: Header=BB132_19 Depth=1
	s_waitcnt lgkmcnt(9)
	v_dual_add_f32 v12, v12, v14 :: v_dual_mov_b32 v65, v62
	s_waitcnt vmcnt(8)
	v_cvt_f32_f16_e32 v14, v28
	s_delay_alu instid0(VALU_DEP_2) | instskip(NEXT) | instid1(VALU_DEP_2)
	v_lshlrev_b64 v[28:29], 1, v[64:65]
	v_add_f32_e32 v12, v12, v14
	s_delay_alu instid0(VALU_DEP_1) | instskip(NEXT) | instid1(VALU_DEP_3)
	v_cvt_f16_f32_e32 v12, v12
	v_add_co_u32 v28, s2, s10, v28
	s_delay_alu instid0(VALU_DEP_1)
	v_add_co_ci_u32_e64 v29, s2, s11, v29, s2
	global_store_b16 v[28:29], v12, off
	s_or_b32 exec_lo, exec_lo, s19
	v_add_nc_u32_e32 v61, s7, v58
	s_and_saveexec_b32 s19, vcc_lo
	s_cbranch_execz .LBB132_72
.LBB132_87:                             ;   in Loop: Header=BB132_19 Depth=1
	s_waitcnt lgkmcnt(8)
	v_add_f32_e32 v8, v8, v10
	s_waitcnt vmcnt(7)
	v_cvt_f32_f16_e32 v10, v27
	v_lshlrev_b64 v[27:28], 1, v[61:62]
	s_delay_alu instid0(VALU_DEP_2) | instskip(NEXT) | instid1(VALU_DEP_2)
	v_add_f32_e32 v8, v8, v10
	v_add_co_u32 v27, s2, s10, v27
	s_delay_alu instid0(VALU_DEP_1) | instskip(NEXT) | instid1(VALU_DEP_3)
	v_add_co_ci_u32_e64 v28, s2, s11, v28, s2
	v_cvt_f16_f32_e32 v8, v8
	global_store_b16 v[27:28], v8, off
	s_or_b32 exec_lo, exec_lo, s19
	s_and_saveexec_b32 s19, s1
	s_cbranch_execz .LBB132_73
.LBB132_88:                             ;   in Loop: Header=BB132_19 Depth=1
	s_waitcnt lgkmcnt(7)
	v_dual_add_f32 v5, v5, v7 :: v_dual_mov_b32 v8, v62
	v_add_nc_u32_e32 v7, 1, v61
	s_waitcnt vmcnt(6)
	v_cvt_f32_f16_e32 v10, v26
	s_delay_alu instid0(VALU_DEP_2) | instskip(NEXT) | instid1(VALU_DEP_2)
	v_lshlrev_b64 v[7:8], 1, v[7:8]
	v_add_f32_e32 v5, v5, v10
	s_delay_alu instid0(VALU_DEP_1) | instskip(NEXT) | instid1(VALU_DEP_3)
	v_cvt_f16_f32_e32 v5, v5
	v_add_co_u32 v7, s2, s10, v7
	s_delay_alu instid0(VALU_DEP_1)
	v_add_co_ci_u32_e64 v8, s2, s11, v8, s2
	global_store_b16 v[7:8], v5, off
	s_or_b32 exec_lo, exec_lo, s19
	v_add_nc_u32_e32 v61, s7, v61
	s_and_saveexec_b32 s19, vcc_lo
	s_cbranch_execz .LBB132_74
.LBB132_89:                             ;   in Loop: Header=BB132_19 Depth=1
	s_waitcnt lgkmcnt(6)
	v_add_f32_e32 v0, v0, v2
	s_waitcnt vmcnt(5)
	v_cvt_f32_f16_e32 v2, v25
	v_lshlrev_b64 v[7:8], 1, v[61:62]
	s_delay_alu instid0(VALU_DEP_2) | instskip(NEXT) | instid1(VALU_DEP_2)
	v_add_f32_e32 v0, v0, v2
	v_add_co_u32 v7, s2, s10, v7
	s_delay_alu instid0(VALU_DEP_1) | instskip(NEXT) | instid1(VALU_DEP_3)
	v_add_co_ci_u32_e64 v8, s2, s11, v8, s2
	v_cvt_f16_f32_e32 v0, v0
	global_store_b16 v[7:8], v0, off
	s_or_b32 exec_lo, exec_lo, s19
	s_and_saveexec_b32 s19, s1
	s_cbranch_execz .LBB132_75
.LBB132_90:                             ;   in Loop: Header=BB132_19 Depth=1
	s_waitcnt lgkmcnt(5)
	v_dual_add_f32 v0, v17, v19 :: v_dual_add_nc_u32 v7, 1, v61
	v_mov_b32_e32 v8, v62
	s_waitcnt vmcnt(4)
	v_cvt_f32_f16_e32 v2, v24
	s_delay_alu instid0(VALU_DEP_2) | instskip(NEXT) | instid1(VALU_DEP_2)
	v_lshlrev_b64 v[7:8], 1, v[7:8]
	v_add_f32_e32 v0, v0, v2
	s_delay_alu instid0(VALU_DEP_1) | instskip(NEXT) | instid1(VALU_DEP_3)
	v_cvt_f16_f32_e32 v0, v0
	v_add_co_u32 v7, s2, s10, v7
	s_delay_alu instid0(VALU_DEP_1)
	v_add_co_ci_u32_e64 v8, s2, s11, v8, s2
	global_store_b16 v[7:8], v0, off
	s_or_b32 exec_lo, exec_lo, s19
	v_add_nc_u32_e32 v61, s7, v61
	s_and_saveexec_b32 s19, vcc_lo
	s_cbranch_execz .LBB132_76
.LBB132_91:                             ;   in Loop: Header=BB132_19 Depth=1
	s_waitcnt lgkmcnt(2)
	v_add_f32_e32 v0, v13, v15
	s_waitcnt vmcnt(3)
	v_cvt_f32_f16_e32 v2, v23
	v_lshlrev_b64 v[7:8], 1, v[61:62]
	s_delay_alu instid0(VALU_DEP_2) | instskip(NEXT) | instid1(VALU_DEP_2)
	v_add_f32_e32 v0, v0, v2
	v_add_co_u32 v7, s2, s10, v7
	s_delay_alu instid0(VALU_DEP_1) | instskip(NEXT) | instid1(VALU_DEP_3)
	v_add_co_ci_u32_e64 v8, s2, s11, v8, s2
	v_cvt_f16_f32_e32 v0, v0
	global_store_b16 v[7:8], v0, off
	s_or_b32 exec_lo, exec_lo, s19
	s_and_saveexec_b32 s19, s1
	s_cbranch_execz .LBB132_77
.LBB132_92:                             ;   in Loop: Header=BB132_19 Depth=1
	s_waitcnt lgkmcnt(1)
	v_dual_add_f32 v0, v9, v11 :: v_dual_add_nc_u32 v7, 1, v61
	v_mov_b32_e32 v8, v62
	s_waitcnt vmcnt(2)
	v_cvt_f32_f16_e32 v2, v22
	s_delay_alu instid0(VALU_DEP_2) | instskip(NEXT) | instid1(VALU_DEP_2)
	v_lshlrev_b64 v[7:8], 1, v[7:8]
	v_add_f32_e32 v0, v0, v2
	s_delay_alu instid0(VALU_DEP_1) | instskip(NEXT) | instid1(VALU_DEP_3)
	v_cvt_f16_f32_e32 v0, v0
	v_add_co_u32 v7, s2, s10, v7
	s_delay_alu instid0(VALU_DEP_1)
	v_add_co_ci_u32_e64 v8, s2, s11, v8, s2
	global_store_b16 v[7:8], v0, off
	s_or_b32 exec_lo, exec_lo, s19
	v_add_nc_u32_e32 v61, s7, v61
	s_and_saveexec_b32 s2, vcc_lo
	s_cbranch_execz .LBB132_78
.LBB132_93:                             ;   in Loop: Header=BB132_19 Depth=1
	s_waitcnt lgkmcnt(0)
	v_add_f32_e32 v0, v4, v6
	s_waitcnt vmcnt(1)
	v_cvt_f32_f16_e32 v2, v21
	v_lshlrev_b64 v[4:5], 1, v[61:62]
	s_delay_alu instid0(VALU_DEP_2) | instskip(NEXT) | instid1(VALU_DEP_2)
	v_add_f32_e32 v0, v0, v2
	v_add_co_u32 v4, vcc_lo, s10, v4
	s_delay_alu instid0(VALU_DEP_3) | instskip(NEXT) | instid1(VALU_DEP_3)
	v_add_co_ci_u32_e32 v5, vcc_lo, s11, v5, vcc_lo
	v_cvt_f16_f32_e32 v0, v0
	global_store_b16 v[4:5], v0, off
	s_or_b32 exec_lo, exec_lo, s2
	s_delay_alu instid0(SALU_CYCLE_1)
	s_and_b32 exec_lo, exec_lo, s1
	s_cbranch_execnz .LBB132_79
	s_branch .LBB132_80
.LBB132_94:
	s_nop 0
	s_sendmsg sendmsg(MSG_DEALLOC_VGPRS)
	s_endpgm
	.section	.rodata,"a",@progbits
	.p2align	6, 0x0
	.amdhsa_kernel _Z12wvSplitK_hf_I6__halfLi32ELi2ELi16ELi8ELi2ELi5EEviiiiiiPKT_S3_S3_PS1_ii
		.amdhsa_group_segment_fixed_size 65536
		.amdhsa_private_segment_fixed_size 0
		.amdhsa_kernarg_size 64
		.amdhsa_user_sgpr_count 15
		.amdhsa_user_sgpr_dispatch_ptr 0
		.amdhsa_user_sgpr_queue_ptr 0
		.amdhsa_user_sgpr_kernarg_segment_ptr 1
		.amdhsa_user_sgpr_dispatch_id 0
		.amdhsa_user_sgpr_private_segment_size 0
		.amdhsa_wavefront_size32 1
		.amdhsa_uses_dynamic_stack 0
		.amdhsa_enable_private_segment 0
		.amdhsa_system_sgpr_workgroup_id_x 1
		.amdhsa_system_sgpr_workgroup_id_y 0
		.amdhsa_system_sgpr_workgroup_id_z 0
		.amdhsa_system_sgpr_workgroup_info 0
		.amdhsa_system_vgpr_workitem_id 1
		.amdhsa_next_free_vgpr 93
		.amdhsa_next_free_sgpr 36
		.amdhsa_reserve_vcc 1
		.amdhsa_float_round_mode_32 0
		.amdhsa_float_round_mode_16_64 0
		.amdhsa_float_denorm_mode_32 3
		.amdhsa_float_denorm_mode_16_64 3
		.amdhsa_dx10_clamp 1
		.amdhsa_ieee_mode 1
		.amdhsa_fp16_overflow 0
		.amdhsa_workgroup_processor_mode 1
		.amdhsa_memory_ordered 1
		.amdhsa_forward_progress 0
		.amdhsa_shared_vgpr_count 0
		.amdhsa_exception_fp_ieee_invalid_op 0
		.amdhsa_exception_fp_denorm_src 0
		.amdhsa_exception_fp_ieee_div_zero 0
		.amdhsa_exception_fp_ieee_overflow 0
		.amdhsa_exception_fp_ieee_underflow 0
		.amdhsa_exception_fp_ieee_inexact 0
		.amdhsa_exception_int_div_zero 0
	.end_amdhsa_kernel
	.section	.text._Z12wvSplitK_hf_I6__halfLi32ELi2ELi16ELi8ELi2ELi5EEviiiiiiPKT_S3_S3_PS1_ii,"axG",@progbits,_Z12wvSplitK_hf_I6__halfLi32ELi2ELi16ELi8ELi2ELi5EEviiiiiiPKT_S3_S3_PS1_ii,comdat
.Lfunc_end132:
	.size	_Z12wvSplitK_hf_I6__halfLi32ELi2ELi16ELi8ELi2ELi5EEviiiiiiPKT_S3_S3_PS1_ii, .Lfunc_end132-_Z12wvSplitK_hf_I6__halfLi32ELi2ELi16ELi8ELi2ELi5EEviiiiiiPKT_S3_S3_PS1_ii
                                        ; -- End function
	.section	.AMDGPU.csdata,"",@progbits
; Kernel info:
; codeLenInByte = 7020
; NumSgprs: 38
; NumVgprs: 93
; ScratchSize: 0
; MemoryBound: 0
; FloatMode: 240
; IeeeMode: 1
; LDSByteSize: 65536 bytes/workgroup (compile time only)
; SGPRBlocks: 4
; VGPRBlocks: 11
; NumSGPRsForWavesPerEU: 38
; NumVGPRsForWavesPerEU: 93
; Occupancy: 8
; WaveLimiterHint : 0
; COMPUTE_PGM_RSRC2:SCRATCH_EN: 0
; COMPUTE_PGM_RSRC2:USER_SGPR: 15
; COMPUTE_PGM_RSRC2:TRAP_HANDLER: 0
; COMPUTE_PGM_RSRC2:TGID_X_EN: 1
; COMPUTE_PGM_RSRC2:TGID_Y_EN: 0
; COMPUTE_PGM_RSRC2:TGID_Z_EN: 0
; COMPUTE_PGM_RSRC2:TIDIG_COMP_CNT: 1
	.section	.text._Z16wvSplitK_hf_big_I6__halfLi32ELi2ELi16ELi8ELi2ELi5EEviiiiiiPKT_S3_S3_PS1_ii,"axG",@progbits,_Z16wvSplitK_hf_big_I6__halfLi32ELi2ELi16ELi8ELi2ELi5EEviiiiiiPKT_S3_S3_PS1_ii,comdat
	.protected	_Z16wvSplitK_hf_big_I6__halfLi32ELi2ELi16ELi8ELi2ELi5EEviiiiiiPKT_S3_S3_PS1_ii ; -- Begin function _Z16wvSplitK_hf_big_I6__halfLi32ELi2ELi16ELi8ELi2ELi5EEviiiiiiPKT_S3_S3_PS1_ii
	.globl	_Z16wvSplitK_hf_big_I6__halfLi32ELi2ELi16ELi8ELi2ELi5EEviiiiiiPKT_S3_S3_PS1_ii
	.p2align	8
	.type	_Z16wvSplitK_hf_big_I6__halfLi32ELi2ELi16ELi8ELi2ELi5EEviiiiiiPKT_S3_S3_PS1_ii,@function
_Z16wvSplitK_hf_big_I6__halfLi32ELi2ELi16ELi8ELi2ELi5EEviiiiiiPKT_S3_S3_PS1_ii: ; @_Z16wvSplitK_hf_big_I6__halfLi32ELi2ELi16ELi8ELi2ELi5EEviiiiiiPKT_S3_S3_PS1_ii
; %bb.0:
	s_load_b64 s[20:21], s[0:1], 0x38
	v_bfe_u32 v1, v0, 10, 10
	s_mov_b32 s2, exec_lo
	s_waitcnt lgkmcnt(0)
	s_delay_alu instid0(VALU_DEP_1)
	v_cmpx_gt_u32_e64 s20, v1
	s_cbranch_execz .LBB133_60
; %bb.1:
	s_load_b128 s[16:19], s[0:1], 0x0
	s_mul_i32 s15, s15, s20
	s_mov_b32 s4, 1
	v_add_lshl_u32 v57, s15, v1, 1
	s_mov_b32 s5, s4
	s_delay_alu instid0(SALU_CYCLE_1) | instskip(NEXT) | instid1(VALU_DEP_2)
	v_dual_mov_b32 v56, s5 :: v_dual_mov_b32 v55, s4
	v_add_nc_u32_e32 v2, 2, v57
	s_waitcnt lgkmcnt(0)
	v_cmp_gt_u32_e32 vcc_lo, s19, v57
	s_delay_alu instid0(VALU_DEP_2) | instskip(NEXT) | instid1(VALU_DEP_1)
	v_cmp_le_u32_e64 s2, s19, v2
	s_and_b32 s2, vcc_lo, s2
	s_delay_alu instid0(SALU_CYCLE_1)
	s_and_saveexec_b32 s6, s2
	s_cbranch_execz .LBB133_7
; %bb.2:
	v_dual_mov_b32 v56, s5 :: v_dual_mov_b32 v55, s4
	s_add_i32 s7, s19, -2
	s_mov_b32 s8, exec_lo
	v_cmpx_ne_u32_e64 s7, v57
	s_cbranch_execz .LBB133_6
; %bb.3:
	v_subrev_nc_u32_e32 v2, s7, v57
	s_mov_b32 s2, 1
	s_mov_b32 s9, 0
	s_mov_b64 s[4:5], 0
	s_mov_b32 s3, s2
	v_cmp_lt_u32_e32 vcc_lo, 1, v2
	v_cndmask_b32_e32 v2, 1, v2, vcc_lo
.LBB133_4:                              ; =>This Inner Loop Header: Depth=1
	s_cmp_lg_u32 s4, 1
	s_cselect_b32 s3, s3, 0
	s_cmp_lg_u32 s4, 0
	s_cselect_b32 s2, s2, 0
	s_add_u32 s4, s4, 1
	v_dual_mov_b32 v56, s3 :: v_dual_mov_b32 v55, s2
	v_cmp_eq_u32_e32 vcc_lo, s4, v2
	s_addc_u32 s5, s5, 0
	s_or_b32 s9, vcc_lo, s9
	s_delay_alu instid0(SALU_CYCLE_1)
	s_and_not1_b32 exec_lo, exec_lo, s9
	s_cbranch_execnz .LBB133_4
; %bb.5:
	s_or_b32 exec_lo, exec_lo, s9
	v_mov_b32_e32 v57, s7
.LBB133_6:
	s_or_b32 exec_lo, exec_lo, s8
.LBB133_7:
	s_delay_alu instid0(SALU_CYCLE_1)
	s_or_b32 exec_lo, exec_lo, s6
	s_lshl_b32 s2, s20, 1
	s_abs_i32 s6, s19
	s_abs_i32 s3, s2
	s_mov_b32 s22, 0
	v_cvt_f32_u32_e32 v2, s3
	s_sub_i32 s5, 0, s3
	s_delay_alu instid0(VALU_DEP_1) | instskip(SKIP_2) | instid1(VALU_DEP_1)
	v_rcp_iflag_f32_e32 v2, v2
	s_waitcnt_depctr 0xfff
	v_mul_f32_e32 v2, 0x4f7ffffe, v2
	v_cvt_u32_f32_e32 v2, v2
	s_delay_alu instid0(VALU_DEP_1) | instskip(NEXT) | instid1(VALU_DEP_1)
	v_readfirstlane_b32 s4, v2
	s_mul_i32 s5, s5, s4
	s_delay_alu instid0(SALU_CYCLE_1) | instskip(NEXT) | instid1(SALU_CYCLE_1)
	s_mul_hi_u32 s5, s4, s5
	s_add_i32 s4, s4, s5
	s_ashr_i32 s5, s19, 31
	s_mul_hi_u32 s4, s6, s4
	s_delay_alu instid0(SALU_CYCLE_1) | instskip(NEXT) | instid1(SALU_CYCLE_1)
	s_mul_i32 s4, s4, s3
	s_sub_i32 s4, s6, s4
	s_delay_alu instid0(SALU_CYCLE_1) | instskip(SKIP_2) | instid1(SALU_CYCLE_1)
	s_sub_i32 s6, s4, s3
	s_cmp_ge_u32 s4, s3
	s_cselect_b32 s4, s6, s4
	s_sub_i32 s6, s4, s3
	s_cmp_ge_u32 s4, s3
	s_cselect_b32 s3, s6, s4
	s_add_i32 s2, s2, s19
	s_xor_b32 s3, s3, s5
	s_delay_alu instid0(SALU_CYCLE_1) | instskip(NEXT) | instid1(SALU_CYCLE_1)
	s_sub_i32 s3, s3, s5
	s_sub_i32 s2, s2, s3
	s_cmp_eq_u32 s3, 0
	s_cselect_b32 s3, s19, s2
	s_delay_alu instid0(SALU_CYCLE_1)
	v_cmp_gt_u32_e32 vcc_lo, s3, v57
	s_and_b32 exec_lo, exec_lo, vcc_lo
	s_cbranch_execz .LBB133_60
; %bb.8:
	s_load_b256 s[4:11], s[0:1], 0x10
	s_min_u32 s23, s18, 0x1800
	s_cmp_lg_u32 s16, 0
	s_mul_i32 s2, s21, s20
	s_cselect_b32 s24, -1, 0
	s_cmp_lg_u32 s18, 0
	s_load_b64 s[12:13], s[0:1], 0x30
	s_cselect_b32 s21, -1, 0
	s_lshl_b32 s25, s20, 8
	s_add_i32 s26, s16, -8
	s_add_i32 s27, s19, -1
	s_lshl_b32 s28, s2, 1
	v_and_b32_e32 v0, 0x3ff, v0
	v_mbcnt_lo_u32_b32 v66, -1, 0
	v_mov_b32_e32 v59, 0
	s_waitcnt lgkmcnt(0)
	s_cmp_lg_u64 s[10:11], 0
	s_cselect_b32 s29, -1, 0
	s_abs_i32 s2, s5
	s_add_i32 s30, s19, -2
	v_cvt_f32_u32_e32 v2, s2
	s_sub_i32 s1, 0, s2
	s_sub_i32 s14, 0, s4
	;; [unrolled: 1-line block ×3, first 2 shown]
	s_mul_i32 s5, s23, 6
	v_rcp_iflag_f32_e32 v2, v2
	s_waitcnt_depctr 0xfff
	v_mul_f32_e32 v2, 0x4f7ffffe, v2
	s_delay_alu instid0(VALU_DEP_1) | instskip(NEXT) | instid1(VALU_DEP_1)
	v_cvt_u32_f32_e32 v2, v2
	v_readfirstlane_b32 s0, v2
	v_cvt_f32_u32_e32 v2, s4
	s_delay_alu instid0(VALU_DEP_2) | instskip(NEXT) | instid1(VALU_DEP_1)
	s_mul_i32 s1, s1, s0
	v_rcp_iflag_f32_e32 v2, v2
	s_mul_hi_u32 s1, s0, s1
	v_lshlrev_b32_e32 v67, 3, v0
	s_add_i32 s1, s0, s1
	s_cmp_lt_u32 s2, 2
	v_cmp_eq_u32_e64 s0, 31, v0
	s_cselect_b32 s15, s15, 1
	v_lshlrev_b32_e32 v0, 4, v0
	s_sub_i32 s31, s15, s2
	s_cmp_ge_u32 s15, s2
	s_waitcnt_depctr 0xfff
	v_mul_f32_e32 v2, 0x4f7ffffe, v2
	s_cselect_b32 s31, s31, s15
	s_lshr_b32 s15, s1, 31
	v_lshl_add_u32 v60, v1, 8, v67
	s_mul_i32 s15, s15, s2
	v_cvt_u32_f32_e32 v2, v2
	s_sub_i32 s15, 2, s15
	v_lshl_add_u32 v68, v1, 9, v0
	s_sub_i32 s33, s15, s2
	s_cmp_ge_u32 s15, s2
	v_mul_lo_u32 v3, s14, v2
	s_cselect_b32 s14, s33, s15
	s_mul_hi_u32 s15, s1, 3
	s_sub_i32 s33, s14, s2
	s_cmp_ge_u32 s14, s2
	s_mul_i32 s15, s15, s2
	s_cselect_b32 s33, s33, s14
	s_sub_i32 s14, 3, s15
	v_mul_hi_u32 v0, v2, v3
	s_sub_i32 s15, s14, s2
	s_cmp_ge_u32 s14, s2
	v_mad_u64_u32 v[61:62], null, s18, 3, v[60:61]
	s_cselect_b32 s14, s15, s14
	v_lshl_add_u32 v69, s18, 1, v60
	s_sub_i32 s15, s14, s2
	s_cmp_ge_u32 s14, s2
	v_lshl_add_u32 v70, s18, 2, v60
	s_cselect_b32 s34, s15, s14
	s_lshr_b32 s1, s1, 30
	v_add_nc_u32_e32 v71, s18, v60
	s_mul_i32 s1, s1, s2
	v_add_nc_u32_e32 v72, v2, v0
	s_sub_i32 s1, 4, s1
	s_mul_i32 s31, s31, s4
	s_sub_i32 s14, s1, s2
	s_cmp_ge_u32 s1, s2
	s_mul_i32 s33, s33, s4
	s_cselect_b32 s1, s14, s1
	s_mul_i32 s34, s34, s4
	s_sub_i32 s14, s1, s2
	s_cmp_ge_u32 s1, s2
	s_cselect_b32 s39, s14, s1
	s_add_u32 s35, s12, 2
	s_addc_u32 s36, s13, 0
	s_lshl_b32 s37, s23, 3
	s_lshl_b32 s20, s20, 9
	s_lshl_b32 s38, s23, 2
	s_mul_i32 s39, s39, s4
	s_lshl_b32 s40, s23, 1
	s_branch .LBB133_12
.LBB133_9:                              ;   in Loop: Header=BB133_12 Depth=1
	s_or_b32 exec_lo, exec_lo, s43
	v_mov_b32_e32 v57, s30
.LBB133_10:                             ;   in Loop: Header=BB133_12 Depth=1
	s_or_b32 exec_lo, exec_lo, s42
.LBB133_11:                             ;   in Loop: Header=BB133_12 Depth=1
	s_delay_alu instid0(SALU_CYCLE_1) | instskip(NEXT) | instid1(VALU_DEP_1)
	s_or_b32 exec_lo, exec_lo, s41
	v_cmp_le_u32_e32 vcc_lo, s3, v57
	s_or_b32 s22, vcc_lo, s22
	s_delay_alu instid0(SALU_CYCLE_1)
	s_and_not1_b32 exec_lo, exec_lo, s22
	s_cbranch_execz .LBB133_60
.LBB133_12:                             ; =>This Loop Header: Depth=1
                                        ;     Child Loop BB133_17 Depth 2
                                        ;       Child Loop BB133_22 Depth 3
                                        ;     Child Loop BB133_49 Depth 2
	v_mov_b32_e32 v82, v59
	v_mov_b32_e32 v81, v59
	;; [unrolled: 1-line block ×10, first 2 shown]
	s_and_not1_b32 vcc_lo, exec_lo, s24
	s_mov_b32 s14, 0
	s_cbranch_vccnz .LBB133_29
; %bb.13:                               ;   in Loop: Header=BB133_12 Depth=1
	v_dual_mov_b32 v1, v59 :: v_dual_add_nc_u32 v0, 1, v57
	s_waitcnt lgkmcnt(6)
	v_min_u32_e32 v2, s27, v57
	v_cmp_gt_u32_e64 s1, s19, v57
	v_dual_mov_b32 v78, 0 :: v_dual_mov_b32 v77, 0
	v_min_u32_e32 v0, s27, v0
	s_delay_alu instid0(VALU_DEP_4) | instskip(SKIP_2) | instid1(VALU_DEP_4)
	v_mul_lo_u32 v58, v2, s17
	v_dual_mov_b32 v76, 0 :: v_dual_mov_b32 v75, 0
	v_dual_mov_b32 v74, 0 :: v_dual_mov_b32 v73, 0
	v_mul_lo_u32 v0, v0, s17
	v_dual_mov_b32 v79, 0 :: v_dual_mov_b32 v80, 0
	v_lshlrev_b64 v[62:63], 1, v[58:59]
	v_dual_mov_b32 v81, 0 :: v_dual_mov_b32 v82, 0
	s_mov_b32 s15, 0
	s_delay_alu instid0(VALU_DEP_4)
	v_lshlrev_b64 v[64:65], 1, v[0:1]
	s_branch .LBB133_17
.LBB133_14:                             ;   in Loop: Header=BB133_17 Depth=2
	s_or_b32 exec_lo, exec_lo, s42
.LBB133_15:                             ;   in Loop: Header=BB133_17 Depth=2
	s_delay_alu instid0(SALU_CYCLE_1)
	s_or_b32 exec_lo, exec_lo, s41
	s_waitcnt vmcnt(3) lgkmcnt(4)
	;;#ASMSTART
	v_dot2_f32_f16 v82, v48, v24, v82
	;;#ASMEND
	s_waitcnt vmcnt(2)
	;;#ASMSTART
	v_dot2_f32_f16 v81, v48, v20, v81
	;;#ASMEND
	s_waitcnt lgkmcnt(3)
	;;#ASMSTART
	v_dot2_f32_f16 v80, v44, v24, v80
	;;#ASMEND
	;;#ASMSTART
	v_dot2_f32_f16 v79, v44, v20, v79
	;;#ASMEND
	s_waitcnt lgkmcnt(2)
	;;#ASMSTART
	v_dot2_f32_f16 v78, v40, v24, v78
	;;#ASMEND
	;; [unrolled: 7-line block ×4, first 2 shown]
	;;#ASMSTART
	v_dot2_f32_f16 v73, v32, v20, v73
	;;#ASMEND
	;;#ASMSTART
	v_dot2_f32_f16 v82, v49, v25, v82
	;;#ASMEND
	;; [unrolled: 3-line block ×31, first 2 shown]
	s_waitcnt vmcnt(1)
	;;#ASMSTART
	v_dot2_f32_f16 v82, v28, v4, v82
	;;#ASMEND
	s_waitcnt vmcnt(0)
	;;#ASMSTART
	v_dot2_f32_f16 v81, v28, v0, v81
	;;#ASMEND
	;;#ASMSTART
	v_dot2_f32_f16 v80, v16, v4, v80
	;;#ASMEND
	;; [unrolled: 3-line block ×39, first 2 shown]
.LBB133_16:                             ;   in Loop: Header=BB133_17 Depth=2
	s_or_b32 exec_lo, exec_lo, s2
	s_addk_i32 s15, 0x200
	s_delay_alu instid0(SALU_CYCLE_1)
	s_cmp_ge_u32 s15, s16
	s_cbranch_scc1 .LBB133_29
.LBB133_17:                             ;   Parent Loop BB133_12 Depth=1
                                        ; =>  This Loop Header: Depth=2
                                        ;       Child Loop BB133_22 Depth 3
	s_cmp_eq_u32 s15, 0
	s_cselect_b32 s41, -1, 0
	s_add_i32 s2, s14, s23
	s_delay_alu instid0(SALU_CYCLE_1) | instskip(SKIP_1) | instid1(SALU_CYCLE_1)
	s_cmp_eq_u32 s15, s2
	s_cselect_b32 s42, -1, 0
	s_or_b32 s42, s41, s42
	s_delay_alu instid0(SALU_CYCLE_1)
	s_and_not1_b32 vcc_lo, exec_lo, s42
	s_cbranch_vccz .LBB133_19
; %bb.18:                               ;   in Loop: Header=BB133_17 Depth=2
	s_and_saveexec_b32 s2, s1
	s_cbranch_execz .LBB133_16
	s_branch .LBB133_26
.LBB133_19:                             ;   in Loop: Header=BB133_17 Depth=2
	s_and_b32 s41, s41, exec_lo
	s_cselect_b32 s14, s14, s2
	s_and_not1_b32 vcc_lo, exec_lo, s21
	s_waitcnt vmcnt(0) lgkmcnt(0)
	s_waitcnt_vscnt null, 0x0
	s_barrier
	buffer_gl0_inv
	s_cbranch_vccnz .LBB133_25
; %bb.20:                               ;   in Loop: Header=BB133_17 Depth=2
	v_dual_mov_b32 v5, v68 :: v_dual_add_nc_u32 v0, s14, v69
	v_add_nc_u32_e32 v1, s14, v61
	v_add_nc_u32_e32 v2, s14, v70
	;; [unrolled: 1-line block ×4, first 2 shown]
	s_mov_b32 s41, 0
	s_mov_b32 s42, 0
                                        ; implicit-def: $sgpr43
	s_branch .LBB133_22
.LBB133_21:                             ;   in Loop: Header=BB133_22 Depth=3
	s_or_b32 exec_lo, exec_lo, s2
	s_delay_alu instid0(SALU_CYCLE_1) | instskip(NEXT) | instid1(SALU_CYCLE_1)
	s_and_b32 s2, exec_lo, s43
	s_or_b32 s41, s2, s41
	s_delay_alu instid0(SALU_CYCLE_1)
	s_and_not1_b32 exec_lo, exec_lo, s41
	s_cbranch_execz .LBB133_24
.LBB133_22:                             ;   Parent Loop BB133_12 Depth=1
                                        ;     Parent Loop BB133_17 Depth=2
                                        ; =>    This Inner Loop Header: Depth=3
	s_delay_alu instid0(VALU_DEP_1) | instskip(SKIP_2) | instid1(VALU_DEP_2)
	v_add_nc_u32_e32 v58, s42, v4
	v_add_nc_u32_e32 v6, s42, v60
	s_or_b32 s43, s43, exec_lo
	v_cmp_gt_u32_e32 vcc_lo, s18, v58
	s_delay_alu instid0(VALU_DEP_2) | instskip(NEXT) | instid1(VALU_DEP_1)
	v_cmp_gt_u32_e64 s2, s23, v6
	s_and_b32 s44, s2, vcc_lo
	s_delay_alu instid0(SALU_CYCLE_1)
	s_and_saveexec_b32 s2, s44
	s_cbranch_execz .LBB133_21
; %bb.23:                               ;   in Loop: Header=BB133_22 Depth=3
	v_lshlrev_b64 v[6:7], 1, v[58:59]
	v_add_nc_u32_e32 v58, s42, v3
	v_add_nc_u32_e32 v26, s40, v5
	;; [unrolled: 1-line block ×3, first 2 shown]
	s_delay_alu instid0(VALU_DEP_3) | instskip(SKIP_3) | instid1(VALU_DEP_3)
	v_lshlrev_b64 v[8:9], 1, v[58:59]
	v_add_nc_u32_e32 v58, s42, v0
	v_add_co_u32 v6, vcc_lo, s8, v6
	v_add_co_ci_u32_e32 v7, vcc_lo, s9, v7, vcc_lo
	v_lshlrev_b64 v[10:11], 1, v[58:59]
	v_add_nc_u32_e32 v58, s42, v1
	v_add_co_u32 v12, vcc_lo, s8, v8
	v_add_co_ci_u32_e32 v13, vcc_lo, s9, v9, vcc_lo
	s_delay_alu instid0(VALU_DEP_3) | instskip(SKIP_3) | instid1(VALU_DEP_3)
	v_lshlrev_b64 v[18:19], 1, v[58:59]
	v_add_nc_u32_e32 v58, s42, v2
	v_add_co_u32 v14, vcc_lo, s8, v10
	v_add_co_ci_u32_e32 v15, vcc_lo, s9, v11, vcc_lo
	v_lshlrev_b64 v[20:21], 1, v[58:59]
	v_add_co_u32 v18, vcc_lo, s8, v18
	v_add_co_ci_u32_e32 v19, vcc_lo, s9, v19, vcc_lo
	s_clause 0x2
	global_load_b128 v[6:9], v[6:7], off
	global_load_b128 v[10:13], v[12:13], off
	;; [unrolled: 1-line block ×3, first 2 shown]
	v_add_co_u32 v22, vcc_lo, s8, v20
	v_add_co_ci_u32_e32 v23, vcc_lo, s9, v21, vcc_lo
	s_clause 0x1
	global_load_b128 v[18:21], v[18:19], off
	global_load_b128 v[22:25], v[22:23], off
	s_add_i32 s42, s42, s25
	s_waitcnt vmcnt(4)
	ds_store_b128 v5, v[6:9]
	s_waitcnt vmcnt(3)
	ds_store_2addr_b64 v26, v[10:11], v[12:13] offset1:1
	s_waitcnt vmcnt(2)
	ds_store_2addr_b32 v27, v14, v15 offset1:1
	ds_store_2addr_b32 v27, v16, v17 offset0:2 offset1:3
	s_cmp_ge_u32 s42, s23
	v_add_nc_u32_e32 v6, s5, v5
	s_cselect_b32 s44, -1, 0
	v_add_nc_u32_e32 v7, s37, v5
	v_add_nc_u32_e32 v5, s20, v5
	s_and_not1_b32 s43, s43, exec_lo
	s_and_b32 s44, s44, exec_lo
	s_waitcnt vmcnt(1)
	ds_store_2addr_b64 v6, v[18:19], v[20:21] offset1:1
	s_or_b32 s43, s43, s44
	s_waitcnt vmcnt(0)
	ds_store_2addr_b64 v7, v[22:23], v[24:25] offset1:1
	s_branch .LBB133_21
.LBB133_24:                             ;   in Loop: Header=BB133_17 Depth=2
	s_or_b32 exec_lo, exec_lo, s41
.LBB133_25:                             ;   in Loop: Header=BB133_17 Depth=2
	s_waitcnt lgkmcnt(0)
	s_barrier
	buffer_gl0_inv
	s_and_saveexec_b32 s2, s1
	s_cbranch_execz .LBB133_16
.LBB133_26:                             ;   in Loop: Header=BB133_17 Depth=2
	v_dual_mov_b32 v48, 0 :: v_dual_add_nc_u32 v83, s15, v67
	v_dual_mov_b32 v50, 0 :: v_dual_mov_b32 v51, 0
	s_waitcnt vmcnt(8)
	v_dual_mov_b32 v28, 0 :: v_dual_mov_b32 v29, 0
	s_delay_alu instid0(VALU_DEP_3) | instskip(SKIP_2) | instid1(VALU_DEP_3)
	v_min_u32_e32 v58, s26, v83
	v_dual_mov_b32 v49, 0 :: v_dual_add_nc_u32 v84, 0x100, v83
	v_dual_mov_b32 v30, 0 :: v_dual_mov_b32 v31, 0
	v_lshlrev_b64 v[0:1], 1, v[58:59]
	s_delay_alu instid0(VALU_DEP_3) | instskip(SKIP_2) | instid1(VALU_DEP_4)
	v_min_u32_e32 v58, s26, v84
	v_dual_mov_b32 v44, 0 :: v_dual_mov_b32 v45, 0
	v_dual_mov_b32 v46, 0 :: v_dual_mov_b32 v47, 0
	v_add_co_u32 v4, vcc_lo, s6, v0
	v_add_co_ci_u32_e32 v5, vcc_lo, s7, v1, vcc_lo
	v_lshlrev_b64 v[0:1], 1, v[58:59]
	s_delay_alu instid0(VALU_DEP_3) | instskip(SKIP_1) | instid1(VALU_DEP_3)
	v_add_co_u32 v2, vcc_lo, v4, v62
	s_waitcnt lgkmcnt(4)
	v_add_co_ci_u32_e32 v3, vcc_lo, v5, v63, vcc_lo
	v_dual_mov_b32 v16, 0 :: v_dual_mov_b32 v17, 0
	s_waitcnt lgkmcnt(0)
	v_add_co_u32 v6, vcc_lo, s6, v0
	v_add_co_ci_u32_e32 v7, vcc_lo, s7, v1, vcc_lo
	v_add_co_u32 v0, vcc_lo, v4, v64
	v_add_co_ci_u32_e32 v1, vcc_lo, v5, v65, vcc_lo
	s_delay_alu instid0(VALU_DEP_4) | instskip(NEXT) | instid1(VALU_DEP_4)
	v_add_co_u32 v4, vcc_lo, v6, v62
	v_add_co_ci_u32_e32 v5, vcc_lo, v7, v63, vcc_lo
	v_add_co_u32 v8, vcc_lo, v6, v64
	v_add_co_ci_u32_e32 v9, vcc_lo, v7, v65, vcc_lo
	s_clause 0x3
	global_load_b128 v[24:27], v[2:3], off slc dlc
	global_load_b128 v[20:23], v[0:1], off slc dlc
	;; [unrolled: 1-line block ×4, first 2 shown]
	v_cmp_gt_u32_e32 vcc_lo, s16, v83
	v_dual_mov_b32 v18, 0 :: v_dual_mov_b32 v19, 0
	v_dual_mov_b32 v40, 0 :: v_dual_mov_b32 v41, 0
	;; [unrolled: 1-line block ×12, first 2 shown]
	v_mov_b32_e32 v52, 0
	v_mov_b32_e32 v54, 0
	s_and_saveexec_b32 s41, vcc_lo
	s_cbranch_execz .LBB133_15
; %bb.27:                               ;   in Loop: Header=BB133_17 Depth=2
	v_subrev_nc_u32_e32 v8, s14, v83
	v_cmp_gt_u32_e32 vcc_lo, s16, v84
	v_dual_mov_b32 v10, 0 :: v_dual_mov_b32 v9, 0
	v_dual_mov_b32 v14, 0 :: v_dual_mov_b32 v13, 0
	s_delay_alu instid0(VALU_DEP_4) | instskip(SKIP_1) | instid1(VALU_DEP_2)
	v_dual_mov_b32 v54, 0 :: v_dual_lshlrev_b32 v87, 1, v8
	v_dual_mov_b32 v8, 0 :: v_dual_mov_b32 v15, 0
	v_dual_mov_b32 v53, 0 :: v_dual_add_nc_u32 v86, s40, v87
	v_dual_mov_b32 v12, 0 :: v_dual_mov_b32 v19, 0
	v_dual_mov_b32 v18, 0 :: v_dual_mov_b32 v17, 0
	s_delay_alu instid0(VALU_DEP_3) | instskip(SKIP_1) | instid1(VALU_DEP_2)
	v_dual_mov_b32 v52, 0 :: v_dual_add_nc_u32 v83, s40, v86
	v_dual_mov_b32 v16, 0 :: v_dual_mov_b32 v31, 0
	v_dual_mov_b32 v11, 0 :: v_dual_add_nc_u32 v84, s40, v83
	v_mov_b32_e32 v58, 0
	v_dual_mov_b32 v30, 0 :: v_dual_mov_b32 v29, 0
	s_delay_alu instid0(VALU_DEP_3)
	v_dual_mov_b32 v28, 0 :: v_dual_add_nc_u32 v85, s40, v84
	ds_load_b128 v[48:51], v87
	ds_load_b128 v[44:47], v86
	;; [unrolled: 1-line block ×5, first 2 shown]
	s_and_saveexec_b32 s42, vcc_lo
	s_cbranch_execz .LBB133_14
; %bb.28:                               ;   in Loop: Header=BB133_17 Depth=2
	ds_load_b128 v[28:31], v87 offset:512
	ds_load_b128 v[16:19], v86 offset:512
	;; [unrolled: 1-line block ×4, first 2 shown]
	ds_load_b32 v58, v85 offset:512
	ds_load_b96 v[52:54], v85 offset:516
	s_branch .LBB133_14
.LBB133_29:                             ;   in Loop: Header=BB133_12 Depth=1
	s_mov_b32 s1, exec_lo
	v_cmpx_le_u32_e64 s19, v57
	s_xor_b32 s1, exec_lo, s1
; %bb.30:                               ;   in Loop: Header=BB133_12 Depth=1
	v_add_nc_u32_e32 v57, s28, v57
                                        ; implicit-def: $vgpr82
                                        ; implicit-def: $vgpr81
                                        ; implicit-def: $vgpr80
                                        ; implicit-def: $vgpr79
                                        ; implicit-def: $vgpr73
                                        ; implicit-def: $vgpr74
                                        ; implicit-def: $vgpr75
                                        ; implicit-def: $vgpr77
                                        ; implicit-def: $vgpr76
                                        ; implicit-def: $vgpr78
; %bb.31:                               ;   in Loop: Header=BB133_12 Depth=1
	s_and_not1_saveexec_b32 s41, s1
	s_cbranch_execz .LBB133_11
; %bb.32:                               ;   in Loop: Header=BB133_12 Depth=1
	v_xor_b32_e32 v0, 16, v66
	v_cvt_i32_f32_e32 v1, v82
	s_waitcnt lgkmcnt(4)
	v_cvt_i32_f32_e32 v3, v80
	v_cvt_i32_f32_e32 v4, v79
	;; [unrolled: 1-line block ×3, first 2 shown]
	v_cmp_gt_i32_e32 vcc_lo, 32, v0
	v_cvt_f32_i32_dpp v1, v1 row_shr:8 row_mask:0xf bank_mask:0xf bound_ctrl:1
	v_cvt_i32_f32_e32 v2, v81
	v_cndmask_b32_e32 v0, v66, v0, vcc_lo
	s_delay_alu instid0(VALU_DEP_3) | instskip(NEXT) | instid1(VALU_DEP_3)
	v_add_f32_e32 v1, v82, v1
	v_cvt_f32_i32_dpp v2, v2 row_shr:8 row_mask:0xf bank_mask:0xf bound_ctrl:1
	s_waitcnt vmcnt(0)
	s_delay_alu instid0(VALU_DEP_3) | instskip(SKIP_4) | instid1(VALU_DEP_3)
	v_lshlrev_b32_e32 v20, 2, v0
	v_cvt_f32_i32_dpp v0, v3 row_shr:8 row_mask:0xf bank_mask:0xf bound_ctrl:1
	v_cvt_f32_i32_dpp v3, v4 row_shr:8 row_mask:0xf bank_mask:0xf bound_ctrl:1
	;; [unrolled: 1-line block ×3, first 2 shown]
	v_cvt_i32_f32_e32 v5, v1
	v_add_f32_e32 v3, v79, v3
	s_delay_alu instid0(VALU_DEP_2) | instskip(SKIP_1) | instid1(VALU_DEP_3)
	v_cvt_f32_i32_dpp v5, v5 row_shr:4 row_mask:0xf bank_mask:0xf bound_ctrl:1
	v_add_f32_e32 v0, v80, v0
	v_cvt_i32_f32_e32 v8, v3
	s_delay_alu instid0(VALU_DEP_3) | instskip(NEXT) | instid1(VALU_DEP_3)
	v_add_f32_e32 v1, v1, v5
	v_cvt_i32_f32_e32 v7, v0
	s_delay_alu instid0(VALU_DEP_3) | instskip(SKIP_1) | instid1(VALU_DEP_4)
	v_cvt_f32_i32_dpp v8, v8 row_shr:4 row_mask:0xf bank_mask:0xf bound_ctrl:1
	v_add_f32_e32 v2, v81, v2
	v_cvt_i32_f32_e32 v5, v1
	s_delay_alu instid0(VALU_DEP_4) | instskip(NEXT) | instid1(VALU_DEP_4)
	v_cvt_f32_i32_dpp v7, v7 row_shr:4 row_mask:0xf bank_mask:0xf bound_ctrl:1
	v_add_f32_e32 v3, v3, v8
	s_waitcnt lgkmcnt(0)
	v_cvt_i32_f32_e32 v6, v2
	v_cvt_f32_i32_dpp v5, v5 row_shr:2 row_mask:0xf bank_mask:0xf bound_ctrl:1
	v_add_f32_e32 v4, v78, v4
	v_cvt_i32_f32_e32 v8, v3
	s_delay_alu instid0(VALU_DEP_4) | instskip(NEXT) | instid1(VALU_DEP_4)
	v_cvt_f32_i32_dpp v6, v6 row_shr:4 row_mask:0xf bank_mask:0xf bound_ctrl:1
	v_add_f32_e32 v1, v1, v5
	s_delay_alu instid0(VALU_DEP_4) | instskip(NEXT) | instid1(VALU_DEP_4)
	v_cvt_i32_f32_e32 v9, v4
	v_cvt_f32_i32_dpp v8, v8 row_shr:2 row_mask:0xf bank_mask:0xf bound_ctrl:1
	s_delay_alu instid0(VALU_DEP_4) | instskip(NEXT) | instid1(VALU_DEP_4)
	v_add_f32_e32 v2, v2, v6
	v_cvt_i32_f32_e32 v5, v1
	s_delay_alu instid0(VALU_DEP_4) | instskip(NEXT) | instid1(VALU_DEP_4)
	v_cvt_f32_i32_dpp v9, v9 row_shr:4 row_mask:0xf bank_mask:0xf bound_ctrl:1
	v_add_f32_e32 v3, v3, v8
	s_delay_alu instid0(VALU_DEP_4) | instskip(NEXT) | instid1(VALU_DEP_4)
	v_cvt_i32_f32_e32 v6, v2
	v_cvt_f32_i32_dpp v5, v5 row_shr:1 row_mask:0xf bank_mask:0xf bound_ctrl:1
	s_delay_alu instid0(VALU_DEP_3) | instskip(NEXT) | instid1(VALU_DEP_3)
	v_cvt_i32_f32_e32 v8, v3
	v_cvt_f32_i32_dpp v6, v6 row_shr:2 row_mask:0xf bank_mask:0xf bound_ctrl:1
	s_delay_alu instid0(VALU_DEP_3) | instskip(SKIP_1) | instid1(VALU_DEP_4)
	v_add_f32_e32 v16, v1, v5
	v_cvt_i32_f32_e32 v1, v76
	v_cvt_f32_i32_dpp v10, v8 row_shr:1 row_mask:0xf bank_mask:0xf bound_ctrl:1
	v_add_f32_e32 v0, v0, v7
	s_delay_alu instid0(VALU_DEP_3) | instskip(SKIP_1) | instid1(VALU_DEP_4)
	v_cvt_f32_i32_dpp v1, v1 row_shr:8 row_mask:0xf bank_mask:0xf bound_ctrl:1
	v_add_f32_e32 v2, v2, v6
	v_add_f32_e32 v5, v3, v10
	v_cvt_i32_f32_e32 v3, v77
	v_cvt_i32_f32_e32 v7, v0
	v_add_f32_e32 v1, v76, v1
	v_cvt_i32_f32_e32 v6, v2
	s_delay_alu instid0(VALU_DEP_4)
	v_cvt_f32_i32_dpp v3, v3 row_shr:8 row_mask:0xf bank_mask:0xf bound_ctrl:1
	v_add_f32_e32 v4, v4, v9
	v_cvt_f32_i32_dpp v7, v7 row_shr:2 row_mask:0xf bank_mask:0xf bound_ctrl:1
	v_cvt_i32_f32_e32 v11, v1
	v_cvt_f32_i32_dpp v6, v6 row_shr:1 row_mask:0xf bank_mask:0xf bound_ctrl:1
	v_add_f32_e32 v3, v77, v3
	v_cvt_i32_f32_e32 v9, v4
	v_add_f32_e32 v0, v0, v7
	v_cvt_f32_i32_dpp v11, v11 row_shr:4 row_mask:0xf bank_mask:0xf bound_ctrl:1
	s_delay_alu instid0(VALU_DEP_4) | instskip(NEXT) | instid1(VALU_DEP_4)
	v_cvt_i32_f32_e32 v13, v3
	v_cvt_f32_i32_dpp v9, v9 row_shr:2 row_mask:0xf bank_mask:0xf bound_ctrl:1
	s_delay_alu instid0(VALU_DEP_4) | instskip(NEXT) | instid1(VALU_DEP_4)
	v_cvt_i32_f32_e32 v7, v0
	v_add_f32_e32 v1, v1, v11
	s_delay_alu instid0(VALU_DEP_4) | instskip(NEXT) | instid1(VALU_DEP_4)
	v_cvt_f32_i32_dpp v13, v13 row_shr:4 row_mask:0xf bank_mask:0xf bound_ctrl:1
	v_add_f32_e32 v4, v4, v9
	v_add_f32_e32 v12, v2, v6
	v_cvt_f32_i32_dpp v7, v7 row_shr:1 row_mask:0xf bank_mask:0xf bound_ctrl:1
	v_cvt_i32_f32_e32 v6, v74
	v_add_f32_e32 v3, v3, v13
	v_cvt_i32_f32_e32 v9, v4
	v_cvt_i32_f32_e32 v11, v1
	ds_bpermute_b32 v14, v20, v12
	v_cvt_f32_i32_dpp v6, v6 row_shr:8 row_mask:0xf bank_mask:0xf bound_ctrl:1
	v_cvt_i32_f32_e32 v13, v3
	v_cvt_f32_i32_dpp v9, v9 row_shr:1 row_mask:0xf bank_mask:0xf bound_ctrl:1
	v_cvt_f32_i32_dpp v11, v11 row_shr:2 row_mask:0xf bank_mask:0xf bound_ctrl:1
	s_delay_alu instid0(VALU_DEP_3) | instskip(SKIP_1) | instid1(VALU_DEP_4)
	v_cvt_f32_i32_dpp v13, v13 row_shr:2 row_mask:0xf bank_mask:0xf bound_ctrl:1
	v_add_f32_e32 v8, v0, v7
	v_add_f32_e32 v0, v4, v9
	v_cvt_i32_f32_e32 v9, v73
	v_cvt_i32_f32_e32 v4, v75
	v_add_f32_e32 v3, v3, v13
	ds_bpermute_b32 v10, v20, v8
	v_add_f32_e32 v1, v1, v11
	v_cvt_f32_i32_dpp v9, v9 row_shr:8 row_mask:0xf bank_mask:0xf bound_ctrl:1
	v_cvt_f32_i32_dpp v4, v4 row_shr:8 row_mask:0xf bank_mask:0xf bound_ctrl:1
	v_cvt_i32_f32_e32 v13, v3
	ds_bpermute_b32 v7, v20, v5
	v_dual_add_f32 v9, v73, v9 :: v_dual_add_f32 v4, v75, v4
	v_cvt_f32_i32_dpp v13, v13 row_shr:1 row_mask:0xf bank_mask:0xf bound_ctrl:1
	s_delay_alu instid0(VALU_DEP_2) | instskip(NEXT) | instid1(VALU_DEP_3)
	v_cvt_i32_f32_e32 v19, v9
	v_cvt_i32_f32_e32 v15, v4
	s_delay_alu instid0(VALU_DEP_3) | instskip(NEXT) | instid1(VALU_DEP_3)
	v_add_f32_e32 v13, v3, v13
	v_cvt_f32_i32_dpp v19, v19 row_shr:4 row_mask:0xf bank_mask:0xf bound_ctrl:1
	s_delay_alu instid0(VALU_DEP_3) | instskip(NEXT) | instid1(VALU_DEP_2)
	v_cvt_f32_i32_dpp v15, v15 row_shr:4 row_mask:0xf bank_mask:0xf bound_ctrl:1
	v_add_f32_e32 v9, v9, v19
	ds_bpermute_b32 v2, v20, v0
	v_cvt_i32_f32_e32 v19, v9
	s_delay_alu instid0(VALU_DEP_1) | instskip(NEXT) | instid1(VALU_DEP_1)
	v_cvt_f32_i32_dpp v19, v19 row_shr:2 row_mask:0xf bank_mask:0xf bound_ctrl:1
	v_dual_add_f32 v6, v74, v6 :: v_dual_add_f32 v11, v9, v19
	s_delay_alu instid0(VALU_DEP_1) | instskip(SKIP_1) | instid1(VALU_DEP_3)
	v_cvt_i32_f32_e32 v17, v6
	v_cvt_i32_f32_e32 v9, v1
	;; [unrolled: 1-line block ×3, first 2 shown]
	s_delay_alu instid0(VALU_DEP_3) | instskip(NEXT) | instid1(VALU_DEP_3)
	v_cvt_f32_i32_dpp v17, v17 row_shr:4 row_mask:0xf bank_mask:0xf bound_ctrl:1
	v_cvt_f32_i32_dpp v9, v9 row_shr:1 row_mask:0xf bank_mask:0xf bound_ctrl:1
	v_add_f32_e32 v4, v4, v15
	s_delay_alu instid0(VALU_DEP_4) | instskip(NEXT) | instid1(VALU_DEP_4)
	v_cvt_f32_i32_dpp v19, v19 row_shr:1 row_mask:0xf bank_mask:0xf bound_ctrl:1
	v_add_f32_e32 v6, v6, v17
	s_delay_alu instid0(VALU_DEP_1) | instskip(NEXT) | instid1(VALU_DEP_1)
	v_cvt_i32_f32_e32 v17, v6
	v_cvt_f32_i32_dpp v17, v17 row_shr:2 row_mask:0xf bank_mask:0xf bound_ctrl:1
	s_delay_alu instid0(VALU_DEP_1) | instskip(NEXT) | instid1(VALU_DEP_1)
	v_add_f32_e32 v6, v6, v17
	v_cvt_i32_f32_e32 v17, v6
	s_delay_alu instid0(VALU_DEP_1)
	v_cvt_f32_i32_dpp v21, v17 row_shr:1 row_mask:0xf bank_mask:0xf bound_ctrl:1
	v_add_f32_e32 v17, v1, v9
	v_add_f32_e32 v1, v11, v19
	v_cvt_i32_f32_e32 v15, v4
	ds_bpermute_b32 v19, v20, v17
	ds_bpermute_b32 v3, v20, v1
	v_cvt_f32_i32_dpp v15, v15 row_shr:2 row_mask:0xf bank_mask:0xf bound_ctrl:1
	s_delay_alu instid0(VALU_DEP_1) | instskip(NEXT) | instid1(VALU_DEP_1)
	v_add_f32_e32 v4, v4, v15
	v_cvt_i32_f32_e32 v15, v4
	s_delay_alu instid0(VALU_DEP_1) | instskip(NEXT) | instid1(VALU_DEP_1)
	v_cvt_f32_i32_dpp v15, v15 row_shr:1 row_mask:0xf bank_mask:0xf bound_ctrl:1
	v_dual_add_f32 v9, v4, v15 :: v_dual_add_f32 v4, v6, v21
	ds_bpermute_b32 v18, v20, v16
	ds_bpermute_b32 v15, v20, v13
	;; [unrolled: 1-line block ×4, first 2 shown]
	s_and_saveexec_b32 s14, s0
	s_cbranch_execz .LBB133_46
; %bb.33:                               ;   in Loop: Header=BB133_12 Depth=1
	v_dual_mov_b32 v29, 0 :: v_dual_mov_b32 v28, 0
	v_dual_mov_b32 v27, 0 :: v_dual_mov_b32 v26, 0
	;; [unrolled: 1-line block ×5, first 2 shown]
	s_and_not1_b32 vcc_lo, exec_lo, s29
	s_cbranch_vccnz .LBB133_35
; %bb.34:                               ;   in Loop: Header=BB133_12 Depth=1
	v_add_nc_u32_e32 v20, 1, v57
	v_mul_hi_u32 v21, v57, v72
	v_mov_b32_e32 v27, v59
	v_mov_b32_e32 v29, v59
	s_delay_alu instid0(VALU_DEP_4) | instskip(NEXT) | instid1(VALU_DEP_4)
	v_mul_hi_u32 v22, v20, v72
	v_mul_lo_u32 v21, v21, s4
	s_delay_alu instid0(VALU_DEP_2) | instskip(NEXT) | instid1(VALU_DEP_2)
	v_mul_lo_u32 v22, v22, s4
	v_sub_nc_u32_e32 v21, v57, v21
	s_delay_alu instid0(VALU_DEP_2) | instskip(NEXT) | instid1(VALU_DEP_2)
	v_sub_nc_u32_e32 v20, v20, v22
	v_subrev_nc_u32_e32 v22, s4, v21
	v_cmp_le_u32_e32 vcc_lo, s4, v21
	s_delay_alu instid0(VALU_DEP_3) | instskip(NEXT) | instid1(VALU_DEP_3)
	v_subrev_nc_u32_e32 v23, s4, v20
	v_cndmask_b32_e32 v22, v21, v22, vcc_lo
	v_cmp_le_u32_e32 vcc_lo, s4, v20
	s_delay_alu instid0(VALU_DEP_3) | instskip(SKIP_1) | instid1(VALU_DEP_4)
	v_dual_mov_b32 v21, v59 :: v_dual_cndmask_b32 v20, v20, v23
	v_mov_b32_e32 v23, v59
	v_subrev_nc_u32_e32 v25, s4, v22
	v_cmp_le_u32_e32 vcc_lo, s4, v22
	s_delay_alu instid0(VALU_DEP_4) | instskip(NEXT) | instid1(VALU_DEP_3)
	v_subrev_nc_u32_e32 v28, s4, v20
	v_cndmask_b32_e32 v58, v22, v25, vcc_lo
	v_cmp_le_u32_e32 vcc_lo, s4, v20
	s_delay_alu instid0(VALU_DEP_2) | instskip(NEXT) | instid1(VALU_DEP_4)
	v_dual_mov_b32 v24, v59 :: v_dual_add_nc_u32 v25, s33, v58
	v_cndmask_b32_e32 v20, v20, v28, vcc_lo
	v_lshlrev_b64 v[30:31], 1, v[58:59]
	v_add_nc_u32_e32 v22, s31, v58
	v_mov_b32_e32 v26, v59
	v_add_nc_u32_e32 v28, s34, v58
	v_lshlrev_b64 v[32:33], 1, v[20:21]
	v_add_nc_u32_e32 v58, s39, v58
	v_lshlrev_b64 v[21:22], 1, v[22:23]
	v_add_nc_u32_e32 v23, s31, v20
	v_add_co_u32 v30, vcc_lo, s10, v30
	v_add_co_ci_u32_e32 v31, vcc_lo, s11, v31, vcc_lo
	v_lshlrev_b64 v[34:35], 1, v[25:26]
	v_add_co_u32 v32, vcc_lo, s10, v32
	v_add_nc_u32_e32 v26, s33, v20
	v_add_co_ci_u32_e32 v33, vcc_lo, s11, v33, vcc_lo
	v_lshlrev_b64 v[23:24], 1, v[23:24]
	v_add_co_u32 v21, vcc_lo, s10, v21
	v_add_co_ci_u32_e32 v22, vcc_lo, s11, v22, vcc_lo
	v_lshlrev_b64 v[36:37], 1, v[26:27]
	v_add_co_u32 v34, vcc_lo, s10, v34
	v_dual_mov_b32 v26, v59 :: v_dual_add_nc_u32 v25, s34, v20
	v_add_co_ci_u32_e32 v35, vcc_lo, s11, v35, vcc_lo
	v_lshlrev_b64 v[28:29], 1, v[28:29]
	v_add_co_u32 v23, vcc_lo, s10, v23
	v_add_co_ci_u32_e32 v24, vcc_lo, s11, v24, vcc_lo
	v_add_co_u32 v36, vcc_lo, s10, v36
	v_lshlrev_b64 v[25:26], 1, v[25:26]
	v_add_co_ci_u32_e32 v37, vcc_lo, s11, v37, vcc_lo
	v_add_co_u32 v38, vcc_lo, s10, v28
	v_lshlrev_b64 v[27:28], 1, v[58:59]
	v_add_nc_u32_e32 v58, s39, v20
	v_add_co_ci_u32_e32 v39, vcc_lo, s11, v29, vcc_lo
	v_add_co_u32 v40, vcc_lo, s10, v25
	v_add_co_ci_u32_e32 v41, vcc_lo, s11, v26, vcc_lo
	s_delay_alu instid0(VALU_DEP_4) | instskip(SKIP_2) | instid1(VALU_DEP_3)
	v_lshlrev_b64 v[25:26], 1, v[58:59]
	v_add_co_u32 v42, vcc_lo, s10, v27
	v_add_co_ci_u32_e32 v43, vcc_lo, s11, v28, vcc_lo
	v_add_co_u32 v44, vcc_lo, s10, v25
	s_delay_alu instid0(VALU_DEP_4)
	v_add_co_ci_u32_e32 v45, vcc_lo, s11, v26, vcc_lo
	s_clause 0x9
	global_load_u16 v29, v[30:31], off
	global_load_u16 v28, v[32:33], off
	;; [unrolled: 1-line block ×10, first 2 shown]
.LBB133_35:                             ;   in Loop: Header=BB133_12 Depth=1
	v_cmp_ne_u32_e32 vcc_lo, 0, v55
	s_and_saveexec_b32 s2, vcc_lo
	s_cbranch_execnz .LBB133_51
; %bb.36:                               ;   in Loop: Header=BB133_12 Depth=1
	s_or_b32 exec_lo, exec_lo, s2
	v_cmp_ne_u32_e64 s1, 0, v56
	s_delay_alu instid0(VALU_DEP_1)
	s_and_saveexec_b32 s15, s1
	s_cbranch_execnz .LBB133_52
.LBB133_37:                             ;   in Loop: Header=BB133_12 Depth=1
	s_or_b32 exec_lo, exec_lo, s15
	v_add_nc_u32_e32 v58, s19, v57
	s_and_saveexec_b32 s15, vcc_lo
	s_cbranch_execnz .LBB133_53
.LBB133_38:                             ;   in Loop: Header=BB133_12 Depth=1
	s_or_b32 exec_lo, exec_lo, s15
	s_and_saveexec_b32 s15, s1
	s_cbranch_execnz .LBB133_54
.LBB133_39:                             ;   in Loop: Header=BB133_12 Depth=1
	s_or_b32 exec_lo, exec_lo, s15
	v_add_nc_u32_e32 v58, s19, v58
	s_and_saveexec_b32 s15, vcc_lo
	s_cbranch_execnz .LBB133_55
.LBB133_40:                             ;   in Loop: Header=BB133_12 Depth=1
	s_or_b32 exec_lo, exec_lo, s15
	s_and_saveexec_b32 s15, s1
	s_cbranch_execnz .LBB133_56
.LBB133_41:                             ;   in Loop: Header=BB133_12 Depth=1
	s_or_b32 exec_lo, exec_lo, s15
	v_add_nc_u32_e32 v58, s19, v58
	s_and_saveexec_b32 s15, vcc_lo
	s_cbranch_execnz .LBB133_57
.LBB133_42:                             ;   in Loop: Header=BB133_12 Depth=1
	s_or_b32 exec_lo, exec_lo, s15
	s_and_saveexec_b32 s15, s1
	s_cbranch_execnz .LBB133_58
.LBB133_43:                             ;   in Loop: Header=BB133_12 Depth=1
	s_or_b32 exec_lo, exec_lo, s15
	v_add_nc_u32_e32 v58, s19, v58
	s_and_saveexec_b32 s2, vcc_lo
	s_cbranch_execnz .LBB133_59
.LBB133_44:                             ;   in Loop: Header=BB133_12 Depth=1
	s_or_b32 exec_lo, exec_lo, s2
	s_delay_alu instid0(SALU_CYCLE_1)
	s_and_b32 exec_lo, exec_lo, s1
	s_cbranch_execz .LBB133_46
.LBB133_45:                             ;   in Loop: Header=BB133_12 Depth=1
	s_waitcnt lgkmcnt(4)
	v_add_f32_e32 v0, v1, v3
	s_waitcnt vmcnt(0)
	v_cvt_f32_f16_e32 v1, v20
	v_add_nc_u32_e32 v58, 1, v58
	s_delay_alu instid0(VALU_DEP_2) | instskip(NEXT) | instid1(VALU_DEP_2)
	v_add_f32_e32 v2, v0, v1
	v_lshlrev_b64 v[0:1], 1, v[58:59]
	s_delay_alu instid0(VALU_DEP_2) | instskip(NEXT) | instid1(VALU_DEP_2)
	v_cvt_f16_f32_e32 v2, v2
	v_add_co_u32 v0, vcc_lo, s12, v0
	s_delay_alu instid0(VALU_DEP_3)
	v_add_co_ci_u32_e32 v1, vcc_lo, s13, v1, vcc_lo
	global_store_b16 v[0:1], v2, off
.LBB133_46:                             ;   in Loop: Header=BB133_12 Depth=1
	s_or_b32 exec_lo, exec_lo, s14
	v_add_nc_u32_e32 v57, s28, v57
	s_delay_alu instid0(VALU_DEP_1) | instskip(SKIP_1) | instid1(VALU_DEP_2)
	v_add_nc_u32_e32 v0, 2, v57
	v_cmp_gt_u32_e32 vcc_lo, s19, v57
	v_cmp_le_u32_e64 s1, s19, v0
	s_delay_alu instid0(VALU_DEP_1) | instskip(NEXT) | instid1(SALU_CYCLE_1)
	s_and_b32 s1, vcc_lo, s1
	s_and_saveexec_b32 s42, s1
	s_cbranch_execz .LBB133_10
; %bb.47:                               ;   in Loop: Header=BB133_12 Depth=1
	s_mov_b32 s43, exec_lo
	v_cmpx_ne_u32_e64 s30, v57
	s_cbranch_execz .LBB133_9
; %bb.48:                               ;   in Loop: Header=BB133_12 Depth=1
	v_subrev_nc_u32_e32 v0, s30, v57
	s_mov_b32 s44, 0
	s_mov_b64 s[14:15], 0
	s_delay_alu instid0(VALU_DEP_1)
	v_cmp_lt_u32_e32 vcc_lo, 1, v0
	v_cndmask_b32_e32 v0, 1, v0, vcc_lo
.LBB133_49:                             ;   Parent Loop BB133_12 Depth=1
                                        ; =>  This Inner Loop Header: Depth=2
	s_cmp_lg_u32 s14, 1
	s_cselect_b32 vcc_lo, -1, 0
	s_cmp_lg_u32 s14, 0
	v_cndmask_b32_e32 v56, 0, v56, vcc_lo
	s_cselect_b32 s1, -1, 0
	s_add_u32 s14, s14, 1
	v_cndmask_b32_e64 v55, 0, v55, s1
	v_cmp_eq_u32_e64 s2, s14, v0
	s_addc_u32 s15, s15, 0
	s_delay_alu instid0(VALU_DEP_1) | instskip(NEXT) | instid1(SALU_CYCLE_1)
	s_or_b32 s44, s2, s44
	s_and_not1_b32 exec_lo, exec_lo, s44
	s_cbranch_execnz .LBB133_49
; %bb.50:                               ;   in Loop: Header=BB133_12 Depth=1
	s_or_b32 exec_lo, exec_lo, s44
	s_branch .LBB133_9
.LBB133_51:                             ;   in Loop: Header=BB133_12 Depth=1
	v_mov_b32_e32 v58, v59
	s_waitcnt lgkmcnt(3)
	v_add_f32_e32 v16, v16, v18
	s_waitcnt vmcnt(9)
	v_cvt_f32_f16_e32 v18, v29
	v_lshlrev_b64 v[29:30], 1, v[57:58]
	s_delay_alu instid0(VALU_DEP_2) | instskip(NEXT) | instid1(VALU_DEP_2)
	v_add_f32_e32 v16, v16, v18
	v_add_co_u32 v29, s1, s12, v29
	s_delay_alu instid0(VALU_DEP_2) | instskip(NEXT) | instid1(VALU_DEP_4)
	v_cvt_f16_f32_e32 v16, v16
	v_add_co_ci_u32_e64 v30, s1, s13, v30, s1
	global_store_b16 v[29:30], v16, off
	s_or_b32 exec_lo, exec_lo, s2
	v_cmp_ne_u32_e64 s1, 0, v56
	s_delay_alu instid0(VALU_DEP_1)
	s_and_saveexec_b32 s15, s1
	s_cbranch_execz .LBB133_37
.LBB133_52:                             ;   in Loop: Header=BB133_12 Depth=1
	v_mov_b32_e32 v58, v59
	s_waitcnt lgkmcnt(9)
	v_add_f32_e32 v12, v12, v14
	s_waitcnt vmcnt(8)
	v_cvt_f32_f16_e32 v14, v28
	v_lshlrev_b64 v[28:29], 1, v[57:58]
	s_delay_alu instid0(VALU_DEP_2) | instskip(NEXT) | instid1(VALU_DEP_2)
	v_add_f32_e32 v12, v12, v14
	v_add_co_u32 v28, s2, s35, v28
	s_delay_alu instid0(VALU_DEP_2) | instskip(NEXT) | instid1(VALU_DEP_4)
	v_cvt_f16_f32_e32 v12, v12
	v_add_co_ci_u32_e64 v29, s2, s36, v29, s2
	global_store_b16 v[28:29], v12, off
	s_or_b32 exec_lo, exec_lo, s15
	v_add_nc_u32_e32 v58, s19, v57
	s_and_saveexec_b32 s15, vcc_lo
	s_cbranch_execz .LBB133_38
.LBB133_53:                             ;   in Loop: Header=BB133_12 Depth=1
	s_waitcnt lgkmcnt(8)
	v_add_f32_e32 v8, v8, v10
	s_waitcnt vmcnt(7)
	v_cvt_f32_f16_e32 v10, v27
	v_lshlrev_b64 v[27:28], 1, v[58:59]
	s_delay_alu instid0(VALU_DEP_2) | instskip(NEXT) | instid1(VALU_DEP_2)
	v_add_f32_e32 v8, v8, v10
	v_add_co_u32 v27, s2, s12, v27
	s_delay_alu instid0(VALU_DEP_1) | instskip(NEXT) | instid1(VALU_DEP_3)
	v_add_co_ci_u32_e64 v28, s2, s13, v28, s2
	v_cvt_f16_f32_e32 v8, v8
	global_store_b16 v[27:28], v8, off
	s_or_b32 exec_lo, exec_lo, s15
	s_and_saveexec_b32 s15, s1
	s_cbranch_execz .LBB133_39
.LBB133_54:                             ;   in Loop: Header=BB133_12 Depth=1
	s_waitcnt lgkmcnt(7)
	v_dual_add_f32 v5, v5, v7 :: v_dual_mov_b32 v8, v59
	v_add_nc_u32_e32 v7, 1, v58
	s_waitcnt vmcnt(6)
	v_cvt_f32_f16_e32 v10, v26
	s_delay_alu instid0(VALU_DEP_2) | instskip(NEXT) | instid1(VALU_DEP_2)
	v_lshlrev_b64 v[7:8], 1, v[7:8]
	v_add_f32_e32 v5, v5, v10
	s_delay_alu instid0(VALU_DEP_1) | instskip(NEXT) | instid1(VALU_DEP_3)
	v_cvt_f16_f32_e32 v5, v5
	v_add_co_u32 v7, s2, s12, v7
	s_delay_alu instid0(VALU_DEP_1)
	v_add_co_ci_u32_e64 v8, s2, s13, v8, s2
	global_store_b16 v[7:8], v5, off
	s_or_b32 exec_lo, exec_lo, s15
	v_add_nc_u32_e32 v58, s19, v58
	s_and_saveexec_b32 s15, vcc_lo
	s_cbranch_execz .LBB133_40
.LBB133_55:                             ;   in Loop: Header=BB133_12 Depth=1
	s_waitcnt lgkmcnt(6)
	v_add_f32_e32 v0, v0, v2
	s_waitcnt vmcnt(5)
	v_cvt_f32_f16_e32 v2, v25
	v_lshlrev_b64 v[7:8], 1, v[58:59]
	s_delay_alu instid0(VALU_DEP_2) | instskip(NEXT) | instid1(VALU_DEP_2)
	v_add_f32_e32 v0, v0, v2
	v_add_co_u32 v7, s2, s12, v7
	s_delay_alu instid0(VALU_DEP_1) | instskip(NEXT) | instid1(VALU_DEP_3)
	v_add_co_ci_u32_e64 v8, s2, s13, v8, s2
	v_cvt_f16_f32_e32 v0, v0
	global_store_b16 v[7:8], v0, off
	s_or_b32 exec_lo, exec_lo, s15
	s_and_saveexec_b32 s15, s1
	s_cbranch_execz .LBB133_41
.LBB133_56:                             ;   in Loop: Header=BB133_12 Depth=1
	s_waitcnt lgkmcnt(5)
	v_dual_add_f32 v0, v17, v19 :: v_dual_add_nc_u32 v7, 1, v58
	v_mov_b32_e32 v8, v59
	s_waitcnt vmcnt(4)
	v_cvt_f32_f16_e32 v2, v24
	s_delay_alu instid0(VALU_DEP_2) | instskip(NEXT) | instid1(VALU_DEP_2)
	v_lshlrev_b64 v[7:8], 1, v[7:8]
	v_add_f32_e32 v0, v0, v2
	s_delay_alu instid0(VALU_DEP_1) | instskip(NEXT) | instid1(VALU_DEP_3)
	v_cvt_f16_f32_e32 v0, v0
	v_add_co_u32 v7, s2, s12, v7
	s_delay_alu instid0(VALU_DEP_1)
	v_add_co_ci_u32_e64 v8, s2, s13, v8, s2
	global_store_b16 v[7:8], v0, off
	s_or_b32 exec_lo, exec_lo, s15
	v_add_nc_u32_e32 v58, s19, v58
	s_and_saveexec_b32 s15, vcc_lo
	s_cbranch_execz .LBB133_42
.LBB133_57:                             ;   in Loop: Header=BB133_12 Depth=1
	s_waitcnt lgkmcnt(2)
	v_add_f32_e32 v0, v13, v15
	s_waitcnt vmcnt(3)
	v_cvt_f32_f16_e32 v2, v23
	v_lshlrev_b64 v[7:8], 1, v[58:59]
	s_delay_alu instid0(VALU_DEP_2) | instskip(NEXT) | instid1(VALU_DEP_2)
	v_add_f32_e32 v0, v0, v2
	v_add_co_u32 v7, s2, s12, v7
	s_delay_alu instid0(VALU_DEP_1) | instskip(NEXT) | instid1(VALU_DEP_3)
	v_add_co_ci_u32_e64 v8, s2, s13, v8, s2
	v_cvt_f16_f32_e32 v0, v0
	global_store_b16 v[7:8], v0, off
	s_or_b32 exec_lo, exec_lo, s15
	s_and_saveexec_b32 s15, s1
	s_cbranch_execz .LBB133_43
.LBB133_58:                             ;   in Loop: Header=BB133_12 Depth=1
	s_waitcnt lgkmcnt(1)
	v_dual_add_f32 v0, v9, v11 :: v_dual_add_nc_u32 v7, 1, v58
	v_mov_b32_e32 v8, v59
	s_waitcnt vmcnt(2)
	v_cvt_f32_f16_e32 v2, v22
	s_delay_alu instid0(VALU_DEP_2) | instskip(NEXT) | instid1(VALU_DEP_2)
	v_lshlrev_b64 v[7:8], 1, v[7:8]
	v_add_f32_e32 v0, v0, v2
	s_delay_alu instid0(VALU_DEP_1) | instskip(NEXT) | instid1(VALU_DEP_3)
	v_cvt_f16_f32_e32 v0, v0
	v_add_co_u32 v7, s2, s12, v7
	s_delay_alu instid0(VALU_DEP_1)
	v_add_co_ci_u32_e64 v8, s2, s13, v8, s2
	global_store_b16 v[7:8], v0, off
	s_or_b32 exec_lo, exec_lo, s15
	v_add_nc_u32_e32 v58, s19, v58
	s_and_saveexec_b32 s2, vcc_lo
	s_cbranch_execz .LBB133_44
.LBB133_59:                             ;   in Loop: Header=BB133_12 Depth=1
	s_waitcnt lgkmcnt(0)
	v_add_f32_e32 v0, v4, v6
	s_waitcnt vmcnt(1)
	v_cvt_f32_f16_e32 v2, v21
	v_lshlrev_b64 v[4:5], 1, v[58:59]
	s_delay_alu instid0(VALU_DEP_2) | instskip(NEXT) | instid1(VALU_DEP_2)
	v_add_f32_e32 v0, v0, v2
	v_add_co_u32 v4, vcc_lo, s12, v4
	s_delay_alu instid0(VALU_DEP_3) | instskip(NEXT) | instid1(VALU_DEP_3)
	v_add_co_ci_u32_e32 v5, vcc_lo, s13, v5, vcc_lo
	v_cvt_f16_f32_e32 v0, v0
	global_store_b16 v[4:5], v0, off
	s_or_b32 exec_lo, exec_lo, s2
	s_delay_alu instid0(SALU_CYCLE_1)
	s_and_b32 exec_lo, exec_lo, s1
	s_cbranch_execnz .LBB133_45
	s_branch .LBB133_46
.LBB133_60:
	s_nop 0
	s_sendmsg sendmsg(MSG_DEALLOC_VGPRS)
	s_endpgm
	.section	.rodata,"a",@progbits
	.p2align	6, 0x0
	.amdhsa_kernel _Z16wvSplitK_hf_big_I6__halfLi32ELi2ELi16ELi8ELi2ELi5EEviiiiiiPKT_S3_S3_PS1_ii
		.amdhsa_group_segment_fixed_size 65536
		.amdhsa_private_segment_fixed_size 0
		.amdhsa_kernarg_size 64
		.amdhsa_user_sgpr_count 15
		.amdhsa_user_sgpr_dispatch_ptr 0
		.amdhsa_user_sgpr_queue_ptr 0
		.amdhsa_user_sgpr_kernarg_segment_ptr 1
		.amdhsa_user_sgpr_dispatch_id 0
		.amdhsa_user_sgpr_private_segment_size 0
		.amdhsa_wavefront_size32 1
		.amdhsa_uses_dynamic_stack 0
		.amdhsa_enable_private_segment 0
		.amdhsa_system_sgpr_workgroup_id_x 1
		.amdhsa_system_sgpr_workgroup_id_y 0
		.amdhsa_system_sgpr_workgroup_id_z 0
		.amdhsa_system_sgpr_workgroup_info 0
		.amdhsa_system_vgpr_workitem_id 1
		.amdhsa_next_free_vgpr 88
		.amdhsa_next_free_sgpr 45
		.amdhsa_reserve_vcc 1
		.amdhsa_float_round_mode_32 0
		.amdhsa_float_round_mode_16_64 0
		.amdhsa_float_denorm_mode_32 3
		.amdhsa_float_denorm_mode_16_64 3
		.amdhsa_dx10_clamp 1
		.amdhsa_ieee_mode 1
		.amdhsa_fp16_overflow 0
		.amdhsa_workgroup_processor_mode 1
		.amdhsa_memory_ordered 1
		.amdhsa_forward_progress 0
		.amdhsa_shared_vgpr_count 0
		.amdhsa_exception_fp_ieee_invalid_op 0
		.amdhsa_exception_fp_denorm_src 0
		.amdhsa_exception_fp_ieee_div_zero 0
		.amdhsa_exception_fp_ieee_overflow 0
		.amdhsa_exception_fp_ieee_underflow 0
		.amdhsa_exception_fp_ieee_inexact 0
		.amdhsa_exception_int_div_zero 0
	.end_amdhsa_kernel
	.section	.text._Z16wvSplitK_hf_big_I6__halfLi32ELi2ELi16ELi8ELi2ELi5EEviiiiiiPKT_S3_S3_PS1_ii,"axG",@progbits,_Z16wvSplitK_hf_big_I6__halfLi32ELi2ELi16ELi8ELi2ELi5EEviiiiiiPKT_S3_S3_PS1_ii,comdat
.Lfunc_end133:
	.size	_Z16wvSplitK_hf_big_I6__halfLi32ELi2ELi16ELi8ELi2ELi5EEviiiiiiPKT_S3_S3_PS1_ii, .Lfunc_end133-_Z16wvSplitK_hf_big_I6__halfLi32ELi2ELi16ELi8ELi2ELi5EEviiiiiiPKT_S3_S3_PS1_ii
                                        ; -- End function
	.section	.AMDGPU.csdata,"",@progbits
; Kernel info:
; codeLenInByte = 6376
; NumSgprs: 47
; NumVgprs: 88
; ScratchSize: 0
; MemoryBound: 0
; FloatMode: 240
; IeeeMode: 1
; LDSByteSize: 65536 bytes/workgroup (compile time only)
; SGPRBlocks: 5
; VGPRBlocks: 10
; NumSGPRsForWavesPerEU: 47
; NumVGPRsForWavesPerEU: 88
; Occupancy: 8
; WaveLimiterHint : 0
; COMPUTE_PGM_RSRC2:SCRATCH_EN: 0
; COMPUTE_PGM_RSRC2:USER_SGPR: 15
; COMPUTE_PGM_RSRC2:TRAP_HANDLER: 0
; COMPUTE_PGM_RSRC2:TGID_X_EN: 1
; COMPUTE_PGM_RSRC2:TGID_Y_EN: 0
; COMPUTE_PGM_RSRC2:TGID_Z_EN: 0
; COMPUTE_PGM_RSRC2:TIDIG_COMP_CNT: 1
	.section	.text._Z16wvSplitK_hf_sml_I6__halfLi32ELi3ELi16ELi8ELi2ELi5EEviiiiiiPKT_S3_S3_PS1_ii,"axG",@progbits,_Z16wvSplitK_hf_sml_I6__halfLi32ELi3ELi16ELi8ELi2ELi5EEviiiiiiPKT_S3_S3_PS1_ii,comdat
	.protected	_Z16wvSplitK_hf_sml_I6__halfLi32ELi3ELi16ELi8ELi2ELi5EEviiiiiiPKT_S3_S3_PS1_ii ; -- Begin function _Z16wvSplitK_hf_sml_I6__halfLi32ELi3ELi16ELi8ELi2ELi5EEviiiiiiPKT_S3_S3_PS1_ii
	.globl	_Z16wvSplitK_hf_sml_I6__halfLi32ELi3ELi16ELi8ELi2ELi5EEviiiiiiPKT_S3_S3_PS1_ii
	.p2align	8
	.type	_Z16wvSplitK_hf_sml_I6__halfLi32ELi3ELi16ELi8ELi2ELi5EEviiiiiiPKT_S3_S3_PS1_ii,@function
_Z16wvSplitK_hf_sml_I6__halfLi32ELi3ELi16ELi8ELi2ELi5EEviiiiiiPKT_S3_S3_PS1_ii: ; @_Z16wvSplitK_hf_sml_I6__halfLi32ELi3ELi16ELi8ELi2ELi5EEviiiiiiPKT_S3_S3_PS1_ii
; %bb.0:
	s_load_b128 s[4:7], s[0:1], 0x0
	v_and_b32_e32 v1, 0x3ff, v0
	v_bfe_u32 v0, v0, 10, 10
	s_mov_b32 s8, exec_lo
	s_delay_alu instid0(VALU_DEP_2) | instskip(NEXT) | instid1(VALU_DEP_1)
	v_lshlrev_b32_e32 v76, 3, v1
	v_lshl_add_u32 v3, v0, 8, v76
	s_waitcnt lgkmcnt(0)
	s_mul_i32 s2, s6, 5
	s_delay_alu instid0(SALU_CYCLE_1)
	s_min_u32 s9, s2, 0x8000
	s_delay_alu instid0(VALU_DEP_1) | instid1(SALU_CYCLE_1)
	v_cmpx_gt_u32_e64 s9, v3
	s_cbranch_execz .LBB134_9
; %bb.1:
	s_load_b64 s[2:3], s[0:1], 0x20
	v_lshlrev_b32_e32 v2, 1, v3
	v_add_nc_u32_e32 v8, 0x1000, v3
	s_mov_b32 s10, exec_lo
	s_waitcnt lgkmcnt(0)
	global_load_b128 v[4:7], v2, s[2:3]
	s_waitcnt vmcnt(0)
	ds_store_b128 v2, v[4:7]
	v_cmpx_gt_u32_e64 s9, v8
	s_xor_b32 s10, exec_lo, s10
	s_cbranch_execz .LBB134_9
; %bb.2:
	v_add_co_u32 v4, s2, s2, v2
	s_delay_alu instid0(VALU_DEP_1) | instskip(SKIP_1) | instid1(VALU_DEP_3)
	v_add_co_ci_u32_e64 v5, null, s3, 0, s2
	v_add_nc_u32_e32 v10, 0x2000, v3
	v_add_co_u32 v6, vcc_lo, 0x2000, v4
	s_delay_alu instid0(VALU_DEP_3)
	v_add_co_ci_u32_e32 v7, vcc_lo, 0, v5, vcc_lo
	s_mov_b32 s2, exec_lo
	global_load_b128 v[6:9], v[6:7], off
	s_waitcnt vmcnt(0)
	ds_store_b128 v2, v[6:9] offset:8192
	v_cmpx_gt_u32_e64 s9, v10
	s_xor_b32 s2, exec_lo, s2
	s_cbranch_execz .LBB134_9
; %bb.3:
	v_add_co_u32 v6, vcc_lo, 0x4000, v4
	v_add_co_ci_u32_e32 v7, vcc_lo, 0, v5, vcc_lo
	v_add_nc_u32_e32 v10, 0x3000, v3
	s_mov_b32 s2, exec_lo
	global_load_b128 v[6:9], v[6:7], off
	s_waitcnt vmcnt(0)
	ds_store_b128 v2, v[6:9] offset:16384
	v_cmpx_gt_u32_e64 s9, v10
	s_xor_b32 s2, exec_lo, s2
	s_cbranch_execz .LBB134_9
; %bb.4:
	v_add_co_u32 v6, vcc_lo, 0x6000, v4
	v_add_co_ci_u32_e32 v7, vcc_lo, 0, v5, vcc_lo
	v_add_nc_u32_e32 v10, 0x4000, v3
	;; [unrolled: 11-line block ×5, first 2 shown]
	s_mov_b32 s2, exec_lo
	global_load_b128 v[6:9], v[6:7], off
	s_waitcnt vmcnt(0)
	ds_store_b128 v2, v[6:9] offset:49152
	v_cmpx_gt_u32_e64 s9, v3
	s_xor_b32 s2, exec_lo, s2
	s_cbranch_execz .LBB134_9
; %bb.8:
	v_add_co_u32 v3, vcc_lo, 0xe000, v4
	v_add_co_ci_u32_e32 v4, vcc_lo, 0, v5, vcc_lo
	global_load_b128 v[3:6], v[3:4], off
	s_waitcnt vmcnt(0)
	ds_store_b128 v2, v[3:6] offset:57344
.LBB134_9:
	s_or_b32 exec_lo, exec_lo, s8
	s_load_b64 s[16:17], s[0:1], 0x38
	s_waitcnt lgkmcnt(0)
	s_barrier
	buffer_gl0_inv
	s_mov_b32 s2, exec_lo
	v_cmpx_gt_u32_e64 s16, v0
	s_cbranch_execz .LBB134_26
; %bb.10:
	s_load_b64 s[2:3], s[0:1], 0x10
	v_mad_u64_u32 v[2:3], null, s15, s16, v[0:1]
	s_delay_alu instid0(VALU_DEP_1) | instskip(NEXT) | instid1(VALU_DEP_1)
	v_lshl_add_u32 v56, v2, 1, v2
	v_cmp_gt_u32_e32 vcc_lo, s7, v56
	s_and_b32 exec_lo, exec_lo, vcc_lo
	s_cbranch_execz .LBB134_26
; %bb.11:
	s_clause 0x1
	s_load_b128 s[8:11], s[0:1], 0x28
	s_load_b64 s[12:13], s[0:1], 0x18
	s_cmp_lg_u32 s4, 0
	s_waitcnt lgkmcnt(0)
	v_cvt_f32_u32_e32 v2, s2
	s_cselect_b32 s1, -1, 0
	s_add_i32 s14, s4, -8
	s_add_i32 s15, s7, -1
	s_mul_i32 s17, s16, s17
	v_mbcnt_lo_u32_b32 v78, -1, 0
	s_mul_i32 s17, s17, 3
	v_lshlrev_b32_e32 v77, 4, v1
	s_cmp_lg_u64 s[8:9], 0
	s_cselect_b32 s18, -1, 0
	s_abs_i32 s21, s3
	s_sub_i32 s19, 0, s2
	v_cvt_f32_u32_e32 v0, s21
	s_sub_i32 s3, 0, s21
	s_sub_i32 s20, 1, s21
	s_delay_alu instid0(VALU_DEP_1) | instskip(SKIP_2) | instid1(VALU_DEP_1)
	v_rcp_iflag_f32_e32 v0, v0
	s_waitcnt_depctr 0xfff
	v_mul_f32_e32 v0, 0x4f7ffffe, v0
	v_cvt_u32_f32_e32 v0, v0
	s_delay_alu instid0(VALU_DEP_1) | instskip(SKIP_1) | instid1(VALU_DEP_1)
	v_readfirstlane_b32 s0, v0
	v_rcp_iflag_f32_e32 v0, v2
	s_mul_i32 s3, s3, s0
	s_delay_alu instid0(SALU_CYCLE_1) | instskip(NEXT) | instid1(SALU_CYCLE_1)
	s_mul_hi_u32 s3, s0, s3
	s_add_i32 s22, s0, s3
	s_cmp_lt_u32 s21, 2
	s_waitcnt_depctr 0xfff
	v_mul_f32_e32 v0, 0x4f7ffffe, v0
	s_cselect_b32 s0, s20, 1
	s_mov_b32 s3, 0
	s_sub_i32 s16, s0, s21
	s_cmp_ge_u32 s0, s21
	v_cvt_u32_f32_e32 v0, v0
	s_cselect_b32 s20, s16, s0
	s_lshr_b32 s16, s22, 31
	v_cmp_eq_u32_e64 s0, 31, v1
	s_mul_i32 s16, s16, s21
	v_mul_lo_u32 v1, s19, v0
	s_sub_i32 s16, 2, s16
	s_mul_hi_u32 s19, s22, 3
	s_sub_i32 s23, s16, s21
	s_cmp_ge_u32 s16, s21
	s_mul_i32 s19, s19, s21
	s_cselect_b32 s16, s23, s16
	s_delay_alu instid0(SALU_CYCLE_1)
	s_sub_i32 s23, s16, s21
	s_cmp_ge_u32 s16, s21
	v_mul_hi_u32 v1, v0, v1
	s_cselect_b32 s23, s23, s16
	s_sub_i32 s19, 3, s19
	v_mov_b32_e32 v58, 0
	s_sub_i32 s24, s19, s21
	s_cmp_ge_u32 s19, s21
	s_mul_i32 s16, s6, 6
	s_cselect_b32 s19, s24, s19
	v_add_nc_u32_e32 v79, v0, v1
	s_sub_i32 s24, s19, s21
	s_cmp_ge_u32 s19, s21
	s_cselect_b32 s24, s24, s19
	s_lshr_b32 s19, s22, 30
	s_delay_alu instid0(SALU_CYCLE_1) | instskip(NEXT) | instid1(SALU_CYCLE_1)
	s_mul_i32 s19, s19, s21
	s_sub_i32 s22, 4, s19
	s_mul_i32 s19, s20, s2
	s_sub_i32 s25, s22, s21
	s_cmp_ge_u32 s22, s21
	s_mul_i32 s20, s23, s2
	s_cselect_b32 s22, s25, s22
	s_delay_alu instid0(SALU_CYCLE_1)
	s_sub_i32 s23, s22, s21
	s_cmp_ge_u32 s22, s21
	s_mul_i32 s21, s24, s2
	s_cselect_b32 s24, s23, s22
	s_lshl_b32 s22, s6, 3
	s_lshl_b32 s23, s6, 2
	s_mul_i32 s24, s24, s2
	s_lshl_b32 s6, s6, 1
	s_branch .LBB134_14
.LBB134_12:                             ;   in Loop: Header=BB134_14 Depth=1
	s_waitcnt lgkmcnt(13)
	v_dual_add_f32 v0, v0, v5 :: v_dual_add_f32 v5, v1, v6
	s_waitcnt vmcnt(14)
	v_cvt_f32_f16_e32 v1, v44
	s_waitcnt lgkmcnt(11)
	v_dual_add_f32 v6, v2, v7 :: v_dual_add_f32 v7, v3, v8
	s_waitcnt vmcnt(13)
	v_cvt_f32_f16_e32 v3, v43
	s_waitcnt lgkmcnt(8)
	v_add_f32_e32 v8, v14, v17
	v_add_f32_e32 v2, v0, v1
	v_lshlrev_b64 v[0:1], 1, v[56:57]
	v_add_nc_u32_e32 v57, s7, v56
	v_dual_add_f32 v5, v5, v3 :: v_dual_add_f32 v4, v4, v9
	v_add_f32_e32 v9, v15, v18
	v_cvt_f16_f32_e32 v17, v2
	v_lshlrev_b64 v[2:3], 1, v[61:62]
	v_add_co_u32 v0, vcc_lo, s10, v0
	v_add_co_ci_u32_e32 v1, vcc_lo, s11, v1, vcc_lo
	v_cvt_f16_f32_e32 v5, v5
	s_delay_alu instid0(VALU_DEP_4)
	v_add_co_u32 v2, vcc_lo, s10, v2
	s_waitcnt vmcnt(12)
	v_cvt_f32_f16_e32 v18, v42
	v_add_co_ci_u32_e32 v3, vcc_lo, s11, v3, vcc_lo
	global_store_b16 v[0:1], v17, off
	v_lshlrev_b64 v[0:1], 1, v[59:60]
	v_add_f32_e32 v6, v6, v18
	global_store_b16 v[2:3], v5, off
	s_waitcnt vmcnt(11)
	v_cvt_f32_f16_e32 v2, v41
	s_waitcnt lgkmcnt(5)
	v_dual_add_f32 v14, v16, v19 :: v_dual_add_f32 v11, v11, v13
	v_add_co_u32 v0, vcc_lo, s10, v0
	v_cvt_f16_f32_e32 v5, v6
	v_add_co_ci_u32_e32 v1, vcc_lo, s11, v1, vcc_lo
	v_add_f32_e32 v6, v7, v2
	s_waitcnt vmcnt(10)
	v_cvt_f32_f16_e32 v7, v40
	s_waitcnt lgkmcnt(0)
	v_dual_add_f32 v18, v20, v21 :: v_dual_mov_b32 v3, v58
	global_store_b16 v[0:1], v5, off
	v_mov_b32_e32 v5, v58
	v_cvt_f16_f32_e32 v17, v6
	v_add_f32_e32 v6, v4, v7
	s_waitcnt vmcnt(9)
	v_cvt_f32_f16_e32 v7, v38
	v_lshlrev_b64 v[0:1], 1, v[57:58]
	s_waitcnt vmcnt(7)
	v_cvt_f32_f16_e32 v20, v34
	v_add_nc_u32_e32 v4, 2, v57
	v_cvt_f16_f32_e32 v19, v6
	v_add_f32_e32 v6, v8, v7
	v_add_f32_e32 v16, v22, v24
	v_add_co_u32 v0, vcc_lo, s10, v0
	v_lshlrev_b64 v[4:5], 1, v[4:5]
	s_delay_alu instid0(VALU_DEP_4) | instskip(SKIP_4) | instid1(VALU_DEP_4)
	v_cvt_f16_f32_e32 v8, v6
	v_cvt_f32_f16_e32 v6, v36
	v_add_nc_u32_e32 v2, 1, v57
	v_add_co_ci_u32_e32 v1, vcc_lo, s11, v1, vcc_lo
	v_add_nc_u32_e32 v57, s7, v57
	v_add_f32_e32 v9, v9, v6
	s_delay_alu instid0(VALU_DEP_4)
	v_lshlrev_b64 v[2:3], 1, v[2:3]
	v_mov_b32_e32 v7, v58
	v_dual_add_f32 v10, v10, v12 :: v_dual_add_f32 v13, v27, v29
	v_add_nc_u32_e32 v6, 1, v57
	v_dual_add_f32 v12, v26, v28 :: v_dual_add_f32 v15, v23, v25
	v_add_co_u32 v2, vcc_lo, s10, v2
	v_add_co_ci_u32_e32 v3, vcc_lo, s11, v3, vcc_lo
	v_add_co_u32 v4, vcc_lo, s10, v4
	v_add_co_ci_u32_e32 v5, vcc_lo, s11, v5, vcc_lo
	s_clause 0x2
	global_store_b16 v[0:1], v17, off
	global_store_b16 v[2:3], v19, off
	;; [unrolled: 1-line block ×3, first 2 shown]
	v_lshlrev_b64 v[0:1], 1, v[57:58]
	v_dual_mov_b32 v5, v58 :: v_dual_add_nc_u32 v4, 2, v57
	v_lshlrev_b64 v[2:3], 1, v[6:7]
	v_cvt_f16_f32_e32 v8, v9
	v_add_f32_e32 v9, v14, v20
	s_waitcnt vmcnt(6)
	v_cvt_f32_f16_e32 v6, v39
	v_add_co_u32 v0, vcc_lo, s10, v0
	v_lshlrev_b64 v[4:5], 1, v[4:5]
	v_add_co_ci_u32_e32 v1, vcc_lo, s11, v1, vcc_lo
	v_cvt_f16_f32_e32 v7, v9
	v_add_co_u32 v2, vcc_lo, s10, v2
	s_waitcnt vmcnt(5)
	v_cvt_f32_f16_e32 v9, v37
	v_add_f32_e32 v6, v10, v6
	v_add_co_ci_u32_e32 v3, vcc_lo, s11, v3, vcc_lo
	v_add_co_u32 v4, vcc_lo, s10, v4
	s_delay_alu instid0(VALU_DEP_4)
	v_add_f32_e32 v9, v11, v9
	s_waitcnt vmcnt(4)
	v_cvt_f32_f16_e32 v10, v35
	v_cvt_f16_f32_e32 v6, v6
	v_add_co_ci_u32_e32 v5, vcc_lo, s11, v5, vcc_lo
	v_add_nc_u32_e32 v57, s7, v57
	s_clause 0x2
	global_store_b16 v[0:1], v8, off
	global_store_b16 v[2:3], v7, off
	;; [unrolled: 1-line block ×3, first 2 shown]
	v_add_f32_e32 v4, v12, v10
	s_waitcnt vmcnt(3)
	v_cvt_f32_f16_e32 v5, v33
	v_dual_mov_b32 v3, v58 :: v_dual_add_nc_u32 v2, 1, v57
	s_waitcnt vmcnt(2)
	v_cvt_f32_f16_e32 v7, v32
	v_lshlrev_b64 v[0:1], 1, v[57:58]
	v_cvt_f16_f32_e32 v12, v4
	v_add_nc_u32_e32 v4, 2, v57
	s_waitcnt vmcnt(0)
	v_cvt_f32_f16_e32 v11, v30
	v_dual_add_f32 v6, v13, v5 :: v_dual_mov_b32 v5, v58
	v_dual_add_f32 v8, v15, v7 :: v_dual_add_nc_u32 v57, s7, v57
	v_mov_b32_e32 v7, v58
	v_lshlrev_b64 v[2:3], 1, v[2:3]
	v_cvt_f32_f16_e32 v10, v31
	v_add_co_u32 v0, vcc_lo, s10, v0
	v_lshlrev_b64 v[4:5], 1, v[4:5]
	v_add_f32_e32 v17, v18, v11
	v_cvt_f16_f32_e32 v13, v6
	v_add_nc_u32_e32 v6, 1, v57
	v_add_co_ci_u32_e32 v1, vcc_lo, s11, v1, vcc_lo
	v_cvt_f16_f32_e32 v14, v9
	v_add_co_u32 v2, vcc_lo, s10, v2
	v_cvt_f16_f32_e32 v15, v8
	v_lshlrev_b64 v[8:9], 1, v[57:58]
	v_dual_add_f32 v10, v16, v10 :: v_dual_add_nc_u32 v57, 2, v57
	v_add_co_ci_u32_e32 v3, vcc_lo, s11, v3, vcc_lo
	v_add_co_u32 v4, vcc_lo, s10, v4
	v_lshlrev_b64 v[6:7], 1, v[6:7]
	v_add_co_ci_u32_e32 v5, vcc_lo, s11, v5, vcc_lo
	v_add_co_u32 v8, vcc_lo, s10, v8
	v_cvt_f16_f32_e32 v16, v10
	v_lshlrev_b64 v[10:11], 1, v[57:58]
	v_add_co_ci_u32_e32 v9, vcc_lo, s11, v9, vcc_lo
	v_add_co_u32 v6, vcc_lo, s10, v6
	v_add_co_ci_u32_e32 v7, vcc_lo, s11, v7, vcc_lo
	s_delay_alu instid0(VALU_DEP_4)
	v_add_co_u32 v10, vcc_lo, s10, v10
	v_cvt_f16_f32_e32 v17, v17
	v_add_co_ci_u32_e32 v11, vcc_lo, s11, v11, vcc_lo
	s_clause 0x5
	global_store_b16 v[0:1], v14, off
	global_store_b16 v[2:3], v12, off
	;; [unrolled: 1-line block ×6, first 2 shown]
.LBB134_13:                             ;   in Loop: Header=BB134_14 Depth=1
	s_or_b32 exec_lo, exec_lo, s25
	v_add_nc_u32_e32 v56, s17, v56
	s_delay_alu instid0(VALU_DEP_1) | instskip(SKIP_1) | instid1(SALU_CYCLE_1)
	v_cmp_le_u32_e32 vcc_lo, s7, v56
	s_or_b32 s3, vcc_lo, s3
	s_and_not1_b32 exec_lo, exec_lo, s3
	s_cbranch_execz .LBB134_26
.LBB134_14:                             ; =>This Loop Header: Depth=1
                                        ;     Child Loop BB134_18 Depth 2
	v_dual_mov_b32 v92, v58 :: v_dual_add_nc_u32 v61, 1, v56
	v_dual_mov_b32 v90, v58 :: v_dual_add_nc_u32 v59, 2, v56
	v_mov_b32_e32 v93, v58
	v_mov_b32_e32 v91, v58
	;; [unrolled: 1-line block ×13, first 2 shown]
	s_and_not1_b32 vcc_lo, exec_lo, s1
	s_cbranch_vccnz .LBB134_21
; %bb.15:                               ;   in Loop: Header=BB134_14 Depth=1
	v_min_u32_e32 v0, s15, v56
	v_min_u32_e32 v1, s15, v61
	v_min_u32_e32 v2, s15, v59
	v_dual_mov_b32 v3, v58 :: v_dual_mov_b32 v94, v77
	s_delay_alu instid0(VALU_DEP_4) | instskip(NEXT) | instid1(VALU_DEP_4)
	v_mul_lo_u32 v57, v0, s5
	v_mul_lo_u32 v0, v1, s5
	s_delay_alu instid0(VALU_DEP_4) | instskip(SKIP_4) | instid1(VALU_DEP_4)
	v_mul_lo_u32 v2, v2, s5
	v_dual_mov_b32 v1, v58 :: v_dual_mov_b32 v84, 0
	v_dual_mov_b32 v85, 0 :: v_dual_mov_b32 v86, 0
	v_dual_mov_b32 v87, 0 :: v_dual_mov_b32 v82, 0
	v_lshlrev_b64 v[62:63], 1, v[57:58]
	v_lshlrev_b64 v[64:65], 1, v[0:1]
	;; [unrolled: 1-line block ×3, first 2 shown]
	v_dual_mov_b32 v83, 0 :: v_dual_mov_b32 v80, 0
	v_dual_mov_b32 v81, 0 :: v_dual_mov_b32 v60, 0
	;; [unrolled: 1-line block ×5, first 2 shown]
	s_mov_b32 s25, 0
	s_branch .LBB134_18
.LBB134_16:                             ;   in Loop: Header=BB134_18 Depth=2
	s_or_b32 exec_lo, exec_lo, s27
.LBB134_17:                             ;   in Loop: Header=BB134_18 Depth=2
	s_delay_alu instid0(SALU_CYCLE_1)
	s_or_b32 exec_lo, exec_lo, s26
	s_waitcnt vmcnt(5) lgkmcnt(1)
	;;#ASMSTART
	v_dot2_f32_f16 v93, v52, v32, v93
	;;#ASMEND
	s_waitcnt vmcnt(4)
	;;#ASMSTART
	v_dot2_f32_f16 v92, v52, v28, v92
	;;#ASMEND
	s_waitcnt vmcnt(3)
	;;#ASMSTART
	v_dot2_f32_f16 v91, v52, v24, v91
	;;#ASMEND
	;;#ASMSTART
	v_dot2_f32_f16 v90, v48, v32, v90
	;;#ASMEND
	;; [unrolled: 3-line block ×10, first 2 shown]
	s_waitcnt lgkmcnt(0)
	;;#ASMSTART
	v_dot2_f32_f16 v81, v40, v32, v81
	;;#ASMEND
	;;#ASMSTART
	v_dot2_f32_f16 v80, v40, v28, v80
	;;#ASMEND
	;; [unrolled: 3-line block ×33, first 2 shown]
	v_add_nc_u32_e32 v94, 0x400, v94
	;;#ASMSTART
	v_dot2_f32_f16 v93, v55, v35, v93
	;;#ASMEND
	;;#ASMSTART
	v_dot2_f32_f16 v92, v55, v31, v92
	;;#ASMEND
	;; [unrolled: 3-line block ×15, first 2 shown]
	s_addk_i32 s25, 0x200
	s_waitcnt vmcnt(2)
	;;#ASMSTART
	v_dot2_f32_f16 v93, v36, v8, v93
	;;#ASMEND
	s_waitcnt vmcnt(1)
	;;#ASMSTART
	v_dot2_f32_f16 v92, v36, v4, v92
	;;#ASMEND
	;; [unrolled: 4-line block ×3, first 2 shown]
	;;#ASMSTART
	v_dot2_f32_f16 v90, v20, v8, v90
	;;#ASMEND
	;;#ASMSTART
	v_dot2_f32_f16 v89, v20, v4, v89
	;;#ASMEND
	;; [unrolled: 3-line block ×27, first 2 shown]
	s_cmp_ge_u32 s25, s4
	;;#ASMSTART
	v_dot2_f32_f16 v93, v38, v10, v93
	;;#ASMEND
	;;#ASMSTART
	v_dot2_f32_f16 v92, v38, v6, v92
	;;#ASMEND
	;; [unrolled: 3-line block ×30, first 2 shown]
	s_cbranch_scc1 .LBB134_21
.LBB134_18:                             ;   Parent Loop BB134_14 Depth=1
                                        ; =>  This Inner Loop Header: Depth=2
	v_dual_mov_b32 v53, 0 :: v_dual_add_nc_u32 v16, s25, v76
	v_dual_mov_b32 v54, 0 :: v_dual_mov_b32 v55, 0
	v_dual_mov_b32 v36, 0 :: v_dual_mov_b32 v37, 0
	s_delay_alu instid0(VALU_DEP_3) | instskip(SKIP_2) | instid1(VALU_DEP_3)
	v_min_u32_e32 v57, s14, v16
	v_dual_mov_b32 v52, 0 :: v_dual_add_nc_u32 v95, 0x100, v16
	v_dual_mov_b32 v38, 0 :: v_dual_mov_b32 v39, 0
	v_lshlrev_b64 v[0:1], 1, v[57:58]
	s_delay_alu instid0(VALU_DEP_3) | instskip(SKIP_3) | instid1(VALU_DEP_4)
	v_min_u32_e32 v57, s14, v95
	v_dual_mov_b32 v48, 0 :: v_dual_mov_b32 v49, 0
	v_dual_mov_b32 v50, 0 :: v_dual_mov_b32 v51, 0
	s_waitcnt lgkmcnt(13)
	v_add_co_u32 v6, vcc_lo, s12, v0
	s_waitcnt lgkmcnt(12)
	v_add_co_ci_u32_e32 v7, vcc_lo, s13, v1, vcc_lo
	v_lshlrev_b64 v[0:1], 1, v[57:58]
	s_delay_alu instid0(VALU_DEP_3) | instskip(NEXT) | instid1(VALU_DEP_3)
	v_add_co_u32 v2, vcc_lo, v6, v62
	v_add_co_ci_u32_e32 v3, vcc_lo, v7, v63, vcc_lo
	v_add_co_u32 v4, vcc_lo, v6, v64
	v_add_co_ci_u32_e32 v5, vcc_lo, v7, v65, vcc_lo
	s_waitcnt lgkmcnt(11)
	v_add_co_u32 v8, vcc_lo, s12, v0
	s_waitcnt lgkmcnt(10)
	v_add_co_ci_u32_e32 v9, vcc_lo, s13, v1, vcc_lo
	v_add_co_u32 v0, vcc_lo, v6, v66
	v_add_co_ci_u32_e32 v1, vcc_lo, v7, v67, vcc_lo
	v_add_co_u32 v6, vcc_lo, v8, v62
	s_delay_alu instid0(VALU_DEP_4)
	v_add_co_ci_u32_e32 v7, vcc_lo, v9, v63, vcc_lo
	s_waitcnt lgkmcnt(7)
	v_add_co_u32 v12, vcc_lo, v8, v64
	s_waitcnt lgkmcnt(5)
	v_add_co_ci_u32_e32 v13, vcc_lo, v9, v65, vcc_lo
	v_add_co_u32 v14, vcc_lo, v8, v66
	v_add_co_ci_u32_e32 v15, vcc_lo, v9, v67, vcc_lo
	global_load_b128 v[32:35], v[2:3], off slc dlc
	s_waitcnt lgkmcnt(1)
	s_clause 0x4
	global_load_b128 v[28:31], v[4:5], off slc dlc
	global_load_b128 v[24:27], v[0:1], off slc dlc
	;; [unrolled: 1-line block ×5, first 2 shown]
	v_cmp_gt_u32_e32 vcc_lo, s4, v16
	s_waitcnt lgkmcnt(0)
	v_dual_mov_b32 v20, 0 :: v_dual_mov_b32 v21, 0
	v_dual_mov_b32 v22, 0 :: v_dual_mov_b32 v23, 0
	;; [unrolled: 1-line block ×14, first 2 shown]
	s_and_saveexec_b32 s26, vcc_lo
	s_cbranch_execz .LBB134_17
; %bb.19:                               ;   in Loop: Header=BB134_18 Depth=2
	v_dual_mov_b32 v15, 0 :: v_dual_add_nc_u32 v98, s6, v94
	v_dual_mov_b32 v13, 0 :: v_dual_add_nc_u32 v96, s23, v94
	v_dual_mov_b32 v14, 0 :: v_dual_add_nc_u32 v97, s16, v94
	v_dual_mov_b32 v12, 0 :: v_dual_add_nc_u32 v57, s22, v94
	ds_load_b128 v[48:51], v98
	ds_load_2addr_b32 v[74:75], v96 offset1:1
	ds_load_2addr_b32 v[72:73], v96 offset0:2 offset1:3
	ds_load_b128 v[44:47], v97
	ds_load_b128 v[52:55], v94
	ds_load_2addr_b64 v[40:43], v57 offset1:1
	v_cmp_gt_u32_e32 vcc_lo, s4, v95
	v_dual_mov_b32 v19, 0 :: v_dual_mov_b32 v18, 0
	v_dual_mov_b32 v17, 0 :: v_dual_mov_b32 v16, 0
	;; [unrolled: 1-line block ×8, first 2 shown]
	s_and_saveexec_b32 s27, vcc_lo
	s_cbranch_execz .LBB134_16
; %bb.20:                               ;   in Loop: Header=BB134_18 Depth=2
	ds_load_b128 v[20:23], v98 offset:512
	ds_load_2addr_b32 v[70:71], v96 offset0:128 offset1:129
	ds_load_2addr_b32 v[68:69], v96 offset0:130 offset1:131
	ds_load_b128 v[16:19], v97 offset:512
	ds_load_b128 v[36:39], v94 offset:512
	ds_load_2addr_b64 v[12:15], v57 offset0:64 offset1:65
	s_branch .LBB134_16
.LBB134_21:                             ;   in Loop: Header=BB134_14 Depth=1
	; sched_barrier mask(0x00000000)
	v_xor_b32_e32 v0, 16, v78
	v_cvt_i32_f32_e32 v1, v93
	v_cvt_i32_f32_e32 v2, v92
	;; [unrolled: 1-line block ×4, first 2 shown]
	v_cmp_gt_i32_e32 vcc_lo, 32, v0
	v_cvt_f32_i32_dpp v1, v1 row_shr:8 row_mask:0xf bank_mask:0xf bound_ctrl:1
	v_cvt_f32_i32_dpp v2, v2 row_shr:8 row_mask:0xf bank_mask:0xf bound_ctrl:1
	s_waitcnt lgkmcnt(14)
	v_cvt_i32_f32_e32 v5, v89
	v_cvt_i32_f32_e32 v11, v84
	v_dual_cndmask_b32 v0, v78, v0 :: v_dual_add_f32 v1, v93, v1
	v_cvt_i32_f32_e32 v14, v86
	v_cvt_i32_f32_e32 v10, v88
	s_delay_alu instid0(VALU_DEP_4)
	v_cvt_f32_i32_dpp v11, v11 row_shr:8 row_mask:0xf bank_mask:0xf bound_ctrl:1
	s_waitcnt lgkmcnt(0)
	v_dual_add_f32 v2, v92, v2 :: v_dual_lshlrev_b32 v21, 2, v0
	v_cvt_f32_i32_dpp v0, v3 row_shr:8 row_mask:0xf bank_mask:0xf bound_ctrl:1
	v_cvt_f32_i32_dpp v3, v4 row_shr:8 row_mask:0xf bank_mask:0xf bound_ctrl:1
	;; [unrolled: 1-line block ×3, first 2 shown]
	v_cvt_i32_f32_e32 v5, v1
	v_cvt_i32_f32_e32 v6, v2
	s_delay_alu instid0(VALU_DEP_4) | instskip(SKIP_1) | instid1(VALU_DEP_4)
	v_dual_add_f32 v0, v91, v0 :: v_dual_add_f32 v3, v90, v3
	v_cvt_f32_i32_dpp v14, v14 row_shr:8 row_mask:0xf bank_mask:0xf bound_ctrl:1
	v_cvt_f32_i32_dpp v5, v5 row_shr:4 row_mask:0xf bank_mask:0xf bound_ctrl:1
	s_delay_alu instid0(VALU_DEP_4) | instskip(NEXT) | instid1(VALU_DEP_4)
	v_cvt_f32_i32_dpp v6, v6 row_shr:4 row_mask:0xf bank_mask:0xf bound_ctrl:1
	v_cvt_i32_f32_e32 v7, v0
	v_cvt_i32_f32_e32 v8, v3
	;; [unrolled: 1-line block ×3, first 2 shown]
	s_delay_alu instid0(VALU_DEP_4) | instskip(NEXT) | instid1(VALU_DEP_4)
	v_dual_add_f32 v1, v1, v5 :: v_dual_add_f32 v2, v2, v6
	v_cvt_f32_i32_dpp v7, v7 row_shr:4 row_mask:0xf bank_mask:0xf bound_ctrl:1
	s_delay_alu instid0(VALU_DEP_4) | instskip(SKIP_1) | instid1(VALU_DEP_4)
	v_cvt_f32_i32_dpp v8, v8 row_shr:4 row_mask:0xf bank_mask:0xf bound_ctrl:1
	v_cvt_f32_i32_dpp v10, v10 row_shr:8 row_mask:0xf bank_mask:0xf bound_ctrl:1
	v_cvt_i32_f32_e32 v5, v1
	v_cvt_i32_f32_e32 v6, v2
	s_delay_alu instid0(VALU_DEP_4) | instskip(SKIP_1) | instid1(VALU_DEP_4)
	v_dual_add_f32 v0, v0, v7 :: v_dual_add_f32 v3, v3, v8
	v_cvt_f32_i32_dpp v13, v13 row_shr:8 row_mask:0xf bank_mask:0xf bound_ctrl:1
	v_cvt_f32_i32_dpp v5, v5 row_shr:2 row_mask:0xf bank_mask:0xf bound_ctrl:1
	s_delay_alu instid0(VALU_DEP_4) | instskip(NEXT) | instid1(VALU_DEP_4)
	v_cvt_f32_i32_dpp v6, v6 row_shr:2 row_mask:0xf bank_mask:0xf bound_ctrl:1
	v_cvt_i32_f32_e32 v7, v0
	v_cvt_i32_f32_e32 v8, v3
	;; [unrolled: 1-line block ×3, first 2 shown]
	s_delay_alu instid0(VALU_DEP_4) | instskip(NEXT) | instid1(VALU_DEP_4)
	v_dual_add_f32 v1, v1, v5 :: v_dual_add_f32 v2, v2, v6
	v_cvt_f32_i32_dpp v7, v7 row_shr:2 row_mask:0xf bank_mask:0xf bound_ctrl:1
	v_add_f32_e32 v4, v89, v4
	v_cvt_f32_i32_dpp v8, v8 row_shr:2 row_mask:0xf bank_mask:0xf bound_ctrl:1
	v_cvt_i32_f32_e32 v12, v85
	v_cvt_i32_f32_e32 v6, v2
	v_add_f32_e32 v5, v0, v7
	v_cvt_i32_f32_e32 v9, v4
	v_cvt_i32_f32_e32 v0, v1
	v_dual_add_f32 v10, v88, v10 :: v_dual_add_f32 v13, v87, v13
	v_cvt_f32_i32_dpp v6, v6 row_shr:1 row_mask:0xf bank_mask:0xf bound_ctrl:1
	s_delay_alu instid0(VALU_DEP_4) | instskip(NEXT) | instid1(VALU_DEP_4)
	v_cvt_f32_i32_dpp v9, v9 row_shr:4 row_mask:0xf bank_mask:0xf bound_ctrl:1
	v_cvt_f32_i32_dpp v0, v0 row_shr:1 row_mask:0xf bank_mask:0xf bound_ctrl:1
	v_add_f32_e32 v3, v3, v8
	v_add_f32_e32 v11, v84, v11
	v_cvt_f32_i32_dpp v25, v25 row_shr:8 row_mask:0xf bank_mask:0xf bound_ctrl:1
	v_add_f32_e32 v4, v4, v9
	v_add_f32_e32 v0, v1, v0
	v_cvt_f32_i32_dpp v12, v12 row_shr:8 row_mask:0xf bank_mask:0xf bound_ctrl:1
	v_cvt_i32_f32_e32 v16, v11
	v_cvt_i32_f32_e32 v15, v10
	;; [unrolled: 1-line block ×5, first 2 shown]
	v_cvt_f32_i32_dpp v16, v16 row_shr:4 row_mask:0xf bank_mask:0xf bound_ctrl:1
	v_cvt_f32_i32_dpp v15, v15 row_shr:4 row_mask:0xf bank_mask:0xf bound_ctrl:1
	;; [unrolled: 1-line block ×4, first 2 shown]
	v_add_f32_e32 v1, v2, v6
	v_cvt_i32_f32_e32 v23, v81
	v_add_f32_e32 v10, v10, v15
	s_delay_alu instid0(VALU_DEP_4) | instskip(SKIP_1) | instid1(VALU_DEP_4)
	v_dual_add_f32 v4, v4, v9 :: v_dual_add_f32 v13, v13, v18
	v_cvt_f32_i32_dpp v20, v20 row_shr:8 row_mask:0xf bank_mask:0xf bound_ctrl:1
	v_cvt_f32_i32_dpp v23, v23 row_shr:8 row_mask:0xf bank_mask:0xf bound_ctrl:1
	s_delay_alu instid0(VALU_DEP_4) | instskip(NEXT) | instid1(VALU_DEP_4)
	v_cvt_i32_f32_e32 v15, v10
	v_cvt_i32_f32_e32 v9, v4
	;; [unrolled: 1-line block ×3, first 2 shown]
	s_delay_alu instid0(VALU_DEP_4) | instskip(NEXT) | instid1(VALU_DEP_4)
	v_dual_add_f32 v20, v83, v20 :: v_dual_add_f32 v23, v81, v23
	v_cvt_f32_i32_dpp v15, v15 row_shr:2 row_mask:0xf bank_mask:0xf bound_ctrl:1
	s_delay_alu instid0(VALU_DEP_4) | instskip(NEXT) | instid1(VALU_DEP_4)
	v_cvt_f32_i32_dpp v9, v9 row_shr:1 row_mask:0xf bank_mask:0xf bound_ctrl:1
	v_cvt_f32_i32_dpp v18, v18 row_shr:2 row_mask:0xf bank_mask:0xf bound_ctrl:1
	v_add_f32_e32 v11, v11, v16
	v_cvt_i32_f32_e32 v28, v23
	v_cvt_i32_f32_e32 v22, v82
	v_add_f32_e32 v4, v4, v9
	v_cvt_i32_f32_e32 v24, v80
	v_cvt_i32_f32_e32 v16, v11
	v_cvt_f32_i32_dpp v28, v28 row_shr:4 row_mask:0xf bank_mask:0xf bound_ctrl:1
	v_add_f32_e32 v10, v10, v15
	v_cvt_f32_i32_dpp v22, v22 row_shr:8 row_mask:0xf bank_mask:0xf bound_ctrl:1
	v_cvt_f32_i32_dpp v24, v24 row_shr:8 row_mask:0xf bank_mask:0xf bound_ctrl:1
	;; [unrolled: 1-line block ×3, first 2 shown]
	v_dual_add_f32 v23, v23, v28 :: v_dual_add_f32 v14, v86, v14
	v_cvt_i32_f32_e32 v26, v20
	v_cvt_i32_f32_e32 v7, v5
	s_delay_alu instid0(VALU_DEP_4) | instskip(NEXT) | instid1(VALU_DEP_4)
	v_add_f32_e32 v11, v11, v16
	v_cvt_i32_f32_e32 v28, v23
	v_cvt_i32_f32_e32 v19, v14
	v_cvt_f32_i32_dpp v26, v26 row_shr:4 row_mask:0xf bank_mask:0xf bound_ctrl:1
	v_cvt_i32_f32_e32 v8, v3
	v_cvt_i32_f32_e32 v15, v11
	v_cvt_f32_i32_dpp v28, v28 row_shr:2 row_mask:0xf bank_mask:0xf bound_ctrl:1
	v_cvt_f32_i32_dpp v19, v19 row_shr:4 row_mask:0xf bank_mask:0xf bound_ctrl:1
	;; [unrolled: 1-line block ×4, first 2 shown]
	v_add_f32_e32 v25, v60, v25
	v_cvt_f32_i32_dpp v15, v15 row_shr:1 row_mask:0xf bank_mask:0xf bound_ctrl:1
	v_add_f32_e32 v14, v14, v19
	s_delay_alu instid0(VALU_DEP_4) | instskip(NEXT) | instid1(VALU_DEP_4)
	v_dual_add_f32 v2, v5, v7 :: v_dual_add_f32 v3, v3, v8
	v_cvt_i32_f32_e32 v30, v25
	ds_bpermute_b32 v5, v21, v0
	v_cvt_i32_f32_e32 v19, v14
	ds_bpermute_b32 v6, v21, v1
	ds_bpermute_b32 v7, v21, v2
	v_cvt_f32_i32_dpp v30, v30 row_shr:4 row_mask:0xf bank_mask:0xf bound_ctrl:1
	ds_bpermute_b32 v8, v21, v3
	v_cvt_f32_i32_dpp v19, v19 row_shr:2 row_mask:0xf bank_mask:0xf bound_ctrl:1
	v_add_f32_e32 v12, v85, v12
	ds_bpermute_b32 v9, v21, v4
	v_add_f32_e32 v13, v13, v18
	v_add_f32_e32 v15, v11, v15
	;; [unrolled: 1-line block ×3, first 2 shown]
	v_cvt_i32_f32_e32 v17, v12
	v_add_f32_e32 v25, v25, v30
	v_cvt_i32_f32_e32 v18, v13
	s_delay_alu instid0(VALU_DEP_4) | instskip(NEXT) | instid1(VALU_DEP_4)
	v_cvt_i32_f32_e32 v28, v23
	v_cvt_f32_i32_dpp v17, v17 row_shr:4 row_mask:0xf bank_mask:0xf bound_ctrl:1
	s_delay_alu instid0(VALU_DEP_4) | instskip(NEXT) | instid1(VALU_DEP_4)
	v_cvt_i32_f32_e32 v30, v25
	v_cvt_f32_i32_dpp v18, v18 row_shr:1 row_mask:0xf bank_mask:0xf bound_ctrl:1
	s_delay_alu instid0(VALU_DEP_4) | instskip(NEXT) | instid1(VALU_DEP_4)
	v_cvt_f32_i32_dpp v28, v28 row_shr:1 row_mask:0xf bank_mask:0xf bound_ctrl:1
	v_add_f32_e32 v12, v12, v17
	v_add_f32_e32 v22, v82, v22
	v_cvt_f32_i32_dpp v30, v30 row_shr:2 row_mask:0xf bank_mask:0xf bound_ctrl:1
	v_add_f32_e32 v24, v80, v24
	v_add_f32_e32 v23, v23, v28
	v_cvt_i32_f32_e32 v17, v12
	v_cvt_i32_f32_e32 v27, v22
	v_add_f32_e32 v25, v25, v30
	v_cvt_i32_f32_e32 v29, v24
	s_delay_alu instid0(VALU_DEP_4) | instskip(NEXT) | instid1(VALU_DEP_4)
	v_cvt_f32_i32_dpp v17, v17 row_shr:2 row_mask:0xf bank_mask:0xf bound_ctrl:1
	v_cvt_f32_i32_dpp v27, v27 row_shr:4 row_mask:0xf bank_mask:0xf bound_ctrl:1
	s_delay_alu instid0(VALU_DEP_4) | instskip(NEXT) | instid1(VALU_DEP_4)
	v_cvt_i32_f32_e32 v30, v25
	v_cvt_f32_i32_dpp v29, v29 row_shr:4 row_mask:0xf bank_mask:0xf bound_ctrl:1
	s_delay_alu instid0(VALU_DEP_4) | instskip(SKIP_2) | instid1(VALU_DEP_4)
	v_dual_add_f32 v12, v12, v17 :: v_dual_add_f32 v17, v14, v19
	v_cvt_i32_f32_e32 v14, v10
	v_add_f32_e32 v22, v22, v27
	v_add_f32_e32 v24, v24, v29
	s_delay_alu instid0(VALU_DEP_4)
	v_cvt_i32_f32_e32 v16, v12
	v_cvt_i32_f32_e32 v19, v17
	v_cvt_f32_i32_dpp v14, v14 row_shr:1 row_mask:0xf bank_mask:0xf bound_ctrl:1
	v_cvt_i32_f32_e32 v27, v22
	v_cvt_f32_i32_dpp v30, v30 row_shr:1 row_mask:0xf bank_mask:0xf bound_ctrl:1
	v_cvt_f32_i32_dpp v16, v16 row_shr:1 row_mask:0xf bank_mask:0xf bound_ctrl:1
	;; [unrolled: 1-line block ×3, first 2 shown]
	v_add_f32_e32 v14, v10, v14
	v_add_f32_e32 v10, v13, v18
	ds_bpermute_b32 v18, v21, v15
	v_dual_add_f32 v16, v12, v16 :: v_dual_add_f32 v11, v17, v19
	ds_bpermute_b32 v17, v21, v14
	ds_bpermute_b32 v12, v21, v10
	v_cvt_f32_i32_dpp v27, v27 row_shr:2 row_mask:0xf bank_mask:0xf bound_ctrl:1
	v_cvt_i32_f32_e32 v29, v24
	ds_bpermute_b32 v19, v21, v16
	ds_bpermute_b32 v13, v21, v11
	v_add_f32_e32 v22, v22, v27
	v_cvt_f32_i32_dpp v29, v29 row_shr:2 row_mask:0xf bank_mask:0xf bound_ctrl:1
	s_delay_alu instid0(VALU_DEP_2) | instskip(NEXT) | instid1(VALU_DEP_2)
	v_cvt_i32_f32_e32 v27, v22
	v_add_f32_e32 v24, v24, v29
	s_delay_alu instid0(VALU_DEP_2) | instskip(SKIP_1) | instid1(VALU_DEP_3)
	v_cvt_f32_i32_dpp v27, v27 row_shr:1 row_mask:0xf bank_mask:0xf bound_ctrl:1
	v_add_f32_e32 v20, v20, v26
	v_cvt_i32_f32_e32 v29, v24
	s_delay_alu instid0(VALU_DEP_3) | instskip(NEXT) | instid1(VALU_DEP_3)
	v_add_f32_e32 v27, v22, v27
	v_cvt_i32_f32_e32 v26, v20
	s_delay_alu instid0(VALU_DEP_3) | instskip(NEXT) | instid1(VALU_DEP_2)
	v_cvt_f32_i32_dpp v29, v29 row_shr:1 row_mask:0xf bank_mask:0xf bound_ctrl:1
	v_cvt_f32_i32_dpp v26, v26 row_shr:2 row_mask:0xf bank_mask:0xf bound_ctrl:1
	s_delay_alu instid0(VALU_DEP_2) | instskip(SKIP_4) | instid1(VALU_DEP_1)
	v_add_f32_e32 v22, v24, v29
	ds_bpermute_b32 v29, v21, v27
	v_add_f32_e32 v20, v20, v26
	ds_bpermute_b32 v24, v21, v22
	v_cvt_i32_f32_e32 v26, v20
	v_cvt_f32_i32_dpp v26, v26 row_shr:1 row_mask:0xf bank_mask:0xf bound_ctrl:1
	s_delay_alu instid0(VALU_DEP_1)
	v_add_f32_e32 v26, v20, v26
	v_add_f32_e32 v20, v25, v30
	ds_bpermute_b32 v25, v21, v23
	ds_bpermute_b32 v28, v21, v26
	;; [unrolled: 1-line block ×3, first 2 shown]
	s_and_saveexec_b32 s25, s0
	s_cbranch_execz .LBB134_13
; %bb.22:                               ;   in Loop: Header=BB134_14 Depth=1
	s_and_b32 vcc_lo, exec_lo, s18
	s_cbranch_vccz .LBB134_24
; %bb.23:                               ;   in Loop: Header=BB134_14 Depth=1
	v_mul_hi_u32 v30, v56, v79
	v_mul_hi_u32 v31, v61, v79
	;; [unrolled: 1-line block ×3, first 2 shown]
	v_mov_b32_e32 v63, v58
	v_mov_b32_e32 v60, v58
	v_mul_lo_u32 v30, v30, s2
	v_mul_lo_u32 v31, v31, s2
	;; [unrolled: 1-line block ×3, first 2 shown]
	s_delay_alu instid0(VALU_DEP_3) | instskip(NEXT) | instid1(VALU_DEP_3)
	v_sub_nc_u32_e32 v30, v56, v30
	v_sub_nc_u32_e32 v33, v61, v31
	s_delay_alu instid0(VALU_DEP_3) | instskip(NEXT) | instid1(VALU_DEP_3)
	v_sub_nc_u32_e32 v32, v59, v32
	v_subrev_nc_u32_e32 v34, s2, v30
	v_cmp_le_u32_e32 vcc_lo, s2, v30
	s_delay_alu instid0(VALU_DEP_4) | instskip(NEXT) | instid1(VALU_DEP_4)
	v_subrev_nc_u32_e32 v35, s2, v33
	v_subrev_nc_u32_e32 v36, s2, v32
	s_delay_alu instid0(VALU_DEP_4) | instskip(SKIP_1) | instid1(VALU_DEP_4)
	v_cndmask_b32_e32 v30, v30, v34, vcc_lo
	v_cmp_le_u32_e32 vcc_lo, s2, v33
	v_dual_mov_b32 v31, v58 :: v_dual_cndmask_b32 v34, v33, v35
	v_cmp_le_u32_e32 vcc_lo, s2, v32
	v_mov_b32_e32 v33, v58
	s_delay_alu instid0(VALU_DEP_3) | instskip(SKIP_3) | instid1(VALU_DEP_3)
	v_subrev_nc_u32_e32 v37, s2, v34
	v_cndmask_b32_e32 v32, v32, v36, vcc_lo
	v_subrev_nc_u32_e32 v36, s2, v30
	v_cmp_le_u32_e32 vcc_lo, s2, v30
	v_subrev_nc_u32_e32 v38, s2, v32
	s_delay_alu instid0(VALU_DEP_3)
	v_cndmask_b32_e32 v57, v30, v36, vcc_lo
	v_cmp_le_u32_e32 vcc_lo, s2, v34
	v_cndmask_b32_e32 v30, v34, v37, vcc_lo
	v_cmp_le_u32_e32 vcc_lo, s2, v32
	v_mov_b32_e32 v35, v58
	v_mov_b32_e32 v48, v58
	;; [unrolled: 1-line block ×3, first 2 shown]
	v_add_nc_u32_e32 v36, s19, v30
	v_cndmask_b32_e32 v32, v32, v38, vcc_lo
	v_lshlrev_b64 v[38:39], 1, v[57:58]
	v_lshlrev_b64 v[40:41], 1, v[30:31]
	v_dual_mov_b32 v37, v58 :: v_dual_add_nc_u32 v34, s19, v57
	s_delay_alu instid0(VALU_DEP_4)
	v_lshlrev_b64 v[42:43], 1, v[32:33]
	v_add_nc_u32_e32 v47, s20, v57
	v_add_co_u32 v38, vcc_lo, s8, v38
	v_add_co_ci_u32_e32 v39, vcc_lo, s9, v39, vcc_lo
	v_add_co_u32 v40, vcc_lo, s8, v40
	v_add_co_ci_u32_e32 v41, vcc_lo, s9, v41, vcc_lo
	v_add_co_u32 v45, vcc_lo, s8, v42
	v_lshlrev_b64 v[33:34], 1, v[34:35]
	v_add_co_ci_u32_e32 v46, vcc_lo, s9, v43, vcc_lo
	v_dual_mov_b32 v43, v58 :: v_dual_add_nc_u32 v42, s19, v32
	v_lshlrev_b64 v[35:36], 1, v[36:37]
	s_delay_alu instid0(VALU_DEP_4) | instskip(SKIP_1) | instid1(VALU_DEP_4)
	v_add_co_u32 v33, vcc_lo, s8, v33
	v_add_co_ci_u32_e32 v34, vcc_lo, s9, v34, vcc_lo
	v_lshlrev_b64 v[42:43], 1, v[42:43]
	s_delay_alu instid0(VALU_DEP_4)
	v_add_co_u32 v35, vcc_lo, s8, v35
	v_add_nc_u32_e32 v49, s20, v30
	v_add_co_ci_u32_e32 v36, vcc_lo, s9, v36, vcc_lo
	v_lshlrev_b64 v[47:48], 1, v[47:48]
	v_add_co_u32 v51, vcc_lo, s8, v42
	v_add_co_ci_u32_e32 v52, vcc_lo, s9, v43, vcc_lo
	v_lshlrev_b64 v[42:43], 1, v[49:50]
	s_delay_alu instid0(VALU_DEP_4) | instskip(SKIP_2) | instid1(VALU_DEP_4)
	v_add_co_u32 v47, vcc_lo, s8, v47
	v_add_nc_u32_e32 v49, s20, v32
	v_add_co_ci_u32_e32 v48, vcc_lo, s9, v48, vcc_lo
	v_add_co_u32 v53, vcc_lo, s8, v42
	v_add_nc_u32_e32 v62, s21, v57
	v_add_co_ci_u32_e32 v54, vcc_lo, s9, v43, vcc_lo
	s_clause 0x7
	global_load_u16 v44, v[38:39], off
	global_load_u16 v43, v[40:41], off
	global_load_u16 v42, v[45:46], off
	global_load_u16 v41, v[33:34], off
	global_load_u16 v40, v[35:36], off
	global_load_u16 v38, v[51:52], off
	global_load_u16 v36, v[47:48], off
	global_load_u16 v34, v[53:54], off
	v_add_nc_u32_e32 v47, s21, v30
	v_lshlrev_b64 v[49:50], 1, v[49:50]
	v_dual_mov_b32 v48, v58 :: v_dual_add_nc_u32 v51, s21, v32
	v_lshlrev_b64 v[45:46], 1, v[62:63]
	v_dual_mov_b32 v52, v58 :: v_dual_add_nc_u32 v57, s24, v57
	s_delay_alu instid0(VALU_DEP_4) | instskip(NEXT) | instid1(VALU_DEP_4)
	v_add_co_u32 v49, vcc_lo, s8, v49
	v_lshlrev_b64 v[47:48], 1, v[47:48]
	v_add_co_ci_u32_e32 v50, vcc_lo, s9, v50, vcc_lo
	v_add_co_u32 v45, vcc_lo, s8, v45
	v_lshlrev_b64 v[51:52], 1, v[51:52]
	v_add_co_ci_u32_e32 v46, vcc_lo, s9, v46, vcc_lo
	v_add_co_u32 v47, vcc_lo, s8, v47
	v_lshlrev_b64 v[53:54], 1, v[57:58]
	v_add_nc_u32_e32 v57, s24, v30
	v_add_co_ci_u32_e32 v48, vcc_lo, s9, v48, vcc_lo
	v_add_co_u32 v30, vcc_lo, s8, v51
	v_add_co_ci_u32_e32 v31, vcc_lo, s9, v52, vcc_lo
	s_delay_alu instid0(VALU_DEP_4) | instskip(SKIP_3) | instid1(VALU_DEP_3)
	v_lshlrev_b64 v[51:52], 1, v[57:58]
	v_add_nc_u32_e32 v57, s24, v32
	v_add_co_u32 v53, vcc_lo, s8, v53
	v_add_co_ci_u32_e32 v54, vcc_lo, s9, v54, vcc_lo
	v_lshlrev_b64 v[32:33], 1, v[57:58]
	v_add_co_u32 v51, vcc_lo, s8, v51
	v_add_co_ci_u32_e32 v52, vcc_lo, s9, v52, vcc_lo
	v_mov_b32_e32 v57, v58
	s_delay_alu instid0(VALU_DEP_4)
	v_add_co_u32 v62, vcc_lo, s8, v32
	v_add_co_ci_u32_e32 v63, vcc_lo, s9, v33, vcc_lo
	s_clause 0x6
	global_load_u16 v39, v[49:50], off
	global_load_u16 v37, v[45:46], off
	;; [unrolled: 1-line block ×7, first 2 shown]
	v_mov_b32_e32 v62, v58
	s_cbranch_execnz .LBB134_12
	s_branch .LBB134_25
.LBB134_24:                             ;   in Loop: Header=BB134_14 Depth=1
                                        ; implicit-def: $vgpr30
                                        ; implicit-def: $vgpr31
                                        ; implicit-def: $vgpr32
                                        ; implicit-def: $vgpr33
                                        ; implicit-def: $vgpr35
                                        ; implicit-def: $vgpr37
                                        ; implicit-def: $vgpr39
                                        ; implicit-def: $vgpr34
                                        ; implicit-def: $vgpr36
                                        ; implicit-def: $vgpr38
                                        ; implicit-def: $vgpr40
                                        ; implicit-def: $vgpr41
                                        ; implicit-def: $vgpr42
                                        ; implicit-def: $vgpr43
                                        ; implicit-def: $vgpr44
.LBB134_25:                             ;   in Loop: Header=BB134_14 Depth=1
	s_waitcnt vmcnt(14)
	v_dual_mov_b32 v57, v58 :: v_dual_mov_b32 v44, 0
	s_waitcnt vmcnt(13)
	v_dual_mov_b32 v62, v58 :: v_dual_mov_b32 v43, 0
	;; [unrolled: 2-line block ×8, first 2 shown]
	v_mov_b32_e32 v32, 0
	s_waitcnt vmcnt(0)
	v_mov_b32_e32 v30, 0
	s_branch .LBB134_12
.LBB134_26:
	s_nop 0
	s_sendmsg sendmsg(MSG_DEALLOC_VGPRS)
	s_endpgm
	.section	.rodata,"a",@progbits
	.p2align	6, 0x0
	.amdhsa_kernel _Z16wvSplitK_hf_sml_I6__halfLi32ELi3ELi16ELi8ELi2ELi5EEviiiiiiPKT_S3_S3_PS1_ii
		.amdhsa_group_segment_fixed_size 65536
		.amdhsa_private_segment_fixed_size 0
		.amdhsa_kernarg_size 64
		.amdhsa_user_sgpr_count 15
		.amdhsa_user_sgpr_dispatch_ptr 0
		.amdhsa_user_sgpr_queue_ptr 0
		.amdhsa_user_sgpr_kernarg_segment_ptr 1
		.amdhsa_user_sgpr_dispatch_id 0
		.amdhsa_user_sgpr_private_segment_size 0
		.amdhsa_wavefront_size32 1
		.amdhsa_uses_dynamic_stack 0
		.amdhsa_enable_private_segment 0
		.amdhsa_system_sgpr_workgroup_id_x 1
		.amdhsa_system_sgpr_workgroup_id_y 0
		.amdhsa_system_sgpr_workgroup_id_z 0
		.amdhsa_system_sgpr_workgroup_info 0
		.amdhsa_system_vgpr_workitem_id 1
		.amdhsa_next_free_vgpr 99
		.amdhsa_next_free_sgpr 28
		.amdhsa_reserve_vcc 1
		.amdhsa_float_round_mode_32 0
		.amdhsa_float_round_mode_16_64 0
		.amdhsa_float_denorm_mode_32 3
		.amdhsa_float_denorm_mode_16_64 3
		.amdhsa_dx10_clamp 1
		.amdhsa_ieee_mode 1
		.amdhsa_fp16_overflow 0
		.amdhsa_workgroup_processor_mode 1
		.amdhsa_memory_ordered 1
		.amdhsa_forward_progress 0
		.amdhsa_shared_vgpr_count 0
		.amdhsa_exception_fp_ieee_invalid_op 0
		.amdhsa_exception_fp_denorm_src 0
		.amdhsa_exception_fp_ieee_div_zero 0
		.amdhsa_exception_fp_ieee_overflow 0
		.amdhsa_exception_fp_ieee_underflow 0
		.amdhsa_exception_fp_ieee_inexact 0
		.amdhsa_exception_int_div_zero 0
	.end_amdhsa_kernel
	.section	.text._Z16wvSplitK_hf_sml_I6__halfLi32ELi3ELi16ELi8ELi2ELi5EEviiiiiiPKT_S3_S3_PS1_ii,"axG",@progbits,_Z16wvSplitK_hf_sml_I6__halfLi32ELi3ELi16ELi8ELi2ELi5EEviiiiiiPKT_S3_S3_PS1_ii,comdat
.Lfunc_end134:
	.size	_Z16wvSplitK_hf_sml_I6__halfLi32ELi3ELi16ELi8ELi2ELi5EEviiiiiiPKT_S3_S3_PS1_ii, .Lfunc_end134-_Z16wvSplitK_hf_sml_I6__halfLi32ELi3ELi16ELi8ELi2ELi5EEviiiiiiPKT_S3_S3_PS1_ii
                                        ; -- End function
	.section	.AMDGPU.csdata,"",@progbits
; Kernel info:
; codeLenInByte = 7284
; NumSgprs: 30
; NumVgprs: 99
; ScratchSize: 0
; MemoryBound: 0
; FloatMode: 240
; IeeeMode: 1
; LDSByteSize: 65536 bytes/workgroup (compile time only)
; SGPRBlocks: 3
; VGPRBlocks: 12
; NumSGPRsForWavesPerEU: 30
; NumVGPRsForWavesPerEU: 99
; Occupancy: 8
; WaveLimiterHint : 0
; COMPUTE_PGM_RSRC2:SCRATCH_EN: 0
; COMPUTE_PGM_RSRC2:USER_SGPR: 15
; COMPUTE_PGM_RSRC2:TRAP_HANDLER: 0
; COMPUTE_PGM_RSRC2:TGID_X_EN: 1
; COMPUTE_PGM_RSRC2:TGID_Y_EN: 0
; COMPUTE_PGM_RSRC2:TGID_Z_EN: 0
; COMPUTE_PGM_RSRC2:TIDIG_COMP_CNT: 1
	.section	.text._Z12wvSplitK_hf_I6__halfLi32ELi3ELi16ELi8ELi2ELi5EEviiiiiiPKT_S3_S3_PS1_ii,"axG",@progbits,_Z12wvSplitK_hf_I6__halfLi32ELi3ELi16ELi8ELi2ELi5EEviiiiiiPKT_S3_S3_PS1_ii,comdat
	.protected	_Z12wvSplitK_hf_I6__halfLi32ELi3ELi16ELi8ELi2ELi5EEviiiiiiPKT_S3_S3_PS1_ii ; -- Begin function _Z12wvSplitK_hf_I6__halfLi32ELi3ELi16ELi8ELi2ELi5EEviiiiiiPKT_S3_S3_PS1_ii
	.globl	_Z12wvSplitK_hf_I6__halfLi32ELi3ELi16ELi8ELi2ELi5EEviiiiiiPKT_S3_S3_PS1_ii
	.p2align	8
	.type	_Z12wvSplitK_hf_I6__halfLi32ELi3ELi16ELi8ELi2ELi5EEviiiiiiPKT_S3_S3_PS1_ii,@function
_Z12wvSplitK_hf_I6__halfLi32ELi3ELi16ELi8ELi2ELi5EEviiiiiiPKT_S3_S3_PS1_ii: ; @_Z12wvSplitK_hf_I6__halfLi32ELi3ELi16ELi8ELi2ELi5EEviiiiiiPKT_S3_S3_PS1_ii
; %bb.0:
	s_clause 0x1
	s_load_b64 s[18:19], s[0:1], 0x38
	s_load_b128 s[4:7], s[0:1], 0x0
	v_bfe_u32 v1, v0, 10, 10
	s_mov_b32 s8, 1
	s_delay_alu instid0(SALU_CYCLE_1) | instskip(SKIP_1) | instid1(SALU_CYCLE_1)
	s_mov_b32 s9, s8
	s_mov_b32 s10, s8
	v_mov_b32_e32 v66, s10
	v_dual_mov_b32 v64, s8 :: v_dual_mov_b32 v65, s9
	s_waitcnt lgkmcnt(0)
	v_mad_u64_u32 v[2:3], null, s15, s18, v[1:2]
	s_clause 0x1
	s_load_b64 s[12:13], s[0:1], 0x20
	s_load_b64 s[14:15], s[0:1], 0x10
	s_delay_alu instid0(VALU_DEP_1) | instskip(NEXT) | instid1(VALU_DEP_1)
	v_lshl_add_u32 v68, v2, 1, v2
	v_add_nc_u32_e32 v2, 3, v68
	v_cmp_gt_u32_e32 vcc_lo, s7, v68
	s_delay_alu instid0(VALU_DEP_2) | instskip(NEXT) | instid1(VALU_DEP_1)
	v_cmp_le_u32_e64 s2, s7, v2
	s_and_b32 s2, vcc_lo, s2
	s_delay_alu instid0(SALU_CYCLE_1)
	s_and_saveexec_b32 s11, s2
	s_cbranch_execz .LBB135_6
; %bb.1:
	v_dual_mov_b32 v66, s10 :: v_dual_mov_b32 v65, s9
	v_mov_b32_e32 v64, s8
	s_add_i32 s16, s7, -3
	s_mov_b32 s17, exec_lo
	v_cmpx_ne_u32_e64 s16, v68
	s_cbranch_execz .LBB135_5
; %bb.2:
	v_subrev_nc_u32_e32 v2, s16, v68
	s_mov_b32 s20, 0
	s_mov_b64 s[2:3], 0
	s_mov_b32 s9, s8
	s_mov_b32 s10, s8
	v_cmp_lt_u32_e32 vcc_lo, 1, v2
	v_cndmask_b32_e32 v2, 1, v2, vcc_lo
.LBB135_3:                              ; =>This Inner Loop Header: Depth=1
	s_cmp_lg_u32 s2, 2
	s_cselect_b32 s10, s10, 0
	s_cmp_lg_u32 s2, 1
	s_cselect_b32 s9, s9, 0
	;; [unrolled: 2-line block ×3, first 2 shown]
	s_add_u32 s2, s2, 1
	v_dual_mov_b32 v66, s10 :: v_dual_mov_b32 v65, s9
	v_cmp_eq_u32_e32 vcc_lo, s2, v2
	v_mov_b32_e32 v64, s8
	s_addc_u32 s3, s3, 0
	s_or_b32 s20, vcc_lo, s20
	s_delay_alu instid0(SALU_CYCLE_1)
	s_and_not1_b32 exec_lo, exec_lo, s20
	s_cbranch_execnz .LBB135_3
; %bb.4:
	s_or_b32 exec_lo, exec_lo, s20
	v_mov_b32_e32 v68, s16
.LBB135_5:
	s_or_b32 exec_lo, exec_lo, s17
.LBB135_6:
	s_delay_alu instid0(SALU_CYCLE_1) | instskip(SKIP_2) | instid1(SALU_CYCLE_1)
	s_or_b32 exec_lo, exec_lo, s11
	v_and_b32_e32 v0, 0x3ff, v0
	s_mul_i32 s2, s6, 5
	s_min_u32 s3, s2, 0x8000
	s_mov_b32 s2, exec_lo
	s_delay_alu instid0(VALU_DEP_1) | instskip(NEXT) | instid1(VALU_DEP_1)
	v_lshlrev_b32_e32 v67, 3, v0
	v_lshl_add_u32 v3, v1, 8, v67
	s_delay_alu instid0(VALU_DEP_1)
	v_cmpx_gt_u32_e64 s3, v3
	s_cbranch_execz .LBB135_15
; %bb.7:
	v_lshlrev_b32_e32 v2, 1, v3
	v_add_nc_u32_e32 v8, 0x1000, v3
	s_mov_b32 s8, exec_lo
	s_waitcnt lgkmcnt(0)
	global_load_b128 v[4:7], v2, s[12:13]
	s_waitcnt vmcnt(0)
	ds_store_b128 v2, v[4:7]
	v_cmpx_gt_u32_e64 s3, v8
	s_xor_b32 s8, exec_lo, s8
	s_cbranch_execz .LBB135_15
; %bb.8:
	v_add_co_u32 v4, s8, s12, v2
	s_delay_alu instid0(VALU_DEP_1) | instskip(SKIP_1) | instid1(VALU_DEP_3)
	v_add_co_ci_u32_e64 v5, null, s13, 0, s8
	v_add_nc_u32_e32 v10, 0x2000, v3
	v_add_co_u32 v6, vcc_lo, 0x2000, v4
	s_delay_alu instid0(VALU_DEP_3)
	v_add_co_ci_u32_e32 v7, vcc_lo, 0, v5, vcc_lo
	s_mov_b32 s8, exec_lo
	global_load_b128 v[6:9], v[6:7], off
	s_waitcnt vmcnt(0)
	ds_store_b128 v2, v[6:9] offset:8192
	v_cmpx_gt_u32_e64 s3, v10
	s_xor_b32 s8, exec_lo, s8
	s_cbranch_execz .LBB135_15
; %bb.9:
	v_add_co_u32 v6, vcc_lo, 0x4000, v4
	v_add_co_ci_u32_e32 v7, vcc_lo, 0, v5, vcc_lo
	v_add_nc_u32_e32 v10, 0x3000, v3
	s_mov_b32 s8, exec_lo
	global_load_b128 v[6:9], v[6:7], off
	s_waitcnt vmcnt(0)
	ds_store_b128 v2, v[6:9] offset:16384
	v_cmpx_gt_u32_e64 s3, v10
	s_xor_b32 s8, exec_lo, s8
	s_cbranch_execz .LBB135_15
; %bb.10:
	v_add_co_u32 v6, vcc_lo, 0x6000, v4
	v_add_co_ci_u32_e32 v7, vcc_lo, 0, v5, vcc_lo
	v_add_nc_u32_e32 v10, 0x4000, v3
	;; [unrolled: 11-line block ×5, first 2 shown]
	global_load_b128 v[6:9], v[6:7], off
	v_cmp_gt_u32_e32 vcc_lo, s3, v3
	s_waitcnt vmcnt(0)
	ds_store_b128 v2, v[6:9] offset:49152
	s_and_saveexec_b32 s3, vcc_lo
	s_delay_alu instid0(SALU_CYCLE_1)
	s_xor_b32 s3, exec_lo, s3
	s_cbranch_execz .LBB135_15
; %bb.14:
	v_add_co_u32 v3, vcc_lo, 0xe000, v4
	v_add_co_ci_u32_e32 v4, vcc_lo, 0, v5, vcc_lo
	global_load_b128 v[3:6], v[3:4], off
	s_waitcnt vmcnt(0)
	ds_store_b128 v2, v[3:6] offset:57344
.LBB135_15:
	s_or_b32 exec_lo, exec_lo, s2
	v_cmp_gt_u32_e32 vcc_lo, s18, v1
	v_cmp_gt_u32_e64 s2, s7, v68
	s_waitcnt lgkmcnt(0)
	s_barrier
	buffer_gl0_inv
	s_and_b32 s2, vcc_lo, s2
	s_delay_alu instid0(SALU_CYCLE_1)
	s_and_saveexec_b32 s3, s2
	s_cbranch_execz .LBB135_104
; %bb.16:
	s_clause 0x1
	s_load_b128 s[8:11], s[0:1], 0x28
	s_load_b64 s[16:17], s[0:1], 0x18
	s_cmp_lg_u32 s4, 0
	s_mul_i32 s26, s18, s19
	s_cselect_b32 s20, -1, 0
	s_add_i32 s21, s4, -8
	s_add_i32 s22, s7, -1
	v_mad_u64_u32 v[71:72], null, s6, 3, v[67:68]
	v_add_nc_u32_e32 v89, s6, v67
	v_mbcnt_lo_u32_b32 v93, -1, 0
	s_mov_b32 s25, 0
	s_mul_i32 s26, s26, 3
	s_mul_i32 s33, s6, 6
	v_mov_b32_e32 v70, 0
	v_lshlrev_b32_e32 v88, 4, v0
	s_waitcnt lgkmcnt(0)
	s_cmp_lg_u64 s[8:9], 0
	s_cselect_b32 s23, -1, 0
	s_abs_i32 s1, s15
	s_add_i32 s15, s7, -3
	v_cvt_f32_u32_e32 v1, s1
	s_sub_i32 s2, 0, s1
	s_lshl_b32 s24, s6, 1
	s_sub_i32 s3, 0, s14
	s_sub_i32 s18, 1, s1
	v_rcp_iflag_f32_e32 v1, v1
	s_waitcnt_depctr 0xfff
	v_dual_mul_f32 v1, 0x4f7ffffe, v1 :: v_dual_add_nc_u32 v90, s24, v67
	s_delay_alu instid0(VALU_DEP_1) | instskip(NEXT) | instid1(VALU_DEP_1)
	v_cvt_u32_f32_e32 v1, v1
	v_readfirstlane_b32 s0, v1
	v_cvt_f32_u32_e32 v1, s14
	s_delay_alu instid0(VALU_DEP_2) | instskip(NEXT) | instid1(VALU_DEP_1)
	s_mul_i32 s2, s2, s0
	v_rcp_iflag_f32_e32 v1, v1
	s_mul_hi_u32 s2, s0, s2
	s_delay_alu instid0(SALU_CYCLE_1) | instskip(SKIP_3) | instid1(SALU_CYCLE_1)
	s_add_i32 s2, s0, s2
	s_cmp_lt_u32 s1, 2
	v_cmp_eq_u32_e64 s0, 31, v0
	s_cselect_b32 s18, s18, 1
	s_sub_i32 s19, s18, s1
	s_cmp_ge_u32 s18, s1
	s_waitcnt_depctr 0xfff
	v_mul_f32_e32 v1, 0x4f7ffffe, v1
	s_cselect_b32 s27, s19, s18
	s_lshr_b32 s18, s2, 31
	s_mul_i32 s27, s27, s14
	s_mul_i32 s18, s18, s1
	v_cvt_u32_f32_e32 v0, v1
	s_sub_i32 s18, 2, s18
	s_delay_alu instid0(SALU_CYCLE_1) | instskip(SKIP_1) | instid1(VALU_DEP_1)
	s_sub_i32 s19, s18, s1
	s_cmp_ge_u32 s18, s1
	v_mul_lo_u32 v1, s3, v0
	s_cselect_b32 s18, s19, s18
	s_mul_hi_u32 s19, s2, 3
	s_sub_i32 s28, s18, s1
	s_cmp_ge_u32 s18, s1
	s_mul_i32 s19, s19, s1
	s_cselect_b32 s28, s28, s18
	s_sub_i32 s18, 3, s19
	v_mul_hi_u32 v1, v0, v1
	s_sub_i32 s3, s18, s1
	s_cmp_ge_u32 s18, s1
	s_mul_i32 s28, s28, s14
	s_cselect_b32 s3, s3, s18
	s_delay_alu instid0(SALU_CYCLE_1) | instskip(SKIP_1) | instid1(VALU_DEP_1)
	s_sub_i32 s18, s3, s1
	s_cmp_ge_u32 s3, s1
	v_add_nc_u32_e32 v91, v0, v1
	s_cselect_b32 s30, s18, s3
	s_lshr_b32 s2, s2, 30
	s_mul_i32 s30, s30, s14
	s_mul_i32 s2, s2, s1
	s_delay_alu instid0(SALU_CYCLE_1) | instskip(NEXT) | instid1(SALU_CYCLE_1)
	s_sub_i32 s2, 4, s2
	s_sub_i32 s3, s2, s1
	s_cmp_ge_u32 s2, s1
	s_cselect_b32 s2, s3, s2
	s_delay_alu instid0(SALU_CYCLE_1)
	s_sub_i32 s3, s2, s1
	s_cmp_ge_u32 s2, s1
	s_cselect_b32 s31, s3, s2
	s_lshl_b32 s29, s6, 2
	s_mul_i32 s31, s31, s14
	v_add_nc_u32_e32 v92, s29, v67
	s_lshl_b32 s6, s6, 3
	s_branch .LBB135_19
.LBB135_17:                             ;   in Loop: Header=BB135_19 Depth=1
	s_or_b32 exec_lo, exec_lo, s35
	v_mov_b32_e32 v68, s15
.LBB135_18:                             ;   in Loop: Header=BB135_19 Depth=1
	s_or_b32 exec_lo, exec_lo, s34
	s_delay_alu instid0(VALU_DEP_1) | instskip(SKIP_1) | instid1(SALU_CYCLE_1)
	v_cmp_le_u32_e32 vcc_lo, s7, v68
	s_or_b32 s25, vcc_lo, s25
	s_and_not1_b32 exec_lo, exec_lo, s25
	s_cbranch_execz .LBB135_104
.LBB135_19:                             ; =>This Loop Header: Depth=1
                                        ;     Child Loop BB135_24 Depth 2
                                        ;     Child Loop BB135_88 Depth 2
	v_dual_mov_b32 v108, v70 :: v_dual_add_nc_u32 v73, 1, v68
	v_dual_mov_b32 v107, v70 :: v_dual_add_nc_u32 v72, 2, v68
	v_mov_b32_e32 v106, v70
	v_mov_b32_e32 v105, v70
	;; [unrolled: 1-line block ×13, first 2 shown]
	s_and_not1_b32 vcc_lo, exec_lo, s20
	s_cbranch_vccnz .LBB135_66
; %bb.20:                               ;   in Loop: Header=BB135_19 Depth=1
	v_min_u32_e32 v0, s22, v68
	v_min_u32_e32 v1, s22, v73
	;; [unrolled: 1-line block ×3, first 2 shown]
	s_waitcnt lgkmcnt(6)
	v_dual_mov_b32 v3, v70 :: v_dual_mov_b32 v102, 0
	v_mul_lo_u32 v69, v0, s5
	v_mul_lo_u32 v0, v1, s5
	;; [unrolled: 1-line block ×3, first 2 shown]
	v_dual_mov_b32 v1, v70 :: v_dual_mov_b32 v100, 0
	v_dual_mov_b32 v99, 0 :: v_dual_mov_b32 v98, 0
	;; [unrolled: 1-line block ×3, first 2 shown]
	v_lshlrev_b64 v[74:75], 1, v[69:70]
	s_delay_alu instid0(VALU_DEP_4)
	v_lshlrev_b64 v[76:77], 1, v[0:1]
	v_lshlrev_b64 v[78:79], 1, v[2:3]
	v_dual_mov_b32 v101, 0 :: v_dual_mov_b32 v94, 0
	v_dual_mov_b32 v97, 0 :: v_dual_mov_b32 v104, 0
	;; [unrolled: 1-line block ×4, first 2 shown]
	v_mov_b32_e32 v105, 0
	v_mov_b32_e32 v107, 0
	s_mov_b32 s1, 0
	s_branch .LBB135_24
.LBB135_21:                             ;   in Loop: Header=BB135_24 Depth=2
	s_or_b32 exec_lo, exec_lo, s18
.LBB135_22:                             ;   in Loop: Header=BB135_24 Depth=2
	s_delay_alu instid0(SALU_CYCLE_1)
	s_or_b32 exec_lo, exec_lo, s3
.LBB135_23:                             ;   in Loop: Header=BB135_24 Depth=2
	s_delay_alu instid0(SALU_CYCLE_1)
	s_or_b32 exec_lo, exec_lo, s2
	s_waitcnt vmcnt(0) lgkmcnt(0)
	;;#ASMSTART
	v_dot2_f32_f16 v108, v40, v20, v108
	;;#ASMEND
	;;#ASMSTART
	v_dot2_f32_f16 v107, v40, v16, v107
	;;#ASMEND
	;; [unrolled: 3-line block ×45, first 2 shown]
	v_add_nc_u32_e32 v109, 0x400, v109
	;;#ASMSTART
	v_dot2_f32_f16 v108, v43, v23, v108
	;;#ASMEND
	;;#ASMSTART
	v_dot2_f32_f16 v107, v43, v19, v107
	;;#ASMEND
	;; [unrolled: 3-line block ×15, first 2 shown]
	s_addk_i32 s1, 0x200
	;;#ASMSTART
	v_dot2_f32_f16 v108, v60, v8, v108
	;;#ASMEND
	;;#ASMSTART
	v_dot2_f32_f16 v107, v60, v4, v107
	;;#ASMEND
	;; [unrolled: 3-line block ×30, first 2 shown]
	s_cmp_ge_u32 s1, s4
	;;#ASMSTART
	v_dot2_f32_f16 v108, v62, v10, v108
	;;#ASMEND
	;;#ASMSTART
	v_dot2_f32_f16 v107, v62, v6, v107
	;;#ASMEND
	;; [unrolled: 3-line block ×30, first 2 shown]
	s_cbranch_scc1 .LBB135_66
.LBB135_24:                             ;   Parent Loop BB135_19 Depth=1
                                        ; =>  This Inner Loop Header: Depth=2
	v_dual_mov_b32 v46, 0 :: v_dual_add_nc_u32 v81, s1, v67
	s_waitcnt vmcnt(14)
	v_dual_mov_b32 v45, 0 :: v_dual_mov_b32 v44, 0
	v_dual_mov_b32 v51, 0 :: v_dual_mov_b32 v50, 0
	s_delay_alu instid0(VALU_DEP_3) | instskip(SKIP_2) | instid1(VALU_DEP_3)
	v_min_u32_e32 v69, s21, v81
	v_dual_mov_b32 v47, 0 :: v_dual_add_nc_u32 v80, 0x100, v81
	v_dual_mov_b32 v49, 0 :: v_dual_mov_b32 v48, 0
	v_lshlrev_b64 v[0:1], 1, v[69:70]
	s_delay_alu instid0(VALU_DEP_3)
	v_min_u32_e32 v69, s21, v80
	s_waitcnt vmcnt(0)
	v_dual_mov_b32 v31, 0 :: v_dual_mov_b32 v30, 0
	s_waitcnt lgkmcnt(4)
	v_dual_mov_b32 v29, 0 :: v_dual_mov_b32 v28, 0
	v_add_co_u32 v6, vcc_lo, s16, v0
	v_add_co_ci_u32_e32 v7, vcc_lo, s17, v1, vcc_lo
	v_lshlrev_b64 v[0:1], 1, v[69:70]
	s_delay_alu instid0(VALU_DEP_3) | instskip(NEXT) | instid1(VALU_DEP_3)
	v_add_co_u32 v2, vcc_lo, v6, v74
	v_add_co_ci_u32_e32 v3, vcc_lo, v7, v75, vcc_lo
	s_waitcnt lgkmcnt(1)
	v_add_co_u32 v4, vcc_lo, v6, v76
	v_add_co_ci_u32_e32 v5, vcc_lo, v7, v77, vcc_lo
	v_add_co_u32 v8, vcc_lo, s16, v0
	v_add_co_ci_u32_e32 v9, vcc_lo, s17, v1, vcc_lo
	;; [unrolled: 2-line block ×3, first 2 shown]
	s_delay_alu instid0(VALU_DEP_4) | instskip(NEXT) | instid1(VALU_DEP_4)
	v_add_co_u32 v6, vcc_lo, v8, v74
	v_add_co_ci_u32_e32 v7, vcc_lo, v9, v75, vcc_lo
	v_add_co_u32 v24, vcc_lo, v8, v76
	v_add_co_ci_u32_e32 v25, vcc_lo, v9, v77, vcc_lo
	;; [unrolled: 2-line block ×3, first 2 shown]
	s_waitcnt lgkmcnt(0)
	s_clause 0x5
	global_load_b128 v[20:23], v[2:3], off slc dlc
	global_load_b128 v[16:19], v[4:5], off slc dlc
	;; [unrolled: 1-line block ×6, first 2 shown]
	v_cmp_gt_u32_e32 vcc_lo, s4, v81
	v_dual_mov_b32 v27, 0 :: v_dual_mov_b32 v26, 0
	v_dual_mov_b32 v25, 0 :: v_dual_mov_b32 v24, 0
	;; [unrolled: 1-line block ×14, first 2 shown]
	s_and_saveexec_b32 s2, vcc_lo
	s_cbranch_execz .LBB135_23
; %bb.25:                               ;   in Loop: Header=BB135_24 Depth=2
	s_mov_b32 s3, exec_lo
                                        ; implicit-def: $vgpr43
	v_cmpx_lt_u32_e32 0x7fff, v81
	s_xor_b32 s3, exec_lo, s3
	s_cbranch_execz .LBB135_27
; %bb.26:                               ;   in Loop: Header=BB135_24 Depth=2
	v_mov_b32_e32 v82, v70
	s_delay_alu instid0(VALU_DEP_1) | instskip(NEXT) | instid1(VALU_DEP_1)
	v_lshlrev_b64 v[24:25], 1, v[81:82]
	v_add_co_u32 v24, vcc_lo, s12, v24
	s_delay_alu instid0(VALU_DEP_2)
	v_add_co_ci_u32_e32 v25, vcc_lo, s13, v25, vcc_lo
	global_load_b128 v[40:43], v[24:25], off
.LBB135_27:                             ;   in Loop: Header=BB135_24 Depth=2
	s_and_not1_saveexec_b32 s3, s3
	s_cbranch_execz .LBB135_29
; %bb.28:                               ;   in Loop: Header=BB135_24 Depth=2
	s_waitcnt vmcnt(0)
	ds_load_b128 v[40:43], v109
.LBB135_29:                             ;   in Loop: Header=BB135_24 Depth=2
	s_or_b32 exec_lo, exec_lo, s3
	v_add_nc_u32_e32 v69, s1, v89
	s_mov_b32 s3, exec_lo
                                        ; implicit-def: $vgpr39
	s_delay_alu instid0(VALU_DEP_1)
	v_cmpx_lt_u32_e32 0x7fff, v69
	s_xor_b32 s3, exec_lo, s3
	s_cbranch_execz .LBB135_31
; %bb.30:                               ;   in Loop: Header=BB135_24 Depth=2
	v_lshlrev_b64 v[24:25], 1, v[69:70]
	s_delay_alu instid0(VALU_DEP_1) | instskip(NEXT) | instid1(VALU_DEP_2)
	v_add_co_u32 v24, vcc_lo, s12, v24
	v_add_co_ci_u32_e32 v25, vcc_lo, s13, v25, vcc_lo
	global_load_b128 v[36:39], v[24:25], off
.LBB135_31:                             ;   in Loop: Header=BB135_24 Depth=2
	s_and_not1_saveexec_b32 s3, s3
	s_cbranch_execz .LBB135_33
; %bb.32:                               ;   in Loop: Header=BB135_24 Depth=2
	v_add_nc_u32_e32 v24, s24, v109
	s_waitcnt vmcnt(0)
	ds_load_b128 v[36:39], v24
.LBB135_33:                             ;   in Loop: Header=BB135_24 Depth=2
	s_or_b32 exec_lo, exec_lo, s3
	v_add_nc_u32_e32 v86, s1, v90
	s_mov_b32 s3, exec_lo
                                        ; implicit-def: $vgpr35
	s_delay_alu instid0(VALU_DEP_1)
	v_cmpx_lt_u32_e32 0x7fff, v86
	s_xor_b32 s3, exec_lo, s3
	s_cbranch_execz .LBB135_35
; %bb.34:                               ;   in Loop: Header=BB135_24 Depth=2
	v_mov_b32_e32 v87, v70
	s_delay_alu instid0(VALU_DEP_1) | instskip(NEXT) | instid1(VALU_DEP_1)
	v_lshlrev_b64 v[24:25], 1, v[86:87]
	v_add_co_u32 v24, vcc_lo, s12, v24
	s_delay_alu instid0(VALU_DEP_2)
	v_add_co_ci_u32_e32 v25, vcc_lo, s13, v25, vcc_lo
	global_load_b128 v[32:35], v[24:25], off
.LBB135_35:                             ;   in Loop: Header=BB135_24 Depth=2
	s_and_not1_saveexec_b32 s3, s3
	s_cbranch_execz .LBB135_37
; %bb.36:                               ;   in Loop: Header=BB135_24 Depth=2
	v_add_nc_u32_e32 v24, s29, v109
	s_waitcnt vmcnt(0)
	ds_load_2addr_b32 v[32:33], v24 offset1:1
	ds_load_2addr_b32 v[34:35], v24 offset0:2 offset1:3
.LBB135_37:                             ;   in Loop: Header=BB135_24 Depth=2
	s_or_b32 exec_lo, exec_lo, s3
	v_add_nc_u32_e32 v84, s1, v71
	s_mov_b32 s3, exec_lo
                                        ; implicit-def: $vgpr31
	s_delay_alu instid0(VALU_DEP_1)
	v_cmpx_lt_u32_e32 0x7fff, v84
	s_xor_b32 s3, exec_lo, s3
	s_cbranch_execz .LBB135_39
; %bb.38:                               ;   in Loop: Header=BB135_24 Depth=2
	v_mov_b32_e32 v85, v70
	s_delay_alu instid0(VALU_DEP_1) | instskip(NEXT) | instid1(VALU_DEP_1)
	v_lshlrev_b64 v[24:25], 1, v[84:85]
	v_add_co_u32 v24, vcc_lo, s12, v24
	s_delay_alu instid0(VALU_DEP_2)
	v_add_co_ci_u32_e32 v25, vcc_lo, s13, v25, vcc_lo
	global_load_b128 v[28:31], v[24:25], off
.LBB135_39:                             ;   in Loop: Header=BB135_24 Depth=2
	s_and_not1_saveexec_b32 s3, s3
	s_cbranch_execz .LBB135_41
; %bb.40:                               ;   in Loop: Header=BB135_24 Depth=2
	v_add_nc_u32_e32 v24, s33, v109
	s_waitcnt vmcnt(0)
	ds_load_b128 v[28:31], v24
.LBB135_41:                             ;   in Loop: Header=BB135_24 Depth=2
	s_or_b32 exec_lo, exec_lo, s3
	v_add_nc_u32_e32 v82, s1, v92
	s_mov_b32 s3, exec_lo
                                        ; implicit-def: $vgpr27
	s_delay_alu instid0(VALU_DEP_1)
	v_cmpx_lt_u32_e32 0x7fff, v82
	s_xor_b32 s3, exec_lo, s3
	s_cbranch_execz .LBB135_43
; %bb.42:                               ;   in Loop: Header=BB135_24 Depth=2
	v_mov_b32_e32 v83, v70
	s_delay_alu instid0(VALU_DEP_1) | instskip(NEXT) | instid1(VALU_DEP_1)
	v_lshlrev_b64 v[24:25], 1, v[82:83]
	v_add_co_u32 v24, vcc_lo, s12, v24
	s_delay_alu instid0(VALU_DEP_2)
	v_add_co_ci_u32_e32 v25, vcc_lo, s13, v25, vcc_lo
	global_load_b128 v[24:27], v[24:25], off
.LBB135_43:                             ;   in Loop: Header=BB135_24 Depth=2
	s_and_not1_saveexec_b32 s3, s3
	s_cbranch_execz .LBB135_45
; %bb.44:                               ;   in Loop: Header=BB135_24 Depth=2
	s_waitcnt vmcnt(0)
	v_add_nc_u32_e32 v24, s6, v109
	ds_load_2addr_b64 v[24:27], v24 offset1:1
.LBB135_45:                             ;   in Loop: Header=BB135_24 Depth=2
	s_or_b32 exec_lo, exec_lo, s3
	v_cmp_gt_u32_e32 vcc_lo, s4, v80
	v_dual_mov_b32 v47, 0 :: v_dual_mov_b32 v46, 0
	v_dual_mov_b32 v45, 0 :: v_dual_mov_b32 v44, 0
	;; [unrolled: 1-line block ×10, first 2 shown]
	s_and_saveexec_b32 s3, vcc_lo
	s_cbranch_execz .LBB135_22
; %bb.46:                               ;   in Loop: Header=BB135_24 Depth=2
	s_mov_b32 s18, exec_lo
                                        ; implicit-def: $vgpr63
	v_cmpx_lt_u32_e32 0x7fff, v80
	s_xor_b32 s18, exec_lo, s18
	s_cbranch_execz .LBB135_48
; %bb.47:                               ;   in Loop: Header=BB135_24 Depth=2
	v_mov_b32_e32 v81, v70
	s_delay_alu instid0(VALU_DEP_1) | instskip(NEXT) | instid1(VALU_DEP_1)
	v_lshlrev_b64 v[44:45], 1, v[80:81]
	v_add_co_u32 v44, vcc_lo, s12, v44
	s_delay_alu instid0(VALU_DEP_2)
	v_add_co_ci_u32_e32 v45, vcc_lo, s13, v45, vcc_lo
	global_load_b128 v[60:63], v[44:45], off
.LBB135_48:                             ;   in Loop: Header=BB135_24 Depth=2
	s_and_not1_saveexec_b32 s18, s18
	s_cbranch_execz .LBB135_50
; %bb.49:                               ;   in Loop: Header=BB135_24 Depth=2
	s_waitcnt vmcnt(0)
	ds_load_b128 v[60:63], v109 offset:512
.LBB135_50:                             ;   in Loop: Header=BB135_24 Depth=2
	s_or_b32 exec_lo, exec_lo, s18
	v_add_nc_u32_e32 v69, 0x100, v69
	s_mov_b32 s18, exec_lo
                                        ; implicit-def: $vgpr59
	s_delay_alu instid0(VALU_DEP_1)
	v_cmpx_lt_u32_e32 0x7fff, v69
	s_xor_b32 s18, exec_lo, s18
	s_cbranch_execz .LBB135_52
; %bb.51:                               ;   in Loop: Header=BB135_24 Depth=2
	v_lshlrev_b64 v[44:45], 1, v[69:70]
	s_delay_alu instid0(VALU_DEP_1) | instskip(NEXT) | instid1(VALU_DEP_2)
	v_add_co_u32 v44, vcc_lo, s12, v44
	v_add_co_ci_u32_e32 v45, vcc_lo, s13, v45, vcc_lo
	global_load_b128 v[56:59], v[44:45], off
.LBB135_52:                             ;   in Loop: Header=BB135_24 Depth=2
	s_and_not1_saveexec_b32 s18, s18
	s_cbranch_execz .LBB135_54
; %bb.53:                               ;   in Loop: Header=BB135_24 Depth=2
	v_add_nc_u32_e32 v44, s24, v109
	s_waitcnt vmcnt(0)
	ds_load_b128 v[56:59], v44 offset:512
.LBB135_54:                             ;   in Loop: Header=BB135_24 Depth=2
	s_or_b32 exec_lo, exec_lo, s18
	v_add_nc_u32_e32 v69, 0x100, v86
	s_mov_b32 s18, exec_lo
                                        ; implicit-def: $vgpr55
	s_delay_alu instid0(VALU_DEP_1)
	v_cmpx_lt_u32_e32 0x7fff, v69
	s_xor_b32 s18, exec_lo, s18
	s_cbranch_execz .LBB135_56
; %bb.55:                               ;   in Loop: Header=BB135_24 Depth=2
	v_lshlrev_b64 v[44:45], 1, v[69:70]
	s_delay_alu instid0(VALU_DEP_1) | instskip(NEXT) | instid1(VALU_DEP_2)
	v_add_co_u32 v44, vcc_lo, s12, v44
	v_add_co_ci_u32_e32 v45, vcc_lo, s13, v45, vcc_lo
	global_load_b128 v[52:55], v[44:45], off
.LBB135_56:                             ;   in Loop: Header=BB135_24 Depth=2
	s_and_not1_saveexec_b32 s18, s18
	s_cbranch_execz .LBB135_58
; %bb.57:                               ;   in Loop: Header=BB135_24 Depth=2
	v_add_nc_u32_e32 v44, s29, v109
	s_waitcnt vmcnt(0)
	ds_load_2addr_b32 v[52:53], v44 offset0:128 offset1:129
	ds_load_2addr_b32 v[54:55], v44 offset0:130 offset1:131
.LBB135_58:                             ;   in Loop: Header=BB135_24 Depth=2
	s_or_b32 exec_lo, exec_lo, s18
	v_add_nc_u32_e32 v69, 0x100, v84
	s_mov_b32 s18, exec_lo
                                        ; implicit-def: $vgpr51
	s_delay_alu instid0(VALU_DEP_1)
	v_cmpx_lt_u32_e32 0x7fff, v69
	s_xor_b32 s18, exec_lo, s18
	s_cbranch_execz .LBB135_60
; %bb.59:                               ;   in Loop: Header=BB135_24 Depth=2
	v_lshlrev_b64 v[44:45], 1, v[69:70]
	s_delay_alu instid0(VALU_DEP_1) | instskip(NEXT) | instid1(VALU_DEP_2)
	v_add_co_u32 v44, vcc_lo, s12, v44
	v_add_co_ci_u32_e32 v45, vcc_lo, s13, v45, vcc_lo
	global_load_b128 v[48:51], v[44:45], off
.LBB135_60:                             ;   in Loop: Header=BB135_24 Depth=2
	s_and_not1_saveexec_b32 s18, s18
	s_cbranch_execz .LBB135_62
; %bb.61:                               ;   in Loop: Header=BB135_24 Depth=2
	v_add_nc_u32_e32 v44, s33, v109
	s_waitcnt vmcnt(0)
	ds_load_b128 v[48:51], v44 offset:512
.LBB135_62:                             ;   in Loop: Header=BB135_24 Depth=2
	s_or_b32 exec_lo, exec_lo, s18
	v_add_nc_u32_e32 v69, 0x100, v82
	s_mov_b32 s18, exec_lo
                                        ; implicit-def: $vgpr47
	s_delay_alu instid0(VALU_DEP_1)
	v_cmpx_lt_u32_e32 0x7fff, v69
	s_xor_b32 s18, exec_lo, s18
	s_cbranch_execz .LBB135_64
; %bb.63:                               ;   in Loop: Header=BB135_24 Depth=2
	v_lshlrev_b64 v[44:45], 1, v[69:70]
	s_delay_alu instid0(VALU_DEP_1) | instskip(NEXT) | instid1(VALU_DEP_2)
	v_add_co_u32 v44, vcc_lo, s12, v44
	v_add_co_ci_u32_e32 v45, vcc_lo, s13, v45, vcc_lo
	global_load_b128 v[44:47], v[44:45], off
.LBB135_64:                             ;   in Loop: Header=BB135_24 Depth=2
	s_and_not1_saveexec_b32 s18, s18
	s_cbranch_execz .LBB135_21
; %bb.65:                               ;   in Loop: Header=BB135_24 Depth=2
	s_waitcnt vmcnt(0)
	v_add_nc_u32_e32 v44, s6, v109
	ds_load_2addr_b64 v[44:47], v44 offset0:64 offset1:65
	s_branch .LBB135_21
.LBB135_66:                             ;   in Loop: Header=BB135_19 Depth=1
	v_xor_b32_e32 v0, 16, v93
	v_cvt_i32_f32_e32 v1, v108
	s_waitcnt lgkmcnt(6)
	v_cvt_i32_f32_e32 v3, v106
	s_waitcnt lgkmcnt(1)
	v_cvt_i32_f32_e32 v4, v105
	v_cvt_i32_f32_e32 v5, v104
	v_cmp_gt_i32_e32 vcc_lo, 32, v0
	v_cvt_f32_i32_dpp v1, v1 row_shr:8 row_mask:0xf bank_mask:0xf bound_ctrl:1
	v_cvt_i32_f32_e32 v2, v107
	s_delay_alu instid0(VALU_DEP_2) | instskip(NEXT) | instid1(VALU_DEP_2)
	v_dual_cndmask_b32 v0, v93, v0 :: v_dual_add_f32 v1, v108, v1
	v_cvt_f32_i32_dpp v2, v2 row_shr:8 row_mask:0xf bank_mask:0xf bound_ctrl:1
	s_waitcnt vmcnt(0)
	s_delay_alu instid0(VALU_DEP_2) | instskip(SKIP_4) | instid1(VALU_DEP_3)
	v_lshlrev_b32_e32 v30, 2, v0
	v_cvt_f32_i32_dpp v0, v3 row_shr:8 row_mask:0xf bank_mask:0xf bound_ctrl:1
	v_cvt_f32_i32_dpp v3, v4 row_shr:8 row_mask:0xf bank_mask:0xf bound_ctrl:1
	;; [unrolled: 1-line block ×3, first 2 shown]
	v_cvt_i32_f32_e32 v5, v1
	v_add_f32_e32 v3, v105, v3
	s_delay_alu instid0(VALU_DEP_2) | instskip(SKIP_1) | instid1(VALU_DEP_3)
	v_cvt_f32_i32_dpp v5, v5 row_shr:4 row_mask:0xf bank_mask:0xf bound_ctrl:1
	v_add_f32_e32 v2, v107, v2
	v_cvt_i32_f32_e32 v8, v3
	s_delay_alu instid0(VALU_DEP_3) | instskip(NEXT) | instid1(VALU_DEP_3)
	v_add_f32_e32 v1, v1, v5
	v_cvt_i32_f32_e32 v6, v2
	s_delay_alu instid0(VALU_DEP_3) | instskip(NEXT) | instid1(VALU_DEP_3)
	v_cvt_f32_i32_dpp v8, v8 row_shr:4 row_mask:0xf bank_mask:0xf bound_ctrl:1
	v_cvt_i32_f32_e32 v5, v1
	s_delay_alu instid0(VALU_DEP_3) | instskip(NEXT) | instid1(VALU_DEP_3)
	v_cvt_f32_i32_dpp v6, v6 row_shr:4 row_mask:0xf bank_mask:0xf bound_ctrl:1
	v_add_f32_e32 v3, v3, v8
	s_delay_alu instid0(VALU_DEP_3) | instskip(SKIP_1) | instid1(VALU_DEP_4)
	v_cvt_f32_i32_dpp v5, v5 row_shr:2 row_mask:0xf bank_mask:0xf bound_ctrl:1
	v_add_f32_e32 v0, v106, v0
	v_add_f32_e32 v2, v2, v6
	s_delay_alu instid0(VALU_DEP_4) | instskip(NEXT) | instid1(VALU_DEP_4)
	v_cvt_i32_f32_e32 v8, v3
	v_add_f32_e32 v1, v1, v5
	s_delay_alu instid0(VALU_DEP_4) | instskip(NEXT) | instid1(VALU_DEP_4)
	v_cvt_i32_f32_e32 v7, v0
	v_cvt_i32_f32_e32 v6, v2
	s_delay_alu instid0(VALU_DEP_4) | instskip(NEXT) | instid1(VALU_DEP_4)
	v_cvt_f32_i32_dpp v8, v8 row_shr:2 row_mask:0xf bank_mask:0xf bound_ctrl:1
	v_cvt_i32_f32_e32 v5, v1
	s_delay_alu instid0(VALU_DEP_4) | instskip(NEXT) | instid1(VALU_DEP_4)
	v_cvt_f32_i32_dpp v7, v7 row_shr:4 row_mask:0xf bank_mask:0xf bound_ctrl:1
	v_cvt_f32_i32_dpp v6, v6 row_shr:2 row_mask:0xf bank_mask:0xf bound_ctrl:1
	s_delay_alu instid0(VALU_DEP_4) | instskip(NEXT) | instid1(VALU_DEP_4)
	v_add_f32_e32 v3, v3, v8
	v_cvt_f32_i32_dpp v5, v5 row_shr:1 row_mask:0xf bank_mask:0xf bound_ctrl:1
	s_delay_alu instid0(VALU_DEP_4) | instskip(NEXT) | instid1(VALU_DEP_3)
	v_add_f32_e32 v0, v0, v7
	v_cvt_i32_f32_e32 v8, v3
	s_delay_alu instid0(VALU_DEP_3) | instskip(NEXT) | instid1(VALU_DEP_3)
	v_add_f32_e32 v24, v1, v5
	v_cvt_i32_f32_e32 v7, v0
	v_cvt_i32_f32_e32 v1, v99
	s_delay_alu instid0(VALU_DEP_4) | instskip(NEXT) | instid1(VALU_DEP_3)
	v_cvt_f32_i32_dpp v8, v8 row_shr:1 row_mask:0xf bank_mask:0xf bound_ctrl:1
	v_cvt_f32_i32_dpp v7, v7 row_shr:2 row_mask:0xf bank_mask:0xf bound_ctrl:1
	s_delay_alu instid0(VALU_DEP_3) | instskip(NEXT) | instid1(VALU_DEP_1)
	v_cvt_f32_i32_dpp v1, v1 row_shr:8 row_mask:0xf bank_mask:0xf bound_ctrl:1
	v_dual_add_f32 v0, v0, v7 :: v_dual_add_f32 v1, v99, v1
	s_delay_alu instid0(VALU_DEP_1) | instskip(NEXT) | instid1(VALU_DEP_2)
	v_cvt_i32_f32_e32 v7, v0
	v_cvt_i32_f32_e32 v10, v1
	s_delay_alu instid0(VALU_DEP_2) | instskip(SKIP_1) | instid1(VALU_DEP_3)
	v_cvt_f32_i32_dpp v7, v7 row_shr:1 row_mask:0xf bank_mask:0xf bound_ctrl:1
	v_add_f32_e32 v2, v2, v6
	v_cvt_f32_i32_dpp v10, v10 row_shr:4 row_mask:0xf bank_mask:0xf bound_ctrl:1
	s_delay_alu instid0(VALU_DEP_3) | instskip(NEXT) | instid1(VALU_DEP_3)
	v_add_f32_e32 v13, v0, v7
	v_cvt_i32_f32_e32 v6, v2
	v_cvt_i32_f32_e32 v7, v101
	;; [unrolled: 1-line block ×3, first 2 shown]
	v_add_f32_e32 v1, v1, v10
	ds_bpermute_b32 v16, v30, v13
	v_cvt_f32_i32_dpp v6, v6 row_shr:1 row_mask:0xf bank_mask:0xf bound_ctrl:1
	v_add_f32_e32 v4, v104, v4
	v_cvt_f32_i32_dpp v7, v7 row_shr:8 row_mask:0xf bank_mask:0xf bound_ctrl:1
	v_cvt_f32_i32_dpp v0, v0 row_shr:8 row_mask:0xf bank_mask:0xf bound_ctrl:1
	v_cvt_i32_f32_e32 v10, v1
	v_add_f32_e32 v19, v2, v6
	v_cvt_i32_f32_e32 v9, v4
	v_add_f32_e32 v7, v101, v7
	s_delay_alu instid0(VALU_DEP_4) | instskip(SKIP_1) | instid1(VALU_DEP_4)
	v_cvt_f32_i32_dpp v10, v10 row_shr:2 row_mask:0xf bank_mask:0xf bound_ctrl:1
	v_add_f32_e32 v6, v3, v8
	v_cvt_f32_i32_dpp v9, v9 row_shr:4 row_mask:0xf bank_mask:0xf bound_ctrl:1
	v_cvt_i32_f32_e32 v3, v100
	v_cvt_i32_f32_e32 v14, v7
	v_add_f32_e32 v1, v1, v10
	ds_bpermute_b32 v22, v30, v19
	v_add_f32_e32 v4, v4, v9
	v_cvt_f32_i32_dpp v3, v3 row_shr:8 row_mask:0xf bank_mask:0xf bound_ctrl:1
	v_cvt_f32_i32_dpp v14, v14 row_shr:4 row_mask:0xf bank_mask:0xf bound_ctrl:1
	v_cvt_i32_f32_e32 v10, v1
	s_delay_alu instid0(VALU_DEP_4) | instskip(NEXT) | instid1(VALU_DEP_4)
	v_cvt_i32_f32_e32 v9, v4
	v_add_f32_e32 v3, v100, v3
	ds_bpermute_b32 v27, v30, v24
	v_cvt_f32_i32_dpp v10, v10 row_shr:1 row_mask:0xf bank_mask:0xf bound_ctrl:1
	v_add_f32_e32 v7, v7, v14
	v_cvt_f32_i32_dpp v9, v9 row_shr:2 row_mask:0xf bank_mask:0xf bound_ctrl:1
	v_cvt_i32_f32_e32 v11, v3
	s_delay_alu instid0(VALU_DEP_4) | instskip(SKIP_1) | instid1(VALU_DEP_4)
	v_add_f32_e32 v18, v1, v10
	v_cvt_i32_f32_e32 v1, v98
	v_add_f32_e32 v4, v4, v9
	s_delay_alu instid0(VALU_DEP_4) | instskip(SKIP_1) | instid1(VALU_DEP_4)
	v_cvt_f32_i32_dpp v11, v11 row_shr:4 row_mask:0xf bank_mask:0xf bound_ctrl:1
	v_cvt_i32_f32_e32 v14, v7
	v_cvt_f32_i32_dpp v1, v1 row_shr:8 row_mask:0xf bank_mask:0xf bound_ctrl:1
	s_delay_alu instid0(VALU_DEP_4)
	v_cvt_i32_f32_e32 v9, v4
	v_add_f32_e32 v0, v103, v0
	v_add_f32_e32 v3, v3, v11
	v_cvt_f32_i32_dpp v14, v14 row_shr:2 row_mask:0xf bank_mask:0xf bound_ctrl:1
	v_add_f32_e32 v1, v98, v1
	v_cvt_f32_i32_dpp v9, v9 row_shr:1 row_mask:0xf bank_mask:0xf bound_ctrl:1
	v_cvt_i32_f32_e32 v8, v0
	v_cvt_i32_f32_e32 v11, v3
	s_delay_alu instid0(VALU_DEP_3) | instskip(SKIP_1) | instid1(VALU_DEP_4)
	v_add_f32_e32 v2, v4, v9
	v_cvt_i32_f32_e32 v4, v102
	v_cvt_f32_i32_dpp v8, v8 row_shr:4 row_mask:0xf bank_mask:0xf bound_ctrl:1
	s_delay_alu instid0(VALU_DEP_4) | instskip(SKIP_4) | instid1(VALU_DEP_2)
	v_cvt_f32_i32_dpp v11, v11 row_shr:2 row_mask:0xf bank_mask:0xf bound_ctrl:1
	ds_bpermute_b32 v9, v30, v6
	ds_bpermute_b32 v5, v30, v2
	v_cvt_f32_i32_dpp v4, v4 row_shr:8 row_mask:0xf bank_mask:0xf bound_ctrl:1
	v_dual_add_f32 v0, v0, v8 :: v_dual_add_f32 v3, v3, v11
	v_add_f32_e32 v4, v102, v4
	s_delay_alu instid0(VALU_DEP_2) | instskip(NEXT) | instid1(VALU_DEP_3)
	v_cvt_i32_f32_e32 v8, v0
	v_cvt_i32_f32_e32 v11, v3
	s_delay_alu instid0(VALU_DEP_3) | instskip(NEXT) | instid1(VALU_DEP_3)
	v_cvt_i32_f32_e32 v12, v4
	v_cvt_f32_i32_dpp v8, v8 row_shr:2 row_mask:0xf bank_mask:0xf bound_ctrl:1
	s_delay_alu instid0(VALU_DEP_3) | instskip(NEXT) | instid1(VALU_DEP_3)
	v_cvt_f32_i32_dpp v11, v11 row_shr:1 row_mask:0xf bank_mask:0xf bound_ctrl:1
	v_cvt_f32_i32_dpp v12, v12 row_shr:4 row_mask:0xf bank_mask:0xf bound_ctrl:1
	s_delay_alu instid0(VALU_DEP_3) | instskip(SKIP_1) | instid1(VALU_DEP_2)
	v_add_f32_e32 v0, v0, v8
	v_add_f32_e32 v8, v7, v14
	v_cvt_i32_f32_e32 v7, v0
	s_delay_alu instid0(VALU_DEP_1) | instskip(NEXT) | instid1(VALU_DEP_1)
	v_cvt_f32_i32_dpp v7, v7 row_shr:1 row_mask:0xf bank_mask:0xf bound_ctrl:1
	v_add_f32_e32 v25, v0, v7
	s_delay_alu instid0(VALU_DEP_4) | instskip(SKIP_4) | instid1(VALU_DEP_1)
	v_cvt_i32_f32_e32 v14, v8
	ds_bpermute_b32 v28, v30, v25
	v_cvt_f32_i32_dpp v15, v14 row_shr:1 row_mask:0xf bank_mask:0xf bound_ctrl:1
	v_add_f32_e32 v14, v3, v11
	v_cvt_i32_f32_e32 v11, v95
	v_cvt_f32_i32_dpp v11, v11 row_shr:8 row_mask:0xf bank_mask:0xf bound_ctrl:1
	s_delay_alu instid0(VALU_DEP_1) | instskip(NEXT) | instid1(VALU_DEP_1)
	v_dual_add_f32 v4, v4, v12 :: v_dual_add_f32 v11, v95, v11
	v_cvt_i32_f32_e32 v12, v4
	s_delay_alu instid0(VALU_DEP_2) | instskip(NEXT) | instid1(VALU_DEP_2)
	v_cvt_i32_f32_e32 v26, v11
	v_cvt_f32_i32_dpp v12, v12 row_shr:2 row_mask:0xf bank_mask:0xf bound_ctrl:1
	s_delay_alu instid0(VALU_DEP_2) | instskip(NEXT) | instid1(VALU_DEP_1)
	v_cvt_f32_i32_dpp v26, v26 row_shr:4 row_mask:0xf bank_mask:0xf bound_ctrl:1
	v_dual_add_f32 v4, v4, v12 :: v_dual_add_f32 v11, v11, v26
	s_delay_alu instid0(VALU_DEP_1) | instskip(NEXT) | instid1(VALU_DEP_2)
	v_cvt_i32_f32_e32 v12, v4
	v_cvt_i32_f32_e32 v26, v11
	s_delay_alu instid0(VALU_DEP_2) | instskip(NEXT) | instid1(VALU_DEP_2)
	v_cvt_f32_i32_dpp v12, v12 row_shr:1 row_mask:0xf bank_mask:0xf bound_ctrl:1
	v_cvt_f32_i32_dpp v26, v26 row_shr:2 row_mask:0xf bank_mask:0xf bound_ctrl:1
	s_delay_alu instid0(VALU_DEP_2)
	v_add_f32_e32 v7, v4, v12
	v_cvt_i32_f32_e32 v12, v94
	v_add_f32_e32 v0, v8, v15
	v_cvt_i32_f32_e32 v15, v1
	;; [unrolled: 2-line block ×3, first 2 shown]
	v_cvt_f32_i32_dpp v12, v12 row_shr:8 row_mask:0xf bank_mask:0xf bound_ctrl:1
	v_cvt_i32_f32_e32 v4, v97
	v_cvt_f32_i32_dpp v15, v15 row_shr:4 row_mask:0xf bank_mask:0xf bound_ctrl:1
	ds_bpermute_b32 v21, v30, v18
	v_cvt_f32_i32_dpp v8, v8 row_shr:8 row_mask:0xf bank_mask:0xf bound_ctrl:1
	ds_bpermute_b32 v10, v30, v7
	;; [unrolled: 2-line block ×3, first 2 shown]
	v_dual_add_f32 v12, v94, v12 :: v_dual_add_f32 v1, v1, v15
	v_cvt_i32_f32_e32 v26, v11
	s_delay_alu instid0(VALU_DEP_2) | instskip(NEXT) | instid1(VALU_DEP_3)
	v_cvt_i32_f32_e32 v29, v12
	v_cvt_i32_f32_e32 v15, v1
	s_delay_alu instid0(VALU_DEP_3) | instskip(NEXT) | instid1(VALU_DEP_3)
	v_cvt_f32_i32_dpp v31, v26 row_shr:1 row_mask:0xf bank_mask:0xf bound_ctrl:1
	v_cvt_f32_i32_dpp v29, v29 row_shr:4 row_mask:0xf bank_mask:0xf bound_ctrl:1
	s_delay_alu instid0(VALU_DEP_3) | instskip(SKIP_1) | instid1(VALU_DEP_2)
	v_cvt_f32_i32_dpp v15, v15 row_shr:2 row_mask:0xf bank_mask:0xf bound_ctrl:1
	v_add_f32_e32 v8, v96, v8
	v_dual_add_f32 v12, v12, v29 :: v_dual_add_f32 v1, v1, v15
	s_waitcnt lgkmcnt(9)
	s_delay_alu instid0(VALU_DEP_2) | instskip(NEXT) | instid1(VALU_DEP_2)
	v_cvt_i32_f32_e32 v23, v8
	v_cvt_i32_f32_e32 v29, v12
	s_delay_alu instid0(VALU_DEP_2) | instskip(NEXT) | instid1(VALU_DEP_2)
	v_cvt_f32_i32_dpp v23, v23 row_shr:4 row_mask:0xf bank_mask:0xf bound_ctrl:1
	v_cvt_f32_i32_dpp v29, v29 row_shr:2 row_mask:0xf bank_mask:0xf bound_ctrl:1
	s_delay_alu instid0(VALU_DEP_2) | instskip(NEXT) | instid1(VALU_DEP_2)
	v_add_f32_e32 v8, v8, v23
	v_add_f32_e32 v15, v12, v29
	v_cvt_i32_f32_e32 v12, v1
	s_delay_alu instid0(VALU_DEP_3) | instskip(SKIP_4) | instid1(VALU_DEP_3)
	v_cvt_i32_f32_e32 v23, v8
	ds_bpermute_b32 v17, v30, v14
	v_cvt_i32_f32_e32 v29, v15
	v_cvt_f32_i32_dpp v12, v12 row_shr:1 row_mask:0xf bank_mask:0xf bound_ctrl:1
	v_cvt_f32_i32_dpp v23, v23 row_shr:2 row_mask:0xf bank_mask:0xf bound_ctrl:1
	;; [unrolled: 1-line block ×3, first 2 shown]
	v_add_f32_e32 v4, v97, v4
	s_delay_alu instid0(VALU_DEP_4) | instskip(NEXT) | instid1(VALU_DEP_3)
	v_add_f32_e32 v26, v1, v12
	v_dual_add_f32 v8, v8, v23 :: v_dual_add_f32 v1, v15, v29
	s_delay_alu instid0(VALU_DEP_3) | instskip(SKIP_3) | instid1(VALU_DEP_2)
	v_cvt_i32_f32_e32 v20, v4
	ds_bpermute_b32 v29, v30, v26
	v_cvt_i32_f32_e32 v23, v8
	v_cvt_f32_i32_dpp v20, v20 row_shr:4 row_mask:0xf bank_mask:0xf bound_ctrl:1
	v_cvt_f32_i32_dpp v23, v23 row_shr:1 row_mask:0xf bank_mask:0xf bound_ctrl:1
	s_delay_alu instid0(VALU_DEP_2) | instskip(NEXT) | instid1(VALU_DEP_2)
	v_add_f32_e32 v4, v4, v20
	v_add_f32_e32 v12, v8, v23
	v_add_f32_e32 v8, v11, v31
	s_delay_alu instid0(VALU_DEP_3) | instskip(SKIP_3) | instid1(VALU_DEP_1)
	v_cvt_i32_f32_e32 v20, v4
	ds_bpermute_b32 v15, v30, v12
	ds_bpermute_b32 v11, v30, v8
	v_cvt_f32_i32_dpp v20, v20 row_shr:2 row_mask:0xf bank_mask:0xf bound_ctrl:1
	v_add_f32_e32 v4, v4, v20
	s_delay_alu instid0(VALU_DEP_1) | instskip(NEXT) | instid1(VALU_DEP_1)
	v_cvt_i32_f32_e32 v20, v4
	v_cvt_f32_i32_dpp v20, v20 row_shr:1 row_mask:0xf bank_mask:0xf bound_ctrl:1
	s_delay_alu instid0(VALU_DEP_1)
	v_add_f32_e32 v20, v4, v20
	ds_bpermute_b32 v4, v30, v1
	ds_bpermute_b32 v23, v30, v20
	s_and_saveexec_b32 s18, s0
	s_cbranch_execz .LBB135_85
; %bb.67:                               ;   in Loop: Header=BB135_19 Depth=1
	v_dual_mov_b32 v44, 0 :: v_dual_mov_b32 v43, 0
	v_dual_mov_b32 v42, 0 :: v_dual_mov_b32 v41, 0
	;; [unrolled: 1-line block ×7, first 2 shown]
	v_mov_b32_e32 v30, 0
	s_and_not1_b32 vcc_lo, exec_lo, s23
	s_cbranch_vccnz .LBB135_69
; %bb.68:                               ;   in Loop: Header=BB135_19 Depth=1
	v_mul_hi_u32 v30, v68, v91
	v_mul_hi_u32 v31, v73, v91
	;; [unrolled: 1-line block ×3, first 2 shown]
	s_delay_alu instid0(VALU_DEP_3) | instskip(NEXT) | instid1(VALU_DEP_3)
	v_mul_lo_u32 v30, v30, s14
	v_mul_lo_u32 v31, v31, s14
	s_delay_alu instid0(VALU_DEP_3) | instskip(NEXT) | instid1(VALU_DEP_3)
	v_mul_lo_u32 v32, v32, s14
	v_sub_nc_u32_e32 v30, v68, v30
	s_delay_alu instid0(VALU_DEP_3) | instskip(NEXT) | instid1(VALU_DEP_3)
	v_sub_nc_u32_e32 v33, v73, v31
	v_sub_nc_u32_e32 v32, v72, v32
	s_delay_alu instid0(VALU_DEP_3) | instskip(SKIP_1) | instid1(VALU_DEP_4)
	v_subrev_nc_u32_e32 v34, s14, v30
	v_cmp_le_u32_e32 vcc_lo, s14, v30
	v_subrev_nc_u32_e32 v35, s14, v33
	s_delay_alu instid0(VALU_DEP_4) | instskip(NEXT) | instid1(VALU_DEP_4)
	v_subrev_nc_u32_e32 v36, s14, v32
	v_cndmask_b32_e32 v30, v30, v34, vcc_lo
	v_cmp_le_u32_e32 vcc_lo, s14, v33
	s_delay_alu instid0(VALU_DEP_4) | instskip(SKIP_2) | instid1(VALU_DEP_3)
	v_dual_mov_b32 v31, v70 :: v_dual_cndmask_b32 v34, v33, v35
	v_cmp_le_u32_e32 vcc_lo, s14, v32
	v_mov_b32_e32 v33, v70
	v_subrev_nc_u32_e32 v37, s14, v34
	v_cndmask_b32_e32 v32, v32, v36, vcc_lo
	v_subrev_nc_u32_e32 v36, s14, v30
	v_cmp_le_u32_e32 vcc_lo, s14, v30
	s_delay_alu instid0(VALU_DEP_3) | instskip(NEXT) | instid1(VALU_DEP_3)
	v_subrev_nc_u32_e32 v38, s14, v32
	v_cndmask_b32_e32 v69, v30, v36, vcc_lo
	v_cmp_le_u32_e32 vcc_lo, s14, v34
	v_cndmask_b32_e32 v30, v34, v37, vcc_lo
	v_cmp_le_u32_e32 vcc_lo, s14, v32
	v_mov_b32_e32 v35, v70
	s_delay_alu instid0(VALU_DEP_3)
	v_dual_mov_b32 v48, v70 :: v_dual_add_nc_u32 v49, s28, v30
	v_cndmask_b32_e32 v32, v32, v38, vcc_lo
	v_add_nc_u32_e32 v36, s27, v30
	v_lshlrev_b64 v[38:39], 1, v[69:70]
	v_lshlrev_b64 v[40:41], 1, v[30:31]
	v_dual_mov_b32 v37, v70 :: v_dual_add_nc_u32 v34, s27, v69
	v_lshlrev_b64 v[42:43], 1, v[32:33]
	v_add_nc_u32_e32 v47, s28, v69
	v_add_co_u32 v38, vcc_lo, s8, v38
	v_add_co_ci_u32_e32 v39, vcc_lo, s9, v39, vcc_lo
	v_add_co_u32 v40, vcc_lo, s8, v40
	v_add_co_ci_u32_e32 v41, vcc_lo, s9, v41, vcc_lo
	v_add_co_u32 v45, vcc_lo, s8, v42
	v_lshlrev_b64 v[33:34], 1, v[34:35]
	v_add_co_ci_u32_e32 v46, vcc_lo, s9, v43, vcc_lo
	v_dual_mov_b32 v43, v70 :: v_dual_add_nc_u32 v42, s27, v32
	v_lshlrev_b64 v[35:36], 1, v[36:37]
	s_delay_alu instid0(VALU_DEP_4) | instskip(SKIP_1) | instid1(VALU_DEP_4)
	v_add_co_u32 v33, vcc_lo, s8, v33
	v_add_co_ci_u32_e32 v34, vcc_lo, s9, v34, vcc_lo
	v_lshlrev_b64 v[42:43], 1, v[42:43]
	s_delay_alu instid0(VALU_DEP_4) | instskip(SKIP_2) | instid1(VALU_DEP_4)
	v_add_co_u32 v35, vcc_lo, s8, v35
	v_dual_mov_b32 v50, v70 :: v_dual_add_nc_u32 v55, s30, v69
	v_add_co_ci_u32_e32 v36, vcc_lo, s9, v36, vcc_lo
	v_add_co_u32 v51, vcc_lo, s8, v42
	v_lshlrev_b64 v[47:48], 1, v[47:48]
	v_add_co_ci_u32_e32 v52, vcc_lo, s9, v43, vcc_lo
	v_lshlrev_b64 v[42:43], 1, v[49:50]
	v_dual_mov_b32 v56, v70 :: v_dual_add_nc_u32 v49, s28, v32
	s_delay_alu instid0(VALU_DEP_4) | instskip(SKIP_1) | instid1(VALU_DEP_3)
	v_add_co_u32 v47, vcc_lo, s8, v47
	v_add_co_ci_u32_e32 v48, vcc_lo, s9, v48, vcc_lo
	v_lshlrev_b64 v[49:50], 1, v[49:50]
	v_add_co_u32 v53, vcc_lo, s8, v42
	v_add_co_ci_u32_e32 v54, vcc_lo, s9, v43, vcc_lo
	s_clause 0x7
	global_load_u16 v44, v[38:39], off
	global_load_u16 v43, v[40:41], off
	;; [unrolled: 1-line block ×8, first 2 shown]
	v_dual_mov_b32 v46, v70 :: v_dual_add_nc_u32 v45, s30, v30
	v_add_co_u32 v47, vcc_lo, s8, v49
	v_add_nc_u32_e32 v49, s30, v32
	v_lshlrev_b64 v[33:34], 1, v[55:56]
	v_add_co_ci_u32_e32 v48, vcc_lo, s9, v50, vcc_lo
	v_dual_mov_b32 v50, v70 :: v_dual_add_nc_u32 v69, s31, v69
	v_lshlrev_b64 v[45:46], 1, v[45:46]
	s_delay_alu instid0(VALU_DEP_4) | instskip(NEXT) | instid1(VALU_DEP_3)
	v_add_co_u32 v33, vcc_lo, s8, v33
	v_lshlrev_b64 v[49:50], 1, v[49:50]
	v_add_co_ci_u32_e32 v34, vcc_lo, s9, v34, vcc_lo
	s_delay_alu instid0(VALU_DEP_4)
	v_add_co_u32 v45, vcc_lo, s8, v45
	v_lshlrev_b64 v[51:52], 1, v[69:70]
	v_add_nc_u32_e32 v69, s31, v30
	v_add_co_ci_u32_e32 v46, vcc_lo, s9, v46, vcc_lo
	v_add_co_u32 v30, vcc_lo, s8, v49
	v_add_co_ci_u32_e32 v31, vcc_lo, s9, v50, vcc_lo
	s_delay_alu instid0(VALU_DEP_4) | instskip(SKIP_3) | instid1(VALU_DEP_3)
	v_lshlrev_b64 v[49:50], 1, v[69:70]
	v_add_nc_u32_e32 v69, s31, v32
	v_add_co_u32 v51, vcc_lo, s8, v51
	v_add_co_ci_u32_e32 v52, vcc_lo, s9, v52, vcc_lo
	v_lshlrev_b64 v[53:54], 1, v[69:70]
	v_add_co_u32 v49, vcc_lo, s8, v49
	v_add_co_ci_u32_e32 v50, vcc_lo, s9, v50, vcc_lo
	s_delay_alu instid0(VALU_DEP_3) | instskip(NEXT) | instid1(VALU_DEP_4)
	v_add_co_u32 v53, vcc_lo, s8, v53
	v_add_co_ci_u32_e32 v54, vcc_lo, s9, v54, vcc_lo
	s_clause 0x6
	global_load_u16 v38, v[47:48], off
	global_load_u16 v36, v[33:34], off
	global_load_u16 v34, v[45:46], off
	global_load_u16 v33, v[30:31], off
	global_load_u16 v32, v[51:52], off
	global_load_u16 v31, v[49:50], off
	global_load_u16 v30, v[53:54], off
.LBB135_69:                             ;   in Loop: Header=BB135_19 Depth=1
	v_cmp_ne_u32_e32 vcc_lo, 0, v64
	s_and_saveexec_b32 s2, vcc_lo
	s_cbranch_execnz .LBB135_90
; %bb.70:                               ;   in Loop: Header=BB135_19 Depth=1
	s_or_b32 exec_lo, exec_lo, s2
	v_cmp_ne_u32_e64 s1, 0, v65
	s_delay_alu instid0(VALU_DEP_1)
	s_and_saveexec_b32 s3, s1
	s_cbranch_execnz .LBB135_91
.LBB135_71:                             ;   in Loop: Header=BB135_19 Depth=1
	s_or_b32 exec_lo, exec_lo, s3
	v_cmp_ne_u32_e64 s2, 0, v66
	s_delay_alu instid0(VALU_DEP_1)
	s_and_saveexec_b32 s19, s2
	s_cbranch_execnz .LBB135_92
.LBB135_72:                             ;   in Loop: Header=BB135_19 Depth=1
	s_or_b32 exec_lo, exec_lo, s19
	v_add_nc_u32_e32 v69, s7, v68
	s_and_saveexec_b32 s19, vcc_lo
	s_cbranch_execnz .LBB135_93
.LBB135_73:                             ;   in Loop: Header=BB135_19 Depth=1
	s_or_b32 exec_lo, exec_lo, s19
	s_and_saveexec_b32 s19, s1
	s_cbranch_execnz .LBB135_94
.LBB135_74:                             ;   in Loop: Header=BB135_19 Depth=1
	s_or_b32 exec_lo, exec_lo, s19
	s_and_saveexec_b32 s19, s2
	s_cbranch_execnz .LBB135_95
.LBB135_75:                             ;   in Loop: Header=BB135_19 Depth=1
	s_or_b32 exec_lo, exec_lo, s19
	v_add_nc_u32_e32 v69, s7, v69
	s_and_saveexec_b32 s19, vcc_lo
	s_cbranch_execnz .LBB135_96
.LBB135_76:                             ;   in Loop: Header=BB135_19 Depth=1
	s_or_b32 exec_lo, exec_lo, s19
	s_and_saveexec_b32 s19, s1
	s_cbranch_execnz .LBB135_97
.LBB135_77:                             ;   in Loop: Header=BB135_19 Depth=1
	s_or_b32 exec_lo, exec_lo, s19
	s_and_saveexec_b32 s19, s2
	s_cbranch_execnz .LBB135_98
.LBB135_78:                             ;   in Loop: Header=BB135_19 Depth=1
	s_or_b32 exec_lo, exec_lo, s19
	v_add_nc_u32_e32 v69, s7, v69
	s_and_saveexec_b32 s19, vcc_lo
	s_cbranch_execnz .LBB135_99
.LBB135_79:                             ;   in Loop: Header=BB135_19 Depth=1
	s_or_b32 exec_lo, exec_lo, s19
	s_and_saveexec_b32 s19, s1
	s_cbranch_execnz .LBB135_100
.LBB135_80:                             ;   in Loop: Header=BB135_19 Depth=1
	s_or_b32 exec_lo, exec_lo, s19
	s_and_saveexec_b32 s19, s2
	s_cbranch_execnz .LBB135_101
.LBB135_81:                             ;   in Loop: Header=BB135_19 Depth=1
	s_or_b32 exec_lo, exec_lo, s19
	v_add_nc_u32_e32 v69, s7, v69
	s_and_saveexec_b32 s3, vcc_lo
	s_cbranch_execnz .LBB135_102
.LBB135_82:                             ;   in Loop: Header=BB135_19 Depth=1
	s_or_b32 exec_lo, exec_lo, s3
	s_and_saveexec_b32 s3, s1
	s_cbranch_execnz .LBB135_103
.LBB135_83:                             ;   in Loop: Header=BB135_19 Depth=1
	s_or_b32 exec_lo, exec_lo, s3
	s_delay_alu instid0(SALU_CYCLE_1)
	s_and_b32 exec_lo, exec_lo, s2
	s_cbranch_execz .LBB135_85
.LBB135_84:                             ;   in Loop: Header=BB135_19 Depth=1
	s_waitcnt lgkmcnt(1)
	v_dual_add_f32 v0, v1, v4 :: v_dual_add_nc_u32 v69, 2, v69
	s_waitcnt vmcnt(0)
	v_cvt_f32_f16_e32 v1, v30
	s_delay_alu instid0(VALU_DEP_1) | instskip(NEXT) | instid1(VALU_DEP_3)
	v_add_f32_e32 v2, v0, v1
	v_lshlrev_b64 v[0:1], 1, v[69:70]
	s_delay_alu instid0(VALU_DEP_2) | instskip(NEXT) | instid1(VALU_DEP_2)
	v_cvt_f16_f32_e32 v2, v2
	v_add_co_u32 v0, vcc_lo, s10, v0
	s_delay_alu instid0(VALU_DEP_3)
	v_add_co_ci_u32_e32 v1, vcc_lo, s11, v1, vcc_lo
	global_store_b16 v[0:1], v2, off
.LBB135_85:                             ;   in Loop: Header=BB135_19 Depth=1
	s_or_b32 exec_lo, exec_lo, s18
	v_add_nc_u32_e32 v68, s26, v68
	s_delay_alu instid0(VALU_DEP_1) | instskip(SKIP_1) | instid1(VALU_DEP_2)
	v_add_nc_u32_e32 v0, 3, v68
	v_cmp_gt_u32_e32 vcc_lo, s7, v68
	v_cmp_le_u32_e64 s1, s7, v0
	s_delay_alu instid0(VALU_DEP_1) | instskip(NEXT) | instid1(SALU_CYCLE_1)
	s_and_b32 s1, vcc_lo, s1
	s_and_saveexec_b32 s34, s1
	s_cbranch_execz .LBB135_18
; %bb.86:                               ;   in Loop: Header=BB135_19 Depth=1
	s_mov_b32 s35, exec_lo
	v_cmpx_ne_u32_e64 s15, v68
	s_cbranch_execz .LBB135_17
; %bb.87:                               ;   in Loop: Header=BB135_19 Depth=1
	v_subrev_nc_u32_e32 v0, s15, v68
	s_mov_b32 s36, 0
	s_mov_b64 s[18:19], 0
	s_delay_alu instid0(VALU_DEP_1)
	v_cmp_lt_u32_e32 vcc_lo, 1, v0
	v_cndmask_b32_e32 v0, 1, v0, vcc_lo
	.p2align	6
.LBB135_88:                             ;   Parent Loop BB135_19 Depth=1
                                        ; =>  This Inner Loop Header: Depth=2
	s_cmp_lg_u32 s18, 2
	s_cselect_b32 vcc_lo, -1, 0
	s_cmp_lg_u32 s18, 1
	v_cndmask_b32_e32 v66, 0, v66, vcc_lo
	s_cselect_b32 s1, -1, 0
	s_cmp_lg_u32 s18, 0
	v_cndmask_b32_e64 v65, 0, v65, s1
	s_cselect_b32 s2, -1, 0
	s_add_u32 s18, s18, 1
	v_cndmask_b32_e64 v64, 0, v64, s2
	v_cmp_eq_u32_e64 s3, s18, v0
	s_addc_u32 s19, s19, 0
	s_delay_alu instid0(VALU_DEP_1) | instskip(NEXT) | instid1(SALU_CYCLE_1)
	s_or_b32 s36, s3, s36
	s_and_not1_b32 exec_lo, exec_lo, s36
	s_cbranch_execnz .LBB135_88
; %bb.89:                               ;   in Loop: Header=BB135_19 Depth=1
	s_or_b32 exec_lo, exec_lo, s36
	s_branch .LBB135_17
.LBB135_90:                             ;   in Loop: Header=BB135_19 Depth=1
	s_waitcnt lgkmcnt(12)
	v_dual_add_f32 v24, v24, v27 :: v_dual_mov_b32 v69, v70
	s_waitcnt vmcnt(14)
	v_cvt_f32_f16_e32 v27, v44
	s_delay_alu instid0(VALU_DEP_2) | instskip(NEXT) | instid1(VALU_DEP_2)
	v_lshlrev_b64 v[44:45], 1, v[68:69]
	v_add_f32_e32 v24, v24, v27
	s_delay_alu instid0(VALU_DEP_1) | instskip(NEXT) | instid1(VALU_DEP_3)
	v_cvt_f16_f32_e32 v24, v24
	v_add_co_u32 v44, s1, s10, v44
	s_delay_alu instid0(VALU_DEP_1) | instskip(SKIP_3) | instid1(VALU_DEP_1)
	v_add_co_ci_u32_e64 v45, s1, s11, v45, s1
	global_store_b16 v[44:45], v24, off
	s_or_b32 exec_lo, exec_lo, s2
	v_cmp_ne_u32_e64 s1, 0, v65
	s_and_saveexec_b32 s3, s1
	s_cbranch_execz .LBB135_71
.LBB135_91:                             ;   in Loop: Header=BB135_19 Depth=1
	s_waitcnt lgkmcnt(13)
	v_dual_add_f32 v19, v19, v22 :: v_dual_mov_b32 v74, v70
	s_waitcnt vmcnt(13)
	v_cvt_f32_f16_e32 v22, v43
	s_delay_alu instid0(VALU_DEP_2) | instskip(NEXT) | instid1(VALU_DEP_2)
	v_lshlrev_b64 v[43:44], 1, v[73:74]
	v_add_f32_e32 v19, v19, v22
	s_delay_alu instid0(VALU_DEP_1) | instskip(NEXT) | instid1(VALU_DEP_3)
	v_cvt_f16_f32_e32 v19, v19
	v_add_co_u32 v43, s2, s10, v43
	s_delay_alu instid0(VALU_DEP_1) | instskip(SKIP_3) | instid1(VALU_DEP_1)
	v_add_co_ci_u32_e64 v44, s2, s11, v44, s2
	global_store_b16 v[43:44], v19, off
	s_or_b32 exec_lo, exec_lo, s3
	v_cmp_ne_u32_e64 s2, 0, v66
	s_and_saveexec_b32 s19, s2
	s_cbranch_execz .LBB135_72
.LBB135_92:                             ;   in Loop: Header=BB135_19 Depth=1
	v_mov_b32_e32 v73, v70
	s_waitcnt lgkmcnt(14)
	v_add_f32_e32 v13, v13, v16
	s_waitcnt vmcnt(12)
	v_cvt_f32_f16_e32 v16, v42
	v_lshlrev_b64 v[42:43], 1, v[72:73]
	s_delay_alu instid0(VALU_DEP_2) | instskip(NEXT) | instid1(VALU_DEP_2)
	v_add_f32_e32 v13, v13, v16
	v_add_co_u32 v42, s3, s10, v42
	s_delay_alu instid0(VALU_DEP_2) | instskip(NEXT) | instid1(VALU_DEP_4)
	v_cvt_f16_f32_e32 v13, v13
	v_add_co_ci_u32_e64 v43, s3, s11, v43, s3
	global_store_b16 v[42:43], v13, off
	s_or_b32 exec_lo, exec_lo, s19
	v_add_nc_u32_e32 v69, s7, v68
	s_and_saveexec_b32 s19, vcc_lo
	s_cbranch_execz .LBB135_73
.LBB135_93:                             ;   in Loop: Header=BB135_19 Depth=1
	s_waitcnt lgkmcnt(11)
	v_add_f32_e32 v6, v6, v9
	s_waitcnt vmcnt(11)
	v_cvt_f32_f16_e32 v9, v41
	v_lshlrev_b64 v[41:42], 1, v[69:70]
	s_delay_alu instid0(VALU_DEP_2) | instskip(NEXT) | instid1(VALU_DEP_2)
	v_add_f32_e32 v6, v6, v9
	v_add_co_u32 v41, s3, s10, v41
	s_delay_alu instid0(VALU_DEP_1) | instskip(NEXT) | instid1(VALU_DEP_3)
	v_add_co_ci_u32_e64 v42, s3, s11, v42, s3
	v_cvt_f16_f32_e32 v6, v6
	global_store_b16 v[41:42], v6, off
	s_or_b32 exec_lo, exec_lo, s19
	s_and_saveexec_b32 s19, s1
	s_cbranch_execz .LBB135_74
.LBB135_94:                             ;   in Loop: Header=BB135_19 Depth=1
	s_waitcnt lgkmcnt(10)
	v_add_f32_e32 v2, v2, v5
	v_dual_mov_b32 v6, v70 :: v_dual_add_nc_u32 v5, 1, v69
	s_waitcnt vmcnt(10)
	v_cvt_f32_f16_e32 v9, v40
	s_delay_alu instid0(VALU_DEP_2) | instskip(NEXT) | instid1(VALU_DEP_2)
	v_lshlrev_b64 v[5:6], 1, v[5:6]
	v_add_f32_e32 v2, v2, v9
	s_delay_alu instid0(VALU_DEP_1) | instskip(NEXT) | instid1(VALU_DEP_3)
	v_cvt_f16_f32_e32 v2, v2
	v_add_co_u32 v5, s3, s10, v5
	s_delay_alu instid0(VALU_DEP_1)
	v_add_co_ci_u32_e64 v6, s3, s11, v6, s3
	global_store_b16 v[5:6], v2, off
	s_or_b32 exec_lo, exec_lo, s19
	s_and_saveexec_b32 s19, s2
	s_cbranch_execz .LBB135_75
.LBB135_95:                             ;   in Loop: Header=BB135_19 Depth=1
	s_waitcnt lgkmcnt(9)
	v_dual_add_f32 v2, v25, v28 :: v_dual_add_nc_u32 v5, 2, v69
	v_mov_b32_e32 v6, v70
	s_waitcnt vmcnt(9)
	v_cvt_f32_f16_e32 v9, v39
	s_delay_alu instid0(VALU_DEP_2) | instskip(NEXT) | instid1(VALU_DEP_2)
	v_lshlrev_b64 v[5:6], 1, v[5:6]
	v_add_f32_e32 v2, v2, v9
	s_delay_alu instid0(VALU_DEP_1) | instskip(NEXT) | instid1(VALU_DEP_3)
	v_cvt_f16_f32_e32 v2, v2
	v_add_co_u32 v5, s3, s10, v5
	s_delay_alu instid0(VALU_DEP_1)
	v_add_co_ci_u32_e64 v6, s3, s11, v6, s3
	global_store_b16 v[5:6], v2, off
	s_or_b32 exec_lo, exec_lo, s19
	v_add_nc_u32_e32 v69, s7, v69
	s_and_saveexec_b32 s19, vcc_lo
	s_cbranch_execz .LBB135_76
.LBB135_96:                             ;   in Loop: Header=BB135_19 Depth=1
	s_waitcnt lgkmcnt(8)
	v_add_f32_e32 v2, v18, v21
	s_waitcnt vmcnt(8)
	v_cvt_f32_f16_e32 v5, v37
	s_delay_alu instid0(VALU_DEP_1) | instskip(SKIP_1) | instid1(VALU_DEP_2)
	v_add_f32_e32 v2, v2, v5
	v_lshlrev_b64 v[5:6], 1, v[69:70]
	v_cvt_f16_f32_e32 v2, v2
	s_delay_alu instid0(VALU_DEP_2) | instskip(NEXT) | instid1(VALU_DEP_1)
	v_add_co_u32 v5, s3, s10, v5
	v_add_co_ci_u32_e64 v6, s3, s11, v6, s3
	global_store_b16 v[5:6], v2, off
	s_or_b32 exec_lo, exec_lo, s19
	s_and_saveexec_b32 s19, s1
	s_cbranch_execz .LBB135_77
.LBB135_97:                             ;   in Loop: Header=BB135_19 Depth=1
	s_waitcnt lgkmcnt(10)
	v_dual_mov_b32 v6, v70 :: v_dual_add_nc_u32 v5, 1, v69
	s_waitcnt lgkmcnt(5)
	v_add_f32_e32 v2, v14, v17
	s_waitcnt vmcnt(7)
	v_cvt_f32_f16_e32 v9, v35
	v_lshlrev_b64 v[5:6], 1, v[5:6]
	s_delay_alu instid0(VALU_DEP_2) | instskip(NEXT) | instid1(VALU_DEP_2)
	v_add_f32_e32 v2, v2, v9
	v_add_co_u32 v5, s3, s10, v5
	s_delay_alu instid0(VALU_DEP_2) | instskip(NEXT) | instid1(VALU_DEP_4)
	v_cvt_f16_f32_e32 v2, v2
	v_add_co_ci_u32_e64 v6, s3, s11, v6, s3
	global_store_b16 v[5:6], v2, off
	s_or_b32 exec_lo, exec_lo, s19
	s_and_saveexec_b32 s19, s2
	s_cbranch_execz .LBB135_78
.LBB135_98:                             ;   in Loop: Header=BB135_19 Depth=1
	s_waitcnt lgkmcnt(7)
	v_dual_add_f32 v2, v7, v10 :: v_dual_add_nc_u32 v5, 2, v69
	v_mov_b32_e32 v6, v70
	s_waitcnt vmcnt(6)
	v_cvt_f32_f16_e32 v7, v38
	s_delay_alu instid0(VALU_DEP_2) | instskip(NEXT) | instid1(VALU_DEP_2)
	v_lshlrev_b64 v[5:6], 1, v[5:6]
	v_add_f32_e32 v2, v2, v7
	s_delay_alu instid0(VALU_DEP_1) | instskip(NEXT) | instid1(VALU_DEP_3)
	v_cvt_f16_f32_e32 v2, v2
	v_add_co_u32 v5, s3, s10, v5
	s_delay_alu instid0(VALU_DEP_1)
	v_add_co_ci_u32_e64 v6, s3, s11, v6, s3
	global_store_b16 v[5:6], v2, off
	s_or_b32 exec_lo, exec_lo, s19
	v_add_nc_u32_e32 v69, s7, v69
	s_and_saveexec_b32 s19, vcc_lo
	s_cbranch_execz .LBB135_79
.LBB135_99:                             ;   in Loop: Header=BB135_19 Depth=1
	s_waitcnt lgkmcnt(6)
	v_add_f32_e32 v0, v0, v3
	s_waitcnt vmcnt(5)
	v_cvt_f32_f16_e32 v2, v36
	s_delay_alu instid0(VALU_DEP_1) | instskip(SKIP_1) | instid1(VALU_DEP_2)
	v_add_f32_e32 v0, v0, v2
	v_lshlrev_b64 v[2:3], 1, v[69:70]
	v_cvt_f16_f32_e32 v0, v0
	s_delay_alu instid0(VALU_DEP_2) | instskip(NEXT) | instid1(VALU_DEP_1)
	v_add_co_u32 v2, s3, s10, v2
	v_add_co_ci_u32_e64 v3, s3, s11, v3, s3
	global_store_b16 v[2:3], v0, off
	s_or_b32 exec_lo, exec_lo, s19
	s_and_saveexec_b32 s19, s1
	s_cbranch_execz .LBB135_80
.LBB135_100:                            ;   in Loop: Header=BB135_19 Depth=1
	s_waitcnt lgkmcnt(6)
	v_dual_mov_b32 v3, v70 :: v_dual_add_nc_u32 v2, 1, v69
	s_waitcnt lgkmcnt(4)
	v_add_f32_e32 v0, v26, v29
	s_waitcnt vmcnt(4)
	v_cvt_f32_f16_e32 v5, v34
	v_lshlrev_b64 v[2:3], 1, v[2:3]
	s_delay_alu instid0(VALU_DEP_2) | instskip(NEXT) | instid1(VALU_DEP_2)
	v_add_f32_e32 v0, v0, v5
	v_add_co_u32 v2, s3, s10, v2
	s_delay_alu instid0(VALU_DEP_2) | instskip(NEXT) | instid1(VALU_DEP_4)
	v_cvt_f16_f32_e32 v0, v0
	v_add_co_ci_u32_e64 v3, s3, s11, v3, s3
	global_store_b16 v[2:3], v0, off
	s_or_b32 exec_lo, exec_lo, s19
	s_and_saveexec_b32 s19, s2
	s_cbranch_execz .LBB135_81
.LBB135_101:                            ;   in Loop: Header=BB135_19 Depth=1
	s_waitcnt lgkmcnt(0)
	v_dual_add_f32 v0, v20, v23 :: v_dual_mov_b32 v3, v70
	v_add_nc_u32_e32 v2, 2, v69
	s_waitcnt vmcnt(3)
	v_cvt_f32_f16_e32 v5, v33
	s_delay_alu instid0(VALU_DEP_2) | instskip(NEXT) | instid1(VALU_DEP_2)
	v_lshlrev_b64 v[2:3], 1, v[2:3]
	v_add_f32_e32 v0, v0, v5
	s_delay_alu instid0(VALU_DEP_1) | instskip(NEXT) | instid1(VALU_DEP_3)
	v_cvt_f16_f32_e32 v0, v0
	v_add_co_u32 v2, s3, s10, v2
	s_delay_alu instid0(VALU_DEP_1)
	v_add_co_ci_u32_e64 v3, s3, s11, v3, s3
	global_store_b16 v[2:3], v0, off
	s_or_b32 exec_lo, exec_lo, s19
	v_add_nc_u32_e32 v69, s7, v69
	s_and_saveexec_b32 s3, vcc_lo
	s_cbranch_execz .LBB135_82
.LBB135_102:                            ;   in Loop: Header=BB135_19 Depth=1
	s_waitcnt lgkmcnt(3)
	v_add_f32_e32 v0, v12, v15
	s_waitcnt vmcnt(2)
	v_cvt_f32_f16_e32 v2, v32
	s_delay_alu instid0(VALU_DEP_1) | instskip(SKIP_1) | instid1(VALU_DEP_2)
	v_add_f32_e32 v0, v0, v2
	v_lshlrev_b64 v[2:3], 1, v[69:70]
	v_cvt_f16_f32_e32 v0, v0
	s_delay_alu instid0(VALU_DEP_2) | instskip(NEXT) | instid1(VALU_DEP_3)
	v_add_co_u32 v2, vcc_lo, s10, v2
	v_add_co_ci_u32_e32 v3, vcc_lo, s11, v3, vcc_lo
	global_store_b16 v[2:3], v0, off
	s_or_b32 exec_lo, exec_lo, s3
	s_and_saveexec_b32 s3, s1
	s_cbranch_execz .LBB135_83
.LBB135_103:                            ;   in Loop: Header=BB135_19 Depth=1
	s_waitcnt lgkmcnt(2)
	v_dual_add_f32 v0, v8, v11 :: v_dual_mov_b32 v3, v70
	v_add_nc_u32_e32 v2, 1, v69
	s_waitcnt vmcnt(1)
	v_cvt_f32_f16_e32 v5, v31
	s_delay_alu instid0(VALU_DEP_2) | instskip(NEXT) | instid1(VALU_DEP_2)
	v_lshlrev_b64 v[2:3], 1, v[2:3]
	v_add_f32_e32 v0, v0, v5
	s_delay_alu instid0(VALU_DEP_1) | instskip(NEXT) | instid1(VALU_DEP_3)
	v_cvt_f16_f32_e32 v0, v0
	v_add_co_u32 v2, vcc_lo, s10, v2
	s_delay_alu instid0(VALU_DEP_4) | instskip(SKIP_2) | instid1(SALU_CYCLE_1)
	v_add_co_ci_u32_e32 v3, vcc_lo, s11, v3, vcc_lo
	global_store_b16 v[2:3], v0, off
	s_or_b32 exec_lo, exec_lo, s3
	s_and_b32 exec_lo, exec_lo, s2
	s_cbranch_execnz .LBB135_84
	s_branch .LBB135_85
.LBB135_104:
	s_nop 0
	s_sendmsg sendmsg(MSG_DEALLOC_VGPRS)
	s_endpgm
	.section	.rodata,"a",@progbits
	.p2align	6, 0x0
	.amdhsa_kernel _Z12wvSplitK_hf_I6__halfLi32ELi3ELi16ELi8ELi2ELi5EEviiiiiiPKT_S3_S3_PS1_ii
		.amdhsa_group_segment_fixed_size 65536
		.amdhsa_private_segment_fixed_size 0
		.amdhsa_kernarg_size 64
		.amdhsa_user_sgpr_count 15
		.amdhsa_user_sgpr_dispatch_ptr 0
		.amdhsa_user_sgpr_queue_ptr 0
		.amdhsa_user_sgpr_kernarg_segment_ptr 1
		.amdhsa_user_sgpr_dispatch_id 0
		.amdhsa_user_sgpr_private_segment_size 0
		.amdhsa_wavefront_size32 1
		.amdhsa_uses_dynamic_stack 0
		.amdhsa_enable_private_segment 0
		.amdhsa_system_sgpr_workgroup_id_x 1
		.amdhsa_system_sgpr_workgroup_id_y 0
		.amdhsa_system_sgpr_workgroup_id_z 0
		.amdhsa_system_sgpr_workgroup_info 0
		.amdhsa_system_vgpr_workitem_id 1
		.amdhsa_next_free_vgpr 110
		.amdhsa_next_free_sgpr 37
		.amdhsa_reserve_vcc 1
		.amdhsa_float_round_mode_32 0
		.amdhsa_float_round_mode_16_64 0
		.amdhsa_float_denorm_mode_32 3
		.amdhsa_float_denorm_mode_16_64 3
		.amdhsa_dx10_clamp 1
		.amdhsa_ieee_mode 1
		.amdhsa_fp16_overflow 0
		.amdhsa_workgroup_processor_mode 1
		.amdhsa_memory_ordered 1
		.amdhsa_forward_progress 0
		.amdhsa_shared_vgpr_count 0
		.amdhsa_exception_fp_ieee_invalid_op 0
		.amdhsa_exception_fp_denorm_src 0
		.amdhsa_exception_fp_ieee_div_zero 0
		.amdhsa_exception_fp_ieee_overflow 0
		.amdhsa_exception_fp_ieee_underflow 0
		.amdhsa_exception_fp_ieee_inexact 0
		.amdhsa_exception_int_div_zero 0
	.end_amdhsa_kernel
	.section	.text._Z12wvSplitK_hf_I6__halfLi32ELi3ELi16ELi8ELi2ELi5EEviiiiiiPKT_S3_S3_PS1_ii,"axG",@progbits,_Z12wvSplitK_hf_I6__halfLi32ELi3ELi16ELi8ELi2ELi5EEviiiiiiPKT_S3_S3_PS1_ii,comdat
.Lfunc_end135:
	.size	_Z12wvSplitK_hf_I6__halfLi32ELi3ELi16ELi8ELi2ELi5EEviiiiiiPKT_S3_S3_PS1_ii, .Lfunc_end135-_Z12wvSplitK_hf_I6__halfLi32ELi3ELi16ELi8ELi2ELi5EEviiiiiiPKT_S3_S3_PS1_ii
                                        ; -- End function
	.section	.AMDGPU.csdata,"",@progbits
; Kernel info:
; codeLenInByte = 9164
; NumSgprs: 39
; NumVgprs: 110
; ScratchSize: 0
; MemoryBound: 0
; FloatMode: 240
; IeeeMode: 1
; LDSByteSize: 65536 bytes/workgroup (compile time only)
; SGPRBlocks: 4
; VGPRBlocks: 13
; NumSGPRsForWavesPerEU: 39
; NumVGPRsForWavesPerEU: 110
; Occupancy: 8
; WaveLimiterHint : 0
; COMPUTE_PGM_RSRC2:SCRATCH_EN: 0
; COMPUTE_PGM_RSRC2:USER_SGPR: 15
; COMPUTE_PGM_RSRC2:TRAP_HANDLER: 0
; COMPUTE_PGM_RSRC2:TGID_X_EN: 1
; COMPUTE_PGM_RSRC2:TGID_Y_EN: 0
; COMPUTE_PGM_RSRC2:TGID_Z_EN: 0
; COMPUTE_PGM_RSRC2:TIDIG_COMP_CNT: 1
	.section	.text._Z16wvSplitK_hf_big_I6__halfLi32ELi3ELi16ELi8ELi2ELi5EEviiiiiiPKT_S3_S3_PS1_ii,"axG",@progbits,_Z16wvSplitK_hf_big_I6__halfLi32ELi3ELi16ELi8ELi2ELi5EEviiiiiiPKT_S3_S3_PS1_ii,comdat
	.protected	_Z16wvSplitK_hf_big_I6__halfLi32ELi3ELi16ELi8ELi2ELi5EEviiiiiiPKT_S3_S3_PS1_ii ; -- Begin function _Z16wvSplitK_hf_big_I6__halfLi32ELi3ELi16ELi8ELi2ELi5EEviiiiiiPKT_S3_S3_PS1_ii
	.globl	_Z16wvSplitK_hf_big_I6__halfLi32ELi3ELi16ELi8ELi2ELi5EEviiiiiiPKT_S3_S3_PS1_ii
	.p2align	8
	.type	_Z16wvSplitK_hf_big_I6__halfLi32ELi3ELi16ELi8ELi2ELi5EEviiiiiiPKT_S3_S3_PS1_ii,@function
_Z16wvSplitK_hf_big_I6__halfLi32ELi3ELi16ELi8ELi2ELi5EEviiiiiiPKT_S3_S3_PS1_ii: ; @_Z16wvSplitK_hf_big_I6__halfLi32ELi3ELi16ELi8ELi2ELi5EEviiiiiiPKT_S3_S3_PS1_ii
; %bb.0:
	s_load_b64 s[20:21], s[0:1], 0x38
	v_bfe_u32 v1, v0, 10, 10
	s_mov_b32 s2, exec_lo
	s_waitcnt lgkmcnt(0)
	s_delay_alu instid0(VALU_DEP_1)
	v_cmpx_gt_u32_e64 s20, v1
	s_cbranch_execz .LBB136_70
; %bb.1:
	s_load_b128 s[16:19], s[0:1], 0x0
	v_mad_u64_u32 v[2:3], null, s15, s20, v[1:2]
	s_mov_b32 s4, 1
	s_delay_alu instid0(SALU_CYCLE_1) | instskip(SKIP_1) | instid1(SALU_CYCLE_1)
	s_mov_b32 s5, s4
	s_mov_b32 s6, s4
	v_mov_b32_e32 v62, s6
	s_delay_alu instid0(VALU_DEP_2) | instskip(SKIP_1) | instid1(VALU_DEP_2)
	v_lshl_add_u32 v66, v2, 1, v2
	v_dual_mov_b32 v60, s4 :: v_dual_mov_b32 v61, s5
	v_add_nc_u32_e32 v2, 3, v66
	s_waitcnt lgkmcnt(0)
	v_cmp_gt_u32_e32 vcc_lo, s19, v66
	s_delay_alu instid0(VALU_DEP_2) | instskip(NEXT) | instid1(VALU_DEP_1)
	v_cmp_le_u32_e64 s2, s19, v2
	s_and_b32 s2, vcc_lo, s2
	s_delay_alu instid0(SALU_CYCLE_1)
	s_and_saveexec_b32 s7, s2
	s_cbranch_execz .LBB136_7
; %bb.2:
	v_dual_mov_b32 v62, s6 :: v_dual_mov_b32 v61, s5
	v_mov_b32_e32 v60, s4
	s_add_i32 s8, s19, -3
	s_mov_b32 s9, exec_lo
	v_cmpx_ne_u32_e64 s8, v66
	s_cbranch_execz .LBB136_6
; %bb.3:
	v_subrev_nc_u32_e32 v2, s8, v66
	s_mov_b32 s10, 0
	s_mov_b64 s[2:3], 0
	s_mov_b32 s5, s4
	s_mov_b32 s6, s4
	v_cmp_lt_u32_e32 vcc_lo, 1, v2
	v_cndmask_b32_e32 v2, 1, v2, vcc_lo
.LBB136_4:                              ; =>This Inner Loop Header: Depth=1
	s_cmp_lg_u32 s2, 2
	s_cselect_b32 s6, s6, 0
	s_cmp_lg_u32 s2, 1
	s_cselect_b32 s5, s5, 0
	;; [unrolled: 2-line block ×3, first 2 shown]
	s_add_u32 s2, s2, 1
	v_dual_mov_b32 v62, s6 :: v_dual_mov_b32 v61, s5
	v_cmp_eq_u32_e32 vcc_lo, s2, v2
	v_mov_b32_e32 v60, s4
	s_addc_u32 s3, s3, 0
	s_or_b32 s10, vcc_lo, s10
	s_delay_alu instid0(SALU_CYCLE_1)
	s_and_not1_b32 exec_lo, exec_lo, s10
	s_cbranch_execnz .LBB136_4
; %bb.5:
	s_or_b32 exec_lo, exec_lo, s10
	v_mov_b32_e32 v66, s8
.LBB136_6:
	s_or_b32 exec_lo, exec_lo, s9
.LBB136_7:
	s_delay_alu instid0(SALU_CYCLE_1)
	s_or_b32 exec_lo, exec_lo, s7
	s_mul_i32 s2, s20, 3
	s_abs_i32 s6, s19
	s_abs_i32 s3, s2
	s_mov_b32 s23, 0
	v_cvt_f32_u32_e32 v2, s3
	s_sub_i32 s5, 0, s3
	s_delay_alu instid0(VALU_DEP_1) | instskip(SKIP_2) | instid1(VALU_DEP_1)
	v_rcp_iflag_f32_e32 v2, v2
	s_waitcnt_depctr 0xfff
	v_mul_f32_e32 v2, 0x4f7ffffe, v2
	v_cvt_u32_f32_e32 v2, v2
	s_delay_alu instid0(VALU_DEP_1) | instskip(NEXT) | instid1(VALU_DEP_1)
	v_readfirstlane_b32 s4, v2
	s_mul_i32 s5, s5, s4
	s_delay_alu instid0(SALU_CYCLE_1) | instskip(NEXT) | instid1(SALU_CYCLE_1)
	s_mul_hi_u32 s5, s4, s5
	s_add_i32 s4, s4, s5
	s_ashr_i32 s5, s19, 31
	s_mul_hi_u32 s4, s6, s4
	s_delay_alu instid0(SALU_CYCLE_1) | instskip(NEXT) | instid1(SALU_CYCLE_1)
	s_mul_i32 s4, s4, s3
	s_sub_i32 s4, s6, s4
	s_delay_alu instid0(SALU_CYCLE_1) | instskip(SKIP_2) | instid1(SALU_CYCLE_1)
	s_sub_i32 s6, s4, s3
	s_cmp_ge_u32 s4, s3
	s_cselect_b32 s4, s6, s4
	s_sub_i32 s6, s4, s3
	s_cmp_ge_u32 s4, s3
	s_cselect_b32 s3, s6, s4
	s_add_i32 s4, s2, s19
	s_xor_b32 s3, s3, s5
	s_delay_alu instid0(SALU_CYCLE_1) | instskip(NEXT) | instid1(SALU_CYCLE_1)
	s_sub_i32 s3, s3, s5
	s_sub_i32 s4, s4, s3
	s_cmp_eq_u32 s3, 0
	s_cselect_b32 s22, s19, s4
	s_delay_alu instid0(SALU_CYCLE_1)
	v_cmp_gt_u32_e32 vcc_lo, s22, v66
	s_and_b32 exec_lo, exec_lo, vcc_lo
	s_cbranch_execz .LBB136_70
; %bb.8:
	s_load_b256 s[4:11], s[0:1], 0x10
	s_min_u32 s24, s18, 0x1800
	s_cmp_lg_u32 s16, 0
	s_load_b64 s[12:13], s[0:1], 0x30
	s_cselect_b32 s25, -1, 0
	s_cmp_lg_u32 s18, 0
	v_and_b32_e32 v0, 0x3ff, v0
	s_cselect_b32 s26, -1, 0
	s_lshl_b32 s27, s20, 8
	s_add_i32 s28, s16, -8
	s_add_i32 s29, s19, -1
	v_lshlrev_b32_e32 v78, 3, v0
	v_mbcnt_lo_u32_b32 v77, -1, 0
	s_delay_alu instid0(VALU_DEP_2) | instskip(SKIP_2) | instid1(VALU_DEP_1)
	v_lshl_add_u32 v69, v1, 8, v78
	s_waitcnt lgkmcnt(0)
	s_cmp_lg_u64 s[10:11], 0
	v_mad_u64_u32 v[70:71], null, s18, 3, v[69:70]
	s_cselect_b32 s30, -1, 0
	s_abs_i32 s3, s5
	s_mul_i32 s5, s2, s21
	v_cvt_f32_u32_e32 v2, s3
	s_sub_i32 s1, 0, s3
	s_add_i32 s31, s19, -3
	s_sub_i32 s2, 0, s4
	s_sub_i32 s14, 1, s3
	v_rcp_iflag_f32_e32 v2, v2
	v_lshl_add_u32 v80, s18, 1, v69
	v_lshl_add_u32 v81, s18, 2, v69
	v_add_nc_u32_e32 v82, s18, v69
	s_mul_i32 s21, s24, 6
	s_waitcnt_depctr 0xfff
	v_mul_f32_e32 v2, 0x4f7ffffe, v2
	s_delay_alu instid0(VALU_DEP_1) | instskip(NEXT) | instid1(VALU_DEP_1)
	v_cvt_u32_f32_e32 v2, v2
	v_readfirstlane_b32 s0, v2
	v_cvt_f32_u32_e32 v2, s4
	s_delay_alu instid0(VALU_DEP_2) | instskip(NEXT) | instid1(VALU_DEP_1)
	s_mul_i32 s1, s1, s0
	v_rcp_iflag_f32_e32 v2, v2
	s_mul_hi_u32 s1, s0, s1
	s_delay_alu instid0(SALU_CYCLE_1)
	s_add_i32 s1, s0, s1
	s_cmp_lt_u32 s3, 2
	v_cmp_eq_u32_e64 s0, 31, v0
	s_cselect_b32 s14, s14, 1
	v_lshlrev_b32_e32 v0, 4, v0
	s_sub_i32 s15, s14, s3
	s_cmp_ge_u32 s14, s3
	s_waitcnt_depctr 0xfff
	v_mul_f32_e32 v2, 0x4f7ffffe, v2
	s_cselect_b32 s33, s15, s14
	s_lshr_b32 s14, s1, 31
	v_lshl_add_u32 v79, v1, 9, v0
	s_mul_i32 s14, s14, s3
	v_cvt_u32_f32_e32 v2, v2
	s_sub_i32 s14, 2, s14
	s_mul_i32 s33, s33, s4
	s_sub_i32 s15, s14, s3
	s_cmp_ge_u32 s14, s3
	v_mul_lo_u32 v3, s2, v2
	s_cselect_b32 s2, s15, s14
	s_mul_hi_u32 s14, s1, 3
	s_sub_i32 s15, s2, s3
	s_cmp_ge_u32 s2, s3
	s_mul_i32 s14, s14, s3
	s_cselect_b32 s34, s15, s2
	s_sub_i32 s2, 3, s14
	v_mul_hi_u32 v0, v2, v3
	s_sub_i32 s14, s2, s3
	s_cmp_ge_u32 s2, s3
	v_mov_b32_e32 v68, 0
	s_cselect_b32 s2, s14, s2
	s_mul_i32 s34, s34, s4
	s_sub_i32 s14, s2, s3
	s_cmp_ge_u32 s2, s3
	v_add_nc_u32_e32 v83, v2, v0
	s_cselect_b32 s35, s14, s2
	s_lshr_b32 s1, s1, 30
	s_mul_i32 s35, s35, s4
	s_mul_i32 s1, s1, s3
	s_delay_alu instid0(SALU_CYCLE_1) | instskip(NEXT) | instid1(SALU_CYCLE_1)
	s_sub_i32 s1, 4, s1
	s_sub_i32 s2, s1, s3
	s_cmp_ge_u32 s1, s3
	s_cselect_b32 s1, s2, s1
	s_delay_alu instid0(SALU_CYCLE_1)
	s_sub_i32 s2, s1, s3
	s_cmp_ge_u32 s1, s3
	s_cselect_b32 s40, s2, s1
	s_add_u32 s36, s12, 2
	s_addc_u32 s37, s13, 0
	s_lshl_b32 s38, s24, 3
	s_lshl_b32 s20, s20, 9
	;; [unrolled: 1-line block ×3, first 2 shown]
	s_mul_i32 s40, s40, s4
	s_lshl_b32 s41, s24, 1
	s_branch .LBB136_12
.LBB136_9:                              ;   in Loop: Header=BB136_12 Depth=1
	s_or_b32 exec_lo, exec_lo, s44
	v_mov_b32_e32 v66, s31
.LBB136_10:                             ;   in Loop: Header=BB136_12 Depth=1
	s_or_b32 exec_lo, exec_lo, s43
.LBB136_11:                             ;   in Loop: Header=BB136_12 Depth=1
	s_delay_alu instid0(SALU_CYCLE_1) | instskip(NEXT) | instid1(VALU_DEP_1)
	s_or_b32 exec_lo, exec_lo, s42
	v_cmp_le_u32_e32 vcc_lo, s22, v66
	s_or_b32 s23, vcc_lo, s23
	s_delay_alu instid0(SALU_CYCLE_1)
	s_and_not1_b32 exec_lo, exec_lo, s23
	s_cbranch_execz .LBB136_70
.LBB136_12:                             ; =>This Loop Header: Depth=1
                                        ;     Child Loop BB136_17 Depth 2
                                        ;       Child Loop BB136_22 Depth 3
                                        ;     Child Loop BB136_54 Depth 2
	v_mov_b32_e32 v98, v68
	v_mov_b32_e32 v97, v68
	;; [unrolled: 1-line block ×15, first 2 shown]
	s_and_not1_b32 vcc_lo, exec_lo, s25
	s_mov_b32 s3, 0
	s_cbranch_vccnz .LBB136_29
; %bb.13:                               ;   in Loop: Header=BB136_12 Depth=1
	v_add_nc_u32_e32 v0, 1, v66
	v_dual_mov_b32 v92, 0 :: v_dual_add_nc_u32 v1, 2, v66
	v_min_u32_e32 v2, s29, v66
	v_dual_mov_b32 v3, v68 :: v_dual_mov_b32 v88, 0
	s_delay_alu instid0(VALU_DEP_3)
	v_min_u32_e32 v4, s29, v1
	v_mov_b32_e32 v1, v68
	v_min_u32_e32 v0, s29, v0
	v_mul_lo_u32 v67, v2, s17
	v_cmp_gt_u32_e64 s1, s19, v66
	v_mul_lo_u32 v2, v4, s17
	v_dual_mov_b32 v91, 0 :: v_dual_mov_b32 v86, 0
	v_mul_lo_u32 v0, v0, s17
	v_dual_mov_b32 v93, 0 :: v_dual_mov_b32 v84, 0
	v_lshlrev_b64 v[71:72], 1, v[67:68]
	v_dual_mov_b32 v89, 0 :: v_dual_mov_b32 v90, 0
	v_lshlrev_b64 v[75:76], 1, v[2:3]
	v_dual_mov_b32 v87, 0 :: v_dual_mov_b32 v94, 0
	v_lshlrev_b64 v[73:74], 1, v[0:1]
	v_dual_mov_b32 v85, 0 :: v_dual_mov_b32 v96, 0
	v_dual_mov_b32 v95, 0 :: v_dual_mov_b32 v98, 0
	v_mov_b32_e32 v97, 0
	s_mov_b32 s14, 0
	s_branch .LBB136_17
.LBB136_14:                             ;   in Loop: Header=BB136_17 Depth=2
	s_or_b32 exec_lo, exec_lo, s42
.LBB136_15:                             ;   in Loop: Header=BB136_17 Depth=2
	s_delay_alu instid0(SALU_CYCLE_1)
	s_or_b32 exec_lo, exec_lo, s15
	s_waitcnt vmcnt(5) lgkmcnt(4)
	;;#ASMSTART
	v_dot2_f32_f16 v98, v56, v36, v98
	;;#ASMEND
	s_waitcnt vmcnt(4)
	;;#ASMSTART
	v_dot2_f32_f16 v97, v56, v32, v97
	;;#ASMEND
	s_waitcnt vmcnt(3)
	;;#ASMSTART
	v_dot2_f32_f16 v96, v56, v28, v96
	;;#ASMEND
	s_waitcnt lgkmcnt(3)
	;;#ASMSTART
	v_dot2_f32_f16 v95, v52, v36, v95
	;;#ASMEND
	;;#ASMSTART
	v_dot2_f32_f16 v94, v52, v32, v94
	;;#ASMEND
	;;#ASMSTART
	v_dot2_f32_f16 v90, v52, v28, v90
	;;#ASMEND
	s_waitcnt lgkmcnt(2)
	;;#ASMSTART
	v_dot2_f32_f16 v91, v48, v36, v91
	;;#ASMEND
	;;#ASMSTART
	v_dot2_f32_f16 v93, v48, v32, v93
	;;#ASMEND
	;;#ASMSTART
	v_dot2_f32_f16 v92, v48, v28, v92
	;;#ASMEND
	s_waitcnt lgkmcnt(1)
	;;#ASMSTART
	v_dot2_f32_f16 v89, v44, v36, v89
	;;#ASMEND
	;;#ASMSTART
	v_dot2_f32_f16 v87, v44, v32, v87
	;;#ASMEND
	;;#ASMSTART
	v_dot2_f32_f16 v88, v44, v28, v88
	;;#ASMEND
	s_waitcnt lgkmcnt(0)
	;;#ASMSTART
	v_dot2_f32_f16 v86, v40, v36, v86
	;;#ASMEND
	;;#ASMSTART
	v_dot2_f32_f16 v85, v40, v32, v85
	;;#ASMEND
	;;#ASMSTART
	v_dot2_f32_f16 v84, v40, v28, v84
	;;#ASMEND
	;;#ASMSTART
	v_dot2_f32_f16 v98, v57, v37, v98
	;;#ASMEND
	;; [unrolled: 3-line block ×46, first 2 shown]
	s_waitcnt vmcnt(2)
	;;#ASMSTART
	v_dot2_f32_f16 v98, v24, v8, v98
	;;#ASMEND
	s_waitcnt vmcnt(1)
	;;#ASMSTART
	v_dot2_f32_f16 v97, v24, v4, v97
	;;#ASMEND
	;; [unrolled: 4-line block ×3, first 2 shown]
	;;#ASMSTART
	v_dot2_f32_f16 v95, v20, v8, v95
	;;#ASMEND
	;;#ASMSTART
	v_dot2_f32_f16 v94, v20, v4, v94
	;;#ASMEND
	;; [unrolled: 3-line block ×57, first 2 shown]
.LBB136_16:                             ;   in Loop: Header=BB136_17 Depth=2
	s_or_b32 exec_lo, exec_lo, s2
	s_addk_i32 s14, 0x200
	s_delay_alu instid0(SALU_CYCLE_1)
	s_cmp_ge_u32 s14, s16
	s_cbranch_scc1 .LBB136_29
.LBB136_17:                             ;   Parent Loop BB136_12 Depth=1
                                        ; =>  This Loop Header: Depth=2
                                        ;       Child Loop BB136_22 Depth 3
	s_cmp_eq_u32 s14, 0
	s_cselect_b32 s15, -1, 0
	s_add_i32 s2, s3, s24
	s_delay_alu instid0(SALU_CYCLE_1) | instskip(SKIP_1) | instid1(SALU_CYCLE_1)
	s_cmp_eq_u32 s14, s2
	s_cselect_b32 s42, -1, 0
	s_or_b32 s42, s15, s42
	s_delay_alu instid0(SALU_CYCLE_1)
	s_and_not1_b32 vcc_lo, exec_lo, s42
	s_cbranch_vccz .LBB136_19
; %bb.18:                               ;   in Loop: Header=BB136_17 Depth=2
	s_and_saveexec_b32 s2, s1
	s_cbranch_execz .LBB136_16
	s_branch .LBB136_26
.LBB136_19:                             ;   in Loop: Header=BB136_17 Depth=2
	s_and_b32 s15, s15, exec_lo
	s_cselect_b32 s3, s3, s2
	s_and_not1_b32 vcc_lo, exec_lo, s26
	s_waitcnt vmcnt(0) lgkmcnt(0)
	s_waitcnt_vscnt null, 0x0
	s_barrier
	buffer_gl0_inv
	s_cbranch_vccnz .LBB136_25
; %bb.20:                               ;   in Loop: Header=BB136_17 Depth=2
	v_dual_mov_b32 v5, v79 :: v_dual_add_nc_u32 v0, s3, v80
	v_add_nc_u32_e32 v1, s3, v70
	v_add_nc_u32_e32 v2, s3, v81
	;; [unrolled: 1-line block ×4, first 2 shown]
	s_mov_b32 s15, 0
	s_mov_b32 s42, 0
                                        ; implicit-def: $sgpr43
	s_branch .LBB136_22
.LBB136_21:                             ;   in Loop: Header=BB136_22 Depth=3
	s_or_b32 exec_lo, exec_lo, s2
	s_delay_alu instid0(SALU_CYCLE_1) | instskip(NEXT) | instid1(SALU_CYCLE_1)
	s_and_b32 s2, exec_lo, s43
	s_or_b32 s15, s2, s15
	s_delay_alu instid0(SALU_CYCLE_1)
	s_and_not1_b32 exec_lo, exec_lo, s15
	s_cbranch_execz .LBB136_24
.LBB136_22:                             ;   Parent Loop BB136_12 Depth=1
                                        ;     Parent Loop BB136_17 Depth=2
                                        ; =>    This Inner Loop Header: Depth=3
	s_delay_alu instid0(VALU_DEP_1) | instskip(SKIP_2) | instid1(VALU_DEP_2)
	v_add_nc_u32_e32 v67, s42, v4
	v_add_nc_u32_e32 v6, s42, v69
	s_or_b32 s43, s43, exec_lo
	v_cmp_gt_u32_e32 vcc_lo, s18, v67
	s_delay_alu instid0(VALU_DEP_2) | instskip(NEXT) | instid1(VALU_DEP_1)
	v_cmp_gt_u32_e64 s2, s24, v6
	s_and_b32 s44, s2, vcc_lo
	s_delay_alu instid0(SALU_CYCLE_1)
	s_and_saveexec_b32 s2, s44
	s_cbranch_execz .LBB136_21
; %bb.23:                               ;   in Loop: Header=BB136_22 Depth=3
	v_lshlrev_b64 v[6:7], 1, v[67:68]
	v_add_nc_u32_e32 v67, s42, v3
	v_add_nc_u32_e32 v26, s41, v5
	;; [unrolled: 1-line block ×3, first 2 shown]
	s_delay_alu instid0(VALU_DEP_3) | instskip(SKIP_3) | instid1(VALU_DEP_3)
	v_lshlrev_b64 v[8:9], 1, v[67:68]
	v_add_nc_u32_e32 v67, s42, v0
	v_add_co_u32 v6, vcc_lo, s8, v6
	v_add_co_ci_u32_e32 v7, vcc_lo, s9, v7, vcc_lo
	v_lshlrev_b64 v[10:11], 1, v[67:68]
	v_add_nc_u32_e32 v67, s42, v1
	v_add_co_u32 v12, vcc_lo, s8, v8
	v_add_co_ci_u32_e32 v13, vcc_lo, s9, v9, vcc_lo
	s_delay_alu instid0(VALU_DEP_3) | instskip(SKIP_3) | instid1(VALU_DEP_3)
	v_lshlrev_b64 v[18:19], 1, v[67:68]
	v_add_nc_u32_e32 v67, s42, v2
	v_add_co_u32 v14, vcc_lo, s8, v10
	v_add_co_ci_u32_e32 v15, vcc_lo, s9, v11, vcc_lo
	v_lshlrev_b64 v[20:21], 1, v[67:68]
	v_add_co_u32 v18, vcc_lo, s8, v18
	v_add_co_ci_u32_e32 v19, vcc_lo, s9, v19, vcc_lo
	s_clause 0x2
	global_load_b128 v[6:9], v[6:7], off
	global_load_b128 v[10:13], v[12:13], off
	;; [unrolled: 1-line block ×3, first 2 shown]
	v_add_co_u32 v22, vcc_lo, s8, v20
	v_add_co_ci_u32_e32 v23, vcc_lo, s9, v21, vcc_lo
	s_clause 0x1
	global_load_b128 v[18:21], v[18:19], off
	global_load_b128 v[22:25], v[22:23], off
	s_add_i32 s42, s42, s27
	s_waitcnt vmcnt(4)
	ds_store_b128 v5, v[6:9]
	s_waitcnt vmcnt(3)
	ds_store_2addr_b64 v26, v[10:11], v[12:13] offset1:1
	s_waitcnt vmcnt(2)
	ds_store_2addr_b32 v27, v14, v15 offset1:1
	ds_store_2addr_b32 v27, v16, v17 offset0:2 offset1:3
	s_cmp_ge_u32 s42, s24
	v_add_nc_u32_e32 v6, s21, v5
	s_cselect_b32 s44, -1, 0
	v_add_nc_u32_e32 v7, s38, v5
	v_add_nc_u32_e32 v5, s20, v5
	s_and_not1_b32 s43, s43, exec_lo
	s_and_b32 s44, s44, exec_lo
	s_waitcnt vmcnt(1)
	ds_store_2addr_b64 v6, v[18:19], v[20:21] offset1:1
	s_or_b32 s43, s43, s44
	s_waitcnt vmcnt(0)
	ds_store_2addr_b64 v7, v[22:23], v[24:25] offset1:1
	s_branch .LBB136_21
.LBB136_24:                             ;   in Loop: Header=BB136_17 Depth=2
	s_or_b32 exec_lo, exec_lo, s15
.LBB136_25:                             ;   in Loop: Header=BB136_17 Depth=2
	s_waitcnt lgkmcnt(0)
	s_barrier
	buffer_gl0_inv
	s_and_saveexec_b32 s2, s1
	s_cbranch_execz .LBB136_16
.LBB136_26:                             ;   in Loop: Header=BB136_17 Depth=2
	v_dual_mov_b32 v56, 0 :: v_dual_add_nc_u32 v99, s14, v78
	v_dual_mov_b32 v58, 0 :: v_dual_mov_b32 v59, 0
	s_waitcnt lgkmcnt(2)
	v_dual_mov_b32 v24, 0 :: v_dual_mov_b32 v25, 0
	s_delay_alu instid0(VALU_DEP_3) | instskip(SKIP_2) | instid1(VALU_DEP_3)
	v_min_u32_e32 v67, s28, v99
	v_dual_mov_b32 v57, 0 :: v_dual_add_nc_u32 v100, 0x100, v99
	v_dual_mov_b32 v26, 0 :: v_dual_mov_b32 v27, 0
	v_lshlrev_b64 v[0:1], 1, v[67:68]
	s_delay_alu instid0(VALU_DEP_3) | instskip(SKIP_2) | instid1(VALU_DEP_4)
	v_min_u32_e32 v67, s28, v100
	v_dual_mov_b32 v52, 0 :: v_dual_mov_b32 v53, 0
	v_dual_mov_b32 v54, 0 :: v_dual_mov_b32 v55, 0
	v_add_co_u32 v6, vcc_lo, s6, v0
	v_add_co_ci_u32_e32 v7, vcc_lo, s7, v1, vcc_lo
	v_lshlrev_b64 v[0:1], 1, v[67:68]
	s_delay_alu instid0(VALU_DEP_3) | instskip(NEXT) | instid1(VALU_DEP_3)
	v_add_co_u32 v2, vcc_lo, v6, v71
	v_add_co_ci_u32_e32 v3, vcc_lo, v7, v72, vcc_lo
	v_add_co_u32 v4, vcc_lo, v6, v73
	v_add_co_ci_u32_e32 v5, vcc_lo, v7, v74, vcc_lo
	;; [unrolled: 2-line block ×4, first 2 shown]
	s_delay_alu instid0(VALU_DEP_4) | instskip(NEXT) | instid1(VALU_DEP_4)
	v_add_co_u32 v6, vcc_lo, v8, v71
	v_add_co_ci_u32_e32 v7, vcc_lo, v9, v72, vcc_lo
	v_add_co_u32 v12, vcc_lo, v8, v73
	s_waitcnt lgkmcnt(0)
	v_add_co_ci_u32_e32 v13, vcc_lo, v9, v74, vcc_lo
	v_add_co_u32 v14, vcc_lo, v8, v75
	v_add_co_ci_u32_e32 v15, vcc_lo, v9, v76, vcc_lo
	s_clause 0x5
	global_load_b128 v[36:39], v[2:3], off slc dlc
	global_load_b128 v[32:35], v[4:5], off slc dlc
	;; [unrolled: 1-line block ×6, first 2 shown]
	v_cmp_gt_u32_e32 vcc_lo, s16, v99
	v_dual_mov_b32 v20, 0 :: v_dual_mov_b32 v21, 0
	v_dual_mov_b32 v22, 0 :: v_dual_mov_b32 v23, 0
	;; [unrolled: 1-line block ×6, first 2 shown]
	s_waitcnt vmcnt(19)
	v_dual_mov_b32 v44, 0 :: v_dual_mov_b32 v45, 0
	v_dual_mov_b32 v46, 0 :: v_dual_mov_b32 v47, 0
	;; [unrolled: 1-line block ×4, first 2 shown]
	s_waitcnt vmcnt(15)
	v_dual_mov_b32 v40, 0 :: v_dual_mov_b32 v41, 0
	v_dual_mov_b32 v42, 0 :: v_dual_mov_b32 v43, 0
	;; [unrolled: 1-line block ×3, first 2 shown]
	v_mov_b32_e32 v63, 0
	v_mov_b32_e32 v65, 0
	s_and_saveexec_b32 s15, vcc_lo
	s_cbranch_execz .LBB136_15
; %bb.27:                               ;   in Loop: Header=BB136_17 Depth=2
	v_subrev_nc_u32_e32 v12, s3, v99
	v_cmp_gt_u32_e32 vcc_lo, s16, v100
	v_mov_b32_e32 v67, 0
	v_dual_mov_b32 v15, 0 :: v_dual_mov_b32 v16, 0
	s_delay_alu instid0(VALU_DEP_4) | instskip(SKIP_2) | instid1(VALU_DEP_3)
	v_dual_mov_b32 v64, 0 :: v_dual_lshlrev_b32 v103, 1, v12
	v_dual_mov_b32 v13, 0 :: v_dual_mov_b32 v22, 0
	v_mov_b32_e32 v12, 0
	v_dual_mov_b32 v65, 0 :: v_dual_add_nc_u32 v102, s41, v103
	v_dual_mov_b32 v19, 0 :: v_dual_mov_b32 v20, 0
	v_dual_mov_b32 v17, 0 :: v_dual_mov_b32 v26, 0
	s_delay_alu instid0(VALU_DEP_3) | instskip(SKIP_1) | instid1(VALU_DEP_2)
	v_dual_mov_b32 v14, 0 :: v_dual_add_nc_u32 v99, s41, v102
	v_dual_mov_b32 v23, 0 :: v_dual_mov_b32 v24, 0
	v_dual_mov_b32 v63, 0 :: v_dual_add_nc_u32 v100, s41, v99
	v_mov_b32_e32 v21, 0
	v_mov_b32_e32 v27, 0
	v_dual_mov_b32 v25, 0 :: v_dual_mov_b32 v18, 0
	s_delay_alu instid0(VALU_DEP_4)
	v_add_nc_u32_e32 v101, s41, v100
	ds_load_b128 v[56:59], v103
	ds_load_b128 v[52:55], v102
	;; [unrolled: 1-line block ×5, first 2 shown]
	s_and_saveexec_b32 s42, vcc_lo
	s_cbranch_execz .LBB136_14
; %bb.28:                               ;   in Loop: Header=BB136_17 Depth=2
	ds_load_b128 v[24:27], v103 offset:512
	ds_load_b128 v[20:23], v102 offset:512
	ds_load_b128 v[16:19], v99 offset:512
	ds_load_b128 v[12:15], v100 offset:512
	ds_load_b32 v67, v101 offset:512
	ds_load_b96 v[63:65], v101 offset:516
	s_branch .LBB136_14
.LBB136_29:                             ;   in Loop: Header=BB136_12 Depth=1
	s_mov_b32 s1, exec_lo
	v_cmpx_le_u32_e64 s19, v66
	s_xor_b32 s1, exec_lo, s1
; %bb.30:                               ;   in Loop: Header=BB136_12 Depth=1
	v_add_nc_u32_e32 v66, s5, v66
                                        ; implicit-def: $vgpr98
                                        ; implicit-def: $vgpr97
                                        ; implicit-def: $vgpr96
                                        ; implicit-def: $vgpr95
                                        ; implicit-def: $vgpr94
                                        ; implicit-def: $vgpr90
                                        ; implicit-def: $vgpr84
                                        ; implicit-def: $vgpr85
                                        ; implicit-def: $vgpr86
                                        ; implicit-def: $vgpr88
                                        ; implicit-def: $vgpr87
                                        ; implicit-def: $vgpr89
                                        ; implicit-def: $vgpr92
                                        ; implicit-def: $vgpr93
                                        ; implicit-def: $vgpr91
; %bb.31:                               ;   in Loop: Header=BB136_12 Depth=1
	s_and_not1_saveexec_b32 s42, s1
	s_cbranch_execz .LBB136_11
; %bb.32:                               ;   in Loop: Header=BB136_12 Depth=1
	v_xor_b32_e32 v0, 16, v77
	v_cvt_i32_f32_e32 v1, v98
	v_cvt_i32_f32_e32 v2, v97
	;; [unrolled: 1-line block ×3, first 2 shown]
	s_waitcnt lgkmcnt(6)
	v_cvt_i32_f32_e32 v5, v94
	v_cmp_gt_i32_e32 vcc_lo, 32, v0
	v_cvt_f32_i32_dpp v1, v1 row_shr:8 row_mask:0xf bank_mask:0xf bound_ctrl:1
	v_cvt_f32_i32_dpp v2, v2 row_shr:8 row_mask:0xf bank_mask:0xf bound_ctrl:1
	v_cvt_i32_f32_e32 v4, v95
	v_cvt_f32_i32_dpp v3, v3 row_shr:8 row_mask:0xf bank_mask:0xf bound_ctrl:1
	s_delay_alu instid0(VALU_DEP_4) | instskip(SKIP_3) | instid1(VALU_DEP_4)
	v_dual_cndmask_b32 v0, v77, v0 :: v_dual_add_f32 v1, v98, v1
	v_cvt_f32_i32_dpp v5, v5 row_shr:8 row_mask:0xf bank_mask:0xf bound_ctrl:1
	v_add_f32_e32 v2, v97, v2
	v_cvt_f32_i32_dpp v4, v4 row_shr:8 row_mask:0xf bank_mask:0xf bound_ctrl:1
	v_dual_add_f32 v3, v96, v3 :: v_dual_lshlrev_b32 v0, 2, v0
	s_delay_alu instid0(VALU_DEP_4)
	v_add_f32_e32 v5, v94, v5
	s_waitcnt lgkmcnt(4)
	v_cvt_i32_f32_e32 v6, v1
	v_cvt_i32_f32_e32 v7, v2
	;; [unrolled: 1-line block ×4, first 2 shown]
	s_delay_alu instid0(VALU_DEP_4)
	v_cvt_f32_i32_dpp v6, v6 row_shr:4 row_mask:0xf bank_mask:0xf bound_ctrl:1
	v_add_f32_e32 v4, v95, v4
	v_cvt_f32_i32_dpp v7, v7 row_shr:4 row_mask:0xf bank_mask:0xf bound_ctrl:1
	v_cvt_f32_i32_dpp v8, v8 row_shr:4 row_mask:0xf bank_mask:0xf bound_ctrl:1
	;; [unrolled: 1-line block ×3, first 2 shown]
	v_add_f32_e32 v1, v1, v6
	v_cvt_i32_f32_e32 v9, v4
	s_delay_alu instid0(VALU_DEP_4) | instskip(NEXT) | instid1(VALU_DEP_4)
	v_dual_add_f32 v2, v2, v7 :: v_dual_add_f32 v3, v3, v8
	v_add_f32_e32 v5, v5, v10
	s_delay_alu instid0(VALU_DEP_4) | instskip(NEXT) | instid1(VALU_DEP_4)
	v_cvt_i32_f32_e32 v6, v1
	v_cvt_f32_i32_dpp v9, v9 row_shr:4 row_mask:0xf bank_mask:0xf bound_ctrl:1
	s_delay_alu instid0(VALU_DEP_4)
	v_cvt_i32_f32_e32 v7, v2
	v_cvt_i32_f32_e32 v8, v3
	;; [unrolled: 1-line block ×3, first 2 shown]
	v_cvt_f32_i32_dpp v6, v6 row_shr:2 row_mask:0xf bank_mask:0xf bound_ctrl:1
	v_add_f32_e32 v4, v4, v9
	v_cvt_f32_i32_dpp v7, v7 row_shr:2 row_mask:0xf bank_mask:0xf bound_ctrl:1
	v_cvt_f32_i32_dpp v8, v8 row_shr:2 row_mask:0xf bank_mask:0xf bound_ctrl:1
	;; [unrolled: 1-line block ×3, first 2 shown]
	v_add_f32_e32 v1, v1, v6
	v_cvt_i32_f32_e32 v9, v4
	v_add_f32_e32 v2, v2, v7
	s_delay_alu instid0(VALU_DEP_3) | instskip(NEXT) | instid1(VALU_DEP_3)
	v_cvt_i32_f32_e32 v6, v1
	v_cvt_f32_i32_dpp v9, v9 row_shr:2 row_mask:0xf bank_mask:0xf bound_ctrl:1
	s_delay_alu instid0(VALU_DEP_3) | instskip(SKIP_1) | instid1(VALU_DEP_4)
	v_cvt_i32_f32_e32 v7, v2
	v_add_f32_e32 v3, v3, v8
	v_cvt_f32_i32_dpp v6, v6 row_shr:1 row_mask:0xf bank_mask:0xf bound_ctrl:1
	s_delay_alu instid0(VALU_DEP_4) | instskip(NEXT) | instid1(VALU_DEP_4)
	v_add_f32_e32 v4, v4, v9
	v_cvt_f32_i32_dpp v7, v7 row_shr:1 row_mask:0xf bank_mask:0xf bound_ctrl:1
	v_add_f32_e32 v5, v5, v10
	v_cvt_i32_f32_e32 v8, v3
	s_delay_alu instid0(VALU_DEP_4) | instskip(NEXT) | instid1(VALU_DEP_4)
	v_cvt_i32_f32_e32 v9, v4
	v_add_f32_e32 v20, v2, v7
	s_delay_alu instid0(VALU_DEP_4) | instskip(NEXT) | instid1(VALU_DEP_4)
	v_cvt_i32_f32_e32 v10, v5
	v_cvt_f32_i32_dpp v8, v8 row_shr:1 row_mask:0xf bank_mask:0xf bound_ctrl:1
	v_cvt_i32_f32_e32 v2, v90
	v_cvt_f32_i32_dpp v9, v9 row_shr:1 row_mask:0xf bank_mask:0xf bound_ctrl:1
	v_add_f32_e32 v25, v1, v6
	v_cvt_f32_i32_dpp v10, v10 row_shr:1 row_mask:0xf bank_mask:0xf bound_ctrl:1
	v_add_f32_e32 v1, v3, v8
	v_cvt_i32_f32_e32 v3, v91
	v_add_f32_e32 v8, v4, v9
	v_cvt_i32_f32_e32 v6, v92
	;; [unrolled: 2-line block ×3, first 2 shown]
	v_cvt_f32_i32_dpp v2, v2 row_shr:8 row_mask:0xf bank_mask:0xf bound_ctrl:1
	v_cvt_f32_i32_dpp v3, v3 row_shr:8 row_mask:0xf bank_mask:0xf bound_ctrl:1
	;; [unrolled: 1-line block ×3, first 2 shown]
	v_cvt_i32_f32_e32 v9, v89
	v_cvt_f32_i32_dpp v5, v5 row_shr:8 row_mask:0xf bank_mask:0xf bound_ctrl:1
	s_delay_alu instid0(VALU_DEP_4) | instskip(NEXT) | instid1(VALU_DEP_4)
	v_dual_add_f32 v2, v90, v2 :: v_dual_add_f32 v3, v91, v3
	v_add_f32_e32 v6, v92, v6
	s_delay_alu instid0(VALU_DEP_4) | instskip(NEXT) | instid1(VALU_DEP_4)
	v_cvt_f32_i32_dpp v9, v9 row_shr:8 row_mask:0xf bank_mask:0xf bound_ctrl:1
	v_add_f32_e32 v5, v93, v5
	s_delay_alu instid0(VALU_DEP_4)
	v_cvt_i32_f32_e32 v10, v2
	s_waitcnt lgkmcnt(3)
	v_cvt_i32_f32_e32 v12, v3
	v_cvt_i32_f32_e32 v14, v6
	ds_bpermute_b32 v28, v0, v25
	s_waitcnt lgkmcnt(1)
	v_cvt_i32_f32_e32 v13, v5
	v_cvt_f32_i32_dpp v10, v10 row_shr:4 row_mask:0xf bank_mask:0xf bound_ctrl:1
	v_add_f32_e32 v9, v89, v9
	v_cvt_f32_i32_dpp v12, v12 row_shr:4 row_mask:0xf bank_mask:0xf bound_ctrl:1
	v_cvt_f32_i32_dpp v14, v14 row_shr:4 row_mask:0xf bank_mask:0xf bound_ctrl:1
	;; [unrolled: 1-line block ×3, first 2 shown]
	v_add_f32_e32 v2, v2, v10
	v_cvt_i32_f32_e32 v15, v9
	s_delay_alu instid0(VALU_DEP_4)
	v_dual_add_f32 v3, v3, v12 :: v_dual_add_f32 v6, v6, v14
	ds_bpermute_b32 v23, v0, v20
	v_cvt_i32_f32_e32 v10, v2
	v_cvt_f32_i32_dpp v15, v15 row_shr:4 row_mask:0xf bank_mask:0xf bound_ctrl:1
	v_cvt_i32_f32_e32 v12, v3
	v_cvt_i32_f32_e32 v14, v6
	ds_bpermute_b32 v17, v0, v1
	v_cvt_f32_i32_dpp v10, v10 row_shr:2 row_mask:0xf bank_mask:0xf bound_ctrl:1
	v_add_f32_e32 v5, v5, v13
	v_cvt_f32_i32_dpp v12, v12 row_shr:2 row_mask:0xf bank_mask:0xf bound_ctrl:1
	v_cvt_f32_i32_dpp v14, v14 row_shr:2 row_mask:0xf bank_mask:0xf bound_ctrl:1
	s_delay_alu instid0(VALU_DEP_4) | instskip(NEXT) | instid1(VALU_DEP_4)
	v_dual_add_f32 v9, v9, v15 :: v_dual_add_f32 v2, v2, v10
	v_cvt_i32_f32_e32 v13, v5
	ds_bpermute_b32 v11, v0, v8
	v_add_f32_e32 v6, v6, v14
	v_cvt_i32_f32_e32 v15, v9
	ds_bpermute_b32 v7, v0, v4
	v_cvt_f32_i32_dpp v13, v13 row_shr:2 row_mask:0xf bank_mask:0xf bound_ctrl:1
	v_cvt_i32_f32_e32 v14, v6
	v_cvt_f32_i32_dpp v15, v15 row_shr:2 row_mask:0xf bank_mask:0xf bound_ctrl:1
	v_add_f32_e32 v3, v3, v12
	s_delay_alu instid0(VALU_DEP_3) | instskip(NEXT) | instid1(VALU_DEP_3)
	v_cvt_f32_i32_dpp v14, v14 row_shr:1 row_mask:0xf bank_mask:0xf bound_ctrl:1
	v_add_f32_e32 v10, v9, v15
	v_cvt_i32_f32_e32 v9, v2
	s_delay_alu instid0(VALU_DEP_4) | instskip(NEXT) | instid1(VALU_DEP_3)
	v_cvt_i32_f32_e32 v12, v3
	v_cvt_i32_f32_e32 v15, v10
	s_delay_alu instid0(VALU_DEP_3) | instskip(NEXT) | instid1(VALU_DEP_3)
	v_cvt_f32_i32_dpp v9, v9 row_shr:1 row_mask:0xf bank_mask:0xf bound_ctrl:1
	v_cvt_f32_i32_dpp v12, v12 row_shr:1 row_mask:0xf bank_mask:0xf bound_ctrl:1
	s_delay_alu instid0(VALU_DEP_3) | instskip(SKIP_1) | instid1(VALU_DEP_3)
	v_cvt_f32_i32_dpp v16, v15 row_shr:1 row_mask:0xf bank_mask:0xf bound_ctrl:1
	v_add_f32_e32 v5, v5, v13
	v_dual_add_f32 v26, v2, v9 :: v_dual_add_f32 v19, v3, v12
	v_cvt_i32_f32_e32 v3, v87
	s_delay_alu instid0(VALU_DEP_4) | instskip(NEXT) | instid1(VALU_DEP_4)
	v_add_f32_e32 v2, v10, v16
	v_cvt_i32_f32_e32 v13, v5
	v_add_f32_e32 v9, v6, v14
	v_cvt_i32_f32_e32 v6, v88
	v_cvt_i32_f32_e32 v10, v86
	v_cvt_f32_i32_dpp v3, v3 row_shr:8 row_mask:0xf bank_mask:0xf bound_ctrl:1
	v_cvt_f32_i32_dpp v13, v13 row_shr:1 row_mask:0xf bank_mask:0xf bound_ctrl:1
	v_cvt_i32_f32_e32 v14, v84
	v_cvt_f32_i32_dpp v6, v6 row_shr:8 row_mask:0xf bank_mask:0xf bound_ctrl:1
	v_cvt_f32_i32_dpp v10, v10 row_shr:8 row_mask:0xf bank_mask:0xf bound_ctrl:1
	v_add_f32_e32 v3, v87, v3
	v_add_f32_e32 v15, v5, v13
	v_cvt_i32_f32_e32 v13, v85
	v_add_f32_e32 v6, v88, v6
	v_cvt_f32_i32_dpp v14, v14 row_shr:8 row_mask:0xf bank_mask:0xf bound_ctrl:1
	v_add_f32_e32 v10, v86, v10
	v_cvt_i32_f32_e32 v16, v3
	v_cvt_f32_i32_dpp v13, v13 row_shr:8 row_mask:0xf bank_mask:0xf bound_ctrl:1
	v_cvt_i32_f32_e32 v21, v6
	v_add_f32_e32 v14, v84, v14
	v_cvt_i32_f32_e32 v24, v10
	v_cvt_f32_i32_dpp v16, v16 row_shr:4 row_mask:0xf bank_mask:0xf bound_ctrl:1
	v_add_f32_e32 v13, v85, v13
	v_cvt_f32_i32_dpp v21, v21 row_shr:4 row_mask:0xf bank_mask:0xf bound_ctrl:1
	v_cvt_i32_f32_e32 v30, v14
	v_cvt_f32_i32_dpp v24, v24 row_shr:4 row_mask:0xf bank_mask:0xf bound_ctrl:1
	v_add_f32_e32 v3, v3, v16
	v_cvt_i32_f32_e32 v27, v13
	v_add_f32_e32 v6, v6, v21
	v_cvt_f32_i32_dpp v30, v30 row_shr:4 row_mask:0xf bank_mask:0xf bound_ctrl:1
	ds_bpermute_b32 v29, v0, v26
	v_cvt_i32_f32_e32 v16, v3
	v_cvt_f32_i32_dpp v27, v27 row_shr:4 row_mask:0xf bank_mask:0xf bound_ctrl:1
	v_add_f32_e32 v10, v10, v24
	v_cvt_i32_f32_e32 v21, v6
	ds_bpermute_b32 v22, v0, v19
	v_cvt_f32_i32_dpp v16, v16 row_shr:2 row_mask:0xf bank_mask:0xf bound_ctrl:1
	v_dual_add_f32 v13, v13, v27 :: v_dual_add_f32 v14, v14, v30
	v_cvt_i32_f32_e32 v24, v10
	v_cvt_f32_i32_dpp v21, v21 row_shr:2 row_mask:0xf bank_mask:0xf bound_ctrl:1
	s_delay_alu instid0(VALU_DEP_4) | instskip(NEXT) | instid1(VALU_DEP_4)
	v_add_f32_e32 v3, v3, v16
	v_cvt_i32_f32_e32 v27, v13
	v_cvt_i32_f32_e32 v30, v14
	v_cvt_f32_i32_dpp v24, v24 row_shr:2 row_mask:0xf bank_mask:0xf bound_ctrl:1
	ds_bpermute_b32 v18, v0, v15
	ds_bpermute_b32 v5, v0, v2
	v_cvt_f32_i32_dpp v27, v27 row_shr:2 row_mask:0xf bank_mask:0xf bound_ctrl:1
	v_cvt_f32_i32_dpp v30, v30 row_shr:2 row_mask:0xf bank_mask:0xf bound_ctrl:1
	s_delay_alu instid0(VALU_DEP_2) | instskip(NEXT) | instid1(VALU_DEP_2)
	v_dual_add_f32 v6, v6, v21 :: v_dual_add_f32 v13, v13, v27
	v_add_f32_e32 v16, v14, v30
	v_cvt_i32_f32_e32 v14, v3
	s_delay_alu instid0(VALU_DEP_3) | instskip(NEXT) | instid1(VALU_DEP_4)
	v_cvt_i32_f32_e32 v21, v6
	v_cvt_i32_f32_e32 v27, v13
	s_delay_alu instid0(VALU_DEP_4) | instskip(NEXT) | instid1(VALU_DEP_4)
	v_cvt_i32_f32_e32 v30, v16
	v_cvt_f32_i32_dpp v14, v14 row_shr:1 row_mask:0xf bank_mask:0xf bound_ctrl:1
	v_add_f32_e32 v10, v10, v24
	v_cvt_f32_i32_dpp v21, v21 row_shr:1 row_mask:0xf bank_mask:0xf bound_ctrl:1
	s_waitcnt vmcnt(0)
	v_cvt_f32_i32_dpp v31, v27 row_shr:1 row_mask:0xf bank_mask:0xf bound_ctrl:1
	v_cvt_f32_i32_dpp v30, v30 row_shr:1 row_mask:0xf bank_mask:0xf bound_ctrl:1
	v_add_f32_e32 v27, v3, v14
	v_cvt_i32_f32_e32 v24, v10
	v_add_f32_e32 v21, v6, v21
	s_delay_alu instid0(VALU_DEP_4)
	v_add_f32_e32 v3, v16, v30
	ds_bpermute_b32 v30, v0, v27
	v_cvt_f32_i32_dpp v24, v24 row_shr:1 row_mask:0xf bank_mask:0xf bound_ctrl:1
	ds_bpermute_b32 v6, v0, v3
	v_add_f32_e32 v14, v10, v24
	v_add_f32_e32 v10, v13, v31
	ds_bpermute_b32 v12, v0, v9
	ds_bpermute_b32 v24, v0, v21
	;; [unrolled: 1-line block ×4, first 2 shown]
	s_and_saveexec_b32 s14, s0
	s_cbranch_execz .LBB136_51
; %bb.33:                               ;   in Loop: Header=BB136_12 Depth=1
	v_dual_mov_b32 v45, 0 :: v_dual_add_nc_u32 v0, 2, v66
	v_dual_mov_b32 v44, 0 :: v_dual_mov_b32 v43, 0
	v_dual_mov_b32 v42, 0 :: v_dual_mov_b32 v41, 0
	;; [unrolled: 1-line block ×7, first 2 shown]
	s_and_not1_b32 vcc_lo, exec_lo, s30
	s_cbranch_vccnz .LBB136_35
; %bb.34:                               ;   in Loop: Header=BB136_12 Depth=1
	v_mul_hi_u32 v32, v66, v83
	v_add_nc_u32_e32 v31, 1, v66
	v_mul_hi_u32 v33, v0, v83
	v_mov_b32_e32 v55, v68
	s_delay_alu instid0(VALU_DEP_4) | instskip(NEXT) | instid1(VALU_DEP_3)
	v_mul_lo_u32 v32, v32, s4
	v_mul_lo_u32 v33, v33, s4
	s_delay_alu instid0(VALU_DEP_2) | instskip(SKIP_2) | instid1(VALU_DEP_4)
	v_sub_nc_u32_e32 v35, v66, v32
	v_mov_b32_e32 v32, v68
	v_mul_hi_u32 v34, v31, v83
	v_sub_nc_u32_e32 v33, v0, v33
	s_delay_alu instid0(VALU_DEP_4) | instskip(SKIP_1) | instid1(VALU_DEP_3)
	v_subrev_nc_u32_e32 v37, s4, v35
	v_cmp_le_u32_e32 vcc_lo, s4, v35
	v_subrev_nc_u32_e32 v38, s4, v33
	v_mul_lo_u32 v34, v34, s4
	s_delay_alu instid0(VALU_DEP_4) | instskip(SKIP_1) | instid1(VALU_DEP_4)
	v_cndmask_b32_e32 v35, v35, v37, vcc_lo
	v_cmp_le_u32_e32 vcc_lo, s4, v33
	v_dual_mov_b32 v36, v68 :: v_dual_cndmask_b32 v33, v33, v38
	s_delay_alu instid0(VALU_DEP_4) | instskip(SKIP_2) | instid1(VALU_DEP_4)
	v_sub_nc_u32_e32 v31, v31, v34
	v_mov_b32_e32 v34, v68
	v_subrev_nc_u32_e32 v38, s4, v35
	v_subrev_nc_u32_e32 v40, s4, v33
	s_delay_alu instid0(VALU_DEP_4) | instskip(SKIP_1) | instid1(VALU_DEP_2)
	v_subrev_nc_u32_e32 v39, s4, v31
	v_cmp_le_u32_e32 vcc_lo, s4, v31
	v_cndmask_b32_e32 v31, v31, v39, vcc_lo
	v_cmp_le_u32_e32 vcc_lo, s4, v35
	v_cndmask_b32_e32 v67, v35, v38, vcc_lo
	v_cmp_le_u32_e32 vcc_lo, s4, v33
	v_cndmask_b32_e32 v33, v33, v40, vcc_lo
	s_delay_alu instid0(VALU_DEP_1) | instskip(SKIP_2) | instid1(VALU_DEP_2)
	v_add_nc_u32_e32 v38, s33, v33
	v_subrev_nc_u32_e32 v41, s4, v31
	v_cmp_le_u32_e32 vcc_lo, s4, v31
	v_cndmask_b32_e32 v31, v31, v41, vcc_lo
	v_mov_b32_e32 v37, v68
	s_delay_alu instid0(VALU_DEP_2)
	v_dual_mov_b32 v49, v68 :: v_dual_add_nc_u32 v48, s34, v31
	v_lshlrev_b64 v[40:41], 1, v[67:68]
	v_add_nc_u32_e32 v35, s33, v67
	v_add_nc_u32_e32 v54, s35, v67
	v_lshlrev_b64 v[42:43], 1, v[33:34]
	v_lshlrev_b64 v[44:45], 1, v[31:32]
	v_mov_b32_e32 v39, v68
	v_add_co_u32 v40, vcc_lo, s10, v40
	v_lshlrev_b64 v[34:35], 1, v[35:36]
	v_add_nc_u32_e32 v36, s33, v31
	v_add_co_ci_u32_e32 v41, vcc_lo, s11, v41, vcc_lo
	v_add_co_u32 v42, vcc_lo, s10, v42
	v_add_co_ci_u32_e32 v43, vcc_lo, s11, v43, vcc_lo
	v_add_co_u32 v46, vcc_lo, s10, v44
	v_add_nc_u32_e32 v44, s34, v67
	v_lshlrev_b64 v[36:37], 1, v[36:37]
	v_add_co_ci_u32_e32 v47, vcc_lo, s11, v45, vcc_lo
	v_mov_b32_e32 v45, v68
	v_add_co_u32 v34, vcc_lo, s10, v34
	v_lshlrev_b64 v[38:39], 1, v[38:39]
	v_add_co_ci_u32_e32 v35, vcc_lo, s11, v35, vcc_lo
	v_add_co_u32 v36, vcc_lo, s10, v36
	v_lshlrev_b64 v[44:45], 1, v[44:45]
	v_add_co_ci_u32_e32 v37, vcc_lo, s11, v37, vcc_lo
	v_add_co_u32 v38, vcc_lo, s10, v38
	v_add_co_ci_u32_e32 v39, vcc_lo, s11, v39, vcc_lo
	v_lshlrev_b64 v[48:49], 1, v[48:49]
	v_add_co_u32 v50, vcc_lo, s10, v44
	v_add_nc_u32_e32 v44, s34, v33
	v_add_co_ci_u32_e32 v51, vcc_lo, s11, v45, vcc_lo
	v_mov_b32_e32 v45, v68
	v_add_co_u32 v48, vcc_lo, s10, v48
	v_add_co_ci_u32_e32 v49, vcc_lo, s11, v49, vcc_lo
	s_delay_alu instid0(VALU_DEP_3)
	v_lshlrev_b64 v[52:53], 1, v[44:45]
	s_clause 0x7
	global_load_u16 v45, v[40:41], off
	global_load_u16 v44, v[46:47], off
	global_load_u16 v43, v[42:43], off
	global_load_u16 v42, v[34:35], off
	global_load_u16 v41, v[36:37], off
	global_load_u16 v40, v[38:39], off
	global_load_u16 v38, v[50:51], off
	global_load_u16 v36, v[48:49], off
	v_add_nc_u32_e32 v50, s35, v33
	v_dual_mov_b32 v47, v68 :: v_dual_add_nc_u32 v46, s35, v31
	v_lshlrev_b64 v[34:35], 1, v[54:55]
	v_mov_b32_e32 v51, v68
	v_add_co_u32 v48, vcc_lo, s10, v52
	s_delay_alu instid0(VALU_DEP_4)
	v_lshlrev_b64 v[46:47], 1, v[46:47]
	v_add_nc_u32_e32 v67, s40, v67
	v_add_co_ci_u32_e32 v49, vcc_lo, s11, v53, vcc_lo
	v_add_co_u32 v34, vcc_lo, s10, v34
	v_lshlrev_b64 v[50:51], 1, v[50:51]
	v_add_co_ci_u32_e32 v35, vcc_lo, s11, v35, vcc_lo
	v_add_co_u32 v46, vcc_lo, s10, v46
	v_lshlrev_b64 v[52:53], 1, v[67:68]
	v_add_nc_u32_e32 v67, s40, v31
	v_add_co_ci_u32_e32 v47, vcc_lo, s11, v47, vcc_lo
	v_add_co_u32 v31, vcc_lo, s10, v50
	v_add_co_ci_u32_e32 v32, vcc_lo, s11, v51, vcc_lo
	s_delay_alu instid0(VALU_DEP_4) | instskip(SKIP_3) | instid1(VALU_DEP_3)
	v_lshlrev_b64 v[50:51], 1, v[67:68]
	v_add_nc_u32_e32 v67, s40, v33
	v_add_co_u32 v52, vcc_lo, s10, v52
	v_add_co_ci_u32_e32 v53, vcc_lo, s11, v53, vcc_lo
	v_lshlrev_b64 v[54:55], 1, v[67:68]
	v_add_co_u32 v50, vcc_lo, s10, v50
	v_add_co_ci_u32_e32 v51, vcc_lo, s11, v51, vcc_lo
	s_delay_alu instid0(VALU_DEP_3) | instskip(NEXT) | instid1(VALU_DEP_4)
	v_add_co_u32 v54, vcc_lo, s10, v54
	v_add_co_ci_u32_e32 v55, vcc_lo, s11, v55, vcc_lo
	s_clause 0x6
	global_load_u16 v39, v[48:49], off
	global_load_u16 v37, v[34:35], off
	global_load_u16 v35, v[46:47], off
	global_load_u16 v34, v[31:32], off
	global_load_u16 v33, v[52:53], off
	global_load_u16 v32, v[50:51], off
	global_load_u16 v31, v[54:55], off
.LBB136_35:                             ;   in Loop: Header=BB136_12 Depth=1
	v_cmp_ne_u32_e32 vcc_lo, 0, v60
	s_and_saveexec_b32 s2, vcc_lo
	s_cbranch_execnz .LBB136_56
; %bb.36:                               ;   in Loop: Header=BB136_12 Depth=1
	s_or_b32 exec_lo, exec_lo, s2
	v_cmp_ne_u32_e64 s1, 0, v61
	s_delay_alu instid0(VALU_DEP_1)
	s_and_saveexec_b32 s3, s1
	s_cbranch_execnz .LBB136_57
.LBB136_37:                             ;   in Loop: Header=BB136_12 Depth=1
	s_or_b32 exec_lo, exec_lo, s3
	v_cmp_ne_u32_e64 s2, 0, v62
	s_delay_alu instid0(VALU_DEP_1)
	s_and_saveexec_b32 s15, s2
	s_cbranch_execnz .LBB136_58
.LBB136_38:                             ;   in Loop: Header=BB136_12 Depth=1
	s_or_b32 exec_lo, exec_lo, s15
	v_add_nc_u32_e32 v67, s19, v66
	s_and_saveexec_b32 s15, vcc_lo
	s_cbranch_execnz .LBB136_59
.LBB136_39:                             ;   in Loop: Header=BB136_12 Depth=1
	s_or_b32 exec_lo, exec_lo, s15
	s_and_saveexec_b32 s15, s1
	s_cbranch_execnz .LBB136_60
.LBB136_40:                             ;   in Loop: Header=BB136_12 Depth=1
	s_or_b32 exec_lo, exec_lo, s15
	s_and_saveexec_b32 s15, s2
	s_cbranch_execnz .LBB136_61
.LBB136_41:                             ;   in Loop: Header=BB136_12 Depth=1
	s_or_b32 exec_lo, exec_lo, s15
	v_add_nc_u32_e32 v67, s19, v67
	s_and_saveexec_b32 s15, vcc_lo
	s_cbranch_execnz .LBB136_62
.LBB136_42:                             ;   in Loop: Header=BB136_12 Depth=1
	s_or_b32 exec_lo, exec_lo, s15
	s_and_saveexec_b32 s15, s1
	s_cbranch_execnz .LBB136_63
.LBB136_43:                             ;   in Loop: Header=BB136_12 Depth=1
	s_or_b32 exec_lo, exec_lo, s15
	s_and_saveexec_b32 s15, s2
	s_cbranch_execnz .LBB136_64
.LBB136_44:                             ;   in Loop: Header=BB136_12 Depth=1
	s_or_b32 exec_lo, exec_lo, s15
	v_add_nc_u32_e32 v67, s19, v67
	s_and_saveexec_b32 s15, vcc_lo
	s_cbranch_execnz .LBB136_65
.LBB136_45:                             ;   in Loop: Header=BB136_12 Depth=1
	s_or_b32 exec_lo, exec_lo, s15
	s_and_saveexec_b32 s15, s1
	s_cbranch_execnz .LBB136_66
.LBB136_46:                             ;   in Loop: Header=BB136_12 Depth=1
	s_or_b32 exec_lo, exec_lo, s15
	s_and_saveexec_b32 s15, s2
	s_cbranch_execnz .LBB136_67
.LBB136_47:                             ;   in Loop: Header=BB136_12 Depth=1
	s_or_b32 exec_lo, exec_lo, s15
	v_add_nc_u32_e32 v67, s19, v67
	s_and_saveexec_b32 s3, vcc_lo
	s_cbranch_execnz .LBB136_68
.LBB136_48:                             ;   in Loop: Header=BB136_12 Depth=1
	s_or_b32 exec_lo, exec_lo, s3
	s_and_saveexec_b32 s3, s1
	s_cbranch_execnz .LBB136_69
.LBB136_49:                             ;   in Loop: Header=BB136_12 Depth=1
	s_or_b32 exec_lo, exec_lo, s3
	s_delay_alu instid0(SALU_CYCLE_1)
	s_and_b32 exec_lo, exec_lo, s2
	s_cbranch_execz .LBB136_51
.LBB136_50:                             ;   in Loop: Header=BB136_12 Depth=1
	s_waitcnt lgkmcnt(4)
	v_dual_add_f32 v0, v3, v6 :: v_dual_add_nc_u32 v67, 2, v67
	s_waitcnt vmcnt(0)
	v_cvt_f32_f16_e32 v1, v31
	s_delay_alu instid0(VALU_DEP_1) | instskip(NEXT) | instid1(VALU_DEP_3)
	v_add_f32_e32 v2, v0, v1
	v_lshlrev_b64 v[0:1], 1, v[67:68]
	s_delay_alu instid0(VALU_DEP_2) | instskip(NEXT) | instid1(VALU_DEP_2)
	v_cvt_f16_f32_e32 v2, v2
	v_add_co_u32 v0, vcc_lo, s12, v0
	s_delay_alu instid0(VALU_DEP_3)
	v_add_co_ci_u32_e32 v1, vcc_lo, s13, v1, vcc_lo
	global_store_b16 v[0:1], v2, off
.LBB136_51:                             ;   in Loop: Header=BB136_12 Depth=1
	s_or_b32 exec_lo, exec_lo, s14
	v_add_nc_u32_e32 v66, s5, v66
	s_delay_alu instid0(VALU_DEP_1) | instskip(SKIP_1) | instid1(VALU_DEP_2)
	v_add_nc_u32_e32 v0, 3, v66
	v_cmp_gt_u32_e32 vcc_lo, s19, v66
	v_cmp_le_u32_e64 s1, s19, v0
	s_delay_alu instid0(VALU_DEP_1) | instskip(NEXT) | instid1(SALU_CYCLE_1)
	s_and_b32 s1, vcc_lo, s1
	s_and_saveexec_b32 s43, s1
	s_cbranch_execz .LBB136_10
; %bb.52:                               ;   in Loop: Header=BB136_12 Depth=1
	s_mov_b32 s44, exec_lo
	v_cmpx_ne_u32_e64 s31, v66
	s_cbranch_execz .LBB136_9
; %bb.53:                               ;   in Loop: Header=BB136_12 Depth=1
	v_subrev_nc_u32_e32 v0, s31, v66
	s_mov_b32 s45, 0
	s_mov_b64 s[14:15], 0
	s_delay_alu instid0(VALU_DEP_1)
	v_cmp_lt_u32_e32 vcc_lo, 1, v0
	v_cndmask_b32_e32 v0, 1, v0, vcc_lo
	.p2align	6
.LBB136_54:                             ;   Parent Loop BB136_12 Depth=1
                                        ; =>  This Inner Loop Header: Depth=2
	s_cmp_lg_u32 s14, 2
	s_cselect_b32 vcc_lo, -1, 0
	s_cmp_lg_u32 s14, 1
	v_cndmask_b32_e32 v62, 0, v62, vcc_lo
	s_cselect_b32 s1, -1, 0
	s_cmp_lg_u32 s14, 0
	v_cndmask_b32_e64 v61, 0, v61, s1
	s_cselect_b32 s2, -1, 0
	s_add_u32 s14, s14, 1
	v_cndmask_b32_e64 v60, 0, v60, s2
	v_cmp_eq_u32_e64 s3, s14, v0
	s_addc_u32 s15, s15, 0
	s_delay_alu instid0(VALU_DEP_1) | instskip(NEXT) | instid1(SALU_CYCLE_1)
	s_or_b32 s45, s3, s45
	s_and_not1_b32 exec_lo, exec_lo, s45
	s_cbranch_execnz .LBB136_54
; %bb.55:                               ;   in Loop: Header=BB136_12 Depth=1
	s_or_b32 exec_lo, exec_lo, s45
	s_branch .LBB136_9
.LBB136_56:                             ;   in Loop: Header=BB136_12 Depth=1
	v_mov_b32_e32 v67, v68
	s_waitcnt lgkmcnt(14)
	v_add_f32_e32 v25, v25, v28
	s_waitcnt vmcnt(14)
	v_cvt_f32_f16_e32 v28, v45
	v_lshlrev_b64 v[45:46], 1, v[66:67]
	s_delay_alu instid0(VALU_DEP_2) | instskip(NEXT) | instid1(VALU_DEP_2)
	v_add_f32_e32 v25, v25, v28
	v_add_co_u32 v45, s1, s12, v45
	s_delay_alu instid0(VALU_DEP_2) | instskip(NEXT) | instid1(VALU_DEP_4)
	v_cvt_f16_f32_e32 v25, v25
	v_add_co_ci_u32_e64 v46, s1, s13, v46, s1
	global_store_b16 v[45:46], v25, off
	s_or_b32 exec_lo, exec_lo, s2
	v_cmp_ne_u32_e64 s1, 0, v61
	s_delay_alu instid0(VALU_DEP_1)
	s_and_saveexec_b32 s3, s1
	s_cbranch_execz .LBB136_37
.LBB136_57:                             ;   in Loop: Header=BB136_12 Depth=1
	v_mov_b32_e32 v67, v68
	s_waitcnt lgkmcnt(13)
	v_add_f32_e32 v20, v20, v23
	s_waitcnt vmcnt(13)
	v_cvt_f32_f16_e32 v23, v44
	v_lshlrev_b64 v[44:45], 1, v[66:67]
	s_delay_alu instid0(VALU_DEP_2) | instskip(NEXT) | instid1(VALU_DEP_2)
	v_add_f32_e32 v20, v20, v23
	v_add_co_u32 v44, s2, s36, v44
	s_delay_alu instid0(VALU_DEP_2) | instskip(NEXT) | instid1(VALU_DEP_4)
	v_cvt_f16_f32_e32 v20, v20
	v_add_co_ci_u32_e64 v45, s2, s37, v45, s2
	global_store_b16 v[44:45], v20, off
	s_or_b32 exec_lo, exec_lo, s3
	v_cmp_ne_u32_e64 s2, 0, v62
	s_delay_alu instid0(VALU_DEP_1)
	s_and_saveexec_b32 s15, s2
	s_cbranch_execz .LBB136_38
.LBB136_58:                             ;   in Loop: Header=BB136_12 Depth=1
	s_waitcnt lgkmcnt(12)
	v_add_f32_e32 v17, v1, v17
	v_mov_b32_e32 v1, v68
	s_waitcnt vmcnt(12)
	v_cvt_f32_f16_e32 v20, v43
	s_delay_alu instid0(VALU_DEP_2) | instskip(NEXT) | instid1(VALU_DEP_2)
	v_lshlrev_b64 v[0:1], 1, v[0:1]
	v_add_f32_e32 v17, v17, v20
	s_delay_alu instid0(VALU_DEP_1) | instskip(NEXT) | instid1(VALU_DEP_3)
	v_cvt_f16_f32_e32 v17, v17
	v_add_co_u32 v0, s3, s12, v0
	s_delay_alu instid0(VALU_DEP_1)
	v_add_co_ci_u32_e64 v1, s3, s13, v1, s3
	global_store_b16 v[0:1], v17, off
	s_or_b32 exec_lo, exec_lo, s15
	v_add_nc_u32_e32 v67, s19, v66
	s_and_saveexec_b32 s15, vcc_lo
	s_cbranch_execz .LBB136_39
.LBB136_59:                             ;   in Loop: Header=BB136_12 Depth=1
	s_waitcnt lgkmcnt(11)
	v_add_f32_e32 v0, v8, v11
	s_waitcnt vmcnt(11)
	v_cvt_f32_f16_e32 v1, v42
	s_delay_alu instid0(VALU_DEP_1) | instskip(SKIP_1) | instid1(VALU_DEP_2)
	v_add_f32_e32 v8, v0, v1
	v_lshlrev_b64 v[0:1], 1, v[67:68]
	v_cvt_f16_f32_e32 v8, v8
	s_delay_alu instid0(VALU_DEP_2) | instskip(NEXT) | instid1(VALU_DEP_1)
	v_add_co_u32 v0, s3, s12, v0
	v_add_co_ci_u32_e64 v1, s3, s13, v1, s3
	global_store_b16 v[0:1], v8, off
	s_or_b32 exec_lo, exec_lo, s15
	s_and_saveexec_b32 s15, s1
	s_cbranch_execz .LBB136_40
.LBB136_60:                             ;   in Loop: Header=BB136_12 Depth=1
	v_dual_mov_b32 v1, v68 :: v_dual_add_nc_u32 v0, 1, v67
	s_waitcnt lgkmcnt(10)
	v_add_f32_e32 v4, v4, v7
	s_waitcnt vmcnt(10)
	v_cvt_f32_f16_e32 v7, v41
	v_lshlrev_b64 v[0:1], 1, v[0:1]
	s_delay_alu instid0(VALU_DEP_2) | instskip(NEXT) | instid1(VALU_DEP_2)
	v_add_f32_e32 v4, v4, v7
	v_add_co_u32 v0, s3, s12, v0
	s_delay_alu instid0(VALU_DEP_2) | instskip(NEXT) | instid1(VALU_DEP_4)
	v_cvt_f16_f32_e32 v4, v4
	v_add_co_ci_u32_e64 v1, s3, s13, v1, s3
	global_store_b16 v[0:1], v4, off
	s_or_b32 exec_lo, exec_lo, s15
	s_and_saveexec_b32 s15, s2
	s_cbranch_execz .LBB136_41
.LBB136_61:                             ;   in Loop: Header=BB136_12 Depth=1
	s_waitcnt lgkmcnt(9)
	v_dual_add_f32 v4, v26, v29 :: v_dual_mov_b32 v1, v68
	v_add_nc_u32_e32 v0, 2, v67
	s_waitcnt vmcnt(9)
	v_cvt_f32_f16_e32 v7, v40
	s_delay_alu instid0(VALU_DEP_2) | instskip(NEXT) | instid1(VALU_DEP_2)
	v_lshlrev_b64 v[0:1], 1, v[0:1]
	v_add_f32_e32 v4, v4, v7
	s_delay_alu instid0(VALU_DEP_1) | instskip(NEXT) | instid1(VALU_DEP_3)
	v_cvt_f16_f32_e32 v4, v4
	v_add_co_u32 v0, s3, s12, v0
	s_delay_alu instid0(VALU_DEP_1)
	v_add_co_ci_u32_e64 v1, s3, s13, v1, s3
	global_store_b16 v[0:1], v4, off
	s_or_b32 exec_lo, exec_lo, s15
	v_add_nc_u32_e32 v67, s19, v67
	s_and_saveexec_b32 s15, vcc_lo
	s_cbranch_execz .LBB136_42
.LBB136_62:                             ;   in Loop: Header=BB136_12 Depth=1
	s_waitcnt lgkmcnt(8)
	v_add_f32_e32 v0, v19, v22
	s_waitcnt vmcnt(8)
	v_cvt_f32_f16_e32 v1, v38
	s_delay_alu instid0(VALU_DEP_1) | instskip(SKIP_1) | instid1(VALU_DEP_2)
	v_add_f32_e32 v4, v0, v1
	v_lshlrev_b64 v[0:1], 1, v[67:68]
	v_cvt_f16_f32_e32 v4, v4
	s_delay_alu instid0(VALU_DEP_2) | instskip(NEXT) | instid1(VALU_DEP_1)
	v_add_co_u32 v0, s3, s12, v0
	v_add_co_ci_u32_e64 v1, s3, s13, v1, s3
	global_store_b16 v[0:1], v4, off
	s_or_b32 exec_lo, exec_lo, s15
	s_and_saveexec_b32 s15, s1
	s_cbranch_execz .LBB136_43
.LBB136_63:                             ;   in Loop: Header=BB136_12 Depth=1
	s_waitcnt lgkmcnt(7)
	v_dual_add_f32 v4, v15, v18 :: v_dual_mov_b32 v1, v68
	v_add_nc_u32_e32 v0, 1, v67
	s_waitcnt vmcnt(7)
	v_cvt_f32_f16_e32 v7, v36
	s_delay_alu instid0(VALU_DEP_2) | instskip(NEXT) | instid1(VALU_DEP_2)
	v_lshlrev_b64 v[0:1], 1, v[0:1]
	v_add_f32_e32 v4, v4, v7
	s_delay_alu instid0(VALU_DEP_1) | instskip(NEXT) | instid1(VALU_DEP_3)
	v_cvt_f16_f32_e32 v4, v4
	v_add_co_u32 v0, s3, s12, v0
	s_delay_alu instid0(VALU_DEP_1)
	v_add_co_ci_u32_e64 v1, s3, s13, v1, s3
	global_store_b16 v[0:1], v4, off
	s_or_b32 exec_lo, exec_lo, s15
	s_and_saveexec_b32 s15, s2
	s_cbranch_execz .LBB136_44
.LBB136_64:                             ;   in Loop: Header=BB136_12 Depth=1
	s_waitcnt lgkmcnt(3)
	v_dual_add_f32 v4, v9, v12 :: v_dual_mov_b32 v1, v68
	v_add_nc_u32_e32 v0, 2, v67
	s_waitcnt vmcnt(6)
	v_cvt_f32_f16_e32 v7, v39
	s_delay_alu instid0(VALU_DEP_2) | instskip(NEXT) | instid1(VALU_DEP_2)
	v_lshlrev_b64 v[0:1], 1, v[0:1]
	v_add_f32_e32 v4, v4, v7
	s_delay_alu instid0(VALU_DEP_1) | instskip(NEXT) | instid1(VALU_DEP_3)
	v_cvt_f16_f32_e32 v4, v4
	v_add_co_u32 v0, s3, s12, v0
	s_delay_alu instid0(VALU_DEP_1)
	v_add_co_ci_u32_e64 v1, s3, s13, v1, s3
	global_store_b16 v[0:1], v4, off
	s_or_b32 exec_lo, exec_lo, s15
	v_add_nc_u32_e32 v67, s19, v67
	s_and_saveexec_b32 s15, vcc_lo
	s_cbranch_execz .LBB136_45
.LBB136_65:                             ;   in Loop: Header=BB136_12 Depth=1
	s_waitcnt lgkmcnt(6)
	v_add_f32_e32 v0, v2, v5
	s_waitcnt vmcnt(5)
	v_cvt_f32_f16_e32 v1, v37
	s_delay_alu instid0(VALU_DEP_1) | instskip(SKIP_1) | instid1(VALU_DEP_2)
	v_add_f32_e32 v2, v0, v1
	v_lshlrev_b64 v[0:1], 1, v[67:68]
	v_cvt_f16_f32_e32 v2, v2
	s_delay_alu instid0(VALU_DEP_2) | instskip(NEXT) | instid1(VALU_DEP_1)
	v_add_co_u32 v0, s3, s12, v0
	v_add_co_ci_u32_e64 v1, s3, s13, v1, s3
	global_store_b16 v[0:1], v2, off
	s_or_b32 exec_lo, exec_lo, s15
	s_and_saveexec_b32 s15, s1
	s_cbranch_execz .LBB136_46
.LBB136_66:                             ;   in Loop: Header=BB136_12 Depth=1
	s_waitcnt lgkmcnt(5)
	v_dual_add_f32 v2, v27, v30 :: v_dual_mov_b32 v1, v68
	v_add_nc_u32_e32 v0, 1, v67
	s_waitcnt vmcnt(4)
	v_cvt_f32_f16_e32 v4, v35
	s_delay_alu instid0(VALU_DEP_2) | instskip(NEXT) | instid1(VALU_DEP_2)
	v_lshlrev_b64 v[0:1], 1, v[0:1]
	v_add_f32_e32 v2, v2, v4
	s_delay_alu instid0(VALU_DEP_1) | instskip(NEXT) | instid1(VALU_DEP_3)
	v_cvt_f16_f32_e32 v2, v2
	v_add_co_u32 v0, s3, s12, v0
	s_delay_alu instid0(VALU_DEP_1)
	v_add_co_ci_u32_e64 v1, s3, s13, v1, s3
	global_store_b16 v[0:1], v2, off
	s_or_b32 exec_lo, exec_lo, s15
	s_and_saveexec_b32 s15, s2
	s_cbranch_execz .LBB136_47
.LBB136_67:                             ;   in Loop: Header=BB136_12 Depth=1
	s_waitcnt lgkmcnt(2)
	v_dual_add_f32 v2, v21, v24 :: v_dual_mov_b32 v1, v68
	v_add_nc_u32_e32 v0, 2, v67
	s_waitcnt vmcnt(3)
	v_cvt_f32_f16_e32 v4, v34
	s_delay_alu instid0(VALU_DEP_2) | instskip(NEXT) | instid1(VALU_DEP_2)
	v_lshlrev_b64 v[0:1], 1, v[0:1]
	v_add_f32_e32 v2, v2, v4
	s_delay_alu instid0(VALU_DEP_1) | instskip(NEXT) | instid1(VALU_DEP_3)
	v_cvt_f16_f32_e32 v2, v2
	v_add_co_u32 v0, s3, s12, v0
	s_delay_alu instid0(VALU_DEP_1)
	v_add_co_ci_u32_e64 v1, s3, s13, v1, s3
	global_store_b16 v[0:1], v2, off
	s_or_b32 exec_lo, exec_lo, s15
	v_add_nc_u32_e32 v67, s19, v67
	s_and_saveexec_b32 s3, vcc_lo
	s_cbranch_execz .LBB136_48
.LBB136_68:                             ;   in Loop: Header=BB136_12 Depth=1
	s_waitcnt lgkmcnt(1)
	v_add_f32_e32 v0, v14, v16
	s_waitcnt vmcnt(2)
	v_cvt_f32_f16_e32 v1, v33
	s_delay_alu instid0(VALU_DEP_1) | instskip(SKIP_1) | instid1(VALU_DEP_2)
	v_add_f32_e32 v2, v0, v1
	v_lshlrev_b64 v[0:1], 1, v[67:68]
	v_cvt_f16_f32_e32 v2, v2
	s_delay_alu instid0(VALU_DEP_2) | instskip(NEXT) | instid1(VALU_DEP_3)
	v_add_co_u32 v0, vcc_lo, s12, v0
	v_add_co_ci_u32_e32 v1, vcc_lo, s13, v1, vcc_lo
	global_store_b16 v[0:1], v2, off
	s_or_b32 exec_lo, exec_lo, s3
	s_and_saveexec_b32 s3, s1
	s_cbranch_execz .LBB136_49
.LBB136_69:                             ;   in Loop: Header=BB136_12 Depth=1
	s_waitcnt lgkmcnt(0)
	v_dual_add_f32 v2, v10, v13 :: v_dual_mov_b32 v1, v68
	v_add_nc_u32_e32 v0, 1, v67
	s_waitcnt vmcnt(1)
	v_cvt_f32_f16_e32 v4, v32
	s_delay_alu instid0(VALU_DEP_2) | instskip(NEXT) | instid1(VALU_DEP_2)
	v_lshlrev_b64 v[0:1], 1, v[0:1]
	v_add_f32_e32 v2, v2, v4
	s_delay_alu instid0(VALU_DEP_1) | instskip(NEXT) | instid1(VALU_DEP_3)
	v_cvt_f16_f32_e32 v2, v2
	v_add_co_u32 v0, vcc_lo, s12, v0
	s_delay_alu instid0(VALU_DEP_4) | instskip(SKIP_2) | instid1(SALU_CYCLE_1)
	v_add_co_ci_u32_e32 v1, vcc_lo, s13, v1, vcc_lo
	global_store_b16 v[0:1], v2, off
	s_or_b32 exec_lo, exec_lo, s3
	s_and_b32 exec_lo, exec_lo, s2
	s_cbranch_execnz .LBB136_50
	s_branch .LBB136_51
.LBB136_70:
	s_nop 0
	s_sendmsg sendmsg(MSG_DEALLOC_VGPRS)
	s_endpgm
	.section	.rodata,"a",@progbits
	.p2align	6, 0x0
	.amdhsa_kernel _Z16wvSplitK_hf_big_I6__halfLi32ELi3ELi16ELi8ELi2ELi5EEviiiiiiPKT_S3_S3_PS1_ii
		.amdhsa_group_segment_fixed_size 65536
		.amdhsa_private_segment_fixed_size 0
		.amdhsa_kernarg_size 64
		.amdhsa_user_sgpr_count 15
		.amdhsa_user_sgpr_dispatch_ptr 0
		.amdhsa_user_sgpr_queue_ptr 0
		.amdhsa_user_sgpr_kernarg_segment_ptr 1
		.amdhsa_user_sgpr_dispatch_id 0
		.amdhsa_user_sgpr_private_segment_size 0
		.amdhsa_wavefront_size32 1
		.amdhsa_uses_dynamic_stack 0
		.amdhsa_enable_private_segment 0
		.amdhsa_system_sgpr_workgroup_id_x 1
		.amdhsa_system_sgpr_workgroup_id_y 0
		.amdhsa_system_sgpr_workgroup_id_z 0
		.amdhsa_system_sgpr_workgroup_info 0
		.amdhsa_system_vgpr_workitem_id 1
		.amdhsa_next_free_vgpr 104
		.amdhsa_next_free_sgpr 46
		.amdhsa_reserve_vcc 1
		.amdhsa_float_round_mode_32 0
		.amdhsa_float_round_mode_16_64 0
		.amdhsa_float_denorm_mode_32 3
		.amdhsa_float_denorm_mode_16_64 3
		.amdhsa_dx10_clamp 1
		.amdhsa_ieee_mode 1
		.amdhsa_fp16_overflow 0
		.amdhsa_workgroup_processor_mode 1
		.amdhsa_memory_ordered 1
		.amdhsa_forward_progress 0
		.amdhsa_shared_vgpr_count 0
		.amdhsa_exception_fp_ieee_invalid_op 0
		.amdhsa_exception_fp_denorm_src 0
		.amdhsa_exception_fp_ieee_div_zero 0
		.amdhsa_exception_fp_ieee_overflow 0
		.amdhsa_exception_fp_ieee_underflow 0
		.amdhsa_exception_fp_ieee_inexact 0
		.amdhsa_exception_int_div_zero 0
	.end_amdhsa_kernel
	.section	.text._Z16wvSplitK_hf_big_I6__halfLi32ELi3ELi16ELi8ELi2ELi5EEviiiiiiPKT_S3_S3_PS1_ii,"axG",@progbits,_Z16wvSplitK_hf_big_I6__halfLi32ELi3ELi16ELi8ELi2ELi5EEviiiiiiPKT_S3_S3_PS1_ii,comdat
.Lfunc_end136:
	.size	_Z16wvSplitK_hf_big_I6__halfLi32ELi3ELi16ELi8ELi2ELi5EEviiiiiiPKT_S3_S3_PS1_ii, .Lfunc_end136-_Z16wvSplitK_hf_big_I6__halfLi32ELi3ELi16ELi8ELi2ELi5EEviiiiiiPKT_S3_S3_PS1_ii
                                        ; -- End function
	.section	.AMDGPU.csdata,"",@progbits
; Kernel info:
; codeLenInByte = 8460
; NumSgprs: 48
; NumVgprs: 104
; ScratchSize: 0
; MemoryBound: 0
; FloatMode: 240
; IeeeMode: 1
; LDSByteSize: 65536 bytes/workgroup (compile time only)
; SGPRBlocks: 5
; VGPRBlocks: 12
; NumSGPRsForWavesPerEU: 48
; NumVGPRsForWavesPerEU: 104
; Occupancy: 8
; WaveLimiterHint : 0
; COMPUTE_PGM_RSRC2:SCRATCH_EN: 0
; COMPUTE_PGM_RSRC2:USER_SGPR: 15
; COMPUTE_PGM_RSRC2:TRAP_HANDLER: 0
; COMPUTE_PGM_RSRC2:TGID_X_EN: 1
; COMPUTE_PGM_RSRC2:TGID_Y_EN: 0
; COMPUTE_PGM_RSRC2:TGID_Z_EN: 0
; COMPUTE_PGM_RSRC2:TIDIG_COMP_CNT: 1
	.section	.text._Z16wvSplitK_hf_sml_I6__halfLi32ELi4ELi16ELi8ELi1ELi5EEviiiiiiPKT_S3_S3_PS1_ii,"axG",@progbits,_Z16wvSplitK_hf_sml_I6__halfLi32ELi4ELi16ELi8ELi1ELi5EEviiiiiiPKT_S3_S3_PS1_ii,comdat
	.protected	_Z16wvSplitK_hf_sml_I6__halfLi32ELi4ELi16ELi8ELi1ELi5EEviiiiiiPKT_S3_S3_PS1_ii ; -- Begin function _Z16wvSplitK_hf_sml_I6__halfLi32ELi4ELi16ELi8ELi1ELi5EEviiiiiiPKT_S3_S3_PS1_ii
	.globl	_Z16wvSplitK_hf_sml_I6__halfLi32ELi4ELi16ELi8ELi1ELi5EEviiiiiiPKT_S3_S3_PS1_ii
	.p2align	8
	.type	_Z16wvSplitK_hf_sml_I6__halfLi32ELi4ELi16ELi8ELi1ELi5EEviiiiiiPKT_S3_S3_PS1_ii,@function
_Z16wvSplitK_hf_sml_I6__halfLi32ELi4ELi16ELi8ELi1ELi5EEviiiiiiPKT_S3_S3_PS1_ii: ; @_Z16wvSplitK_hf_sml_I6__halfLi32ELi4ELi16ELi8ELi1ELi5EEviiiiiiPKT_S3_S3_PS1_ii
; %bb.0:
	s_load_b128 s[4:7], s[0:1], 0x0
	v_and_b32_e32 v1, 0x3ff, v0
	v_bfe_u32 v0, v0, 10, 10
	s_mov_b32 s8, exec_lo
	s_delay_alu instid0(VALU_DEP_2) | instskip(NEXT) | instid1(VALU_DEP_1)
	v_lshlrev_b32_e32 v47, 3, v1
	v_lshl_add_u32 v3, v0, 8, v47
	s_waitcnt lgkmcnt(0)
	s_mul_i32 s2, s6, 5
	s_delay_alu instid0(SALU_CYCLE_1)
	s_min_u32 s9, s2, 0x8000
	s_delay_alu instid0(VALU_DEP_1) | instid1(SALU_CYCLE_1)
	v_cmpx_gt_u32_e64 s9, v3
	s_cbranch_execz .LBB137_9
; %bb.1:
	s_load_b64 s[2:3], s[0:1], 0x20
	v_lshlrev_b32_e32 v2, 1, v3
	v_add_nc_u32_e32 v8, 0x1000, v3
	s_mov_b32 s10, exec_lo
	s_waitcnt lgkmcnt(0)
	global_load_b128 v[4:7], v2, s[2:3]
	s_waitcnt vmcnt(0)
	ds_store_b128 v2, v[4:7]
	v_cmpx_gt_u32_e64 s9, v8
	s_xor_b32 s10, exec_lo, s10
	s_cbranch_execz .LBB137_9
; %bb.2:
	v_add_co_u32 v4, s2, s2, v2
	s_delay_alu instid0(VALU_DEP_1) | instskip(SKIP_1) | instid1(VALU_DEP_3)
	v_add_co_ci_u32_e64 v5, null, s3, 0, s2
	v_add_nc_u32_e32 v10, 0x2000, v3
	v_add_co_u32 v6, vcc_lo, 0x2000, v4
	s_delay_alu instid0(VALU_DEP_3)
	v_add_co_ci_u32_e32 v7, vcc_lo, 0, v5, vcc_lo
	s_mov_b32 s2, exec_lo
	global_load_b128 v[6:9], v[6:7], off
	s_waitcnt vmcnt(0)
	ds_store_b128 v2, v[6:9] offset:8192
	v_cmpx_gt_u32_e64 s9, v10
	s_xor_b32 s2, exec_lo, s2
	s_cbranch_execz .LBB137_9
; %bb.3:
	v_add_co_u32 v6, vcc_lo, 0x4000, v4
	v_add_co_ci_u32_e32 v7, vcc_lo, 0, v5, vcc_lo
	v_add_nc_u32_e32 v10, 0x3000, v3
	s_mov_b32 s2, exec_lo
	global_load_b128 v[6:9], v[6:7], off
	s_waitcnt vmcnt(0)
	ds_store_b128 v2, v[6:9] offset:16384
	v_cmpx_gt_u32_e64 s9, v10
	s_xor_b32 s2, exec_lo, s2
	s_cbranch_execz .LBB137_9
; %bb.4:
	v_add_co_u32 v6, vcc_lo, 0x6000, v4
	v_add_co_ci_u32_e32 v7, vcc_lo, 0, v5, vcc_lo
	v_add_nc_u32_e32 v10, 0x4000, v3
	;; [unrolled: 11-line block ×5, first 2 shown]
	s_mov_b32 s2, exec_lo
	global_load_b128 v[6:9], v[6:7], off
	s_waitcnt vmcnt(0)
	ds_store_b128 v2, v[6:9] offset:49152
	v_cmpx_gt_u32_e64 s9, v3
	s_xor_b32 s2, exec_lo, s2
	s_cbranch_execz .LBB137_9
; %bb.8:
	v_add_co_u32 v3, vcc_lo, 0xe000, v4
	v_add_co_ci_u32_e32 v4, vcc_lo, 0, v5, vcc_lo
	global_load_b128 v[3:6], v[3:4], off
	s_waitcnt vmcnt(0)
	ds_store_b128 v2, v[3:6] offset:57344
.LBB137_9:
	s_or_b32 exec_lo, exec_lo, s8
	s_load_b64 s[16:17], s[0:1], 0x38
	s_waitcnt lgkmcnt(0)
	s_barrier
	buffer_gl0_inv
	s_mov_b32 s2, exec_lo
	v_cmpx_gt_u32_e64 s16, v0
	s_cbranch_execz .LBB137_24
; %bb.10:
	s_load_b64 s[2:3], s[0:1], 0x10
	s_mul_i32 s15, s15, s16
	s_delay_alu instid0(SALU_CYCLE_1) | instskip(NEXT) | instid1(VALU_DEP_1)
	v_add_lshl_u32 v32, s15, v0, 2
	v_cmp_gt_u32_e32 vcc_lo, s7, v32
	s_and_b32 exec_lo, exec_lo, vcc_lo
	s_cbranch_execz .LBB137_24
; %bb.11:
	s_clause 0x1
	s_load_b128 s[8:11], s[0:1], 0x28
	s_load_b64 s[12:13], s[0:1], 0x18
	s_cmp_lg_u32 s4, 0
	s_waitcnt lgkmcnt(0)
	v_cvt_f32_u32_e32 v2, s2
	s_cselect_b32 s1, -1, 0
	s_add_i32 s14, s4, -8
	s_add_i32 s15, s7, -1
	v_lshlrev_b32_e32 v48, 4, v1
	v_mov_b32_e32 v34, 0
	v_mbcnt_lo_u32_b32 v49, -1, 0
	s_cmp_lg_u64 s[8:9], 0
	s_cselect_b32 s18, -1, 0
	s_abs_i32 s21, s3
	s_mul_i32 s3, s16, s17
	v_cvt_f32_u32_e32 v0, s21
	s_sub_i32 s16, 0, s21
	s_lshl_b32 s3, s3, 2
	s_sub_i32 s17, 0, s2
	s_sub_i32 s19, 1, s21
	v_rcp_iflag_f32_e32 v0, v0
	s_waitcnt_depctr 0xfff
	v_mul_f32_e32 v0, 0x4f7ffffe, v0
	s_delay_alu instid0(VALU_DEP_1) | instskip(NEXT) | instid1(VALU_DEP_1)
	v_cvt_u32_f32_e32 v0, v0
	v_readfirstlane_b32 s0, v0
	v_rcp_iflag_f32_e32 v0, v2
	s_delay_alu instid0(VALU_DEP_1) | instskip(NEXT) | instid1(SALU_CYCLE_1)
	s_mul_i32 s16, s16, s0
	s_mul_hi_u32 s16, s0, s16
	s_delay_alu instid0(SALU_CYCLE_1) | instskip(SKIP_4) | instid1(SALU_CYCLE_1)
	s_add_i32 s20, s0, s16
	s_cmp_lt_u32 s21, 2
	s_waitcnt_depctr 0xfff
	v_mul_f32_e32 v0, 0x4f7ffffe, v0
	s_cselect_b32 s0, s19, 1
	s_sub_i32 s16, s0, s21
	s_cmp_ge_u32 s0, s21
	s_delay_alu instid0(VALU_DEP_1)
	v_cvt_u32_f32_e32 v0, v0
	s_cselect_b32 s19, s16, s0
	s_lshr_b32 s0, s20, 31
	s_mov_b32 s16, 0
	s_mul_i32 s0, s0, s21
	v_mul_lo_u32 v2, s17, v0
	s_sub_i32 s22, 2, s0
	v_cmp_eq_u32_e64 s0, 31, v1
	s_sub_i32 s23, s22, s21
	s_cmp_ge_u32 s22, s21
	s_mul_i32 s19, s19, s2
	s_cselect_b32 s17, s23, s22
	s_mul_hi_u32 s22, s20, 3
	s_sub_i32 s23, s17, s21
	s_cmp_ge_u32 s17, s21
	s_mul_i32 s22, s22, s21
	s_cselect_b32 s23, s23, s17
	s_sub_i32 s17, 3, s22
	v_mul_hi_u32 v1, v0, v2
	s_sub_i32 s22, s17, s21
	s_cmp_ge_u32 s17, s21
	s_cselect_b32 s22, s22, s17
	s_mul_i32 s17, s6, 6
	s_sub_i32 s24, s22, s21
	s_cmp_ge_u32 s22, s21
	s_delay_alu instid0(VALU_DEP_1) | instskip(SKIP_2) | instid1(SALU_CYCLE_1)
	v_add_nc_u32_e32 v50, v0, v1
	s_cselect_b32 s22, s24, s22
	s_lshr_b32 s20, s20, 30
	s_mul_i32 s20, s20, s21
	s_delay_alu instid0(SALU_CYCLE_1) | instskip(NEXT) | instid1(SALU_CYCLE_1)
	s_sub_i32 s20, 4, s20
	s_sub_i32 s24, s20, s21
	s_cmp_ge_u32 s20, s21
	s_cselect_b32 s24, s24, s20
	s_mul_i32 s20, s23, s2
	s_sub_i32 s23, s24, s21
	s_cmp_ge_u32 s24, s21
	s_mul_i32 s21, s22, s2
	s_cselect_b32 s24, s23, s24
	s_lshl_b32 s22, s6, 3
	s_lshl_b32 s23, s6, 2
	s_mul_i32 s24, s24, s2
	s_lshl_b32 s6, s6, 1
	s_branch .LBB137_14
.LBB137_12:                             ;   in Loop: Header=BB137_14 Depth=1
	s_waitcnt lgkmcnt(18)
	v_dual_add_f32 v0, v0, v5 :: v_dual_add_f32 v1, v1, v6
	s_waitcnt lgkmcnt(16)
	v_dual_add_f32 v2, v2, v7 :: v_dual_add_f32 v3, v3, v8
	s_waitcnt vmcnt(19)
	v_cvt_f32_f16_e32 v7, v63
	s_waitcnt lgkmcnt(14)
	v_dual_add_f32 v4, v4, v9 :: v_dual_add_f32 v5, v10, v15
	s_waitcnt lgkmcnt(11)
	v_dual_add_f32 v6, v11, v16 :: v_dual_add_f32 v9, v13, v18
	;; [unrolled: 2-line block ×3, first 2 shown]
	v_dual_add_f32 v10, v14, v19 :: v_dual_add_f32 v11, v20, v25
	s_waitcnt lgkmcnt(5)
	v_dual_add_f32 v12, v21, v26 :: v_dual_add_f32 v15, v24, v29
	s_waitcnt vmcnt(18)
	v_cvt_f32_f16_e32 v19, v62
	s_waitcnt vmcnt(17)
	v_cvt_f32_f16_e32 v20, v61
	;; [unrolled: 2-line block ×3, first 2 shown]
	v_add_f32_e32 v0, v0, v7
	v_dual_add_f32 v14, v23, v28 :: v_dual_add_f32 v7, v1, v19
	s_waitcnt lgkmcnt(2)
	s_delay_alu instid0(VALU_DEP_3)
	v_dual_add_f32 v18, v37, v40 :: v_dual_add_f32 v3, v3, v21
	v_add_f32_e32 v2, v2, v20
	v_cvt_f16_f32_e32 v19, v0
	v_lshlrev_b64 v[0:1], 1, v[32:33]
	v_cvt_f16_f32_e32 v7, v7
	v_cvt_f16_f32_e32 v3, v3
	;; [unrolled: 1-line block ×3, first 2 shown]
	s_waitcnt vmcnt(15)
	v_cvt_f32_f16_e32 v20, v58
	v_add_nc_u32_e32 v33, s7, v32
	v_add_co_u32 v0, vcc_lo, s10, v0
	v_add_co_ci_u32_e32 v1, vcc_lo, s11, v1, vcc_lo
	v_pack_b32_f16 v3, v2, v3
	v_pack_b32_f16 v2, v19, v7
	s_waitcnt vmcnt(14)
	v_cvt_f32_f16_e32 v7, v56
	s_waitcnt vmcnt(13)
	v_cvt_f32_f16_e32 v21, v54
	;; [unrolled: 2-line block ×3, first 2 shown]
	v_add_f32_e32 v4, v4, v20
	global_store_b64 v[0:1], v[2:3], off
	v_dual_mov_b32 v3, v34 :: v_dual_add_nc_u32 v2, 1, v33
	v_add_f32_e32 v7, v5, v7
	v_mov_b32_e32 v5, v34
	v_dual_add_f32 v21, v6, v21 :: v_dual_add_f32 v8, v8, v24
	v_lshlrev_b64 v[0:1], 1, v[33:34]
	v_cvt_f16_f32_e32 v20, v4
	v_add_nc_u32_e32 v4, 2, v33
	v_lshlrev_b64 v[2:3], 1, v[2:3]
	v_cvt_f16_f32_e32 v23, v7
	v_mov_b32_e32 v7, v34
	v_cvt_f16_f32_e32 v24, v8
	s_waitcnt vmcnt(11)
	v_cvt_f32_f16_e32 v8, v66
	v_add_nc_u32_e32 v6, 3, v33
	v_add_co_u32 v0, vcc_lo, s10, v0
	v_lshlrev_b64 v[4:5], 1, v[4:5]
	s_delay_alu instid0(VALU_DEP_4)
	v_add_f32_e32 v25, v9, v8
	v_add_co_ci_u32_e32 v1, vcc_lo, s11, v1, vcc_lo
	v_add_co_u32 v2, vcc_lo, s10, v2
	v_lshlrev_b64 v[6:7], 1, v[6:7]
	v_add_co_ci_u32_e32 v3, vcc_lo, s11, v3, vcc_lo
	v_add_co_u32 v4, vcc_lo, s10, v4
	v_add_co_ci_u32_e32 v5, vcc_lo, s11, v5, vcc_lo
	s_waitcnt vmcnt(10)
	v_cvt_f32_f16_e32 v26, v65
	v_add_co_u32 v6, vcc_lo, s10, v6
	v_cvt_f16_f32_e32 v21, v21
	v_add_nc_u32_e32 v33, s7, v33
	v_add_co_ci_u32_e32 v7, vcc_lo, s11, v7, vcc_lo
	s_clause 0x3
	global_store_b16 v[0:1], v20, off
	global_store_b16 v[2:3], v23, off
	;; [unrolled: 1-line block ×4, first 2 shown]
	v_add_f32_e32 v2, v10, v26
	v_lshlrev_b64 v[8:9], 1, v[33:34]
	s_waitcnt vmcnt(9)
	v_cvt_f32_f16_e32 v4, v64
	v_mov_b32_e32 v3, v34
	v_mov_b32_e32 v5, v34
	v_cvt_f16_f32_e32 v7, v2
	v_add_nc_u32_e32 v2, 2, v33
	v_add_co_u32 v0, vcc_lo, s10, v8
	v_add_f32_e32 v8, v11, v4
	v_add_nc_u32_e32 v4, 3, v33
	s_delay_alu instid0(VALU_DEP_4)
	v_lshlrev_b64 v[2:3], 1, v[2:3]
	v_cvt_f16_f32_e32 v6, v25
	v_add_co_ci_u32_e32 v1, vcc_lo, s11, v9, vcc_lo
	s_waitcnt vmcnt(8)
	v_cvt_f32_f16_e32 v9, v59
	v_lshlrev_b64 v[4:5], 1, v[4:5]
	v_pack_b32_f16 v6, v6, v7
	v_cvt_f16_f32_e32 v7, v8
	v_add_co_u32 v2, vcc_lo, s10, v2
	v_add_f32_e32 v8, v12, v9
	v_add_co_ci_u32_e32 v3, vcc_lo, s11, v3, vcc_lo
	s_waitcnt vmcnt(7)
	v_cvt_f32_f16_e32 v9, v57
	v_add_co_u32 v4, vcc_lo, s10, v4
	v_cvt_f16_f32_e32 v8, v8
	v_add_co_ci_u32_e32 v5, vcc_lo, s11, v5, vcc_lo
	s_clause 0x2
	global_store_b32 v[0:1], v6, off
	global_store_b16 v[2:3], v7, off
	global_store_b16 v[4:5], v8, off
	v_mov_b32_e32 v5, v34
	s_waitcnt vmcnt(5)
	v_cvt_f32_f16_e32 v7, v53
	v_add_f32_e32 v9, v13, v9
	v_cvt_f32_f16_e32 v10, v55
	v_add_nc_u32_e32 v33, s7, v33
	v_dual_add_f32 v16, v38, v41 :: v_dual_add_f32 v17, v39, v42
	v_add_f32_e32 v8, v15, v7
	v_cvt_f16_f32_e32 v12, v9
	s_waitcnt vmcnt(4)
	v_cvt_f32_f16_e32 v9, v51
	v_add_f32_e32 v6, v14, v10
	v_dual_mov_b32 v7, v34 :: v_dual_add_nc_u32 v2, 1, v33
	v_mov_b32_e32 v3, v34
	v_lshlrev_b64 v[0:1], 1, v[33:34]
	v_cvt_f16_f32_e32 v14, v8
	v_add_f32_e32 v8, v16, v9
	s_waitcnt lgkmcnt(0)
	v_dual_add_f32 v22, v35, v36 :: v_dual_add_f32 v19, v30, v31
	s_waitcnt vmcnt(0)
	v_cvt_f32_f16_e32 v11, v43
	v_add_nc_u32_e32 v4, 2, v33
	v_lshlrev_b64 v[2:3], 1, v[2:3]
	v_cvt_f16_f32_e32 v13, v6
	s_delay_alu instid0(VALU_DEP_4)
	v_dual_add_f32 v11, v19, v11 :: v_dual_add_nc_u32 v6, 3, v33
	v_cvt_f16_f32_e32 v15, v8
	v_cvt_f32_f16_e32 v8, v46
	v_cvt_f32_f16_e32 v9, v45
	;; [unrolled: 1-line block ×3, first 2 shown]
	v_add_co_u32 v0, vcc_lo, s10, v0
	v_lshlrev_b64 v[4:5], 1, v[4:5]
	v_dual_add_f32 v16, v17, v8 :: v_dual_add_nc_u32 v33, s7, v33
	v_add_co_ci_u32_e32 v1, vcc_lo, s11, v1, vcc_lo
	v_add_co_u32 v2, vcc_lo, s10, v2
	v_lshlrev_b64 v[6:7], 1, v[6:7]
	v_add_f32_e32 v17, v18, v9
	v_add_f32_e32 v10, v22, v10
	v_add_co_ci_u32_e32 v3, vcc_lo, s11, v3, vcc_lo
	v_add_co_u32 v4, vcc_lo, s10, v4
	v_lshlrev_b64 v[8:9], 1, v[33:34]
	v_add_co_ci_u32_e32 v5, vcc_lo, s11, v5, vcc_lo
	v_add_co_u32 v6, vcc_lo, s10, v6
	v_cvt_f16_f32_e32 v16, v16
	v_cvt_f16_f32_e32 v17, v17
	;; [unrolled: 1-line block ×4, first 2 shown]
	v_add_co_ci_u32_e32 v7, vcc_lo, s11, v7, vcc_lo
	v_add_co_u32 v8, vcc_lo, s10, v8
	v_add_co_ci_u32_e32 v9, vcc_lo, s11, v9, vcc_lo
	s_delay_alu instid0(VALU_DEP_4)
	v_pack_b32_f16 v11, v10, v11
	v_pack_b32_f16 v10, v16, v17
	s_clause 0x4
	global_store_b16 v[0:1], v12, off
	global_store_b16 v[2:3], v13, off
	;; [unrolled: 1-line block ×4, first 2 shown]
	global_store_b64 v[8:9], v[10:11], off
.LBB137_13:                             ;   in Loop: Header=BB137_14 Depth=1
	s_or_b32 exec_lo, exec_lo, s25
	v_add_nc_u32_e32 v32, s3, v32
	s_delay_alu instid0(VALU_DEP_1) | instskip(SKIP_1) | instid1(SALU_CYCLE_1)
	v_cmp_le_u32_e32 vcc_lo, s7, v32
	s_or_b32 s16, vcc_lo, s16
	s_and_not1_b32 exec_lo, exec_lo, s16
	s_cbranch_execz .LBB137_24
.LBB137_14:                             ; =>This Loop Header: Depth=1
                                        ;     Child Loop BB137_17 Depth 2
	v_mov_b32_e32 v70, v34
	v_mov_b32_e32 v69, v34
	;; [unrolled: 1-line block ×20, first 2 shown]
	s_and_not1_b32 vcc_lo, exec_lo, s1
	s_cbranch_vccnz .LBB137_19
; %bb.15:                               ;   in Loop: Header=BB137_14 Depth=1
	v_or_b32_e32 v0, 1, v32
	v_or_b32_e32 v1, 2, v32
	;; [unrolled: 1-line block ×3, first 2 shown]
	v_min_u32_e32 v3, s15, v32
	s_waitcnt lgkmcnt(19)
	v_dual_mov_b32 v5, v34 :: v_dual_mov_b32 v62, 0
	v_min_u32_e32 v0, s15, v0
	v_min_u32_e32 v1, s15, v1
	v_min_u32_e32 v4, s15, v2
	v_mul_lo_u32 v33, v3, s5
	v_dual_mov_b32 v3, v34 :: v_dual_mov_b32 v64, 0
	v_mul_lo_u32 v0, v0, s5
	v_mul_lo_u32 v2, v1, s5
	;; [unrolled: 1-line block ×3, first 2 shown]
	v_dual_mov_b32 v1, v34 :: v_dual_mov_b32 v66, 0
	s_waitcnt lgkmcnt(1)
	v_lshlrev_b64 v[35:36], 1, v[33:34]
	v_dual_mov_b32 v71, v48 :: v_dual_mov_b32 v60, 0
	s_delay_alu instid0(VALU_DEP_3)
	v_lshlrev_b64 v[37:38], 1, v[0:1]
	v_lshlrev_b64 v[39:40], 1, v[2:3]
	;; [unrolled: 1-line block ×3, first 2 shown]
	v_dual_mov_b32 v65, 0 :: v_dual_mov_b32 v58, 0
	v_dual_mov_b32 v63, 0 :: v_dual_mov_b32 v56, 0
	;; [unrolled: 1-line block ×6, first 2 shown]
	v_mov_b32_e32 v53, 0
	v_mov_b32_e32 v51, 0
	;; [unrolled: 1-line block ×4, first 2 shown]
	s_mov_b32 s25, 0
	s_branch .LBB137_17
.LBB137_16:                             ;   in Loop: Header=BB137_17 Depth=2
	s_or_b32 exec_lo, exec_lo, s26
	v_add_nc_u32_e32 v71, 0x200, v71
	s_addk_i32 s25, 0x100
	s_waitcnt vmcnt(3) lgkmcnt(1)
	;;#ASMSTART
	v_dot2_f32_f16 v70, v28, v12, v70
	;;#ASMEND
	s_waitcnt vmcnt(2)
	;;#ASMSTART
	v_dot2_f32_f16 v69, v28, v8, v69
	;;#ASMEND
	s_waitcnt vmcnt(1)
	;; [unrolled: 4-line block ×3, first 2 shown]
	;;#ASMSTART
	v_dot2_f32_f16 v67, v28, v0, v67
	;;#ASMEND
	;;#ASMSTART
	v_dot2_f32_f16 v66, v24, v12, v66
	;;#ASMEND
	;; [unrolled: 3-line block ×13, first 2 shown]
	s_waitcnt lgkmcnt(0)
	;;#ASMSTART
	v_dot2_f32_f16 v54, v16, v12, v54
	;;#ASMEND
	;;#ASMSTART
	v_dot2_f32_f16 v53, v16, v8, v53
	;;#ASMEND
	;; [unrolled: 3-line block ×24, first 2 shown]
	s_cmp_ge_u32 s25, s4
	;;#ASMSTART
	v_dot2_f32_f16 v70, v30, v14, v70
	;;#ASMEND
	;;#ASMSTART
	v_dot2_f32_f16 v69, v30, v10, v69
	;;#ASMEND
	;; [unrolled: 3-line block ×40, first 2 shown]
	s_cbranch_scc1 .LBB137_19
.LBB137_17:                             ;   Parent Loop BB137_14 Depth=1
                                        ; =>  This Inner Loop Header: Depth=2
	v_dual_mov_b32 v29, 0 :: v_dual_add_nc_u32 v18, s25, v47
	s_waitcnt lgkmcnt(0)
	v_dual_mov_b32 v28, 0 :: v_dual_mov_b32 v31, 0
	v_dual_mov_b32 v30, 0 :: v_dual_mov_b32 v25, 0
	s_delay_alu instid0(VALU_DEP_3) | instskip(SKIP_2) | instid1(VALU_DEP_3)
	v_min_u32_e32 v33, s14, v18
	v_dual_mov_b32 v24, 0 :: v_dual_mov_b32 v27, 0
	v_dual_mov_b32 v26, 0 :: v_dual_mov_b32 v45, 0
	v_lshlrev_b64 v[0:1], 1, v[33:34]
	v_dual_mov_b32 v46, 0 :: v_dual_mov_b32 v43, 0
	v_dual_mov_b32 v44, 0 :: v_dual_mov_b32 v21, 0
	;; [unrolled: 1-line block ×3, first 2 shown]
	s_delay_alu instid0(VALU_DEP_4) | instskip(SKIP_2) | instid1(VALU_DEP_3)
	v_add_co_u32 v6, vcc_lo, s12, v0
	v_add_co_ci_u32_e32 v7, vcc_lo, s13, v1, vcc_lo
	v_mov_b32_e32 v22, 0
	v_add_co_u32 v0, vcc_lo, v6, v35
	s_delay_alu instid0(VALU_DEP_3)
	v_add_co_ci_u32_e32 v1, vcc_lo, v7, v36, vcc_lo
	v_add_co_u32 v2, vcc_lo, v6, v37
	v_add_co_ci_u32_e32 v3, vcc_lo, v7, v38, vcc_lo
	v_add_co_u32 v4, vcc_lo, v6, v39
	;; [unrolled: 2-line block ×3, first 2 shown]
	v_add_co_ci_u32_e32 v17, vcc_lo, v7, v42, vcc_lo
	s_clause 0x3
	global_load_b128 v[12:15], v[0:1], off slc dlc
	global_load_b128 v[8:11], v[2:3], off slc dlc
	;; [unrolled: 1-line block ×4, first 2 shown]
	v_mov_b32_e32 v17, 0
	v_cmp_gt_u32_e32 vcc_lo, s4, v18
	v_dual_mov_b32 v16, 0 :: v_dual_mov_b32 v19, 0
	v_mov_b32_e32 v18, 0
	s_and_saveexec_b32 s26, vcc_lo
	s_cbranch_execz .LBB137_16
; %bb.18:                               ;   in Loop: Header=BB137_17 Depth=2
	v_add_nc_u32_e32 v16, s6, v71
	v_add_nc_u32_e32 v17, s23, v71
	;; [unrolled: 1-line block ×4, first 2 shown]
	ds_load_b128 v[24:27], v16
	ds_load_2addr_b32 v[45:46], v17 offset1:1
	ds_load_2addr_b32 v[43:44], v17 offset0:2 offset1:3
	ds_load_b128 v[20:23], v18
	ds_load_b128 v[28:31], v71
	ds_load_2addr_b64 v[16:19], v19 offset1:1
	s_branch .LBB137_16
.LBB137_19:                             ;   in Loop: Header=BB137_14 Depth=1
	; sched_barrier mask(0x00000000)
	v_xor_b32_e32 v0, 16, v49
	v_cvt_i32_f32_e32 v1, v70
	v_cvt_i32_f32_e32 v2, v69
	;; [unrolled: 1-line block ×4, first 2 shown]
	v_cmp_gt_i32_e32 vcc_lo, 32, v0
	v_cvt_f32_i32_dpp v1, v1 row_shr:8 row_mask:0xf bank_mask:0xf bound_ctrl:1
	s_waitcnt lgkmcnt(19)
	v_cvt_i32_f32_e32 v5, v66
	v_cvt_f32_i32_dpp v2, v2 row_shr:8 row_mask:0xf bank_mask:0xf bound_ctrl:1
	v_cvt_i32_f32_e32 v11, v64
	v_dual_cndmask_b32 v0, v49, v0 :: v_dual_add_f32 v1, v70, v1
	v_cvt_i32_f32_e32 v10, v65
	v_cvt_i32_f32_e32 v13, v62
	s_delay_alu instid0(VALU_DEP_4)
	v_cvt_f32_i32_dpp v11, v11 row_shr:8 row_mask:0xf bank_mask:0xf bound_ctrl:1
	s_waitcnt lgkmcnt(0)
	v_dual_add_f32 v2, v69, v2 :: v_dual_lshlrev_b32 v31, 2, v0
	v_cvt_f32_i32_dpp v0, v3 row_shr:8 row_mask:0xf bank_mask:0xf bound_ctrl:1
	v_cvt_f32_i32_dpp v3, v4 row_shr:8 row_mask:0xf bank_mask:0xf bound_ctrl:1
	;; [unrolled: 1-line block ×3, first 2 shown]
	v_cvt_i32_f32_e32 v5, v1
	v_cvt_i32_f32_e32 v6, v2
	s_delay_alu instid0(VALU_DEP_4) | instskip(SKIP_1) | instid1(VALU_DEP_4)
	v_dual_add_f32 v0, v68, v0 :: v_dual_add_f32 v3, v67, v3
	v_cvt_f32_i32_dpp v10, v10 row_shr:8 row_mask:0xf bank_mask:0xf bound_ctrl:1
	v_cvt_f32_i32_dpp v5, v5 row_shr:4 row_mask:0xf bank_mask:0xf bound_ctrl:1
	v_add_f32_e32 v4, v66, v4
	s_delay_alu instid0(VALU_DEP_4)
	v_cvt_i32_f32_e32 v7, v0
	v_cvt_i32_f32_e32 v8, v3
	v_cvt_f32_i32_dpp v6, v6 row_shr:4 row_mask:0xf bank_mask:0xf bound_ctrl:1
	v_add_f32_e32 v1, v1, v5
	v_cvt_i32_f32_e32 v9, v4
	v_cvt_f32_i32_dpp v7, v7 row_shr:4 row_mask:0xf bank_mask:0xf bound_ctrl:1
	v_cvt_f32_i32_dpp v8, v8 row_shr:4 row_mask:0xf bank_mask:0xf bound_ctrl:1
	v_add_f32_e32 v2, v2, v6
	v_cvt_i32_f32_e32 v5, v1
	v_cvt_f32_i32_dpp v9, v9 row_shr:4 row_mask:0xf bank_mask:0xf bound_ctrl:1
	;; [unrolled: 4-line block ×3, first 2 shown]
	v_add_f32_e32 v0, v0, v7
	v_cvt_i32_f32_e32 v12, v63
	v_cvt_i32_f32_e32 v8, v3
	v_cvt_f32_i32_dpp v6, v6 row_shr:2 row_mask:0xf bank_mask:0xf bound_ctrl:1
	v_add_f32_e32 v1, v1, v5
	v_cvt_i32_f32_e32 v7, v0
	v_dual_add_f32 v10, v65, v10 :: v_dual_add_f32 v13, v62, v13
	v_cvt_f32_i32_dpp v8, v8 row_shr:2 row_mask:0xf bank_mask:0xf bound_ctrl:1
	v_add_f32_e32 v4, v4, v9
	s_delay_alu instid0(VALU_DEP_4)
	v_cvt_f32_i32_dpp v7, v7 row_shr:2 row_mask:0xf bank_mask:0xf bound_ctrl:1
	v_add_f32_e32 v2, v2, v6
	v_cvt_i32_f32_e32 v14, v61
	v_add_f32_e32 v3, v3, v8
	v_cvt_i32_f32_e32 v9, v4
	;; [unrolled: 2-line block ×3, first 2 shown]
	v_cvt_i32_f32_e32 v6, v2
	v_cvt_f32_i32_dpp v12, v12 row_shr:8 row_mask:0xf bank_mask:0xf bound_ctrl:1
	v_cvt_f32_i32_dpp v9, v9 row_shr:2 row_mask:0xf bank_mask:0xf bound_ctrl:1
	v_add_f32_e32 v11, v64, v11
	v_cvt_f32_i32_dpp v0, v0 row_shr:1 row_mask:0xf bank_mask:0xf bound_ctrl:1
	v_cvt_f32_i32_dpp v6, v6 row_shr:1 row_mask:0xf bank_mask:0xf bound_ctrl:1
	v_cvt_i32_f32_e32 v18, v13
	v_add_f32_e32 v4, v4, v9
	v_cvt_i32_f32_e32 v16, v11
	s_delay_alu instid0(VALU_DEP_4) | instskip(SKIP_1) | instid1(VALU_DEP_4)
	v_dual_add_f32 v0, v1, v0 :: v_dual_add_f32 v1, v2, v6
	v_cvt_f32_i32_dpp v14, v14 row_shr:8 row_mask:0xf bank_mask:0xf bound_ctrl:1
	v_cvt_i32_f32_e32 v9, v4
	s_delay_alu instid0(VALU_DEP_4)
	v_cvt_f32_i32_dpp v16, v16 row_shr:4 row_mask:0xf bank_mask:0xf bound_ctrl:1
	v_cvt_f32_i32_dpp v18, v18 row_shr:4 row_mask:0xf bank_mask:0xf bound_ctrl:1
	v_add_f32_e32 v12, v63, v12
	v_cvt_i32_f32_e32 v15, v10
	v_cvt_f32_i32_dpp v9, v9 row_shr:1 row_mask:0xf bank_mask:0xf bound_ctrl:1
	v_add_f32_e32 v11, v11, v16
	v_add_f32_e32 v13, v13, v18
	v_cvt_i32_f32_e32 v17, v12
	v_cvt_f32_i32_dpp v15, v15 row_shr:4 row_mask:0xf bank_mask:0xf bound_ctrl:1
	v_add_f32_e32 v4, v4, v9
	v_cvt_i32_f32_e32 v16, v11
	v_cvt_i32_f32_e32 v18, v13
	v_cvt_f32_i32_dpp v17, v17 row_shr:4 row_mask:0xf bank_mask:0xf bound_ctrl:1
	v_cvt_i32_f32_e32 v21, v59
	v_cvt_i32_f32_e32 v23, v57
	v_cvt_f32_i32_dpp v16, v16 row_shr:2 row_mask:0xf bank_mask:0xf bound_ctrl:1
	v_add_f32_e32 v14, v61, v14
	v_cvt_f32_i32_dpp v18, v18 row_shr:2 row_mask:0xf bank_mask:0xf bound_ctrl:1
	v_add_f32_e32 v10, v10, v15
	;; [unrolled: 2-line block ×3, first 2 shown]
	v_cvt_i32_f32_e32 v19, v14
	v_add_f32_e32 v13, v13, v18
	v_cvt_i32_f32_e32 v15, v10
	v_cvt_f32_i32_dpp v23, v23 row_shr:8 row_mask:0xf bank_mask:0xf bound_ctrl:1
	v_cvt_i32_f32_e32 v16, v11
	v_cvt_f32_i32_dpp v19, v19 row_shr:4 row_mask:0xf bank_mask:0xf bound_ctrl:1
	;; [unrolled: 2-line block ×3, first 2 shown]
	v_add_f32_e32 v21, v59, v21
	v_cvt_f32_i32_dpp v16, v16 row_shr:1 row_mask:0xf bank_mask:0xf bound_ctrl:1
	v_add_f32_e32 v12, v12, v17
	v_cvt_f32_i32_dpp v18, v18 row_shr:1 row_mask:0xf bank_mask:0xf bound_ctrl:1
	v_add_f32_e32 v14, v14, v19
	s_delay_alu instid0(VALU_DEP_4) | instskip(NEXT) | instid1(VALU_DEP_4)
	v_dual_add_f32 v10, v10, v15 :: v_dual_add_f32 v11, v11, v16
	v_cvt_i32_f32_e32 v17, v12
	s_delay_alu instid0(VALU_DEP_4) | instskip(NEXT) | instid1(VALU_DEP_4)
	v_add_f32_e32 v13, v13, v18
	v_cvt_i32_f32_e32 v19, v14
	s_delay_alu instid0(VALU_DEP_4)
	v_cvt_i32_f32_e32 v15, v10
	v_cvt_i32_f32_e32 v26, v21
	v_cvt_f32_i32_dpp v17, v17 row_shr:2 row_mask:0xf bank_mask:0xf bound_ctrl:1
	v_cvt_i32_f32_e32 v36, v52
	v_cvt_f32_i32_dpp v19, v19 row_shr:2 row_mask:0xf bank_mask:0xf bound_ctrl:1
	v_add_f32_e32 v23, v57, v23
	v_cvt_f32_i32_dpp v15, v15 row_shr:1 row_mask:0xf bank_mask:0xf bound_ctrl:1
	v_add_f32_e32 v12, v12, v17
	v_cvt_f32_i32_dpp v26, v26 row_shr:4 row_mask:0xf bank_mask:0xf bound_ctrl:1
	v_cvt_f32_i32_dpp v36, v36 row_shr:8 row_mask:0xf bank_mask:0xf bound_ctrl:1
	v_cvt_i32_f32_e32 v28, v23
	v_add_f32_e32 v14, v14, v19
	v_cvt_i32_f32_e32 v17, v12
	s_delay_alu instid0(VALU_DEP_4) | instskip(NEXT) | instid1(VALU_DEP_4)
	v_dual_add_f32 v21, v21, v26 :: v_dual_add_f32 v36, v52, v36
	v_cvt_f32_i32_dpp v28, v28 row_shr:4 row_mask:0xf bank_mask:0xf bound_ctrl:1
	v_add_f32_e32 v10, v10, v15
	v_cvt_i32_f32_e32 v19, v14
	s_delay_alu instid0(VALU_DEP_4)
	v_cvt_i32_f32_e32 v26, v21
	v_cvt_i32_f32_e32 v41, v36
	v_add_f32_e32 v23, v23, v28
	v_cvt_f32_i32_dpp v17, v17 row_shr:1 row_mask:0xf bank_mask:0xf bound_ctrl:1
	v_cvt_f32_i32_dpp v19, v19 row_shr:1 row_mask:0xf bank_mask:0xf bound_ctrl:1
	v_cvt_f32_i32_dpp v26, v26 row_shr:2 row_mask:0xf bank_mask:0xf bound_ctrl:1
	v_cvt_f32_i32_dpp v41, v41 row_shr:4 row_mask:0xf bank_mask:0xf bound_ctrl:1
	v_cvt_i32_f32_e32 v28, v23
	v_add_f32_e32 v12, v12, v17
	v_cvt_i32_f32_e32 v20, v60
	v_add_f32_e32 v21, v21, v26
	v_cvt_i32_f32_e32 v22, v58
	v_cvt_f32_i32_dpp v28, v28 row_shr:2 row_mask:0xf bank_mask:0xf bound_ctrl:1
	v_add_f32_e32 v14, v14, v19
	v_add_f32_e32 v36, v36, v41
	v_cvt_f32_i32_dpp v20, v20 row_shr:8 row_mask:0xf bank_mask:0xf bound_ctrl:1
	v_cvt_f32_i32_dpp v22, v22 row_shr:8 row_mask:0xf bank_mask:0xf bound_ctrl:1
	v_add_f32_e32 v23, v23, v28
	v_cvt_i32_f32_e32 v26, v21
	v_cvt_i32_f32_e32 v41, v36
	;; [unrolled: 1-line block ×5, first 2 shown]
	v_cvt_f32_i32_dpp v26, v26 row_shr:1 row_mask:0xf bank_mask:0xf bound_ctrl:1
	v_add_f32_e32 v20, v60, v20
	v_cvt_f32_i32_dpp v41, v41 row_shr:2 row_mask:0xf bank_mask:0xf bound_ctrl:1
	v_cvt_i32_f32_e32 v33, v54
	v_cvt_f32_i32_dpp v28, v28 row_shr:1 row_mask:0xf bank_mask:0xf bound_ctrl:1
	v_add_f32_e32 v21, v21, v26
	v_add_f32_e32 v22, v58, v22
	v_cvt_i32_f32_e32 v25, v20
	v_cvt_i32_f32_e32 v35, v53
	v_add_f32_e32 v23, v23, v28
	v_cvt_i32_f32_e32 v37, v51
	v_cvt_i32_f32_e32 v27, v22
	v_add_f32_e32 v36, v36, v41
	v_cvt_f32_i32_dpp v24, v24 row_shr:8 row_mask:0xf bank_mask:0xf bound_ctrl:1
	v_cvt_f32_i32_dpp v25, v25 row_shr:4 row_mask:0xf bank_mask:0xf bound_ctrl:1
	;; [unrolled: 1-line block ×7, first 2 shown]
	v_cvt_i32_f32_e32 v41, v36
	s_delay_alu instid0(VALU_DEP_4) | instskip(NEXT) | instid1(VALU_DEP_4)
	v_dual_add_f32 v24, v56, v24 :: v_dual_add_f32 v33, v54, v33
	v_dual_add_f32 v20, v20, v25 :: v_dual_add_f32 v35, v53, v35
	s_delay_alu instid0(VALU_DEP_4) | instskip(NEXT) | instid1(VALU_DEP_4)
	v_dual_add_f32 v22, v22, v27 :: v_dual_add_f32 v37, v51, v37
	v_cvt_f32_i32_dpp v41, v41 row_shr:1 row_mask:0xf bank_mask:0xf bound_ctrl:1
	v_add_f32_e32 v30, v55, v30
	v_cvt_i32_f32_e32 v29, v24
	v_cvt_i32_f32_e32 v25, v20
	;; [unrolled: 1-line block ×7, first 2 shown]
	v_cvt_f32_i32_dpp v29, v29 row_shr:4 row_mask:0xf bank_mask:0xf bound_ctrl:1
	v_cvt_f32_i32_dpp v25, v25 row_shr:2 row_mask:0xf bank_mask:0xf bound_ctrl:1
	;; [unrolled: 1-line block ×7, first 2 shown]
	v_add_f32_e32 v24, v24, v29
	v_add_f32_e32 v20, v20, v25
	v_add_f32_e32 v22, v22, v27
	v_add_f32_e32 v30, v30, v38
	v_add_f32_e32 v37, v37, v42
	v_add_f32_e32 v33, v33, v39
	v_add_f32_e32 v35, v35, v40
	v_cvt_i32_f32_e32 v29, v24
	v_cvt_i32_f32_e32 v25, v20
	;; [unrolled: 1-line block ×6, first 2 shown]
	v_cvt_f32_i32_dpp v29, v29 row_shr:2 row_mask:0xf bank_mask:0xf bound_ctrl:1
	v_cvt_f32_i32_dpp v25, v25 row_shr:1 row_mask:0xf bank_mask:0xf bound_ctrl:1
	;; [unrolled: 1-line block ×6, first 2 shown]
	v_add_f32_e32 v24, v24, v29
	v_add_f32_e32 v20, v20, v25
	s_delay_alu instid0(VALU_DEP_4)
	v_dual_add_f32 v30, v30, v38 :: v_dual_add_f32 v35, v35, v40
	v_add_f32_e32 v33, v33, v39
	v_add_f32_e32 v40, v37, v42
	v_cvt_i32_f32_e32 v7, v5
	v_cvt_i32_f32_e32 v8, v3
	;; [unrolled: 1-line block ×8, first 2 shown]
	v_cvt_f32_i32_dpp v7, v7 row_shr:1 row_mask:0xf bank_mask:0xf bound_ctrl:1
	v_cvt_f32_i32_dpp v8, v8 row_shr:1 row_mask:0xf bank_mask:0xf bound_ctrl:1
	v_cvt_f32_i32_dpp v27, v27 row_shr:1 row_mask:0xf bank_mask:0xf bound_ctrl:1
	v_cvt_f32_i32_dpp v29, v29 row_shr:1 row_mask:0xf bank_mask:0xf bound_ctrl:1
	v_cvt_f32_i32_dpp v37, v37 row_shr:1 row_mask:0xf bank_mask:0xf bound_ctrl:1
	v_cvt_f32_i32_dpp v43, v38 row_shr:1 row_mask:0xf bank_mask:0xf bound_ctrl:1
	v_cvt_f32_i32_dpp v44, v39 row_shr:1 row_mask:0xf bank_mask:0xf bound_ctrl:1
	v_cvt_f32_i32_dpp v42, v42 row_shr:1 row_mask:0xf bank_mask:0xf bound_ctrl:1
	v_dual_add_f32 v2, v5, v7 :: v_dual_add_f32 v3, v3, v8
	v_add_f32_e32 v22, v22, v27
	v_dual_add_f32 v24, v24, v29 :: v_dual_add_f32 v39, v33, v43
	v_dual_add_f32 v38, v30, v37 :: v_dual_add_f32 v37, v35, v44
	v_add_f32_e32 v35, v36, v41
	v_add_f32_e32 v30, v40, v42
	ds_bpermute_b32 v5, v31, v0
	ds_bpermute_b32 v6, v31, v1
	;; [unrolled: 1-line block ×20, first 2 shown]
	s_and_saveexec_b32 s25, s0
	s_cbranch_execz .LBB137_13
; %bb.20:                               ;   in Loop: Header=BB137_14 Depth=1
	s_and_b32 vcc_lo, exec_lo, s18
	s_cbranch_vccz .LBB137_22
; %bb.21:                               ;   in Loop: Header=BB137_14 Depth=1
	v_mul_hi_u32 v33, v32, v50
	v_or_b32_e32 v43, 1, v32
	v_or_b32_e32 v45, 2, v32
	;; [unrolled: 1-line block ×3, first 2 shown]
	v_mov_b32_e32 v62, v34
	s_delay_alu instid0(VALU_DEP_4) | instskip(NEXT) | instid1(VALU_DEP_4)
	v_mul_hi_u32 v44, v43, v50
	v_mul_hi_u32 v46, v45, v50
	v_mul_lo_u32 v33, v33, s2
	v_mul_hi_u32 v52, v51, v50
	v_mov_b32_e32 v64, v34
	v_mov_b32_e32 v66, v34
	;; [unrolled: 1-line block ×4, first 2 shown]
	v_mul_lo_u32 v53, v44, s2
	v_mul_lo_u32 v54, v46, s2
	v_sub_nc_u32_e32 v33, v32, v33
	v_mul_lo_u32 v52, v52, s2
	s_delay_alu instid0(VALU_DEP_2)
	v_subrev_nc_u32_e32 v55, s2, v33
	v_sub_nc_u32_e32 v43, v43, v53
	v_cmp_le_u32_e32 vcc_lo, s2, v33
	v_mov_b32_e32 v44, v34
	v_sub_nc_u32_e32 v45, v45, v54
	v_sub_nc_u32_e32 v51, v51, v52
	v_subrev_nc_u32_e32 v53, s2, v43
	v_cndmask_b32_e32 v33, v33, v55, vcc_lo
	v_cmp_le_u32_e32 vcc_lo, s2, v43
	v_mov_b32_e32 v46, v34
	v_subrev_nc_u32_e32 v54, s2, v45
	v_subrev_nc_u32_e32 v55, s2, v51
	;; [unrolled: 1-line block ×3, first 2 shown]
	v_cndmask_b32_e32 v43, v43, v53, vcc_lo
	v_cmp_le_u32_e32 vcc_lo, s2, v45
	v_mov_b32_e32 v52, v34
	s_delay_alu instid0(VALU_DEP_3) | instskip(SKIP_2) | instid1(VALU_DEP_2)
	v_subrev_nc_u32_e32 v53, s2, v43
	v_cndmask_b32_e32 v45, v45, v54, vcc_lo
	v_cmp_le_u32_e32 vcc_lo, s2, v51
	v_subrev_nc_u32_e32 v54, s2, v45
	v_cndmask_b32_e32 v51, v51, v55, vcc_lo
	v_cmp_le_u32_e32 vcc_lo, s2, v33
	s_delay_alu instid0(VALU_DEP_2) | instskip(SKIP_2) | instid1(VALU_DEP_2)
	v_subrev_nc_u32_e32 v55, s2, v51
	v_cndmask_b32_e32 v33, v33, v56, vcc_lo
	v_cmp_le_u32_e32 vcc_lo, s2, v43
	v_add_nc_u32_e32 v61, s19, v33
	v_cndmask_b32_e32 v43, v43, v53, vcc_lo
	v_cmp_le_u32_e32 vcc_lo, s2, v45
	s_delay_alu instid0(VALU_DEP_3) | instskip(NEXT) | instid1(VALU_DEP_3)
	v_lshlrev_b64 v[61:62], 1, v[61:62]
	v_add_nc_u32_e32 v63, s19, v43
	v_cndmask_b32_e32 v45, v45, v54, vcc_lo
	v_cmp_le_u32_e32 vcc_lo, s2, v51
	v_lshlrev_b64 v[53:54], 1, v[33:34]
	v_add_nc_u32_e32 v75, s20, v43
	v_lshlrev_b64 v[63:64], 1, v[63:64]
	v_lshlrev_b64 v[57:58], 1, v[45:46]
	v_cndmask_b32_e32 v51, v51, v55, vcc_lo
	v_lshlrev_b64 v[55:56], 1, v[43:44]
	v_add_co_u32 v53, vcc_lo, s8, v53
	v_add_co_ci_u32_e32 v54, vcc_lo, s9, v54, vcc_lo
	s_delay_alu instid0(VALU_DEP_4) | instskip(NEXT) | instid1(VALU_DEP_4)
	v_lshlrev_b64 v[59:60], 1, v[51:52]
	v_add_co_u32 v55, vcc_lo, s8, v55
	v_add_co_ci_u32_e32 v56, vcc_lo, s9, v56, vcc_lo
	v_add_co_u32 v57, vcc_lo, s8, v57
	v_add_co_ci_u32_e32 v58, vcc_lo, s9, v58, vcc_lo
	v_add_co_u32 v59, vcc_lo, s8, v59
	v_add_nc_u32_e32 v65, s19, v45
	v_add_co_ci_u32_e32 v60, vcc_lo, s9, v60, vcc_lo
	v_add_co_u32 v67, vcc_lo, s8, v61
	v_add_co_ci_u32_e32 v68, vcc_lo, s9, v62, vcc_lo
	s_delay_alu instid0(VALU_DEP_4) | instskip(SKIP_3) | instid1(VALU_DEP_3)
	v_lshlrev_b64 v[61:62], 1, v[65:66]
	v_add_nc_u32_e32 v65, s19, v51
	v_add_co_u32 v69, vcc_lo, s8, v63
	v_add_co_ci_u32_e32 v70, vcc_lo, s9, v64, vcc_lo
	v_lshlrev_b64 v[63:64], 1, v[65:66]
	v_add_co_u32 v65, vcc_lo, s8, v61
	v_add_co_ci_u32_e32 v66, vcc_lo, s9, v62, vcc_lo
	v_dual_mov_b32 v62, v34 :: v_dual_add_nc_u32 v61, s20, v33
	s_delay_alu instid0(VALU_DEP_4) | instskip(SKIP_1) | instid1(VALU_DEP_3)
	v_add_co_u32 v71, vcc_lo, s8, v63
	v_add_co_ci_u32_e32 v72, vcc_lo, s9, v64, vcc_lo
	v_lshlrev_b64 v[73:74], 1, v[61:62]
	s_clause 0x7
	global_load_u16 v63, v[53:54], off
	global_load_u16 v62, v[55:56], off
	;; [unrolled: 1-line block ×8, first 2 shown]
	v_dual_mov_b32 v67, v34 :: v_dual_add_nc_u32 v66, s20, v45
	v_lshlrev_b64 v[64:65], 1, v[75:76]
	v_dual_mov_b32 v71, v34 :: v_dual_add_nc_u32 v70, s20, v51
	v_add_co_u32 v68, vcc_lo, s8, v73
	s_delay_alu instid0(VALU_DEP_4)
	v_lshlrev_b64 v[66:67], 1, v[66:67]
	v_add_co_ci_u32_e32 v69, vcc_lo, s9, v74, vcc_lo
	v_add_co_u32 v64, vcc_lo, s8, v64
	v_dual_mov_b32 v73, v34 :: v_dual_add_nc_u32 v72, s21, v33
	v_add_co_ci_u32_e32 v65, vcc_lo, s9, v65, vcc_lo
	v_lshlrev_b64 v[70:71], 1, v[70:71]
	v_add_co_u32 v74, vcc_lo, s8, v66
	v_add_co_ci_u32_e32 v75, vcc_lo, s9, v67, vcc_lo
	v_lshlrev_b64 v[66:67], 1, v[72:73]
	v_add_nc_u32_e32 v72, s21, v43
	v_add_co_u32 v70, vcc_lo, s8, v70
	v_add_nc_u32_e32 v76, s21, v45
	v_add_co_ci_u32_e32 v71, vcc_lo, s9, v71, vcc_lo
	s_delay_alu instid0(VALU_DEP_4)
	v_lshlrev_b64 v[72:73], 1, v[72:73]
	v_add_co_u32 v78, vcc_lo, s8, v66
	v_add_co_ci_u32_e32 v79, vcc_lo, s9, v67, vcc_lo
	v_lshlrev_b64 v[66:67], 1, v[76:77]
	v_add_nc_u32_e32 v76, s21, v51
	v_add_co_u32 v72, vcc_lo, s8, v72
	v_add_nc_u32_e32 v33, s24, v33
	v_add_co_ci_u32_e32 v73, vcc_lo, s9, v73, vcc_lo
	s_delay_alu instid0(VALU_DEP_4)
	v_lshlrev_b64 v[76:77], 1, v[76:77]
	v_add_co_u32 v80, vcc_lo, s8, v66
	v_add_co_ci_u32_e32 v81, vcc_lo, s9, v67, vcc_lo
	v_lshlrev_b64 v[66:67], 1, v[33:34]
	v_add_nc_u32_e32 v33, s24, v43
	v_add_co_u32 v43, vcc_lo, s8, v76
	v_add_co_ci_u32_e32 v44, vcc_lo, s9, v77, vcc_lo
	s_delay_alu instid0(VALU_DEP_3) | instskip(SKIP_3) | instid1(VALU_DEP_3)
	v_lshlrev_b64 v[76:77], 1, v[33:34]
	v_add_nc_u32_e32 v33, s24, v45
	v_add_co_u32 v45, vcc_lo, s8, v66
	v_add_co_ci_u32_e32 v46, vcc_lo, s9, v67, vcc_lo
	v_lshlrev_b64 v[66:67], 1, v[33:34]
	v_add_nc_u32_e32 v33, s24, v51
	v_add_co_u32 v76, vcc_lo, s8, v76
	v_add_co_ci_u32_e32 v77, vcc_lo, s9, v77, vcc_lo
	s_delay_alu instid0(VALU_DEP_3) | instskip(SKIP_3) | instid1(VALU_DEP_4)
	v_lshlrev_b64 v[82:83], 1, v[33:34]
	v_mov_b32_e32 v33, v34
	v_add_co_u32 v84, vcc_lo, s8, v66
	v_add_co_ci_u32_e32 v85, vcc_lo, s9, v67, vcc_lo
	v_add_co_u32 v82, vcc_lo, s8, v82
	v_add_co_ci_u32_e32 v83, vcc_lo, s9, v83, vcc_lo
	s_clause 0xb
	global_load_u16 v66, v[68:69], off
	global_load_u16 v65, v[64:65], off
	;; [unrolled: 1-line block ×12, first 2 shown]
	s_cbranch_execnz .LBB137_12
	s_branch .LBB137_23
.LBB137_22:                             ;   in Loop: Header=BB137_14 Depth=1
                                        ; implicit-def: $vgpr43
                                        ; implicit-def: $vgpr44
                                        ; implicit-def: $vgpr45
                                        ; implicit-def: $vgpr46
                                        ; implicit-def: $vgpr51
                                        ; implicit-def: $vgpr53
                                        ; implicit-def: $vgpr55
                                        ; implicit-def: $vgpr57
                                        ; implicit-def: $vgpr59
                                        ; implicit-def: $vgpr64
                                        ; implicit-def: $vgpr65
                                        ; implicit-def: $vgpr66
                                        ; implicit-def: $vgpr52
                                        ; implicit-def: $vgpr54
                                        ; implicit-def: $vgpr56
                                        ; implicit-def: $vgpr58
                                        ; implicit-def: $vgpr60
                                        ; implicit-def: $vgpr61
                                        ; implicit-def: $vgpr62
                                        ; implicit-def: $vgpr63
.LBB137_23:                             ;   in Loop: Header=BB137_14 Depth=1
	s_waitcnt vmcnt(18)
	v_dual_mov_b32 v33, v34 :: v_dual_mov_b32 v62, 0
	s_waitcnt vmcnt(16)
	v_dual_mov_b32 v63, 0 :: v_dual_mov_b32 v60, 0
	;; [unrolled: 2-line block ×10, first 2 shown]
	s_waitcnt vmcnt(0)
	v_mov_b32_e32 v43, 0
	s_branch .LBB137_12
.LBB137_24:
	s_nop 0
	s_sendmsg sendmsg(MSG_DEALLOC_VGPRS)
	s_endpgm
	.section	.rodata,"a",@progbits
	.p2align	6, 0x0
	.amdhsa_kernel _Z16wvSplitK_hf_sml_I6__halfLi32ELi4ELi16ELi8ELi1ELi5EEviiiiiiPKT_S3_S3_PS1_ii
		.amdhsa_group_segment_fixed_size 65536
		.amdhsa_private_segment_fixed_size 0
		.amdhsa_kernarg_size 64
		.amdhsa_user_sgpr_count 15
		.amdhsa_user_sgpr_dispatch_ptr 0
		.amdhsa_user_sgpr_queue_ptr 0
		.amdhsa_user_sgpr_kernarg_segment_ptr 1
		.amdhsa_user_sgpr_dispatch_id 0
		.amdhsa_user_sgpr_private_segment_size 0
		.amdhsa_wavefront_size32 1
		.amdhsa_uses_dynamic_stack 0
		.amdhsa_enable_private_segment 0
		.amdhsa_system_sgpr_workgroup_id_x 1
		.amdhsa_system_sgpr_workgroup_id_y 0
		.amdhsa_system_sgpr_workgroup_id_z 0
		.amdhsa_system_sgpr_workgroup_info 0
		.amdhsa_system_vgpr_workitem_id 1
		.amdhsa_next_free_vgpr 86
		.amdhsa_next_free_sgpr 27
		.amdhsa_reserve_vcc 1
		.amdhsa_float_round_mode_32 0
		.amdhsa_float_round_mode_16_64 0
		.amdhsa_float_denorm_mode_32 3
		.amdhsa_float_denorm_mode_16_64 3
		.amdhsa_dx10_clamp 1
		.amdhsa_ieee_mode 1
		.amdhsa_fp16_overflow 0
		.amdhsa_workgroup_processor_mode 1
		.amdhsa_memory_ordered 1
		.amdhsa_forward_progress 0
		.amdhsa_shared_vgpr_count 0
		.amdhsa_exception_fp_ieee_invalid_op 0
		.amdhsa_exception_fp_denorm_src 0
		.amdhsa_exception_fp_ieee_div_zero 0
		.amdhsa_exception_fp_ieee_overflow 0
		.amdhsa_exception_fp_ieee_underflow 0
		.amdhsa_exception_fp_ieee_inexact 0
		.amdhsa_exception_int_div_zero 0
	.end_amdhsa_kernel
	.section	.text._Z16wvSplitK_hf_sml_I6__halfLi32ELi4ELi16ELi8ELi1ELi5EEviiiiiiPKT_S3_S3_PS1_ii,"axG",@progbits,_Z16wvSplitK_hf_sml_I6__halfLi32ELi4ELi16ELi8ELi1ELi5EEviiiiiiPKT_S3_S3_PS1_ii,comdat
.Lfunc_end137:
	.size	_Z16wvSplitK_hf_sml_I6__halfLi32ELi4ELi16ELi8ELi1ELi5EEviiiiiiPKT_S3_S3_PS1_ii, .Lfunc_end137-_Z16wvSplitK_hf_sml_I6__halfLi32ELi4ELi16ELi8ELi1ELi5EEviiiiiiPKT_S3_S3_PS1_ii
                                        ; -- End function
	.section	.AMDGPU.csdata,"",@progbits
; Kernel info:
; codeLenInByte = 6840
; NumSgprs: 29
; NumVgprs: 86
; ScratchSize: 0
; MemoryBound: 0
; FloatMode: 240
; IeeeMode: 1
; LDSByteSize: 65536 bytes/workgroup (compile time only)
; SGPRBlocks: 3
; VGPRBlocks: 10
; NumSGPRsForWavesPerEU: 29
; NumVGPRsForWavesPerEU: 86
; Occupancy: 8
; WaveLimiterHint : 0
; COMPUTE_PGM_RSRC2:SCRATCH_EN: 0
; COMPUTE_PGM_RSRC2:USER_SGPR: 15
; COMPUTE_PGM_RSRC2:TRAP_HANDLER: 0
; COMPUTE_PGM_RSRC2:TGID_X_EN: 1
; COMPUTE_PGM_RSRC2:TGID_Y_EN: 0
; COMPUTE_PGM_RSRC2:TGID_Z_EN: 0
; COMPUTE_PGM_RSRC2:TIDIG_COMP_CNT: 1
	.section	.text._Z12wvSplitK_hf_I6__halfLi32ELi4ELi16ELi8ELi1ELi5EEviiiiiiPKT_S3_S3_PS1_ii,"axG",@progbits,_Z12wvSplitK_hf_I6__halfLi32ELi4ELi16ELi8ELi1ELi5EEviiiiiiPKT_S3_S3_PS1_ii,comdat
	.protected	_Z12wvSplitK_hf_I6__halfLi32ELi4ELi16ELi8ELi1ELi5EEviiiiiiPKT_S3_S3_PS1_ii ; -- Begin function _Z12wvSplitK_hf_I6__halfLi32ELi4ELi16ELi8ELi1ELi5EEviiiiiiPKT_S3_S3_PS1_ii
	.globl	_Z12wvSplitK_hf_I6__halfLi32ELi4ELi16ELi8ELi1ELi5EEviiiiiiPKT_S3_S3_PS1_ii
	.p2align	8
	.type	_Z12wvSplitK_hf_I6__halfLi32ELi4ELi16ELi8ELi1ELi5EEviiiiiiPKT_S3_S3_PS1_ii,@function
_Z12wvSplitK_hf_I6__halfLi32ELi4ELi16ELi8ELi1ELi5EEviiiiiiPKT_S3_S3_PS1_ii: ; @_Z12wvSplitK_hf_I6__halfLi32ELi4ELi16ELi8ELi1ELi5EEviiiiiiPKT_S3_S3_PS1_ii
; %bb.0:
	s_clause 0x1
	s_load_b64 s[20:21], s[0:1], 0x38
	s_load_b128 s[8:11], s[0:1], 0x0
	v_bfe_u32 v5, v0, 10, 10
	s_clause 0x1
	s_load_b64 s[16:17], s[0:1], 0x20
	s_load_b64 s[18:19], s[0:1], 0x10
	s_mov_b32 s4, 1
	s_delay_alu instid0(SALU_CYCLE_1) | instskip(SKIP_4) | instid1(SALU_CYCLE_1)
	s_mov_b32 s5, s4
	s_mov_b32 s6, s4
	;; [unrolled: 1-line block ×3, first 2 shown]
	s_waitcnt lgkmcnt(0)
	s_mul_i32 s15, s15, s20
	v_add_lshl_u32 v41, s15, v5, 2
	s_delay_alu instid0(VALU_DEP_1) | instskip(SKIP_1) | instid1(VALU_DEP_2)
	v_add_nc_u32_e32 v1, 4, v41
	v_cmp_gt_u32_e32 vcc_lo, s11, v41
	v_cmp_le_u32_e64 s2, s11, v1
	v_dual_mov_b32 v1, s4 :: v_dual_mov_b32 v4, s7
	v_dual_mov_b32 v2, s5 :: v_dual_mov_b32 v3, s6
	s_delay_alu instid0(VALU_DEP_3) | instskip(NEXT) | instid1(SALU_CYCLE_1)
	s_and_b32 s2, vcc_lo, s2
	s_and_saveexec_b32 s12, s2
	s_cbranch_execz .LBB138_6
; %bb.1:
	v_dual_mov_b32 v1, s4 :: v_dual_mov_b32 v2, s5
	v_dual_mov_b32 v3, s6 :: v_dual_mov_b32 v4, s7
	s_add_i32 s13, s11, -4
	s_mov_b32 s14, exec_lo
	v_cmpx_ne_u32_e64 s13, v41
	s_cbranch_execz .LBB138_5
; %bb.2:
	v_subrev_nc_u32_e32 v1, s13, v41
	s_mov_b32 s15, 0
	s_mov_b64 s[2:3], 0
	s_mov_b32 s5, s4
	s_mov_b32 s6, s4
	v_cmp_lt_u32_e32 vcc_lo, 1, v1
	s_mov_b32 s7, s4
	v_cndmask_b32_e32 v6, 1, v1, vcc_lo
	.p2align	6
.LBB138_3:                              ; =>This Inner Loop Header: Depth=1
	s_cmp_lg_u32 s2, 3
	s_cselect_b32 s7, s7, 0
	s_cmp_lg_u32 s2, 2
	s_cselect_b32 s6, s6, 0
	;; [unrolled: 2-line block ×4, first 2 shown]
	s_add_u32 s2, s2, 1
	v_dual_mov_b32 v1, s4 :: v_dual_mov_b32 v2, s5
	v_cmp_eq_u32_e32 vcc_lo, s2, v6
	v_dual_mov_b32 v3, s6 :: v_dual_mov_b32 v4, s7
	s_addc_u32 s3, s3, 0
	s_or_b32 s15, vcc_lo, s15
	s_delay_alu instid0(SALU_CYCLE_1)
	s_and_not1_b32 exec_lo, exec_lo, s15
	s_cbranch_execnz .LBB138_3
; %bb.4:
	s_or_b32 exec_lo, exec_lo, s15
	v_mov_b32_e32 v41, s13
.LBB138_5:
	s_or_b32 exec_lo, exec_lo, s14
.LBB138_6:
	s_delay_alu instid0(SALU_CYCLE_1) | instskip(SKIP_2) | instid1(SALU_CYCLE_1)
	s_or_b32 exec_lo, exec_lo, s12
	v_and_b32_e32 v6, 0x3ff, v0
	s_mul_i32 s2, s10, 5
	s_min_u32 s3, s2, 0x8000
	s_mov_b32 s2, exec_lo
	s_delay_alu instid0(VALU_DEP_1) | instskip(NEXT) | instid1(VALU_DEP_1)
	v_lshlrev_b32_e32 v0, 3, v6
	v_lshl_add_u32 v8, v5, 8, v0
	s_delay_alu instid0(VALU_DEP_1)
	v_cmpx_gt_u32_e64 s3, v8
	s_cbranch_execz .LBB138_15
; %bb.7:
	v_lshlrev_b32_e32 v7, 1, v8
	v_add_nc_u32_e32 v13, 0x1000, v8
	s_mov_b32 s4, exec_lo
	global_load_b128 v[9:12], v7, s[16:17]
	s_waitcnt vmcnt(0)
	ds_store_b128 v7, v[9:12]
	v_cmpx_gt_u32_e64 s3, v13
	s_xor_b32 s4, exec_lo, s4
	s_cbranch_execz .LBB138_15
; %bb.8:
	v_add_co_u32 v9, s4, s16, v7
	s_delay_alu instid0(VALU_DEP_1) | instskip(SKIP_1) | instid1(VALU_DEP_3)
	v_add_co_ci_u32_e64 v10, null, s17, 0, s4
	v_add_nc_u32_e32 v15, 0x2000, v8
	v_add_co_u32 v11, vcc_lo, 0x2000, v9
	s_delay_alu instid0(VALU_DEP_3)
	v_add_co_ci_u32_e32 v12, vcc_lo, 0, v10, vcc_lo
	s_mov_b32 s4, exec_lo
	global_load_b128 v[11:14], v[11:12], off
	s_waitcnt vmcnt(0)
	ds_store_b128 v7, v[11:14] offset:8192
	v_cmpx_gt_u32_e64 s3, v15
	s_xor_b32 s4, exec_lo, s4
	s_cbranch_execz .LBB138_15
; %bb.9:
	v_add_co_u32 v11, vcc_lo, 0x4000, v9
	v_add_co_ci_u32_e32 v12, vcc_lo, 0, v10, vcc_lo
	v_add_nc_u32_e32 v15, 0x3000, v8
	s_mov_b32 s4, exec_lo
	global_load_b128 v[11:14], v[11:12], off
	s_waitcnt vmcnt(0)
	ds_store_b128 v7, v[11:14] offset:16384
	v_cmpx_gt_u32_e64 s3, v15
	s_xor_b32 s4, exec_lo, s4
	s_cbranch_execz .LBB138_15
; %bb.10:
	v_add_co_u32 v11, vcc_lo, 0x6000, v9
	v_add_co_ci_u32_e32 v12, vcc_lo, 0, v10, vcc_lo
	v_add_nc_u32_e32 v15, 0x4000, v8
	;; [unrolled: 11-line block ×5, first 2 shown]
	global_load_b128 v[11:14], v[11:12], off
	v_cmp_gt_u32_e32 vcc_lo, s3, v8
	s_waitcnt vmcnt(0)
	ds_store_b128 v7, v[11:14] offset:49152
	s_and_saveexec_b32 s3, vcc_lo
	s_delay_alu instid0(SALU_CYCLE_1)
	s_xor_b32 s3, exec_lo, s3
	s_cbranch_execz .LBB138_15
; %bb.14:
	v_add_co_u32 v8, vcc_lo, 0xe000, v9
	v_add_co_ci_u32_e32 v9, vcc_lo, 0, v10, vcc_lo
	global_load_b128 v[8:11], v[8:9], off
	s_waitcnt vmcnt(0)
	ds_store_b128 v7, v[8:11] offset:57344
.LBB138_15:
	s_or_b32 exec_lo, exec_lo, s2
	v_cmp_gt_u32_e32 vcc_lo, s20, v5
	v_cmp_gt_u32_e64 s2, s11, v41
	s_waitcnt lgkmcnt(0)
	s_barrier
	buffer_gl0_inv
	s_and_b32 s2, vcc_lo, s2
	s_delay_alu instid0(SALU_CYCLE_1)
	s_and_saveexec_b32 s3, s2
	s_cbranch_execz .LBB138_92
; %bb.16:
	s_clause 0x1
	s_load_b128 s[12:15], s[0:1], 0x28
	s_load_b64 s[6:7], s[0:1], 0x18
	s_cmp_lg_u32 s8, 0
	v_cvt_f32_u32_e32 v7, s18
	s_cselect_b32 s22, -1, 0
	s_add_i32 s23, s8, -8
	s_add_i32 s24, s11, -1
	s_mul_i32 s0, s20, s21
	v_mad_u64_u32 v[44:45], null, s10, 3, v[0:1]
	v_add_nc_u32_e32 v59, s10, v0
	v_mbcnt_lo_u32_b32 v63, -1, 0
	s_mov_b32 s21, 0
	s_mul_i32 s33, s10, 6
	v_lshlrev_b32_e32 v58, 4, v6
	s_waitcnt lgkmcnt(0)
	s_cmp_lg_u64 s[12:13], 0
	s_cselect_b32 s25, -1, 0
	s_abs_i32 s1, s19
	s_lshl_b32 s19, s0, 2
	v_cvt_f32_u32_e32 v5, s1
	s_sub_i32 s0, 0, s1
	s_add_i32 s20, s11, -4
	s_sub_i32 s3, 0, s18
	s_sub_i32 s4, 1, s1
	v_rcp_iflag_f32_e32 v5, v5
	s_waitcnt_depctr 0xfff
	v_mul_f32_e32 v5, 0x4f7ffffe, v5
	s_delay_alu instid0(VALU_DEP_1) | instskip(NEXT) | instid1(VALU_DEP_1)
	v_cvt_u32_f32_e32 v5, v5
	v_readfirstlane_b32 s2, v5
	v_rcp_iflag_f32_e32 v5, v7
	s_delay_alu instid0(VALU_DEP_1) | instskip(NEXT) | instid1(SALU_CYCLE_1)
	s_mul_i32 s0, s0, s2
	s_mul_hi_u32 s0, s2, s0
	s_delay_alu instid0(SALU_CYCLE_1) | instskip(SKIP_4) | instid1(SALU_CYCLE_1)
	s_add_i32 s2, s2, s0
	s_cmp_lt_u32 s1, 2
	s_waitcnt_depctr 0xfff
	v_mul_f32_e32 v5, 0x4f7ffffe, v5
	s_cselect_b32 s0, s4, 1
	s_sub_i32 s4, s0, s1
	s_cmp_ge_u32 s0, s1
	s_delay_alu instid0(VALU_DEP_1)
	v_cvt_u32_f32_e32 v5, v5
	s_cselect_b32 s26, s4, s0
	s_lshr_b32 s0, s2, 31
	s_mul_i32 s26, s26, s18
	s_mul_i32 s0, s0, s1
	v_mul_lo_u32 v7, s3, v5
	s_sub_i32 s4, 2, s0
	v_cmp_eq_u32_e64 s0, 31, v6
	s_sub_i32 s5, s4, s1
	s_cmp_ge_u32 s4, s1
	s_cselect_b32 s3, s5, s4
	s_mul_hi_u32 s4, s2, 3
	s_sub_i32 s5, s3, s1
	s_cmp_ge_u32 s3, s1
	s_mul_i32 s4, s4, s1
	s_cselect_b32 s27, s5, s3
	s_sub_i32 s3, 3, s4
	v_mul_hi_u32 v6, v5, v7
	s_sub_i32 s4, s3, s1
	s_cmp_ge_u32 s3, s1
	v_mov_b32_e32 v43, 0
	s_cselect_b32 s3, s4, s3
	s_mul_i32 s27, s27, s18
	s_sub_i32 s4, s3, s1
	s_cmp_ge_u32 s3, s1
	v_add_nc_u32_e32 v60, v5, v6
	s_cselect_b32 s28, s4, s3
	s_lshr_b32 s2, s2, 30
	s_mul_i32 s28, s28, s18
	s_mul_i32 s2, s2, s1
	s_delay_alu instid0(SALU_CYCLE_1) | instskip(NEXT) | instid1(SALU_CYCLE_1)
	s_sub_i32 s2, 4, s2
	s_sub_i32 s3, s2, s1
	s_cmp_ge_u32 s2, s1
	s_cselect_b32 s2, s3, s2
	s_delay_alu instid0(SALU_CYCLE_1)
	s_sub_i32 s3, s2, s1
	s_cmp_ge_u32 s2, s1
	s_cselect_b32 s31, s3, s2
	s_lshl_b32 s29, s10, 1
	s_lshl_b32 s30, s10, 2
	v_add_nc_u32_e32 v61, s29, v0
	v_add_nc_u32_e32 v62, s30, v0
	s_mul_i32 s31, s31, s18
	s_lshl_b32 s10, s10, 3
	s_branch .LBB138_19
.LBB138_17:                             ;   in Loop: Header=BB138_19 Depth=1
	s_or_b32 exec_lo, exec_lo, s35
	v_mov_b32_e32 v41, s20
.LBB138_18:                             ;   in Loop: Header=BB138_19 Depth=1
	s_or_b32 exec_lo, exec_lo, s34
	s_delay_alu instid0(VALU_DEP_1) | instskip(SKIP_1) | instid1(SALU_CYCLE_1)
	v_cmp_le_u32_e32 vcc_lo, s11, v41
	s_or_b32 s21, vcc_lo, s21
	s_and_not1_b32 exec_lo, exec_lo, s21
	s_cbranch_execz .LBB138_92
.LBB138_19:                             ; =>This Loop Header: Depth=1
                                        ;     Child Loop BB138_23 Depth 2
                                        ;     Child Loop BB138_71 Depth 2
	v_dual_mov_b32 v82, v43 :: v_dual_add_nc_u32 v47, 1, v41
	v_dual_mov_b32 v83, v43 :: v_dual_add_nc_u32 v46, 2, v41
	;; [unrolled: 1-line block ×3, first 2 shown]
	v_mov_b32_e32 v81, v43
	s_waitcnt vmcnt(6)
	v_mov_b32_e32 v64, v43
	v_mov_b32_e32 v65, v43
	v_mov_b32_e32 v66, v43
	v_mov_b32_e32 v67, v43
	v_mov_b32_e32 v68, v43
	v_mov_b32_e32 v69, v43
	v_mov_b32_e32 v70, v43
	v_mov_b32_e32 v71, v43
	v_mov_b32_e32 v72, v43
	v_mov_b32_e32 v73, v43
	v_mov_b32_e32 v74, v43
	v_mov_b32_e32 v75, v43
	v_mov_b32_e32 v76, v43
	v_mov_b32_e32 v77, v43
	v_mov_b32_e32 v78, v43
	v_mov_b32_e32 v79, v43
	s_and_not1_b32 vcc_lo, exec_lo, s22
	s_cbranch_vccnz .LBB138_44
; %bb.20:                               ;   in Loop: Header=BB138_19 Depth=1
	v_min_u32_e32 v5, s24, v41
	v_min_u32_e32 v6, s24, v47
	;; [unrolled: 1-line block ×4, first 2 shown]
	s_waitcnt lgkmcnt(19)
	v_dual_mov_b32 v10, v43 :: v_dual_mov_b32 v75, 0
	v_mul_lo_u32 v42, v5, s9
	v_mul_lo_u32 v5, v6, s9
	;; [unrolled: 1-line block ×3, first 2 shown]
	s_waitcnt lgkmcnt(1)
	v_mul_lo_u32 v9, v8, s9
	v_dual_mov_b32 v6, v43 :: v_dual_mov_b32 v79, 0
	v_dual_mov_b32 v8, v43 :: v_dual_mov_b32 v77, 0
	v_lshlrev_b64 v[48:49], 1, v[42:43]
	s_delay_alu instid0(VALU_DEP_3)
	v_lshlrev_b64 v[50:51], 1, v[5:6]
	v_dual_mov_b32 v84, v58 :: v_dual_mov_b32 v73, 0
	s_waitcnt vmcnt(0)
	v_lshlrev_b64 v[52:53], 1, v[7:8]
	v_lshlrev_b64 v[54:55], 1, v[9:10]
	v_dual_mov_b32 v78, 0 :: v_dual_mov_b32 v71, 0
	v_dual_mov_b32 v76, 0 :: v_dual_mov_b32 v69, 0
	v_dual_mov_b32 v74, 0 :: v_dual_mov_b32 v67, 0
	v_dual_mov_b32 v72, 0 :: v_dual_mov_b32 v65, 0
	v_dual_mov_b32 v70, 0 :: v_dual_mov_b32 v81, 0
	v_dual_mov_b32 v68, 0 :: v_dual_mov_b32 v83, 0
	v_mov_b32_e32 v66, 0
	v_mov_b32_e32 v64, 0
	;; [unrolled: 1-line block ×4, first 2 shown]
	s_mov_b32 s1, 0
	s_branch .LBB138_23
.LBB138_21:                             ;   in Loop: Header=BB138_23 Depth=2
	s_or_b32 exec_lo, exec_lo, s3
.LBB138_22:                             ;   in Loop: Header=BB138_23 Depth=2
	s_delay_alu instid0(SALU_CYCLE_1)
	s_or_b32 exec_lo, exec_lo, s2
	v_add_nc_u32_e32 v84, 0x200, v84
	s_addk_i32 s1, 0x100
	s_waitcnt vmcnt(0) lgkmcnt(0)
	;;#ASMSTART
	v_dot2_f32_f16 v83, v21, v17, v83
	;;#ASMEND
	;;#ASMSTART
	v_dot2_f32_f16 v82, v21, v13, v82
	;;#ASMEND
	;; [unrolled: 3-line block ×40, first 2 shown]
	s_cmp_ge_u32 s1, s8
	;;#ASMSTART
	v_dot2_f32_f16 v83, v23, v19, v83
	;;#ASMEND
	;;#ASMSTART
	v_dot2_f32_f16 v82, v23, v15, v82
	;;#ASMEND
	;; [unrolled: 3-line block ×40, first 2 shown]
	s_cbranch_scc1 .LBB138_44
.LBB138_23:                             ;   Parent Loop BB138_19 Depth=1
                                        ; =>  This Inner Loop Header: Depth=2
	v_dual_mov_b32 v39, 0 :: v_dual_add_nc_u32 v56, s1, v0
	v_dual_mov_b32 v40, 0 :: v_dual_mov_b32 v37, 0
	v_dual_mov_b32 v38, 0 :: v_dual_mov_b32 v35, 0
	s_delay_alu instid0(VALU_DEP_3) | instskip(SKIP_3) | instid1(VALU_DEP_3)
	v_min_u32_e32 v42, s23, v56
	s_waitcnt lgkmcnt(0)
	v_dual_mov_b32 v36, 0 :: v_dual_mov_b32 v33, 0
	v_dual_mov_b32 v34, 0 :: v_dual_mov_b32 v31, 0
	v_lshlrev_b64 v[5:6], 1, v[42:43]
	v_dual_mov_b32 v32, 0 :: v_dual_mov_b32 v29, 0
	v_dual_mov_b32 v30, 0 :: v_dual_mov_b32 v27, 0
	;; [unrolled: 1-line block ×3, first 2 shown]
	s_delay_alu instid0(VALU_DEP_4) | instskip(SKIP_2) | instid1(VALU_DEP_3)
	v_add_co_u32 v11, vcc_lo, s6, v5
	v_add_co_ci_u32_e32 v12, vcc_lo, s7, v6, vcc_lo
	v_dual_mov_b32 v26, 0 :: v_dual_mov_b32 v23, 0
	v_add_co_u32 v5, vcc_lo, v11, v48
	s_delay_alu instid0(VALU_DEP_3)
	v_add_co_ci_u32_e32 v6, vcc_lo, v12, v49, vcc_lo
	v_add_co_u32 v7, vcc_lo, v11, v50
	v_add_co_ci_u32_e32 v8, vcc_lo, v12, v51, vcc_lo
	v_add_co_u32 v9, vcc_lo, v11, v52
	v_add_co_ci_u32_e32 v10, vcc_lo, v12, v53, vcc_lo
	v_add_co_u32 v21, vcc_lo, v11, v54
	v_add_co_ci_u32_e32 v22, vcc_lo, v12, v55, vcc_lo
	s_clause 0x3
	global_load_b128 v[17:20], v[5:6], off slc dlc
	global_load_b128 v[13:16], v[7:8], off slc dlc
	;; [unrolled: 1-line block ×4, first 2 shown]
	v_cmp_gt_u32_e32 vcc_lo, s8, v56
	v_dual_mov_b32 v24, 0 :: v_dual_mov_b32 v21, 0
	v_mov_b32_e32 v22, 0
	s_and_saveexec_b32 s2, vcc_lo
	s_cbranch_execz .LBB138_22
; %bb.24:                               ;   in Loop: Header=BB138_23 Depth=2
	s_mov_b32 s3, exec_lo
                                        ; implicit-def: $vgpr24
	v_cmpx_lt_u32_e32 0x7fff, v56
	s_xor_b32 s3, exec_lo, s3
	s_cbranch_execz .LBB138_26
; %bb.25:                               ;   in Loop: Header=BB138_23 Depth=2
	v_mov_b32_e32 v57, v43
	s_delay_alu instid0(VALU_DEP_1) | instskip(NEXT) | instid1(VALU_DEP_1)
	v_lshlrev_b64 v[21:22], 1, v[56:57]
	v_add_co_u32 v21, vcc_lo, s16, v21
	s_delay_alu instid0(VALU_DEP_2)
	v_add_co_ci_u32_e32 v22, vcc_lo, s17, v22, vcc_lo
	global_load_b128 v[21:24], v[21:22], off
.LBB138_26:                             ;   in Loop: Header=BB138_23 Depth=2
	s_and_not1_saveexec_b32 s3, s3
	s_cbranch_execz .LBB138_28
; %bb.27:                               ;   in Loop: Header=BB138_23 Depth=2
	s_waitcnt vmcnt(0)
	ds_load_b128 v[21:24], v84
.LBB138_28:                             ;   in Loop: Header=BB138_23 Depth=2
	s_or_b32 exec_lo, exec_lo, s3
	v_add_nc_u32_e32 v42, s1, v59
	s_mov_b32 s3, exec_lo
                                        ; implicit-def: $vgpr28
	s_delay_alu instid0(VALU_DEP_1)
	v_cmpx_lt_u32_e32 0x7fff, v42
	s_xor_b32 s3, exec_lo, s3
	s_cbranch_execz .LBB138_30
; %bb.29:                               ;   in Loop: Header=BB138_23 Depth=2
	v_lshlrev_b64 v[25:26], 1, v[42:43]
	s_delay_alu instid0(VALU_DEP_1) | instskip(NEXT) | instid1(VALU_DEP_2)
	v_add_co_u32 v25, vcc_lo, s16, v25
	v_add_co_ci_u32_e32 v26, vcc_lo, s17, v26, vcc_lo
	global_load_b128 v[25:28], v[25:26], off
.LBB138_30:                             ;   in Loop: Header=BB138_23 Depth=2
	s_and_not1_saveexec_b32 s3, s3
	s_cbranch_execz .LBB138_32
; %bb.31:                               ;   in Loop: Header=BB138_23 Depth=2
	s_waitcnt vmcnt(0)
	v_add_nc_u32_e32 v25, s29, v84
	ds_load_b128 v[25:28], v25
.LBB138_32:                             ;   in Loop: Header=BB138_23 Depth=2
	s_or_b32 exec_lo, exec_lo, s3
	v_add_nc_u32_e32 v42, s1, v61
	s_mov_b32 s3, exec_lo
                                        ; implicit-def: $vgpr32
	s_delay_alu instid0(VALU_DEP_1)
	v_cmpx_lt_u32_e32 0x7fff, v42
	s_xor_b32 s3, exec_lo, s3
	s_cbranch_execz .LBB138_34
; %bb.33:                               ;   in Loop: Header=BB138_23 Depth=2
	v_lshlrev_b64 v[29:30], 1, v[42:43]
	s_delay_alu instid0(VALU_DEP_1) | instskip(NEXT) | instid1(VALU_DEP_2)
	v_add_co_u32 v29, vcc_lo, s16, v29
	v_add_co_ci_u32_e32 v30, vcc_lo, s17, v30, vcc_lo
	global_load_b128 v[29:32], v[29:30], off
.LBB138_34:                             ;   in Loop: Header=BB138_23 Depth=2
	s_and_not1_saveexec_b32 s3, s3
	s_cbranch_execz .LBB138_36
; %bb.35:                               ;   in Loop: Header=BB138_23 Depth=2
	s_waitcnt vmcnt(0)
	v_add_nc_u32_e32 v31, s30, v84
	ds_load_2addr_b32 v[29:30], v31 offset1:1
	ds_load_2addr_b32 v[31:32], v31 offset0:2 offset1:3
.LBB138_36:                             ;   in Loop: Header=BB138_23 Depth=2
	s_or_b32 exec_lo, exec_lo, s3
	v_add_nc_u32_e32 v42, s1, v44
	s_mov_b32 s3, exec_lo
                                        ; implicit-def: $vgpr36
	s_delay_alu instid0(VALU_DEP_1)
	v_cmpx_lt_u32_e32 0x7fff, v42
	s_xor_b32 s3, exec_lo, s3
	s_cbranch_execz .LBB138_38
; %bb.37:                               ;   in Loop: Header=BB138_23 Depth=2
	v_lshlrev_b64 v[33:34], 1, v[42:43]
	s_delay_alu instid0(VALU_DEP_1) | instskip(NEXT) | instid1(VALU_DEP_2)
	v_add_co_u32 v33, vcc_lo, s16, v33
	v_add_co_ci_u32_e32 v34, vcc_lo, s17, v34, vcc_lo
	global_load_b128 v[33:36], v[33:34], off
.LBB138_38:                             ;   in Loop: Header=BB138_23 Depth=2
	s_and_not1_saveexec_b32 s3, s3
	s_cbranch_execz .LBB138_40
; %bb.39:                               ;   in Loop: Header=BB138_23 Depth=2
	s_waitcnt vmcnt(0)
	v_add_nc_u32_e32 v33, s33, v84
	ds_load_b128 v[33:36], v33
.LBB138_40:                             ;   in Loop: Header=BB138_23 Depth=2
	s_or_b32 exec_lo, exec_lo, s3
	v_add_nc_u32_e32 v42, s1, v62
	s_mov_b32 s3, exec_lo
                                        ; implicit-def: $vgpr40
	s_delay_alu instid0(VALU_DEP_1)
	v_cmpx_lt_u32_e32 0x7fff, v42
	s_xor_b32 s3, exec_lo, s3
	s_cbranch_execz .LBB138_42
; %bb.41:                               ;   in Loop: Header=BB138_23 Depth=2
	v_lshlrev_b64 v[37:38], 1, v[42:43]
	s_delay_alu instid0(VALU_DEP_1) | instskip(NEXT) | instid1(VALU_DEP_2)
	v_add_co_u32 v37, vcc_lo, s16, v37
	v_add_co_ci_u32_e32 v38, vcc_lo, s17, v38, vcc_lo
	global_load_b128 v[37:40], v[37:38], off
.LBB138_42:                             ;   in Loop: Header=BB138_23 Depth=2
	s_and_not1_saveexec_b32 s3, s3
	s_cbranch_execz .LBB138_21
; %bb.43:                               ;   in Loop: Header=BB138_23 Depth=2
	s_waitcnt vmcnt(0)
	v_add_nc_u32_e32 v37, s10, v84
	ds_load_2addr_b64 v[37:40], v37 offset1:1
	s_branch .LBB138_21
.LBB138_44:                             ;   in Loop: Header=BB138_19 Depth=1
	v_xor_b32_e32 v5, 16, v63
	v_cvt_i32_f32_e32 v7, v82
	v_cvt_i32_f32_e32 v8, v81
	s_waitcnt lgkmcnt(1)
	v_cvt_i32_f32_e32 v9, v80
	v_cvt_i32_f32_e32 v6, v83
	v_cmp_gt_i32_e32 vcc_lo, 32, v5
	v_cvt_f32_i32_dpp v7, v7 row_shr:8 row_mask:0xf bank_mask:0xf bound_ctrl:1
	v_cvt_i32_f32_e32 v10, v79
	s_delay_alu instid0(VALU_DEP_4) | instskip(SKIP_1) | instid1(VALU_DEP_1)
	v_cvt_f32_i32_dpp v6, v6 row_shr:8 row_mask:0xf bank_mask:0xf bound_ctrl:1
	v_cndmask_b32_e32 v5, v63, v5, vcc_lo
	v_dual_add_f32 v7, v82, v7 :: v_dual_lshlrev_b32 v42, 2, v5
	v_cvt_f32_i32_dpp v5, v8 row_shr:8 row_mask:0xf bank_mask:0xf bound_ctrl:1
	v_cvt_f32_i32_dpp v8, v9 row_shr:8 row_mask:0xf bank_mask:0xf bound_ctrl:1
	v_add_f32_e32 v6, v83, v6
	v_cvt_f32_i32_dpp v9, v10 row_shr:8 row_mask:0xf bank_mask:0xf bound_ctrl:1
	v_cvt_i32_f32_e32 v11, v7
	s_delay_alu instid0(VALU_DEP_4) | instskip(NEXT) | instid1(VALU_DEP_4)
	v_dual_add_f32 v5, v81, v5 :: v_dual_add_f32 v8, v80, v8
	v_cvt_i32_f32_e32 v10, v6
	s_delay_alu instid0(VALU_DEP_3) | instskip(NEXT) | instid1(VALU_DEP_3)
	v_cvt_f32_i32_dpp v11, v11 row_shr:4 row_mask:0xf bank_mask:0xf bound_ctrl:1
	v_cvt_i32_f32_e32 v12, v5
	s_delay_alu instid0(VALU_DEP_4) | instskip(NEXT) | instid1(VALU_DEP_4)
	v_cvt_i32_f32_e32 v13, v8
	v_cvt_f32_i32_dpp v10, v10 row_shr:4 row_mask:0xf bank_mask:0xf bound_ctrl:1
	v_add_f32_e32 v9, v79, v9
	s_delay_alu instid0(VALU_DEP_4) | instskip(NEXT) | instid1(VALU_DEP_4)
	v_cvt_f32_i32_dpp v12, v12 row_shr:4 row_mask:0xf bank_mask:0xf bound_ctrl:1
	v_cvt_f32_i32_dpp v13, v13 row_shr:4 row_mask:0xf bank_mask:0xf bound_ctrl:1
	s_delay_alu instid0(VALU_DEP_4) | instskip(NEXT) | instid1(VALU_DEP_4)
	v_dual_add_f32 v6, v6, v10 :: v_dual_add_f32 v7, v7, v11
	v_cvt_i32_f32_e32 v14, v9
	s_delay_alu instid0(VALU_DEP_3) | instskip(NEXT) | instid1(VALU_DEP_3)
	v_add_f32_e32 v8, v8, v13
	v_cvt_i32_f32_e32 v10, v6
	s_delay_alu instid0(VALU_DEP_4) | instskip(NEXT) | instid1(VALU_DEP_4)
	v_cvt_i32_f32_e32 v11, v7
	v_cvt_f32_i32_dpp v14, v14 row_shr:4 row_mask:0xf bank_mask:0xf bound_ctrl:1
	s_delay_alu instid0(VALU_DEP_4) | instskip(NEXT) | instid1(VALU_DEP_4)
	v_cvt_i32_f32_e32 v13, v8
	v_cvt_f32_i32_dpp v10, v10 row_shr:2 row_mask:0xf bank_mask:0xf bound_ctrl:1
	v_add_f32_e32 v5, v5, v12
	v_cvt_f32_i32_dpp v11, v11 row_shr:2 row_mask:0xf bank_mask:0xf bound_ctrl:1
	s_delay_alu instid0(VALU_DEP_4) | instskip(NEXT) | instid1(VALU_DEP_4)
	v_cvt_f32_i32_dpp v13, v13 row_shr:2 row_mask:0xf bank_mask:0xf bound_ctrl:1
	v_add_f32_e32 v6, v6, v10
	v_add_f32_e32 v9, v9, v14
	v_cvt_i32_f32_e32 v12, v5
	s_delay_alu instid0(VALU_DEP_4) | instskip(NEXT) | instid1(VALU_DEP_4)
	v_add_f32_e32 v8, v8, v13
	v_cvt_i32_f32_e32 v10, v6
	s_delay_alu instid0(VALU_DEP_4) | instskip(NEXT) | instid1(VALU_DEP_4)
	v_cvt_i32_f32_e32 v14, v9
	v_cvt_f32_i32_dpp v12, v12 row_shr:2 row_mask:0xf bank_mask:0xf bound_ctrl:1
	s_delay_alu instid0(VALU_DEP_4) | instskip(NEXT) | instid1(VALU_DEP_4)
	v_cvt_i32_f32_e32 v13, v8
	v_cvt_f32_i32_dpp v10, v10 row_shr:1 row_mask:0xf bank_mask:0xf bound_ctrl:1
	s_delay_alu instid0(VALU_DEP_4) | instskip(NEXT) | instid1(VALU_DEP_3)
	v_cvt_f32_i32_dpp v14, v14 row_shr:2 row_mask:0xf bank_mask:0xf bound_ctrl:1
	v_cvt_f32_i32_dpp v13, v13 row_shr:1 row_mask:0xf bank_mask:0xf bound_ctrl:1
	s_delay_alu instid0(VALU_DEP_3) | instskip(NEXT) | instid1(VALU_DEP_2)
	v_add_f32_e32 v39, v6, v10
	v_add_f32_e32 v15, v8, v13
	v_cvt_i32_f32_e32 v8, v76
	s_delay_alu instid0(VALU_DEP_1) | instskip(NEXT) | instid1(VALU_DEP_1)
	v_cvt_f32_i32_dpp v8, v8 row_shr:8 row_mask:0xf bank_mask:0xf bound_ctrl:1
	v_dual_add_f32 v9, v9, v14 :: v_dual_add_f32 v8, v76, v8
	s_delay_alu instid0(VALU_DEP_1) | instskip(NEXT) | instid1(VALU_DEP_1)
	v_cvt_i32_f32_e32 v14, v9
	v_cvt_f32_i32_dpp v14, v14 row_shr:1 row_mask:0xf bank_mask:0xf bound_ctrl:1
	s_delay_alu instid0(VALU_DEP_1) | instskip(NEXT) | instid1(VALU_DEP_4)
	v_dual_add_f32 v7, v7, v11 :: v_dual_add_f32 v6, v9, v14
	v_cvt_i32_f32_e32 v14, v8
	s_delay_alu instid0(VALU_DEP_2)
	v_cvt_i32_f32_e32 v11, v7
	v_cvt_i32_f32_e32 v9, v75
	ds_bpermute_b32 v10, v42, v6
	v_cvt_f32_i32_dpp v14, v14 row_shr:4 row_mask:0xf bank_mask:0xf bound_ctrl:1
	v_add_f32_e32 v5, v5, v12
	v_cvt_f32_i32_dpp v11, v11 row_shr:1 row_mask:0xf bank_mask:0xf bound_ctrl:1
	v_cvt_f32_i32_dpp v9, v9 row_shr:8 row_mask:0xf bank_mask:0xf bound_ctrl:1
	s_delay_alu instid0(VALU_DEP_4) | instskip(NEXT) | instid1(VALU_DEP_4)
	v_add_f32_e32 v8, v8, v14
	v_cvt_i32_f32_e32 v12, v5
	s_delay_alu instid0(VALU_DEP_2) | instskip(NEXT) | instid1(VALU_DEP_2)
	v_cvt_i32_f32_e32 v14, v8
	v_cvt_f32_i32_dpp v12, v12 row_shr:1 row_mask:0xf bank_mask:0xf bound_ctrl:1
	s_delay_alu instid0(VALU_DEP_2) | instskip(SKIP_3) | instid1(VALU_DEP_4)
	v_cvt_f32_i32_dpp v14, v14 row_shr:2 row_mask:0xf bank_mask:0xf bound_ctrl:1
	v_add_f32_e32 v31, v7, v11
	v_cvt_i32_f32_e32 v11, v74
	v_cvt_i32_f32_e32 v7, v77
	v_add_f32_e32 v8, v8, v14
	ds_bpermute_b32 v35, v42, v31
	v_cvt_f32_i32_dpp v11, v11 row_shr:8 row_mask:0xf bank_mask:0xf bound_ctrl:1
	v_cvt_f32_i32_dpp v7, v7 row_shr:8 row_mask:0xf bank_mask:0xf bound_ctrl:1
	v_cvt_i32_f32_e32 v14, v8
	s_delay_alu instid0(VALU_DEP_3) | instskip(NEXT) | instid1(VALU_DEP_2)
	v_add_f32_e32 v11, v74, v11
	v_cvt_f32_i32_dpp v14, v14 row_shr:1 row_mask:0xf bank_mask:0xf bound_ctrl:1
	s_delay_alu instid0(VALU_DEP_2) | instskip(NEXT) | instid1(VALU_DEP_2)
	v_cvt_i32_f32_e32 v17, v11
	v_add_f32_e32 v24, v8, v14
	v_cvt_i32_f32_e32 v14, v69
	s_delay_alu instid0(VALU_DEP_3) | instskip(SKIP_2) | instid1(VALU_DEP_1)
	v_cvt_f32_i32_dpp v17, v17 row_shr:4 row_mask:0xf bank_mask:0xf bound_ctrl:1
	ds_bpermute_b32 v28, v42, v24
	v_cvt_f32_i32_dpp v14, v14 row_shr:8 row_mask:0xf bank_mask:0xf bound_ctrl:1
	v_dual_add_f32 v11, v11, v17 :: v_dual_add_f32 v14, v69, v14
	s_delay_alu instid0(VALU_DEP_1) | instskip(SKIP_3) | instid1(VALU_DEP_2)
	v_cvt_i32_f32_e32 v17, v11
	ds_bpermute_b32 v19, v42, v15
	v_cvt_i32_f32_e32 v22, v14
	v_cvt_f32_i32_dpp v17, v17 row_shr:2 row_mask:0xf bank_mask:0xf bound_ctrl:1
	v_cvt_f32_i32_dpp v22, v22 row_shr:4 row_mask:0xf bank_mask:0xf bound_ctrl:1
	s_delay_alu instid0(VALU_DEP_2) | instskip(NEXT) | instid1(VALU_DEP_2)
	v_add_f32_e32 v11, v11, v17
	v_dual_add_f32 v9, v75, v9 :: v_dual_add_f32 v14, v14, v22
	s_delay_alu instid0(VALU_DEP_2) | instskip(NEXT) | instid1(VALU_DEP_2)
	v_cvt_i32_f32_e32 v17, v11
	v_cvt_i32_f32_e32 v16, v9
	s_delay_alu instid0(VALU_DEP_3) | instskip(NEXT) | instid1(VALU_DEP_3)
	v_cvt_i32_f32_e32 v22, v14
	v_cvt_f32_i32_dpp v17, v17 row_shr:1 row_mask:0xf bank_mask:0xf bound_ctrl:1
	v_add_f32_e32 v7, v77, v7
	s_delay_alu instid0(VALU_DEP_4) | instskip(NEXT) | instid1(VALU_DEP_4)
	v_cvt_f32_i32_dpp v16, v16 row_shr:4 row_mask:0xf bank_mask:0xf bound_ctrl:1
	v_cvt_f32_i32_dpp v22, v22 row_shr:2 row_mask:0xf bank_mask:0xf bound_ctrl:1
	s_delay_alu instid0(VALU_DEP_4) | instskip(NEXT) | instid1(VALU_DEP_4)
	v_add_f32_e32 v8, v11, v17
	v_cvt_i32_f32_e32 v13, v7
	v_cvt_i32_f32_e32 v11, v70
	s_delay_alu instid0(VALU_DEP_4) | instskip(NEXT) | instid1(VALU_DEP_3)
	v_add_f32_e32 v14, v14, v22
	v_cvt_f32_i32_dpp v13, v13 row_shr:4 row_mask:0xf bank_mask:0xf bound_ctrl:1
	s_delay_alu instid0(VALU_DEP_3) | instskip(NEXT) | instid1(VALU_DEP_3)
	v_cvt_f32_i32_dpp v11, v11 row_shr:8 row_mask:0xf bank_mask:0xf bound_ctrl:1
	v_cvt_i32_f32_e32 v22, v14
	s_delay_alu instid0(VALU_DEP_3) | instskip(NEXT) | instid1(VALU_DEP_3)
	v_add_f32_e32 v7, v7, v13
	v_add_f32_e32 v11, v70, v11
	s_delay_alu instid0(VALU_DEP_3) | instskip(NEXT) | instid1(VALU_DEP_3)
	v_cvt_f32_i32_dpp v22, v22 row_shr:1 row_mask:0xf bank_mask:0xf bound_ctrl:1
	v_cvt_i32_f32_e32 v13, v7
	s_delay_alu instid0(VALU_DEP_3) | instskip(NEXT) | instid1(VALU_DEP_2)
	v_cvt_i32_f32_e32 v21, v11
	v_cvt_f32_i32_dpp v13, v13 row_shr:2 row_mask:0xf bank_mask:0xf bound_ctrl:1
	s_delay_alu instid0(VALU_DEP_2) | instskip(NEXT) | instid1(VALU_DEP_2)
	v_cvt_f32_i32_dpp v21, v21 row_shr:4 row_mask:0xf bank_mask:0xf bound_ctrl:1
	v_add_f32_e32 v7, v7, v13
	s_delay_alu instid0(VALU_DEP_2) | instskip(NEXT) | instid1(VALU_DEP_2)
	v_add_f32_e32 v11, v11, v21
	v_cvt_i32_f32_e32 v13, v7
	s_delay_alu instid0(VALU_DEP_2) | instskip(NEXT) | instid1(VALU_DEP_2)
	v_cvt_i32_f32_e32 v21, v11
	v_cvt_f32_i32_dpp v13, v13 row_shr:1 row_mask:0xf bank_mask:0xf bound_ctrl:1
	v_add_f32_e32 v23, v5, v12
	v_cvt_i32_f32_e32 v5, v78
	s_delay_alu instid0(VALU_DEP_4) | instskip(NEXT) | instid1(VALU_DEP_4)
	v_cvt_f32_i32_dpp v21, v21 row_shr:2 row_mask:0xf bank_mask:0xf bound_ctrl:1
	v_add_f32_e32 v32, v7, v13
	v_cvt_i32_f32_e32 v7, v72
	s_delay_alu instid0(VALU_DEP_4) | instskip(NEXT) | instid1(VALU_DEP_4)
	v_cvt_f32_i32_dpp v5, v5 row_shr:8 row_mask:0xf bank_mask:0xf bound_ctrl:1
	v_add_f32_e32 v11, v11, v21
	ds_bpermute_b32 v27, v42, v23
	ds_bpermute_b32 v36, v42, v32
	v_cvt_f32_i32_dpp v7, v7 row_shr:8 row_mask:0xf bank_mask:0xf bound_ctrl:1
	v_add_f32_e32 v5, v78, v5
	v_cvt_i32_f32_e32 v21, v11
	s_delay_alu instid0(VALU_DEP_3) | instskip(NEXT) | instid1(VALU_DEP_3)
	v_add_f32_e32 v7, v72, v7
	v_cvt_i32_f32_e32 v12, v5
	s_delay_alu instid0(VALU_DEP_3) | instskip(NEXT) | instid1(VALU_DEP_3)
	v_cvt_f32_i32_dpp v25, v21 row_shr:1 row_mask:0xf bank_mask:0xf bound_ctrl:1
	v_cvt_i32_f32_e32 v18, v7
	s_delay_alu instid0(VALU_DEP_3) | instskip(NEXT) | instid1(VALU_DEP_2)
	v_cvt_f32_i32_dpp v12, v12 row_shr:4 row_mask:0xf bank_mask:0xf bound_ctrl:1
	v_cvt_f32_i32_dpp v18, v18 row_shr:4 row_mask:0xf bank_mask:0xf bound_ctrl:1
	s_delay_alu instid0(VALU_DEP_2) | instskip(NEXT) | instid1(VALU_DEP_2)
	v_add_f32_e32 v5, v5, v12
	v_add_f32_e32 v7, v7, v18
	s_delay_alu instid0(VALU_DEP_2) | instskip(NEXT) | instid1(VALU_DEP_2)
	v_cvt_i32_f32_e32 v12, v5
	v_cvt_i32_f32_e32 v18, v7
	s_delay_alu instid0(VALU_DEP_2) | instskip(NEXT) | instid1(VALU_DEP_2)
	v_cvt_f32_i32_dpp v12, v12 row_shr:2 row_mask:0xf bank_mask:0xf bound_ctrl:1
	v_cvt_f32_i32_dpp v18, v18 row_shr:2 row_mask:0xf bank_mask:0xf bound_ctrl:1
	s_delay_alu instid0(VALU_DEP_2) | instskip(NEXT) | instid1(VALU_DEP_2)
	v_add_f32_e32 v5, v5, v12
	v_add_f32_e32 v7, v7, v18
	s_delay_alu instid0(VALU_DEP_2) | instskip(NEXT) | instid1(VALU_DEP_2)
	v_cvt_i32_f32_e32 v12, v5
	v_cvt_i32_f32_e32 v18, v7
	s_delay_alu instid0(VALU_DEP_2) | instskip(NEXT) | instid1(VALU_DEP_2)
	v_cvt_f32_i32_dpp v12, v12 row_shr:1 row_mask:0xf bank_mask:0xf bound_ctrl:1
	v_cvt_f32_i32_dpp v18, v18 row_shr:1 row_mask:0xf bank_mask:0xf bound_ctrl:1
	v_add_f32_e32 v9, v9, v16
	s_delay_alu instid0(VALU_DEP_3)
	v_add_f32_e32 v40, v5, v12
	v_cvt_i32_f32_e32 v5, v73
	ds_bpermute_b32 v48, v42, v39
	v_add_f32_e32 v30, v7, v18
	v_add_f32_e32 v7, v14, v22
	v_cvt_i32_f32_e32 v14, v66
	v_cvt_i32_f32_e32 v16, v9
	;; [unrolled: 1-line block ×4, first 2 shown]
	ds_bpermute_b32 v12, v42, v8
	v_cvt_f32_i32_dpp v14, v14 row_shr:8 row_mask:0xf bank_mask:0xf bound_ctrl:1
	v_cvt_f32_i32_dpp v16, v16 row_shr:2 row_mask:0xf bank_mask:0xf bound_ctrl:1
	;; [unrolled: 1-line block ×5, first 2 shown]
	v_add_f32_e32 v14, v66, v14
	ds_bpermute_b32 v51, v42, v40
	v_add_f32_e32 v18, v65, v18
	v_dual_add_f32 v22, v64, v22 :: v_dual_add_f32 v5, v73, v5
	s_waitcnt lgkmcnt(9)
	v_cvt_i32_f32_e32 v33, v14
	ds_bpermute_b32 v34, v42, v30
	v_cvt_i32_f32_e32 v37, v18
	v_cvt_i32_f32_e32 v49, v22
	v_cvt_f32_i32_dpp v33, v33 row_shr:4 row_mask:0xf bank_mask:0xf bound_ctrl:1
	v_add_f32_e32 v9, v9, v16
	s_delay_alu instid0(VALU_DEP_4) | instskip(NEXT) | instid1(VALU_DEP_4)
	v_cvt_f32_i32_dpp v37, v37 row_shr:4 row_mask:0xf bank_mask:0xf bound_ctrl:1
	v_cvt_f32_i32_dpp v49, v49 row_shr:4 row_mask:0xf bank_mask:0xf bound_ctrl:1
	s_delay_alu instid0(VALU_DEP_4) | instskip(NEXT) | instid1(VALU_DEP_4)
	v_add_f32_e32 v14, v14, v33
	v_cvt_i32_f32_e32 v16, v9
	s_delay_alu instid0(VALU_DEP_4) | instskip(NEXT) | instid1(VALU_DEP_4)
	v_add_f32_e32 v18, v18, v37
	v_add_f32_e32 v22, v22, v49
	s_delay_alu instid0(VALU_DEP_4) | instskip(NEXT) | instid1(VALU_DEP_4)
	v_cvt_i32_f32_e32 v33, v14
	v_cvt_f32_i32_dpp v16, v16 row_shr:1 row_mask:0xf bank_mask:0xf bound_ctrl:1
	s_delay_alu instid0(VALU_DEP_4) | instskip(NEXT) | instid1(VALU_DEP_4)
	v_cvt_i32_f32_e32 v37, v18
	v_cvt_i32_f32_e32 v49, v22
	s_delay_alu instid0(VALU_DEP_4) | instskip(NEXT) | instid1(VALU_DEP_4)
	v_cvt_f32_i32_dpp v33, v33 row_shr:2 row_mask:0xf bank_mask:0xf bound_ctrl:1
	v_add_f32_e32 v13, v9, v16
	v_cvt_i32_f32_e32 v16, v5
	v_cvt_i32_f32_e32 v9, v71
	v_cvt_f32_i32_dpp v49, v49 row_shr:2 row_mask:0xf bank_mask:0xf bound_ctrl:1
	v_add_f32_e32 v14, v14, v33
	v_cvt_f32_i32_dpp v37, v37 row_shr:2 row_mask:0xf bank_mask:0xf bound_ctrl:1
	v_cvt_f32_i32_dpp v16, v16 row_shr:4 row_mask:0xf bank_mask:0xf bound_ctrl:1
	;; [unrolled: 1-line block ×3, first 2 shown]
	ds_bpermute_b32 v17, v42, v13
	v_cvt_i32_f32_e32 v33, v14
	v_dual_add_f32 v18, v18, v37 :: v_dual_add_f32 v5, v5, v16
	v_add_f32_e32 v9, v71, v9
	s_delay_alu instid0(VALU_DEP_3) | instskip(NEXT) | instid1(VALU_DEP_3)
	v_cvt_f32_i32_dpp v33, v33 row_shr:1 row_mask:0xf bank_mask:0xf bound_ctrl:1
	v_cvt_i32_f32_e32 v37, v18
	s_delay_alu instid0(VALU_DEP_4) | instskip(NEXT) | instid1(VALU_DEP_4)
	v_cvt_i32_f32_e32 v16, v5
	v_cvt_i32_f32_e32 v20, v9
	s_waitcnt vmcnt(0)
	s_delay_alu instid0(VALU_DEP_3) | instskip(NEXT) | instid1(VALU_DEP_3)
	v_cvt_f32_i32_dpp v52, v37 row_shr:1 row_mask:0xf bank_mask:0xf bound_ctrl:1
	v_cvt_f32_i32_dpp v16, v16 row_shr:2 row_mask:0xf bank_mask:0xf bound_ctrl:1
	s_delay_alu instid0(VALU_DEP_3) | instskip(NEXT) | instid1(VALU_DEP_2)
	v_cvt_f32_i32_dpp v20, v20 row_shr:4 row_mask:0xf bank_mask:0xf bound_ctrl:1
	v_add_f32_e32 v5, v5, v16
	s_delay_alu instid0(VALU_DEP_2) | instskip(NEXT) | instid1(VALU_DEP_2)
	v_add_f32_e32 v9, v9, v20
	v_cvt_i32_f32_e32 v16, v5
	s_delay_alu instid0(VALU_DEP_1) | instskip(NEXT) | instid1(VALU_DEP_1)
	v_cvt_f32_i32_dpp v16, v16 row_shr:1 row_mask:0xf bank_mask:0xf bound_ctrl:1
	v_add_f32_e32 v38, v5, v16
	v_cvt_i32_f32_e32 v5, v68
	v_add_f32_e32 v16, v11, v25
	ds_bpermute_b32 v11, v42, v7
	ds_bpermute_b32 v50, v42, v38
	v_cvt_f32_i32_dpp v5, v5 row_shr:8 row_mask:0xf bank_mask:0xf bound_ctrl:1
	s_delay_alu instid0(VALU_DEP_1) | instskip(NEXT) | instid1(VALU_DEP_1)
	v_add_f32_e32 v5, v68, v5
	v_cvt_i32_f32_e32 v26, v5
	s_delay_alu instid0(VALU_DEP_1) | instskip(NEXT) | instid1(VALU_DEP_1)
	v_cvt_f32_i32_dpp v26, v26 row_shr:4 row_mask:0xf bank_mask:0xf bound_ctrl:1
	v_add_f32_e32 v5, v5, v26
	s_delay_alu instid0(VALU_DEP_1) | instskip(NEXT) | instid1(VALU_DEP_1)
	v_cvt_i32_f32_e32 v26, v5
	v_cvt_f32_i32_dpp v26, v26 row_shr:2 row_mask:0xf bank_mask:0xf bound_ctrl:1
	s_delay_alu instid0(VALU_DEP_1) | instskip(SKIP_1) | instid1(VALU_DEP_2)
	v_dual_add_f32 v5, v5, v26 :: v_dual_add_f32 v26, v22, v49
	v_cvt_i32_f32_e32 v20, v9
	v_cvt_i32_f32_e32 v22, v5
	s_delay_alu instid0(VALU_DEP_3) | instskip(NEXT) | instid1(VALU_DEP_3)
	v_cvt_i32_f32_e32 v49, v26
	v_cvt_f32_i32_dpp v20, v20 row_shr:2 row_mask:0xf bank_mask:0xf bound_ctrl:1
	s_delay_alu instid0(VALU_DEP_3) | instskip(NEXT) | instid1(VALU_DEP_3)
	v_cvt_f32_i32_dpp v22, v22 row_shr:1 row_mask:0xf bank_mask:0xf bound_ctrl:1
	v_cvt_f32_i32_dpp v49, v49 row_shr:1 row_mask:0xf bank_mask:0xf bound_ctrl:1
	s_delay_alu instid0(VALU_DEP_3) | instskip(NEXT) | instid1(VALU_DEP_3)
	v_add_f32_e32 v9, v9, v20
	v_dual_add_f32 v37, v5, v22 :: v_dual_add_f32 v22, v14, v33
	s_delay_alu instid0(VALU_DEP_2)
	v_cvt_i32_f32_e32 v20, v9
	v_add_f32_e32 v14, v18, v52
	v_add_f32_e32 v5, v26, v49
	ds_bpermute_b32 v49, v42, v37
	ds_bpermute_b32 v26, v42, v22
	v_cvt_f32_i32_dpp v20, v20 row_shr:1 row_mask:0xf bank_mask:0xf bound_ctrl:1
	ds_bpermute_b32 v18, v42, v14
	v_add_f32_e32 v21, v9, v20
	v_cvt_i32_f32_e32 v9, v67
	ds_bpermute_b32 v20, v42, v16
	ds_bpermute_b32 v25, v42, v21
	v_cvt_f32_i32_dpp v9, v9 row_shr:8 row_mask:0xf bank_mask:0xf bound_ctrl:1
	s_delay_alu instid0(VALU_DEP_1) | instskip(NEXT) | instid1(VALU_DEP_1)
	v_add_f32_e32 v9, v67, v9
	v_cvt_i32_f32_e32 v29, v9
	s_delay_alu instid0(VALU_DEP_1) | instskip(NEXT) | instid1(VALU_DEP_1)
	v_cvt_f32_i32_dpp v29, v29 row_shr:4 row_mask:0xf bank_mask:0xf bound_ctrl:1
	v_add_f32_e32 v9, v9, v29
	s_delay_alu instid0(VALU_DEP_1) | instskip(NEXT) | instid1(VALU_DEP_1)
	v_cvt_i32_f32_e32 v29, v9
	v_cvt_f32_i32_dpp v29, v29 row_shr:2 row_mask:0xf bank_mask:0xf bound_ctrl:1
	s_delay_alu instid0(VALU_DEP_1) | instskip(NEXT) | instid1(VALU_DEP_1)
	v_add_f32_e32 v9, v9, v29
	v_cvt_i32_f32_e32 v29, v9
	s_delay_alu instid0(VALU_DEP_1) | instskip(NEXT) | instid1(VALU_DEP_1)
	v_cvt_f32_i32_dpp v29, v29 row_shr:1 row_mask:0xf bank_mask:0xf bound_ctrl:1
	v_add_f32_e32 v29, v9, v29
	ds_bpermute_b32 v9, v42, v5
	ds_bpermute_b32 v33, v42, v29
	s_and_saveexec_b32 s5, s0
	s_cbranch_execz .LBB138_68
; %bb.45:                               ;   in Loop: Header=BB138_19 Depth=1
	v_dual_mov_b32 v77, 0 :: v_dual_mov_b32 v76, 0
	v_dual_mov_b32 v75, 0 :: v_dual_mov_b32 v74, 0
	;; [unrolled: 1-line block ×10, first 2 shown]
	s_and_not1_b32 vcc_lo, exec_lo, s25
	s_cbranch_vccnz .LBB138_47
; %bb.46:                               ;   in Loop: Header=BB138_19 Depth=1
	v_mul_hi_u32 v42, v41, v60
	v_mul_hi_u32 v52, v47, v60
	;; [unrolled: 1-line block ×4, first 2 shown]
	v_mov_b32_e32 v73, v43
	v_mov_b32_e32 v75, v43
	;; [unrolled: 1-line block ×4, first 2 shown]
	v_mul_lo_u32 v42, v42, s18
	v_mul_lo_u32 v52, v52, s18
	;; [unrolled: 1-line block ×4, first 2 shown]
	v_mov_b32_e32 v91, v43
	v_mov_b32_e32 v93, v43
	v_sub_nc_u32_e32 v42, v41, v42
	v_sub_nc_u32_e32 v52, v47, v52
	;; [unrolled: 1-line block ×4, first 2 shown]
	s_delay_alu instid0(VALU_DEP_4)
	v_subrev_nc_u32_e32 v57, s18, v42
	v_cmp_le_u32_e32 vcc_lo, s18, v42
	v_mov_b32_e32 v53, v43
	v_subrev_nc_u32_e32 v64, s18, v52
	v_subrev_nc_u32_e32 v65, s18, v56
	;; [unrolled: 1-line block ×3, first 2 shown]
	v_cndmask_b32_e32 v42, v42, v57, vcc_lo
	v_cmp_le_u32_e32 vcc_lo, s18, v52
	v_mov_b32_e32 v55, v43
	v_dual_mov_b32 v57, v43 :: v_dual_cndmask_b32 v52, v52, v64
	v_cmp_le_u32_e32 vcc_lo, s18, v56
	s_delay_alu instid0(VALU_DEP_2) | instskip(SKIP_2) | instid1(VALU_DEP_2)
	v_subrev_nc_u32_e32 v64, s18, v52
	v_cndmask_b32_e32 v56, v56, v65, vcc_lo
	v_cmp_le_u32_e32 vcc_lo, s18, v54
	v_subrev_nc_u32_e32 v65, s18, v56
	v_cndmask_b32_e32 v66, v54, v66, vcc_lo
	v_subrev_nc_u32_e32 v54, s18, v42
	v_cmp_le_u32_e32 vcc_lo, s18, v42
	s_delay_alu instid0(VALU_DEP_3) | instskip(NEXT) | instid1(VALU_DEP_3)
	v_subrev_nc_u32_e32 v67, s18, v66
	v_cndmask_b32_e32 v42, v42, v54, vcc_lo
	v_cmp_le_u32_e32 vcc_lo, s18, v52
	s_delay_alu instid0(VALU_DEP_2) | instskip(SKIP_2) | instid1(VALU_DEP_3)
	v_add_nc_u32_e32 v72, s26, v42
	v_cndmask_b32_e32 v52, v52, v64, vcc_lo
	v_cmp_le_u32_e32 vcc_lo, s18, v56
	v_lshlrev_b64 v[72:73], 1, v[72:73]
	s_delay_alu instid0(VALU_DEP_3)
	v_add_nc_u32_e32 v74, s26, v52
	v_cndmask_b32_e32 v54, v56, v65, vcc_lo
	v_cmp_le_u32_e32 vcc_lo, s18, v66
	v_lshlrev_b64 v[64:65], 1, v[42:43]
	v_add_nc_u32_e32 v88, s27, v52
	v_lshlrev_b64 v[74:75], 1, v[74:75]
	v_lshlrev_b64 v[68:69], 1, v[54:55]
	v_cndmask_b32_e32 v56, v66, v67, vcc_lo
	v_lshlrev_b64 v[66:67], 1, v[52:53]
	v_add_co_u32 v64, vcc_lo, s12, v64
	v_add_co_ci_u32_e32 v65, vcc_lo, s13, v65, vcc_lo
	s_delay_alu instid0(VALU_DEP_4) | instskip(NEXT) | instid1(VALU_DEP_4)
	v_lshlrev_b64 v[70:71], 1, v[56:57]
	v_add_co_u32 v66, vcc_lo, s12, v66
	v_add_co_ci_u32_e32 v67, vcc_lo, s13, v67, vcc_lo
	v_add_co_u32 v68, vcc_lo, s12, v68
	v_add_co_ci_u32_e32 v69, vcc_lo, s13, v69, vcc_lo
	v_add_co_u32 v70, vcc_lo, s12, v70
	v_add_nc_u32_e32 v76, s26, v54
	v_add_co_ci_u32_e32 v71, vcc_lo, s13, v71, vcc_lo
	v_add_co_u32 v78, vcc_lo, s12, v72
	v_add_co_ci_u32_e32 v79, vcc_lo, s13, v73, vcc_lo
	s_delay_alu instid0(VALU_DEP_4) | instskip(SKIP_3) | instid1(VALU_DEP_4)
	v_lshlrev_b64 v[72:73], 1, v[76:77]
	v_add_nc_u32_e32 v76, s26, v56
	v_add_co_u32 v80, vcc_lo, s12, v74
	v_add_co_ci_u32_e32 v81, vcc_lo, s13, v75, vcc_lo
	v_add_co_u32 v82, vcc_lo, s12, v72
	s_delay_alu instid0(VALU_DEP_4) | instskip(SKIP_3) | instid1(VALU_DEP_4)
	v_lshlrev_b64 v[74:75], 1, v[76:77]
	v_add_co_ci_u32_e32 v83, vcc_lo, s13, v73, vcc_lo
	v_dual_mov_b32 v73, v43 :: v_dual_add_nc_u32 v72, s27, v42
	v_add_nc_u32_e32 v90, s28, v54
	v_add_co_u32 v84, vcc_lo, s12, v74
	v_add_co_ci_u32_e32 v85, vcc_lo, s13, v75, vcc_lo
	s_delay_alu instid0(VALU_DEP_4)
	v_lshlrev_b64 v[86:87], 1, v[72:73]
	s_clause 0x7
	global_load_u16 v77, v[64:65], off
	global_load_u16 v76, v[66:67], off
	;; [unrolled: 1-line block ×8, first 2 shown]
	v_dual_mov_b32 v81, v43 :: v_dual_add_nc_u32 v80, s27, v54
	v_lshlrev_b64 v[78:79], 1, v[88:89]
	v_dual_mov_b32 v85, v43 :: v_dual_add_nc_u32 v84, s27, v56
	v_add_co_u32 v82, vcc_lo, s12, v86
	s_delay_alu instid0(VALU_DEP_4)
	v_lshlrev_b64 v[80:81], 1, v[80:81]
	v_add_co_ci_u32_e32 v83, vcc_lo, s13, v87, vcc_lo
	v_dual_mov_b32 v87, v43 :: v_dual_add_nc_u32 v86, s28, v42
	v_add_co_u32 v78, vcc_lo, s12, v78
	v_lshlrev_b64 v[84:85], 1, v[84:85]
	v_add_nc_u32_e32 v88, s28, v52
	v_add_co_ci_u32_e32 v79, vcc_lo, s13, v79, vcc_lo
	v_add_co_u32 v80, vcc_lo, s12, v80
	v_lshlrev_b64 v[86:87], 1, v[86:87]
	v_add_co_ci_u32_e32 v81, vcc_lo, s13, v81, vcc_lo
	v_add_co_u32 v84, vcc_lo, s12, v84
	v_lshlrev_b64 v[88:89], 1, v[88:89]
	v_add_nc_u32_e32 v92, s28, v56
	v_add_co_ci_u32_e32 v85, vcc_lo, s13, v85, vcc_lo
	v_add_co_u32 v86, vcc_lo, s12, v86
	v_lshlrev_b64 v[90:91], 1, v[90:91]
	v_add_nc_u32_e32 v42, s31, v42
	v_add_co_ci_u32_e32 v87, vcc_lo, s13, v87, vcc_lo
	v_add_co_u32 v88, vcc_lo, s12, v88
	v_lshlrev_b64 v[92:93], 1, v[92:93]
	v_add_co_ci_u32_e32 v89, vcc_lo, s13, v89, vcc_lo
	v_add_co_u32 v90, vcc_lo, s12, v90
	v_lshlrev_b64 v[94:95], 1, v[42:43]
	v_add_nc_u32_e32 v42, s31, v52
	v_add_co_ci_u32_e32 v91, vcc_lo, s13, v91, vcc_lo
	v_add_co_u32 v52, vcc_lo, s12, v92
	v_add_co_ci_u32_e32 v53, vcc_lo, s13, v93, vcc_lo
	s_delay_alu instid0(VALU_DEP_4) | instskip(SKIP_3) | instid1(VALU_DEP_3)
	v_lshlrev_b64 v[92:93], 1, v[42:43]
	v_add_nc_u32_e32 v42, s31, v54
	v_add_co_u32 v54, vcc_lo, s12, v94
	v_add_co_ci_u32_e32 v55, vcc_lo, s13, v95, vcc_lo
	v_lshlrev_b64 v[94:95], 1, v[42:43]
	v_add_nc_u32_e32 v42, s31, v56
	v_add_co_u32 v92, vcc_lo, s12, v92
	v_add_co_ci_u32_e32 v93, vcc_lo, s13, v93, vcc_lo
	s_delay_alu instid0(VALU_DEP_3) | instskip(SKIP_2) | instid1(VALU_DEP_3)
	v_lshlrev_b64 v[56:57], 1, v[42:43]
	v_add_co_u32 v94, vcc_lo, s12, v94
	v_add_co_ci_u32_e32 v95, vcc_lo, s13, v95, vcc_lo
	v_add_co_u32 v96, vcc_lo, s12, v56
	s_delay_alu instid0(VALU_DEP_4)
	v_add_co_ci_u32_e32 v97, vcc_lo, s13, v57, vcc_lo
	s_clause 0xb
	global_load_u16 v74, v[82:83], off
	global_load_u16 v72, v[78:79], off
	;; [unrolled: 1-line block ×12, first 2 shown]
.LBB138_47:                             ;   in Loop: Header=BB138_19 Depth=1
	v_cmp_ne_u32_e32 vcc_lo, 0, v1
	s_and_saveexec_b32 s2, vcc_lo
	s_cbranch_execnz .LBB138_73
; %bb.48:                               ;   in Loop: Header=BB138_19 Depth=1
	s_or_b32 exec_lo, exec_lo, s2
	v_cmp_ne_u32_e64 s1, 0, v2
	s_delay_alu instid0(VALU_DEP_1)
	s_and_saveexec_b32 s3, s1
	s_cbranch_execnz .LBB138_74
.LBB138_49:                             ;   in Loop: Header=BB138_19 Depth=1
	s_or_b32 exec_lo, exec_lo, s3
	v_cmp_ne_u32_e64 s2, 0, v3
	s_delay_alu instid0(VALU_DEP_1)
	s_and_saveexec_b32 s4, s2
	s_cbranch_execnz .LBB138_75
.LBB138_50:                             ;   in Loop: Header=BB138_19 Depth=1
	s_or_b32 exec_lo, exec_lo, s4
	v_cmp_ne_u32_e64 s3, 0, v4
	s_delay_alu instid0(VALU_DEP_1)
	s_and_saveexec_b32 s34, s3
	s_cbranch_execnz .LBB138_76
.LBB138_51:                             ;   in Loop: Header=BB138_19 Depth=1
	s_or_b32 exec_lo, exec_lo, s34
	v_add_nc_u32_e32 v42, s11, v41
	s_and_saveexec_b32 s34, vcc_lo
	s_cbranch_execnz .LBB138_77
.LBB138_52:                             ;   in Loop: Header=BB138_19 Depth=1
	s_or_b32 exec_lo, exec_lo, s34
	s_and_saveexec_b32 s34, s1
	s_cbranch_execnz .LBB138_78
.LBB138_53:                             ;   in Loop: Header=BB138_19 Depth=1
	s_or_b32 exec_lo, exec_lo, s34
	s_and_saveexec_b32 s34, s2
	s_cbranch_execnz .LBB138_79
.LBB138_54:                             ;   in Loop: Header=BB138_19 Depth=1
	s_or_b32 exec_lo, exec_lo, s34
	s_and_saveexec_b32 s34, s3
	s_cbranch_execnz .LBB138_80
.LBB138_55:                             ;   in Loop: Header=BB138_19 Depth=1
	s_or_b32 exec_lo, exec_lo, s34
	v_add_nc_u32_e32 v42, s11, v42
	s_and_saveexec_b32 s34, vcc_lo
	s_cbranch_execnz .LBB138_81
.LBB138_56:                             ;   in Loop: Header=BB138_19 Depth=1
	s_or_b32 exec_lo, exec_lo, s34
	s_and_saveexec_b32 s34, s1
	s_cbranch_execnz .LBB138_82
.LBB138_57:                             ;   in Loop: Header=BB138_19 Depth=1
	s_or_b32 exec_lo, exec_lo, s34
	s_and_saveexec_b32 s34, s2
	s_cbranch_execnz .LBB138_83
.LBB138_58:                             ;   in Loop: Header=BB138_19 Depth=1
	s_or_b32 exec_lo, exec_lo, s34
	s_and_saveexec_b32 s34, s3
	s_cbranch_execnz .LBB138_84
.LBB138_59:                             ;   in Loop: Header=BB138_19 Depth=1
	s_or_b32 exec_lo, exec_lo, s34
	v_add_nc_u32_e32 v42, s11, v42
	s_and_saveexec_b32 s34, vcc_lo
	s_cbranch_execnz .LBB138_85
.LBB138_60:                             ;   in Loop: Header=BB138_19 Depth=1
	s_or_b32 exec_lo, exec_lo, s34
	s_and_saveexec_b32 s34, s1
	s_cbranch_execnz .LBB138_86
.LBB138_61:                             ;   in Loop: Header=BB138_19 Depth=1
	s_or_b32 exec_lo, exec_lo, s34
	s_and_saveexec_b32 s34, s2
	s_cbranch_execnz .LBB138_87
.LBB138_62:                             ;   in Loop: Header=BB138_19 Depth=1
	s_or_b32 exec_lo, exec_lo, s34
	s_and_saveexec_b32 s34, s3
	s_cbranch_execnz .LBB138_88
.LBB138_63:                             ;   in Loop: Header=BB138_19 Depth=1
	s_or_b32 exec_lo, exec_lo, s34
	v_add_nc_u32_e32 v42, s11, v42
	s_and_saveexec_b32 s4, vcc_lo
	s_cbranch_execnz .LBB138_89
.LBB138_64:                             ;   in Loop: Header=BB138_19 Depth=1
	s_or_b32 exec_lo, exec_lo, s4
	s_and_saveexec_b32 s4, s1
	s_cbranch_execnz .LBB138_90
.LBB138_65:                             ;   in Loop: Header=BB138_19 Depth=1
	s_or_b32 exec_lo, exec_lo, s4
	s_and_saveexec_b32 s1, s2
	s_cbranch_execnz .LBB138_91
.LBB138_66:                             ;   in Loop: Header=BB138_19 Depth=1
	s_or_b32 exec_lo, exec_lo, s1
	s_delay_alu instid0(SALU_CYCLE_1)
	s_and_b32 exec_lo, exec_lo, s3
	s_cbranch_execz .LBB138_68
.LBB138_67:                             ;   in Loop: Header=BB138_19 Depth=1
	s_waitcnt lgkmcnt(1)
	v_dual_add_f32 v5, v5, v9 :: v_dual_add_nc_u32 v42, 3, v42
	s_waitcnt vmcnt(0)
	v_cvt_f32_f16_e32 v6, v52
	s_delay_alu instid0(VALU_DEP_1) | instskip(NEXT) | instid1(VALU_DEP_3)
	v_add_f32_e32 v7, v5, v6
	v_lshlrev_b64 v[5:6], 1, v[42:43]
	s_delay_alu instid0(VALU_DEP_2) | instskip(NEXT) | instid1(VALU_DEP_2)
	v_cvt_f16_f32_e32 v7, v7
	v_add_co_u32 v5, vcc_lo, s14, v5
	s_delay_alu instid0(VALU_DEP_3)
	v_add_co_ci_u32_e32 v6, vcc_lo, s15, v6, vcc_lo
	global_store_b16 v[5:6], v7, off
.LBB138_68:                             ;   in Loop: Header=BB138_19 Depth=1
	s_or_b32 exec_lo, exec_lo, s5
	v_add_nc_u32_e32 v41, s19, v41
	s_delay_alu instid0(VALU_DEP_1) | instskip(SKIP_1) | instid1(VALU_DEP_2)
	v_add_nc_u32_e32 v5, 4, v41
	v_cmp_gt_u32_e32 vcc_lo, s11, v41
	v_cmp_le_u32_e64 s1, s11, v5
	s_delay_alu instid0(VALU_DEP_1) | instskip(NEXT) | instid1(SALU_CYCLE_1)
	s_and_b32 s1, vcc_lo, s1
	s_and_saveexec_b32 s34, s1
	s_cbranch_execz .LBB138_18
; %bb.69:                               ;   in Loop: Header=BB138_19 Depth=1
	s_mov_b32 s35, exec_lo
	v_cmpx_ne_u32_e64 s20, v41
	s_cbranch_execz .LBB138_17
; %bb.70:                               ;   in Loop: Header=BB138_19 Depth=1
	v_subrev_nc_u32_e32 v5, s20, v41
	s_mov_b32 s36, 0
	s_mov_b64 s[4:5], 0
	s_delay_alu instid0(VALU_DEP_1)
	v_cmp_lt_u32_e32 vcc_lo, 1, v5
	v_cndmask_b32_e32 v5, 1, v5, vcc_lo
	.p2align	6
.LBB138_71:                             ;   Parent Loop BB138_19 Depth=1
                                        ; =>  This Inner Loop Header: Depth=2
	s_cmp_lg_u32 s4, 3
	s_cselect_b32 vcc_lo, -1, 0
	s_cmp_lg_u32 s4, 2
	v_cndmask_b32_e32 v4, 0, v4, vcc_lo
	s_cselect_b32 s1, -1, 0
	s_cmp_lg_u32 s4, 1
	v_cndmask_b32_e64 v3, 0, v3, s1
	s_cselect_b32 s2, -1, 0
	s_cmp_lg_u32 s4, 0
	v_cndmask_b32_e64 v2, 0, v2, s2
	s_cselect_b32 s3, -1, 0
	s_add_u32 s4, s4, 1
	v_cndmask_b32_e64 v1, 0, v1, s3
	v_cmp_eq_u32_e32 vcc_lo, s4, v5
	s_addc_u32 s5, s5, 0
	s_or_b32 s36, vcc_lo, s36
	s_delay_alu instid0(SALU_CYCLE_1)
	s_and_not1_b32 exec_lo, exec_lo, s36
	s_cbranch_execnz .LBB138_71
; %bb.72:                               ;   in Loop: Header=BB138_19 Depth=1
	s_or_b32 exec_lo, exec_lo, s36
	s_branch .LBB138_17
.LBB138_73:                             ;   in Loop: Header=BB138_19 Depth=1
	v_mov_b32_e32 v42, v43
	s_waitcnt lgkmcnt(13)
	v_add_f32_e32 v39, v39, v48
	s_waitcnt vmcnt(19)
	v_cvt_f32_f16_e32 v48, v77
	v_lshlrev_b64 v[77:78], 1, v[41:42]
	s_delay_alu instid0(VALU_DEP_2) | instskip(NEXT) | instid1(VALU_DEP_2)
	v_add_f32_e32 v39, v39, v48
	v_add_co_u32 v77, s1, s14, v77
	s_delay_alu instid0(VALU_DEP_2) | instskip(NEXT) | instid1(VALU_DEP_4)
	v_cvt_f16_f32_e32 v39, v39
	v_add_co_ci_u32_e64 v78, s1, s15, v78, s1
	global_store_b16 v[77:78], v39, off
	s_or_b32 exec_lo, exec_lo, s2
	v_cmp_ne_u32_e64 s1, 0, v2
	s_delay_alu instid0(VALU_DEP_1)
	s_and_saveexec_b32 s3, s1
	s_cbranch_execz .LBB138_49
.LBB138_74:                             ;   in Loop: Header=BB138_19 Depth=1
	s_waitcnt lgkmcnt(13)
	v_mov_b32_e32 v48, v43
	v_add_f32_e32 v31, v31, v35
	s_waitcnt vmcnt(18)
	v_cvt_f32_f16_e32 v35, v76
	s_delay_alu instid0(VALU_DEP_3) | instskip(NEXT) | instid1(VALU_DEP_2)
	v_lshlrev_b64 v[47:48], 1, v[47:48]
	v_add_f32_e32 v31, v31, v35
	s_delay_alu instid0(VALU_DEP_2) | instskip(NEXT) | instid1(VALU_DEP_2)
	v_add_co_u32 v47, s2, s14, v47
	v_cvt_f16_f32_e32 v31, v31
	s_delay_alu instid0(VALU_DEP_4) | instskip(SKIP_3) | instid1(VALU_DEP_1)
	v_add_co_ci_u32_e64 v48, s2, s15, v48, s2
	global_store_b16 v[47:48], v31, off
	s_or_b32 exec_lo, exec_lo, s3
	v_cmp_ne_u32_e64 s2, 0, v3
	s_and_saveexec_b32 s4, s2
	s_cbranch_execz .LBB138_50
.LBB138_75:                             ;   in Loop: Header=BB138_19 Depth=1
	v_mov_b32_e32 v47, v43
	s_waitcnt lgkmcnt(15)
	v_add_f32_e32 v23, v23, v27
	s_waitcnt vmcnt(17)
	v_cvt_f32_f16_e32 v27, v75
	v_lshlrev_b64 v[46:47], 1, v[46:47]
	s_delay_alu instid0(VALU_DEP_2) | instskip(NEXT) | instid1(VALU_DEP_2)
	v_add_f32_e32 v23, v23, v27
	v_add_co_u32 v46, s3, s14, v46
	s_delay_alu instid0(VALU_DEP_2) | instskip(NEXT) | instid1(VALU_DEP_4)
	v_cvt_f16_f32_e32 v23, v23
	v_add_co_ci_u32_e64 v47, s3, s15, v47, s3
	global_store_b16 v[46:47], v23, off
	s_or_b32 exec_lo, exec_lo, s4
	v_cmp_ne_u32_e64 s3, 0, v4
	s_delay_alu instid0(VALU_DEP_1)
	s_and_saveexec_b32 s34, s3
	s_cbranch_execz .LBB138_51
.LBB138_76:                             ;   in Loop: Header=BB138_19 Depth=1
	v_mov_b32_e32 v46, v43
	s_waitcnt lgkmcnt(16)
	v_add_f32_e32 v15, v15, v19
	s_waitcnt vmcnt(16)
	v_cvt_f32_f16_e32 v19, v73
	v_lshlrev_b64 v[45:46], 1, v[45:46]
	s_delay_alu instid0(VALU_DEP_2) | instskip(NEXT) | instid1(VALU_DEP_2)
	v_add_f32_e32 v15, v15, v19
	v_add_co_u32 v45, s4, s14, v45
	s_delay_alu instid0(VALU_DEP_2) | instskip(NEXT) | instid1(VALU_DEP_4)
	v_cvt_f16_f32_e32 v15, v15
	v_add_co_ci_u32_e64 v46, s4, s15, v46, s4
	global_store_b16 v[45:46], v15, off
	s_or_b32 exec_lo, exec_lo, s34
	v_add_nc_u32_e32 v42, s11, v41
	s_and_saveexec_b32 s34, vcc_lo
	s_cbranch_execz .LBB138_52
.LBB138_77:                             ;   in Loop: Header=BB138_19 Depth=1
	s_waitcnt lgkmcnt(19)
	v_add_f32_e32 v6, v6, v10
	s_waitcnt vmcnt(15)
	v_cvt_f32_f16_e32 v10, v71
	v_lshlrev_b64 v[45:46], 1, v[42:43]
	s_delay_alu instid0(VALU_DEP_2) | instskip(NEXT) | instid1(VALU_DEP_2)
	v_add_f32_e32 v6, v6, v10
	v_add_co_u32 v45, s4, s14, v45
	s_delay_alu instid0(VALU_DEP_1) | instskip(NEXT) | instid1(VALU_DEP_3)
	v_add_co_ci_u32_e64 v46, s4, s15, v46, s4
	v_cvt_f16_f32_e32 v6, v6
	global_store_b16 v[45:46], v6, off
	s_or_b32 exec_lo, exec_lo, s34
	s_and_saveexec_b32 s34, s1
	s_cbranch_execz .LBB138_53
.LBB138_78:                             ;   in Loop: Header=BB138_19 Depth=1
	s_waitcnt lgkmcnt(11)
	v_dual_add_f32 v6, v40, v51 :: v_dual_add_nc_u32 v39, 1, v42
	v_mov_b32_e32 v40, v43
	s_waitcnt vmcnt(14)
	v_cvt_f32_f16_e32 v10, v69
	s_delay_alu instid0(VALU_DEP_2) | instskip(NEXT) | instid1(VALU_DEP_2)
	v_lshlrev_b64 v[39:40], 1, v[39:40]
	v_add_f32_e32 v6, v6, v10
	s_delay_alu instid0(VALU_DEP_1) | instskip(NEXT) | instid1(VALU_DEP_3)
	v_cvt_f16_f32_e32 v6, v6
	v_add_co_u32 v39, s4, s14, v39
	s_delay_alu instid0(VALU_DEP_1)
	v_add_co_ci_u32_e64 v40, s4, s15, v40, s4
	global_store_b16 v[39:40], v6, off
	s_or_b32 exec_lo, exec_lo, s34
	s_and_saveexec_b32 s34, s2
	s_cbranch_execz .LBB138_54
.LBB138_79:                             ;   in Loop: Header=BB138_19 Depth=1
	s_waitcnt lgkmcnt(14)
	v_dual_add_f32 v6, v32, v36 :: v_dual_add_nc_u32 v31, 2, v42
	v_mov_b32_e32 v32, v43
	s_waitcnt vmcnt(13)
	v_cvt_f32_f16_e32 v10, v67
	s_delay_alu instid0(VALU_DEP_2) | instskip(NEXT) | instid1(VALU_DEP_2)
	v_lshlrev_b64 v[31:32], 1, v[31:32]
	v_add_f32_e32 v6, v6, v10
	s_delay_alu instid0(VALU_DEP_1) | instskip(NEXT) | instid1(VALU_DEP_3)
	v_cvt_f16_f32_e32 v6, v6
	v_add_co_u32 v31, s4, s14, v31
	s_delay_alu instid0(VALU_DEP_1)
	v_add_co_ci_u32_e64 v32, s4, s15, v32, s4
	global_store_b16 v[31:32], v6, off
	s_or_b32 exec_lo, exec_lo, s34
	s_and_saveexec_b32 s34, s3
	s_cbranch_execz .LBB138_55
.LBB138_80:                             ;   in Loop: Header=BB138_19 Depth=1
	s_waitcnt lgkmcnt(17)
	v_dual_add_f32 v6, v24, v28 :: v_dual_add_nc_u32 v23, 3, v42
	v_mov_b32_e32 v24, v43
	s_waitcnt vmcnt(12)
	v_cvt_f32_f16_e32 v10, v65
	s_delay_alu instid0(VALU_DEP_2) | instskip(NEXT) | instid1(VALU_DEP_2)
	v_lshlrev_b64 v[23:24], 1, v[23:24]
	v_add_f32_e32 v6, v6, v10
	s_delay_alu instid0(VALU_DEP_1) | instskip(NEXT) | instid1(VALU_DEP_3)
	v_cvt_f16_f32_e32 v6, v6
	v_add_co_u32 v23, s4, s14, v23
	s_delay_alu instid0(VALU_DEP_1)
	v_add_co_ci_u32_e64 v24, s4, s15, v24, s4
	global_store_b16 v[23:24], v6, off
	s_or_b32 exec_lo, exec_lo, s34
	v_add_nc_u32_e32 v42, s11, v42
	s_and_saveexec_b32 s34, vcc_lo
	s_cbranch_execz .LBB138_56
.LBB138_81:                             ;   in Loop: Header=BB138_19 Depth=1
	s_waitcnt lgkmcnt(9)
	v_add_f32_e32 v6, v13, v17
	s_waitcnt vmcnt(11)
	v_cvt_f32_f16_e32 v10, v74
	v_lshlrev_b64 v[23:24], 1, v[42:43]
	s_delay_alu instid0(VALU_DEP_2) | instskip(NEXT) | instid1(VALU_DEP_2)
	v_add_f32_e32 v6, v6, v10
	v_add_co_u32 v23, s4, s14, v23
	s_delay_alu instid0(VALU_DEP_1) | instskip(NEXT) | instid1(VALU_DEP_3)
	v_add_co_ci_u32_e64 v24, s4, s15, v24, s4
	v_cvt_f16_f32_e32 v6, v6
	global_store_b16 v[23:24], v6, off
	s_or_b32 exec_lo, exec_lo, s34
	s_and_saveexec_b32 s34, s1
	s_cbranch_execz .LBB138_57
.LBB138_82:                             ;   in Loop: Header=BB138_19 Depth=1
	s_waitcnt lgkmcnt(12)
	v_dual_add_f32 v6, v8, v12 :: v_dual_mov_b32 v13, v43
	v_add_nc_u32_e32 v12, 1, v42
	s_waitcnt vmcnt(10)
	v_cvt_f32_f16_e32 v8, v72
	s_delay_alu instid0(VALU_DEP_2) | instskip(NEXT) | instid1(VALU_DEP_2)
	v_lshlrev_b64 v[12:13], 1, v[12:13]
	v_add_f32_e32 v6, v6, v8
	s_delay_alu instid0(VALU_DEP_1) | instskip(NEXT) | instid1(VALU_DEP_3)
	v_cvt_f16_f32_e32 v6, v6
	v_add_co_u32 v12, s4, s14, v12
	s_delay_alu instid0(VALU_DEP_1)
	v_add_co_ci_u32_e64 v13, s4, s15, v13, s4
	global_store_b16 v[12:13], v6, off
	s_or_b32 exec_lo, exec_lo, s34
	s_and_saveexec_b32 s34, s2
	s_cbranch_execz .LBB138_58
.LBB138_83:                             ;   in Loop: Header=BB138_19 Depth=1
	s_waitcnt lgkmcnt(7)
	v_dual_add_f32 v6, v38, v50 :: v_dual_mov_b32 v13, v43
	v_add_nc_u32_e32 v12, 2, v42
	s_waitcnt vmcnt(9)
	v_cvt_f32_f16_e32 v8, v70
	s_delay_alu instid0(VALU_DEP_2) | instskip(NEXT) | instid1(VALU_DEP_2)
	v_lshlrev_b64 v[12:13], 1, v[12:13]
	v_add_f32_e32 v6, v6, v8
	s_delay_alu instid0(VALU_DEP_1) | instskip(NEXT) | instid1(VALU_DEP_3)
	v_cvt_f16_f32_e32 v6, v6
	v_add_co_u32 v12, s4, s14, v12
	s_delay_alu instid0(VALU_DEP_1)
	v_add_co_ci_u32_e64 v13, s4, s15, v13, s4
	global_store_b16 v[12:13], v6, off
	s_or_b32 exec_lo, exec_lo, s34
	s_and_saveexec_b32 s34, s3
	s_cbranch_execz .LBB138_59
.LBB138_84:                             ;   in Loop: Header=BB138_19 Depth=1
	s_waitcnt lgkmcnt(10)
	v_dual_add_f32 v6, v30, v34 :: v_dual_mov_b32 v13, v43
	v_add_nc_u32_e32 v12, 3, v42
	s_waitcnt vmcnt(8)
	v_cvt_f32_f16_e32 v8, v68
	s_delay_alu instid0(VALU_DEP_2) | instskip(NEXT) | instid1(VALU_DEP_2)
	v_lshlrev_b64 v[12:13], 1, v[12:13]
	v_add_f32_e32 v6, v6, v8
	s_delay_alu instid0(VALU_DEP_1) | instskip(NEXT) | instid1(VALU_DEP_3)
	v_cvt_f16_f32_e32 v6, v6
	v_add_co_u32 v12, s4, s14, v12
	s_delay_alu instid0(VALU_DEP_1)
	v_add_co_ci_u32_e64 v13, s4, s15, v13, s4
	global_store_b16 v[12:13], v6, off
	s_or_b32 exec_lo, exec_lo, s34
	v_add_nc_u32_e32 v42, s11, v42
	s_and_saveexec_b32 s34, vcc_lo
	s_cbranch_execz .LBB138_60
.LBB138_85:                             ;   in Loop: Header=BB138_19 Depth=1
	s_waitcnt lgkmcnt(2)
	v_add_f32_e32 v6, v21, v25
	s_waitcnt vmcnt(7)
	v_cvt_f32_f16_e32 v8, v66
	v_lshlrev_b64 v[12:13], 1, v[42:43]
	s_delay_alu instid0(VALU_DEP_2) | instskip(NEXT) | instid1(VALU_DEP_2)
	v_add_f32_e32 v6, v6, v8
	v_add_co_u32 v12, s4, s14, v12
	s_delay_alu instid0(VALU_DEP_1) | instskip(NEXT) | instid1(VALU_DEP_3)
	v_add_co_ci_u32_e64 v13, s4, s15, v13, s4
	v_cvt_f16_f32_e32 v6, v6
	global_store_b16 v[12:13], v6, off
	s_or_b32 exec_lo, exec_lo, s34
	s_and_saveexec_b32 s34, s1
	s_cbranch_execz .LBB138_61
.LBB138_86:                             ;   in Loop: Header=BB138_19 Depth=1
	s_waitcnt lgkmcnt(3)
	v_dual_add_f32 v6, v16, v20 :: v_dual_mov_b32 v13, v43
	v_add_nc_u32_e32 v12, 1, v42
	s_waitcnt vmcnt(6)
	v_cvt_f32_f16_e32 v8, v64
	s_delay_alu instid0(VALU_DEP_2) | instskip(NEXT) | instid1(VALU_DEP_2)
	v_lshlrev_b64 v[12:13], 1, v[12:13]
	v_add_f32_e32 v6, v6, v8
	s_delay_alu instid0(VALU_DEP_1) | instskip(NEXT) | instid1(VALU_DEP_3)
	v_cvt_f16_f32_e32 v6, v6
	v_add_co_u32 v12, s4, s14, v12
	s_delay_alu instid0(VALU_DEP_1)
	v_add_co_ci_u32_e64 v13, s4, s15, v13, s4
	global_store_b16 v[12:13], v6, off
	s_or_b32 exec_lo, exec_lo, s34
	s_and_saveexec_b32 s34, s2
	s_cbranch_execz .LBB138_62
.LBB138_87:                             ;   in Loop: Header=BB138_19 Depth=1
	s_waitcnt lgkmcnt(8)
	v_add_f32_e32 v8, v7, v11
	v_dual_mov_b32 v7, v43 :: v_dual_add_nc_u32 v6, 2, v42
	s_waitcnt vmcnt(5)
	v_cvt_f32_f16_e32 v10, v57
	s_delay_alu instid0(VALU_DEP_2) | instskip(NEXT) | instid1(VALU_DEP_2)
	v_lshlrev_b64 v[6:7], 1, v[6:7]
	v_add_f32_e32 v8, v8, v10
	s_delay_alu instid0(VALU_DEP_1) | instskip(NEXT) | instid1(VALU_DEP_3)
	v_cvt_f16_f32_e32 v8, v8
	v_add_co_u32 v6, s4, s14, v6
	s_delay_alu instid0(VALU_DEP_1)
	v_add_co_ci_u32_e64 v7, s4, s15, v7, s4
	global_store_b16 v[6:7], v8, off
	s_or_b32 exec_lo, exec_lo, s34
	s_and_saveexec_b32 s34, s3
	s_cbranch_execz .LBB138_63
.LBB138_88:                             ;   in Loop: Header=BB138_19 Depth=1
	s_waitcnt lgkmcnt(6)
	v_dual_add_f32 v8, v37, v49 :: v_dual_mov_b32 v7, v43
	v_add_nc_u32_e32 v6, 3, v42
	s_waitcnt vmcnt(4)
	v_cvt_f32_f16_e32 v10, v56
	s_delay_alu instid0(VALU_DEP_2) | instskip(NEXT) | instid1(VALU_DEP_2)
	v_lshlrev_b64 v[6:7], 1, v[6:7]
	v_add_f32_e32 v8, v8, v10
	s_delay_alu instid0(VALU_DEP_1) | instskip(NEXT) | instid1(VALU_DEP_3)
	v_cvt_f16_f32_e32 v8, v8
	v_add_co_u32 v6, s4, s14, v6
	s_delay_alu instid0(VALU_DEP_1)
	v_add_co_ci_u32_e64 v7, s4, s15, v7, s4
	global_store_b16 v[6:7], v8, off
	s_or_b32 exec_lo, exec_lo, s34
	v_add_nc_u32_e32 v42, s11, v42
	s_and_saveexec_b32 s4, vcc_lo
	s_cbranch_execz .LBB138_64
.LBB138_89:                             ;   in Loop: Header=BB138_19 Depth=1
	s_waitcnt lgkmcnt(0)
	v_add_f32_e32 v6, v29, v33
	s_waitcnt vmcnt(3)
	v_cvt_f32_f16_e32 v7, v55
	s_delay_alu instid0(VALU_DEP_1) | instskip(SKIP_1) | instid1(VALU_DEP_2)
	v_add_f32_e32 v8, v6, v7
	v_lshlrev_b64 v[6:7], 1, v[42:43]
	v_cvt_f16_f32_e32 v8, v8
	s_delay_alu instid0(VALU_DEP_2) | instskip(NEXT) | instid1(VALU_DEP_3)
	v_add_co_u32 v6, vcc_lo, s14, v6
	v_add_co_ci_u32_e32 v7, vcc_lo, s15, v7, vcc_lo
	global_store_b16 v[6:7], v8, off
	s_or_b32 exec_lo, exec_lo, s4
	s_and_saveexec_b32 s4, s1
	s_cbranch_execz .LBB138_65
.LBB138_90:                             ;   in Loop: Header=BB138_19 Depth=1
	s_waitcnt lgkmcnt(5)
	v_dual_add_f32 v8, v22, v26 :: v_dual_mov_b32 v7, v43
	v_add_nc_u32_e32 v6, 1, v42
	s_waitcnt vmcnt(2)
	v_cvt_f32_f16_e32 v10, v54
	s_delay_alu instid0(VALU_DEP_2) | instskip(NEXT) | instid1(VALU_DEP_2)
	v_lshlrev_b64 v[6:7], 1, v[6:7]
	v_add_f32_e32 v8, v8, v10
	s_delay_alu instid0(VALU_DEP_1) | instskip(NEXT) | instid1(VALU_DEP_3)
	v_cvt_f16_f32_e32 v8, v8
	v_add_co_u32 v6, vcc_lo, s14, v6
	s_delay_alu instid0(VALU_DEP_4)
	v_add_co_ci_u32_e32 v7, vcc_lo, s15, v7, vcc_lo
	global_store_b16 v[6:7], v8, off
	s_or_b32 exec_lo, exec_lo, s4
	s_and_saveexec_b32 s1, s2
	s_cbranch_execz .LBB138_66
.LBB138_91:                             ;   in Loop: Header=BB138_19 Depth=1
	s_waitcnt lgkmcnt(4)
	v_dual_add_f32 v8, v14, v18 :: v_dual_mov_b32 v7, v43
	v_add_nc_u32_e32 v6, 2, v42
	s_waitcnt vmcnt(1)
	v_cvt_f32_f16_e32 v10, v53
	s_delay_alu instid0(VALU_DEP_2) | instskip(NEXT) | instid1(VALU_DEP_2)
	v_lshlrev_b64 v[6:7], 1, v[6:7]
	v_add_f32_e32 v8, v8, v10
	s_delay_alu instid0(VALU_DEP_1) | instskip(NEXT) | instid1(VALU_DEP_3)
	v_cvt_f16_f32_e32 v8, v8
	v_add_co_u32 v6, vcc_lo, s14, v6
	s_delay_alu instid0(VALU_DEP_4) | instskip(SKIP_2) | instid1(SALU_CYCLE_1)
	v_add_co_ci_u32_e32 v7, vcc_lo, s15, v7, vcc_lo
	global_store_b16 v[6:7], v8, off
	s_or_b32 exec_lo, exec_lo, s1
	s_and_b32 exec_lo, exec_lo, s3
	s_cbranch_execnz .LBB138_67
	s_branch .LBB138_68
.LBB138_92:
	s_nop 0
	s_sendmsg sendmsg(MSG_DEALLOC_VGPRS)
	s_endpgm
	.section	.rodata,"a",@progbits
	.p2align	6, 0x0
	.amdhsa_kernel _Z12wvSplitK_hf_I6__halfLi32ELi4ELi16ELi8ELi1ELi5EEviiiiiiPKT_S3_S3_PS1_ii
		.amdhsa_group_segment_fixed_size 65536
		.amdhsa_private_segment_fixed_size 0
		.amdhsa_kernarg_size 64
		.amdhsa_user_sgpr_count 15
		.amdhsa_user_sgpr_dispatch_ptr 0
		.amdhsa_user_sgpr_queue_ptr 0
		.amdhsa_user_sgpr_kernarg_segment_ptr 1
		.amdhsa_user_sgpr_dispatch_id 0
		.amdhsa_user_sgpr_private_segment_size 0
		.amdhsa_wavefront_size32 1
		.amdhsa_uses_dynamic_stack 0
		.amdhsa_enable_private_segment 0
		.amdhsa_system_sgpr_workgroup_id_x 1
		.amdhsa_system_sgpr_workgroup_id_y 0
		.amdhsa_system_sgpr_workgroup_id_z 0
		.amdhsa_system_sgpr_workgroup_info 0
		.amdhsa_system_vgpr_workitem_id 1
		.amdhsa_next_free_vgpr 98
		.amdhsa_next_free_sgpr 37
		.amdhsa_reserve_vcc 1
		.amdhsa_float_round_mode_32 0
		.amdhsa_float_round_mode_16_64 0
		.amdhsa_float_denorm_mode_32 3
		.amdhsa_float_denorm_mode_16_64 3
		.amdhsa_dx10_clamp 1
		.amdhsa_ieee_mode 1
		.amdhsa_fp16_overflow 0
		.amdhsa_workgroup_processor_mode 1
		.amdhsa_memory_ordered 1
		.amdhsa_forward_progress 0
		.amdhsa_shared_vgpr_count 0
		.amdhsa_exception_fp_ieee_invalid_op 0
		.amdhsa_exception_fp_denorm_src 0
		.amdhsa_exception_fp_ieee_div_zero 0
		.amdhsa_exception_fp_ieee_overflow 0
		.amdhsa_exception_fp_ieee_underflow 0
		.amdhsa_exception_fp_ieee_inexact 0
		.amdhsa_exception_int_div_zero 0
	.end_amdhsa_kernel
	.section	.text._Z12wvSplitK_hf_I6__halfLi32ELi4ELi16ELi8ELi1ELi5EEviiiiiiPKT_S3_S3_PS1_ii,"axG",@progbits,_Z12wvSplitK_hf_I6__halfLi32ELi4ELi16ELi8ELi1ELi5EEviiiiiiPKT_S3_S3_PS1_ii,comdat
.Lfunc_end138:
	.size	_Z12wvSplitK_hf_I6__halfLi32ELi4ELi16ELi8ELi1ELi5EEviiiiiiPKT_S3_S3_PS1_ii, .Lfunc_end138-_Z12wvSplitK_hf_I6__halfLi32ELi4ELi16ELi8ELi1ELi5EEviiiiiiPKT_S3_S3_PS1_ii
                                        ; -- End function
	.section	.AMDGPU.csdata,"",@progbits
; Kernel info:
; codeLenInByte = 8904
; NumSgprs: 39
; NumVgprs: 98
; ScratchSize: 0
; MemoryBound: 0
; FloatMode: 240
; IeeeMode: 1
; LDSByteSize: 65536 bytes/workgroup (compile time only)
; SGPRBlocks: 4
; VGPRBlocks: 12
; NumSGPRsForWavesPerEU: 39
; NumVGPRsForWavesPerEU: 98
; Occupancy: 8
; WaveLimiterHint : 0
; COMPUTE_PGM_RSRC2:SCRATCH_EN: 0
; COMPUTE_PGM_RSRC2:USER_SGPR: 15
; COMPUTE_PGM_RSRC2:TRAP_HANDLER: 0
; COMPUTE_PGM_RSRC2:TGID_X_EN: 1
; COMPUTE_PGM_RSRC2:TGID_Y_EN: 0
; COMPUTE_PGM_RSRC2:TGID_Z_EN: 0
; COMPUTE_PGM_RSRC2:TIDIG_COMP_CNT: 1
	.section	.text._Z16wvSplitK_hf_big_I6__halfLi32ELi4ELi16ELi8ELi1ELi5EEviiiiiiPKT_S3_S3_PS1_ii,"axG",@progbits,_Z16wvSplitK_hf_big_I6__halfLi32ELi4ELi16ELi8ELi1ELi5EEviiiiiiPKT_S3_S3_PS1_ii,comdat
	.protected	_Z16wvSplitK_hf_big_I6__halfLi32ELi4ELi16ELi8ELi1ELi5EEviiiiiiPKT_S3_S3_PS1_ii ; -- Begin function _Z16wvSplitK_hf_big_I6__halfLi32ELi4ELi16ELi8ELi1ELi5EEviiiiiiPKT_S3_S3_PS1_ii
	.globl	_Z16wvSplitK_hf_big_I6__halfLi32ELi4ELi16ELi8ELi1ELi5EEviiiiiiPKT_S3_S3_PS1_ii
	.p2align	8
	.type	_Z16wvSplitK_hf_big_I6__halfLi32ELi4ELi16ELi8ELi1ELi5EEviiiiiiPKT_S3_S3_PS1_ii,@function
_Z16wvSplitK_hf_big_I6__halfLi32ELi4ELi16ELi8ELi1ELi5EEviiiiiiPKT_S3_S3_PS1_ii: ; @_Z16wvSplitK_hf_big_I6__halfLi32ELi4ELi16ELi8ELi1ELi5EEviiiiiiPKT_S3_S3_PS1_ii
; %bb.0:
	s_load_b64 s[20:21], s[0:1], 0x38
	v_bfe_u32 v5, v0, 10, 10
	s_mov_b32 s2, exec_lo
	s_waitcnt lgkmcnt(0)
	s_delay_alu instid0(VALU_DEP_1)
	v_cmpx_gt_u32_e64 s20, v5
	s_cbranch_execz .LBB139_78
; %bb.1:
	s_load_b128 s[16:19], s[0:1], 0x0
	s_mul_i32 s15, s15, s20
	s_mov_b32 s4, 1
	v_add_lshl_u32 v41, s15, v5, 2
	s_mov_b32 s5, s4
	s_mov_b32 s6, s4
	;; [unrolled: 1-line block ×3, first 2 shown]
	s_delay_alu instid0(VALU_DEP_1) | instskip(SKIP_2) | instid1(VALU_DEP_2)
	v_add_nc_u32_e32 v1, 4, v41
	s_waitcnt lgkmcnt(0)
	v_cmp_gt_u32_e32 vcc_lo, s19, v41
	v_cmp_le_u32_e64 s2, s19, v1
	v_dual_mov_b32 v1, s4 :: v_dual_mov_b32 v4, s7
	v_dual_mov_b32 v2, s5 :: v_dual_mov_b32 v3, s6
	s_delay_alu instid0(VALU_DEP_3) | instskip(NEXT) | instid1(SALU_CYCLE_1)
	s_and_b32 s2, vcc_lo, s2
	s_and_saveexec_b32 s8, s2
	s_cbranch_execz .LBB139_7
; %bb.2:
	v_dual_mov_b32 v1, s4 :: v_dual_mov_b32 v2, s5
	v_dual_mov_b32 v3, s6 :: v_dual_mov_b32 v4, s7
	s_add_i32 s9, s19, -4
	s_mov_b32 s10, exec_lo
	v_cmpx_ne_u32_e64 s9, v41
	s_cbranch_execz .LBB139_6
; %bb.3:
	v_subrev_nc_u32_e32 v1, s9, v41
	s_mov_b32 s11, 0
	s_mov_b64 s[2:3], 0
	s_mov_b32 s5, s4
	s_mov_b32 s6, s4
	v_cmp_lt_u32_e32 vcc_lo, 1, v1
	s_mov_b32 s7, s4
	v_cndmask_b32_e32 v6, 1, v1, vcc_lo
	.p2align	6
.LBB139_4:                              ; =>This Inner Loop Header: Depth=1
	s_cmp_lg_u32 s2, 3
	s_cselect_b32 s7, s7, 0
	s_cmp_lg_u32 s2, 2
	s_cselect_b32 s6, s6, 0
	;; [unrolled: 2-line block ×4, first 2 shown]
	s_add_u32 s2, s2, 1
	v_dual_mov_b32 v1, s4 :: v_dual_mov_b32 v2, s5
	v_cmp_eq_u32_e32 vcc_lo, s2, v6
	v_dual_mov_b32 v3, s6 :: v_dual_mov_b32 v4, s7
	s_addc_u32 s3, s3, 0
	s_or_b32 s11, vcc_lo, s11
	s_delay_alu instid0(SALU_CYCLE_1)
	s_and_not1_b32 exec_lo, exec_lo, s11
	s_cbranch_execnz .LBB139_4
; %bb.5:
	s_or_b32 exec_lo, exec_lo, s11
	v_mov_b32_e32 v41, s9
.LBB139_6:
	s_or_b32 exec_lo, exec_lo, s10
.LBB139_7:
	s_delay_alu instid0(SALU_CYCLE_1)
	s_or_b32 exec_lo, exec_lo, s8
	s_lshl_b32 s2, s20, 2
	s_abs_i32 s6, s19
	s_abs_i32 s3, s2
	s_mov_b32 s23, 0
	v_cvt_f32_u32_e32 v6, s3
	s_sub_i32 s5, 0, s3
	s_delay_alu instid0(VALU_DEP_1) | instskip(SKIP_2) | instid1(VALU_DEP_1)
	v_rcp_iflag_f32_e32 v6, v6
	s_waitcnt_depctr 0xfff
	v_mul_f32_e32 v6, 0x4f7ffffe, v6
	v_cvt_u32_f32_e32 v6, v6
	s_delay_alu instid0(VALU_DEP_1) | instskip(NEXT) | instid1(VALU_DEP_1)
	v_readfirstlane_b32 s4, v6
	s_mul_i32 s5, s5, s4
	s_delay_alu instid0(SALU_CYCLE_1) | instskip(NEXT) | instid1(SALU_CYCLE_1)
	s_mul_hi_u32 s5, s4, s5
	s_add_i32 s4, s4, s5
	s_ashr_i32 s5, s19, 31
	s_mul_hi_u32 s4, s6, s4
	s_delay_alu instid0(SALU_CYCLE_1) | instskip(NEXT) | instid1(SALU_CYCLE_1)
	s_mul_i32 s4, s4, s3
	s_sub_i32 s4, s6, s4
	s_delay_alu instid0(SALU_CYCLE_1) | instskip(SKIP_2) | instid1(SALU_CYCLE_1)
	s_sub_i32 s6, s4, s3
	s_cmp_ge_u32 s4, s3
	s_cselect_b32 s4, s6, s4
	s_sub_i32 s6, s4, s3
	s_cmp_ge_u32 s4, s3
	s_cselect_b32 s3, s6, s4
	s_add_i32 s2, s2, s19
	s_xor_b32 s3, s3, s5
	s_delay_alu instid0(SALU_CYCLE_1) | instskip(NEXT) | instid1(SALU_CYCLE_1)
	s_sub_i32 s3, s3, s5
	s_sub_i32 s2, s2, s3
	s_cmp_eq_u32 s3, 0
	s_cselect_b32 s22, s19, s2
	s_delay_alu instid0(SALU_CYCLE_1)
	v_cmp_gt_u32_e32 vcc_lo, s22, v41
	s_and_b32 exec_lo, exec_lo, vcc_lo
	s_cbranch_execz .LBB139_78
; %bb.8:
	s_load_b256 s[8:15], s[0:1], 0x10
	s_min_u32 s24, s18, 0x1900
	s_cmp_lg_u32 s16, 0
	s_mul_i32 s2, s21, s20
	s_cselect_b32 s25, -1, 0
	s_cmp_lg_u32 s18, 0
	s_load_b64 s[6:7], s[0:1], 0x30
	s_cselect_b32 s21, -1, 0
	s_lshl_b32 s26, s20, 8
	s_add_i32 s27, s16, -8
	s_add_i32 s28, s19, -1
	s_lshl_b32 s29, s2, 2
	v_and_b32_e32 v0, 0x3ff, v0
	v_mbcnt_lo_u32_b32 v53, -1, 0
	s_delay_alu instid0(VALU_DEP_2)
	v_dual_mov_b32 v43, 0 :: v_dual_lshlrev_b32 v54, 3, v0
	s_waitcnt lgkmcnt(0)
	s_cmp_lg_u64 s[14:15], 0
	s_cselect_b32 s30, -1, 0
	s_abs_i32 s2, s9
	s_add_i32 s31, s19, -4
	v_cvt_f32_u32_e32 v6, s2
	s_sub_i32 s1, 0, s2
	s_sub_i32 s3, 0, s8
	s_sub_i32 s4, 1, s2
	s_mul_i32 s9, s24, 6
	v_rcp_iflag_f32_e32 v6, v6
	s_waitcnt_depctr 0xfff
	v_mul_f32_e32 v6, 0x4f7ffffe, v6
	s_delay_alu instid0(VALU_DEP_1) | instskip(NEXT) | instid1(VALU_DEP_1)
	v_cvt_u32_f32_e32 v6, v6
	v_readfirstlane_b32 s0, v6
	v_cvt_f32_u32_e32 v6, s8
	s_delay_alu instid0(VALU_DEP_2) | instskip(NEXT) | instid1(VALU_DEP_1)
	s_mul_i32 s1, s1, s0
	v_rcp_iflag_f32_e32 v6, v6
	s_mul_hi_u32 s1, s0, s1
	v_lshlrev_b32_e32 v7, 4, v0
	s_add_i32 s1, s0, s1
	s_cmp_lt_u32 s2, 2
	v_cmp_eq_u32_e64 s0, 31, v0
	s_cselect_b32 s4, s4, 1
	s_delay_alu instid0(SALU_CYCLE_1)
	s_sub_i32 s5, s4, s2
	s_cmp_ge_u32 s4, s2
	s_waitcnt_depctr 0xfff
	v_mul_f32_e32 v0, 0x4f7ffffe, v6
	s_cselect_b32 s33, s5, s4
	s_lshr_b32 s4, s1, 31
	v_lshl_add_u32 v55, v5, 9, v7
	s_mul_i32 s4, s4, s2
	v_cvt_u32_f32_e32 v6, v0
	s_sub_i32 s4, 2, s4
	v_lshl_add_u32 v0, v5, 8, v54
	s_sub_i32 s5, s4, s2
	s_cmp_ge_u32 s4, s2
	v_mul_lo_u32 v8, s3, v6
	s_cselect_b32 s3, s5, s4
	s_mul_hi_u32 s4, s1, 3
	s_sub_i32 s5, s3, s2
	s_cmp_ge_u32 s3, s2
	s_mul_i32 s4, s4, s2
	s_cselect_b32 s34, s5, s3
	s_sub_i32 s3, 3, s4
	v_mul_hi_u32 v5, v6, v8
	s_sub_i32 s4, s3, s2
	s_cmp_ge_u32 s3, s2
	v_mad_u64_u32 v[44:45], null, s18, 3, v[0:1]
	s_cselect_b32 s3, s4, s3
	v_lshl_add_u32 v56, s18, 1, v0
	s_sub_i32 s4, s3, s2
	s_cmp_ge_u32 s3, s2
	v_lshl_add_u32 v57, s18, 2, v0
	s_cselect_b32 s35, s4, s3
	s_lshr_b32 s1, s1, 30
	v_add_nc_u32_e32 v58, s18, v0
	s_mul_i32 s1, s1, s2
	v_add_nc_u32_e32 v59, v6, v5
	s_sub_i32 s1, 4, s1
	s_mul_i32 s33, s33, s8
	s_sub_i32 s3, s1, s2
	s_cmp_ge_u32 s1, s2
	s_mul_i32 s34, s34, s8
	s_cselect_b32 s1, s3, s1
	s_mul_i32 s35, s35, s8
	s_sub_i32 s3, s1, s2
	s_cmp_ge_u32 s1, s2
	s_cselect_b32 s40, s3, s1
	s_add_u32 s36, s6, 2
	s_addc_u32 s37, s7, 0
	s_lshl_b32 s38, s24, 3
	s_lshl_b32 s20, s20, 9
	;; [unrolled: 1-line block ×3, first 2 shown]
	s_mul_i32 s40, s40, s8
	s_lshl_b32 s41, s24, 1
	s_branch .LBB139_12
.LBB139_9:                              ;   in Loop: Header=BB139_12 Depth=1
	s_or_b32 exec_lo, exec_lo, s44
	v_mov_b32_e32 v41, s31
.LBB139_10:                             ;   in Loop: Header=BB139_12 Depth=1
	s_or_b32 exec_lo, exec_lo, s43
.LBB139_11:                             ;   in Loop: Header=BB139_12 Depth=1
	s_delay_alu instid0(SALU_CYCLE_1) | instskip(NEXT) | instid1(VALU_DEP_1)
	s_or_b32 exec_lo, exec_lo, s42
	v_cmp_le_u32_e32 vcc_lo, s22, v41
	s_or_b32 s23, vcc_lo, s23
	s_delay_alu instid0(SALU_CYCLE_1)
	s_and_not1_b32 exec_lo, exec_lo, s23
	s_cbranch_execz .LBB139_78
.LBB139_12:                             ; =>This Loop Header: Depth=1
                                        ;     Child Loop BB139_16 Depth 2
                                        ;       Child Loop BB139_21 Depth 3
                                        ;     Child Loop BB139_57 Depth 2
	v_mov_b32_e32 v78, v43
	s_waitcnt vmcnt(19)
	v_mov_b32_e32 v77, v43
	s_waitcnt vmcnt(18)
	;; [unrolled: 2-line block ×4, first 2 shown]
	v_mov_b32_e32 v60, v43
	v_mov_b32_e32 v61, v43
	;; [unrolled: 1-line block ×16, first 2 shown]
	s_and_not1_b32 vcc_lo, exec_lo, s25
	s_mov_b32 s3, 0
	s_cbranch_vccnz .LBB139_27
; %bb.13:                               ;   in Loop: Header=BB139_12 Depth=1
	v_dual_mov_b32 v79, 0 :: v_dual_add_nc_u32 v6, 2, v41
	v_add_nc_u32_e32 v5, 1, v41
	v_add_nc_u32_e32 v7, 3, v41
	v_min_u32_e32 v8, s28, v41
	s_delay_alu instid0(VALU_DEP_4) | instskip(SKIP_2) | instid1(VALU_DEP_4)
	v_min_u32_e32 v6, s28, v6
	v_dual_mov_b32 v10, v43 :: v_dual_mov_b32 v73, 0
	v_cmp_gt_u32_e64 s1, s19, v41
	v_mul_lo_u32 v42, v8, s17
	v_mov_b32_e32 v8, v43
	v_min_u32_e32 v9, s28, v7
	v_mul_lo_u32 v7, v6, s17
	v_mov_b32_e32 v6, v43
	v_min_u32_e32 v5, s28, v5
	v_dual_mov_b32 v74, 0 :: v_dual_mov_b32 v71, 0
	v_mul_lo_u32 v9, v9, s17
	v_lshlrev_b64 v[45:46], 1, v[42:43]
	s_delay_alu instid0(VALU_DEP_4)
	v_mul_lo_u32 v5, v5, s17
	s_waitcnt lgkmcnt(13)
	v_lshlrev_b64 v[49:50], 1, v[7:8]
	v_dual_mov_b32 v72, 0 :: v_dual_mov_b32 v69, 0
	v_dual_mov_b32 v70, 0 :: v_dual_mov_b32 v67, 0
	s_waitcnt vmcnt(0)
	v_lshlrev_b64 v[51:52], 1, v[9:10]
	v_dual_mov_b32 v68, 0 :: v_dual_mov_b32 v65, 0
	s_waitcnt lgkmcnt(4)
	v_lshlrev_b64 v[47:48], 1, v[5:6]
	v_dual_mov_b32 v66, 0 :: v_dual_mov_b32 v63, 0
	v_dual_mov_b32 v64, 0 :: v_dual_mov_b32 v61, 0
	;; [unrolled: 1-line block ×4, first 2 shown]
	v_mov_b32_e32 v76, 0
	v_mov_b32_e32 v78, 0
	s_mov_b32 s4, 0
	s_branch .LBB139_16
.LBB139_14:                             ;   in Loop: Header=BB139_16 Depth=2
	s_or_b32 exec_lo, exec_lo, s5
	s_waitcnt vmcnt(3) lgkmcnt(4)
	;;#ASMSTART
	v_dot2_f32_f16 v78, v37, v17, v78
	;;#ASMEND
	s_waitcnt vmcnt(2)
	;;#ASMSTART
	v_dot2_f32_f16 v77, v37, v13, v77
	;;#ASMEND
	s_waitcnt vmcnt(1)
	;; [unrolled: 4-line block ×3, first 2 shown]
	;;#ASMSTART
	v_dot2_f32_f16 v75, v37, v5, v75
	;;#ASMEND
	s_waitcnt lgkmcnt(3)
	;;#ASMSTART
	v_dot2_f32_f16 v79, v33, v17, v79
	;;#ASMEND
	;;#ASMSTART
	v_dot2_f32_f16 v74, v33, v13, v74
	;;#ASMEND
	;;#ASMSTART
	v_dot2_f32_f16 v73, v33, v9, v73
	;;#ASMEND
	;;#ASMSTART
	v_dot2_f32_f16 v72, v33, v5, v72
	;;#ASMEND
	s_waitcnt lgkmcnt(2)
	;;#ASMSTART
	v_dot2_f32_f16 v71, v29, v17, v71
	;;#ASMEND
	;;#ASMSTART
	v_dot2_f32_f16 v70, v29, v13, v70
	;;#ASMEND
	;;#ASMSTART
	v_dot2_f32_f16 v69, v29, v9, v69
	;;#ASMEND
	;; [unrolled: 13-line block ×4, first 2 shown]
	;;#ASMSTART
	v_dot2_f32_f16 v60, v21, v5, v60
	;;#ASMEND
	;;#ASMSTART
	v_dot2_f32_f16 v78, v38, v18, v78
	;;#ASMEND
	;; [unrolled: 3-line block ×61, first 2 shown]
.LBB139_15:                             ;   in Loop: Header=BB139_16 Depth=2
	s_or_b32 exec_lo, exec_lo, s2
	s_addk_i32 s4, 0x100
	s_delay_alu instid0(SALU_CYCLE_1)
	s_cmp_ge_u32 s4, s16
	s_cbranch_scc1 .LBB139_27
.LBB139_16:                             ;   Parent Loop BB139_12 Depth=1
                                        ; =>  This Loop Header: Depth=2
                                        ;       Child Loop BB139_21 Depth 3
	s_cmp_eq_u32 s4, 0
	s_cselect_b32 s5, -1, 0
	s_add_i32 s2, s3, s24
	s_delay_alu instid0(SALU_CYCLE_1) | instskip(SKIP_1) | instid1(SALU_CYCLE_1)
	s_cmp_eq_u32 s4, s2
	s_cselect_b32 s42, -1, 0
	s_or_b32 s42, s5, s42
	s_delay_alu instid0(SALU_CYCLE_1)
	s_and_not1_b32 vcc_lo, exec_lo, s42
	s_cbranch_vccz .LBB139_18
; %bb.17:                               ;   in Loop: Header=BB139_16 Depth=2
	s_and_saveexec_b32 s2, s1
	s_cbranch_execz .LBB139_15
	s_branch .LBB139_25
.LBB139_18:                             ;   in Loop: Header=BB139_16 Depth=2
	s_and_b32 s5, s5, exec_lo
	s_cselect_b32 s3, s3, s2
	s_and_not1_b32 vcc_lo, exec_lo, s21
	s_waitcnt lgkmcnt(0)
	s_waitcnt_vscnt null, 0x0
	s_barrier
	buffer_gl0_inv
	s_cbranch_vccnz .LBB139_24
; %bb.19:                               ;   in Loop: Header=BB139_16 Depth=2
	v_dual_mov_b32 v10, v55 :: v_dual_add_nc_u32 v5, s3, v56
	v_add_nc_u32_e32 v6, s3, v44
	v_add_nc_u32_e32 v7, s3, v57
	;; [unrolled: 1-line block ×4, first 2 shown]
	s_mov_b32 s5, 0
	s_mov_b32 s42, 0
                                        ; implicit-def: $sgpr43
	s_branch .LBB139_21
.LBB139_20:                             ;   in Loop: Header=BB139_21 Depth=3
	s_or_b32 exec_lo, exec_lo, s2
	s_delay_alu instid0(SALU_CYCLE_1) | instskip(NEXT) | instid1(SALU_CYCLE_1)
	s_and_b32 s2, exec_lo, s43
	s_or_b32 s5, s2, s5
	s_delay_alu instid0(SALU_CYCLE_1)
	s_and_not1_b32 exec_lo, exec_lo, s5
	s_cbranch_execz .LBB139_23
.LBB139_21:                             ;   Parent Loop BB139_12 Depth=1
                                        ;     Parent Loop BB139_16 Depth=2
                                        ; =>    This Inner Loop Header: Depth=3
	s_delay_alu instid0(VALU_DEP_1) | instskip(SKIP_2) | instid1(VALU_DEP_2)
	v_add_nc_u32_e32 v42, s42, v9
	v_add_nc_u32_e32 v11, s42, v0
	s_or_b32 s43, s43, exec_lo
	v_cmp_gt_u32_e32 vcc_lo, s18, v42
	s_delay_alu instid0(VALU_DEP_2) | instskip(NEXT) | instid1(VALU_DEP_1)
	v_cmp_gt_u32_e64 s2, s24, v11
	s_and_b32 s44, s2, vcc_lo
	s_delay_alu instid0(SALU_CYCLE_1)
	s_and_saveexec_b32 s2, s44
	s_cbranch_execz .LBB139_20
; %bb.22:                               ;   in Loop: Header=BB139_21 Depth=3
	v_lshlrev_b64 v[11:12], 1, v[42:43]
	v_add_nc_u32_e32 v42, s42, v8
	v_add_nc_u32_e32 v31, s41, v10
	;; [unrolled: 1-line block ×3, first 2 shown]
	s_delay_alu instid0(VALU_DEP_3) | instskip(SKIP_3) | instid1(VALU_DEP_3)
	v_lshlrev_b64 v[13:14], 1, v[42:43]
	v_add_nc_u32_e32 v42, s42, v5
	v_add_co_u32 v11, vcc_lo, s12, v11
	v_add_co_ci_u32_e32 v12, vcc_lo, s13, v12, vcc_lo
	v_lshlrev_b64 v[15:16], 1, v[42:43]
	v_add_nc_u32_e32 v42, s42, v6
	v_add_co_u32 v17, vcc_lo, s12, v13
	v_add_co_ci_u32_e32 v18, vcc_lo, s13, v14, vcc_lo
	s_delay_alu instid0(VALU_DEP_3) | instskip(SKIP_3) | instid1(VALU_DEP_3)
	v_lshlrev_b64 v[23:24], 1, v[42:43]
	v_add_nc_u32_e32 v42, s42, v7
	v_add_co_u32 v19, vcc_lo, s12, v15
	v_add_co_ci_u32_e32 v20, vcc_lo, s13, v16, vcc_lo
	v_lshlrev_b64 v[25:26], 1, v[42:43]
	v_add_co_u32 v23, vcc_lo, s12, v23
	v_add_co_ci_u32_e32 v24, vcc_lo, s13, v24, vcc_lo
	s_clause 0x2
	global_load_b128 v[11:14], v[11:12], off
	global_load_b128 v[15:18], v[17:18], off
	;; [unrolled: 1-line block ×3, first 2 shown]
	v_add_co_u32 v27, vcc_lo, s12, v25
	v_add_co_ci_u32_e32 v28, vcc_lo, s13, v26, vcc_lo
	s_clause 0x1
	global_load_b128 v[23:26], v[23:24], off
	global_load_b128 v[27:30], v[27:28], off
	s_add_i32 s42, s42, s26
	s_waitcnt vmcnt(4)
	ds_store_b128 v10, v[11:14]
	s_waitcnt vmcnt(3)
	ds_store_2addr_b64 v31, v[15:16], v[17:18] offset1:1
	s_waitcnt vmcnt(2)
	ds_store_2addr_b32 v32, v19, v20 offset1:1
	ds_store_2addr_b32 v32, v21, v22 offset0:2 offset1:3
	s_cmp_ge_u32 s42, s24
	v_add_nc_u32_e32 v11, s9, v10
	s_cselect_b32 s44, -1, 0
	v_add_nc_u32_e32 v12, s38, v10
	v_add_nc_u32_e32 v10, s20, v10
	s_and_not1_b32 s43, s43, exec_lo
	s_and_b32 s44, s44, exec_lo
	s_waitcnt vmcnt(1)
	ds_store_2addr_b64 v11, v[23:24], v[25:26] offset1:1
	s_or_b32 s43, s43, s44
	s_waitcnt vmcnt(0)
	ds_store_2addr_b64 v12, v[27:28], v[29:30] offset1:1
	s_branch .LBB139_20
.LBB139_23:                             ;   in Loop: Header=BB139_16 Depth=2
	s_or_b32 exec_lo, exec_lo, s5
.LBB139_24:                             ;   in Loop: Header=BB139_16 Depth=2
	s_waitcnt lgkmcnt(0)
	s_barrier
	buffer_gl0_inv
	s_and_saveexec_b32 s2, s1
	s_cbranch_execz .LBB139_15
.LBB139_25:                             ;   in Loop: Header=BB139_16 Depth=2
	v_dual_mov_b32 v37, 0 :: v_dual_add_nc_u32 v80, s4, v54
	v_dual_mov_b32 v38, 0 :: v_dual_mov_b32 v39, 0
	v_dual_mov_b32 v40, 0 :: v_dual_mov_b32 v33, 0
	s_delay_alu instid0(VALU_DEP_3) | instskip(SKIP_3) | instid1(VALU_DEP_3)
	v_min_u32_e32 v42, s27, v80
	s_waitcnt lgkmcnt(2)
	v_dual_mov_b32 v34, 0 :: v_dual_mov_b32 v35, 0
	v_dual_mov_b32 v36, 0 :: v_dual_mov_b32 v29, 0
	v_lshlrev_b64 v[5:6], 1, v[42:43]
	v_dual_mov_b32 v30, 0 :: v_dual_mov_b32 v31, 0
	v_dual_mov_b32 v32, 0 :: v_dual_mov_b32 v25, 0
	;; [unrolled: 1-line block ×3, first 2 shown]
	s_delay_alu instid0(VALU_DEP_4) | instskip(SKIP_3) | instid1(VALU_DEP_3)
	v_add_co_u32 v11, vcc_lo, s10, v5
	s_waitcnt lgkmcnt(0)
	v_add_co_ci_u32_e32 v12, vcc_lo, s11, v6, vcc_lo
	v_mov_b32_e32 v28, 0
	v_add_co_u32 v5, vcc_lo, v11, v45
	s_delay_alu instid0(VALU_DEP_3)
	v_add_co_ci_u32_e32 v6, vcc_lo, v12, v46, vcc_lo
	v_add_co_u32 v7, vcc_lo, v11, v47
	v_add_co_ci_u32_e32 v8, vcc_lo, v12, v48, vcc_lo
	v_add_co_u32 v9, vcc_lo, v11, v49
	;; [unrolled: 2-line block ×3, first 2 shown]
	v_add_co_ci_u32_e32 v22, vcc_lo, v12, v52, vcc_lo
	s_clause 0x3
	global_load_b128 v[17:20], v[5:6], off slc dlc
	global_load_b128 v[13:16], v[7:8], off slc dlc
	;; [unrolled: 1-line block ×4, first 2 shown]
	v_mov_b32_e32 v21, 0
	v_cmp_gt_u32_e32 vcc_lo, s16, v80
	v_dual_mov_b32 v22, 0 :: v_dual_mov_b32 v23, 0
	v_mov_b32_e32 v24, 0
	s_and_saveexec_b32 s5, vcc_lo
	s_cbranch_execz .LBB139_14
; %bb.26:                               ;   in Loop: Header=BB139_16 Depth=2
	v_subrev_nc_u32_e32 v21, s3, v80
	s_delay_alu instid0(VALU_DEP_1) | instskip(NEXT) | instid1(VALU_DEP_1)
	v_lshlrev_b32_e32 v21, 1, v21
	v_add_nc_u32_e32 v22, s41, v21
	s_delay_alu instid0(VALU_DEP_1) | instskip(NEXT) | instid1(VALU_DEP_1)
	v_add_nc_u32_e32 v23, s41, v22
	v_add_nc_u32_e32 v24, s41, v23
	s_delay_alu instid0(VALU_DEP_1)
	v_add_nc_u32_e32 v42, s41, v24
	ds_load_b128 v[37:40], v21
	ds_load_b128 v[33:36], v22
	;; [unrolled: 1-line block ×5, first 2 shown]
	s_branch .LBB139_14
.LBB139_27:                             ;   in Loop: Header=BB139_12 Depth=1
	s_mov_b32 s1, exec_lo
	v_cmpx_le_u32_e64 s19, v41
	s_xor_b32 s1, exec_lo, s1
; %bb.28:                               ;   in Loop: Header=BB139_12 Depth=1
	v_add_nc_u32_e32 v41, s29, v41
                                        ; implicit-def: $vgpr78
                                        ; implicit-def: $vgpr77
                                        ; implicit-def: $vgpr76
                                        ; implicit-def: $vgpr75
                                        ; implicit-def: $vgpr60
                                        ; implicit-def: $vgpr61
                                        ; implicit-def: $vgpr62
                                        ; implicit-def: $vgpr63
                                        ; implicit-def: $vgpr64
                                        ; implicit-def: $vgpr65
                                        ; implicit-def: $vgpr66
                                        ; implicit-def: $vgpr67
                                        ; implicit-def: $vgpr68
                                        ; implicit-def: $vgpr69
                                        ; implicit-def: $vgpr70
                                        ; implicit-def: $vgpr71
                                        ; implicit-def: $vgpr72
                                        ; implicit-def: $vgpr73
                                        ; implicit-def: $vgpr74
                                        ; implicit-def: $vgpr79
; %bb.29:                               ;   in Loop: Header=BB139_12 Depth=1
	s_and_not1_saveexec_b32 s42, s1
	s_cbranch_execz .LBB139_11
; %bb.30:                               ;   in Loop: Header=BB139_12 Depth=1
	v_xor_b32_e32 v5, 16, v53
	v_cvt_i32_f32_e32 v6, v78
	v_cvt_i32_f32_e32 v7, v77
	;; [unrolled: 1-line block ×4, first 2 shown]
	v_cmp_gt_i32_e32 vcc_lo, 32, v5
	v_cvt_f32_i32_dpp v6, v6 row_shr:8 row_mask:0xf bank_mask:0xf bound_ctrl:1
	v_cvt_i32_f32_e32 v10, v79
	v_cvt_f32_i32_dpp v7, v7 row_shr:8 row_mask:0xf bank_mask:0xf bound_ctrl:1
	v_cvt_f32_i32_dpp v8, v8 row_shr:8 row_mask:0xf bank_mask:0xf bound_ctrl:1
	s_delay_alu instid0(VALU_DEP_4) | instskip(SKIP_3) | instid1(VALU_DEP_4)
	v_dual_cndmask_b32 v5, v53, v5 :: v_dual_add_f32 v6, v78, v6
	v_cvt_f32_i32_dpp v9, v9 row_shr:8 row_mask:0xf bank_mask:0xf bound_ctrl:1
	v_cvt_f32_i32_dpp v10, v10 row_shr:8 row_mask:0xf bank_mask:0xf bound_ctrl:1
	v_add_f32_e32 v7, v77, v7
	v_dual_add_f32 v8, v76, v8 :: v_dual_lshlrev_b32 v5, 2, v5
	v_cvt_i32_f32_e32 v11, v6
	s_delay_alu instid0(VALU_DEP_4)
	v_add_f32_e32 v10, v79, v10
	s_waitcnt lgkmcnt(0)
	v_cvt_i32_f32_e32 v12, v7
	v_cvt_i32_f32_e32 v13, v8
	v_cvt_f32_i32_dpp v11, v11 row_shr:4 row_mask:0xf bank_mask:0xf bound_ctrl:1
	v_add_f32_e32 v9, v75, v9
	s_delay_alu instid0(VALU_DEP_4)
	v_cvt_f32_i32_dpp v12, v12 row_shr:4 row_mask:0xf bank_mask:0xf bound_ctrl:1
	v_cvt_i32_f32_e32 v15, v10
	v_cvt_f32_i32_dpp v13, v13 row_shr:4 row_mask:0xf bank_mask:0xf bound_ctrl:1
	v_add_f32_e32 v6, v6, v11
	v_cvt_i32_f32_e32 v14, v9
	v_add_f32_e32 v7, v7, v12
	v_cvt_f32_i32_dpp v15, v15 row_shr:4 row_mask:0xf bank_mask:0xf bound_ctrl:1
	v_add_f32_e32 v8, v8, v13
	v_cvt_i32_f32_e32 v11, v6
	v_cvt_f32_i32_dpp v14, v14 row_shr:4 row_mask:0xf bank_mask:0xf bound_ctrl:1
	v_cvt_i32_f32_e32 v12, v7
	v_add_f32_e32 v10, v10, v15
	v_cvt_i32_f32_e32 v13, v8
	v_cvt_f32_i32_dpp v11, v11 row_shr:2 row_mask:0xf bank_mask:0xf bound_ctrl:1
	v_add_f32_e32 v9, v9, v14
	v_cvt_f32_i32_dpp v12, v12 row_shr:2 row_mask:0xf bank_mask:0xf bound_ctrl:1
	v_cvt_i32_f32_e32 v15, v10
	v_cvt_f32_i32_dpp v13, v13 row_shr:2 row_mask:0xf bank_mask:0xf bound_ctrl:1
	v_add_f32_e32 v6, v6, v11
	v_cvt_i32_f32_e32 v14, v9
	v_add_f32_e32 v7, v7, v12
	v_cvt_f32_i32_dpp v15, v15 row_shr:2 row_mask:0xf bank_mask:0xf bound_ctrl:1
	s_delay_alu instid0(VALU_DEP_4) | instskip(NEXT) | instid1(VALU_DEP_4)
	v_cvt_i32_f32_e32 v11, v6
	v_cvt_f32_i32_dpp v14, v14 row_shr:2 row_mask:0xf bank_mask:0xf bound_ctrl:1
	v_add_f32_e32 v8, v8, v13
	v_cvt_i32_f32_e32 v12, v7
	s_delay_alu instid0(VALU_DEP_4) | instskip(NEXT) | instid1(VALU_DEP_4)
	v_cvt_f32_i32_dpp v11, v11 row_shr:1 row_mask:0xf bank_mask:0xf bound_ctrl:1
	v_add_f32_e32 v9, v9, v14
	s_delay_alu instid0(VALU_DEP_4) | instskip(NEXT) | instid1(VALU_DEP_4)
	v_cvt_i32_f32_e32 v13, v8
	v_cvt_f32_i32_dpp v12, v12 row_shr:1 row_mask:0xf bank_mask:0xf bound_ctrl:1
	v_add_f32_e32 v10, v10, v15
	s_delay_alu instid0(VALU_DEP_4) | instskip(NEXT) | instid1(VALU_DEP_4)
	v_cvt_i32_f32_e32 v14, v9
	v_cvt_f32_i32_dpp v13, v13 row_shr:1 row_mask:0xf bank_mask:0xf bound_ctrl:1
	s_delay_alu instid0(VALU_DEP_4) | instskip(NEXT) | instid1(VALU_DEP_4)
	v_add_f32_e32 v33, v7, v12
	v_cvt_i32_f32_e32 v15, v10
	v_cvt_i32_f32_e32 v12, v70
	v_cvt_f32_i32_dpp v14, v14 row_shr:1 row_mask:0xf bank_mask:0xf bound_ctrl:1
	v_add_f32_e32 v45, v6, v11
	v_cvt_i32_f32_e32 v6, v74
	v_cvt_f32_i32_dpp v15, v15 row_shr:1 row_mask:0xf bank_mask:0xf bound_ctrl:1
	v_cvt_i32_f32_e32 v11, v71
	v_add_f32_e32 v18, v9, v14
	v_cvt_f32_i32_dpp v12, v12 row_shr:8 row_mask:0xf bank_mask:0xf bound_ctrl:1
	v_cvt_f32_i32_dpp v6, v6 row_shr:8 row_mask:0xf bank_mask:0xf bound_ctrl:1
	v_add_f32_e32 v7, v8, v13
	v_cvt_i32_f32_e32 v8, v73
	v_cvt_f32_i32_dpp v11, v11 row_shr:8 row_mask:0xf bank_mask:0xf bound_ctrl:1
	ds_bpermute_b32 v49, v5, v45
	v_add_f32_e32 v6, v74, v6
	ds_bpermute_b32 v37, v5, v33
	v_cvt_f32_i32_dpp v8, v8 row_shr:8 row_mask:0xf bank_mask:0xf bound_ctrl:1
	v_add_f32_e32 v9, v10, v15
	v_cvt_i32_f32_e32 v10, v72
	v_add_f32_e32 v11, v71, v11
	v_cvt_i32_f32_e32 v14, v6
	v_add_f32_e32 v8, v73, v8
	ds_bpermute_b32 v29, v5, v7
	v_cvt_f32_i32_dpp v10, v10 row_shr:8 row_mask:0xf bank_mask:0xf bound_ctrl:1
	v_cvt_i32_f32_e32 v17, v11
	v_cvt_f32_i32_dpp v14, v14 row_shr:4 row_mask:0xf bank_mask:0xf bound_ctrl:1
	v_cvt_i32_f32_e32 v15, v8
	ds_bpermute_b32 v22, v5, v18
	v_add_f32_e32 v10, v72, v10
	v_cvt_f32_i32_dpp v17, v17 row_shr:4 row_mask:0xf bank_mask:0xf bound_ctrl:1
	v_add_f32_e32 v12, v70, v12
	v_cvt_f32_i32_dpp v15, v15 row_shr:4 row_mask:0xf bank_mask:0xf bound_ctrl:1
	ds_bpermute_b32 v13, v5, v9
	v_cvt_i32_f32_e32 v16, v10
	v_add_f32_e32 v11, v11, v17
	v_cvt_i32_f32_e32 v19, v12
	s_delay_alu instid0(VALU_DEP_3) | instskip(NEXT) | instid1(VALU_DEP_3)
	v_cvt_f32_i32_dpp v16, v16 row_shr:4 row_mask:0xf bank_mask:0xf bound_ctrl:1
	v_cvt_i32_f32_e32 v17, v11
	s_delay_alu instid0(VALU_DEP_3) | instskip(NEXT) | instid1(VALU_DEP_2)
	v_cvt_f32_i32_dpp v19, v19 row_shr:4 row_mask:0xf bank_mask:0xf bound_ctrl:1
	v_cvt_f32_i32_dpp v17, v17 row_shr:2 row_mask:0xf bank_mask:0xf bound_ctrl:1
	s_delay_alu instid0(VALU_DEP_2) | instskip(NEXT) | instid1(VALU_DEP_2)
	v_add_f32_e32 v12, v12, v19
	v_dual_add_f32 v6, v6, v14 :: v_dual_add_f32 v11, v11, v17
	s_delay_alu instid0(VALU_DEP_2) | instskip(NEXT) | instid1(VALU_DEP_2)
	v_cvt_i32_f32_e32 v19, v12
	v_cvt_i32_f32_e32 v14, v6
	s_delay_alu instid0(VALU_DEP_3) | instskip(NEXT) | instid1(VALU_DEP_3)
	v_cvt_i32_f32_e32 v17, v11
	v_cvt_f32_i32_dpp v19, v19 row_shr:2 row_mask:0xf bank_mask:0xf bound_ctrl:1
	s_delay_alu instid0(VALU_DEP_3) | instskip(NEXT) | instid1(VALU_DEP_3)
	v_cvt_f32_i32_dpp v14, v14 row_shr:2 row_mask:0xf bank_mask:0xf bound_ctrl:1
	v_cvt_f32_i32_dpp v17, v17 row_shr:1 row_mask:0xf bank_mask:0xf bound_ctrl:1
	s_delay_alu instid0(VALU_DEP_3) | instskip(NEXT) | instid1(VALU_DEP_1)
	v_add_f32_e32 v12, v12, v19
	v_cvt_i32_f32_e32 v19, v12
	s_delay_alu instid0(VALU_DEP_1) | instskip(SKIP_1) | instid1(VALU_DEP_1)
	v_cvt_f32_i32_dpp v19, v19 row_shr:1 row_mask:0xf bank_mask:0xf bound_ctrl:1
	v_add_f32_e32 v10, v10, v16
	v_cvt_i32_f32_e32 v16, v10
	s_delay_alu instid0(VALU_DEP_1) | instskip(NEXT) | instid1(VALU_DEP_1)
	v_cvt_f32_i32_dpp v16, v16 row_shr:2 row_mask:0xf bank_mask:0xf bound_ctrl:1
	v_add_f32_e32 v10, v10, v16
	s_delay_alu instid0(VALU_DEP_1) | instskip(NEXT) | instid1(VALU_DEP_1)
	v_cvt_i32_f32_e32 v16, v10
	v_cvt_f32_i32_dpp v16, v16 row_shr:1 row_mask:0xf bank_mask:0xf bound_ctrl:1
	s_delay_alu instid0(VALU_DEP_1) | instskip(SKIP_3) | instid1(VALU_DEP_2)
	v_add_f32_e32 v26, v10, v16
	v_dual_add_f32 v16, v11, v17 :: v_dual_add_f32 v11, v12, v19
	v_cvt_i32_f32_e32 v12, v66
	v_cvt_i32_f32_e32 v10, v67
	v_cvt_f32_i32_dpp v12, v12 row_shr:8 row_mask:0xf bank_mask:0xf bound_ctrl:1
	s_delay_alu instid0(VALU_DEP_2) | instskip(NEXT) | instid1(VALU_DEP_2)
	v_cvt_f32_i32_dpp v10, v10 row_shr:8 row_mask:0xf bank_mask:0xf bound_ctrl:1
	v_add_f32_e32 v12, v66, v12
	s_delay_alu instid0(VALU_DEP_1) | instskip(NEXT) | instid1(VALU_DEP_1)
	v_cvt_i32_f32_e32 v23, v12
	v_cvt_f32_i32_dpp v23, v23 row_shr:4 row_mask:0xf bank_mask:0xf bound_ctrl:1
	s_delay_alu instid0(VALU_DEP_1) | instskip(NEXT) | instid1(VALU_DEP_1)
	v_add_f32_e32 v12, v12, v23
	v_cvt_i32_f32_e32 v23, v12
	s_delay_alu instid0(VALU_DEP_1) | instskip(NEXT) | instid1(VALU_DEP_1)
	v_cvt_f32_i32_dpp v23, v23 row_shr:2 row_mask:0xf bank_mask:0xf bound_ctrl:1
	v_add_f32_e32 v12, v12, v23
	s_delay_alu instid0(VALU_DEP_1) | instskip(NEXT) | instid1(VALU_DEP_1)
	v_cvt_i32_f32_e32 v23, v12
	v_cvt_f32_i32_dpp v23, v23 row_shr:1 row_mask:0xf bank_mask:0xf bound_ctrl:1
	v_add_f32_e32 v6, v6, v14
	s_delay_alu instid0(VALU_DEP_1) | instskip(NEXT) | instid1(VALU_DEP_1)
	v_cvt_i32_f32_e32 v14, v6
	v_cvt_f32_i32_dpp v14, v14 row_shr:1 row_mask:0xf bank_mask:0xf bound_ctrl:1
	s_delay_alu instid0(VALU_DEP_1) | instskip(SKIP_2) | instid1(VALU_DEP_2)
	v_add_f32_e32 v46, v6, v14
	v_cvt_i32_f32_e32 v6, v69
	v_cvt_i32_f32_e32 v14, v65
	v_cvt_f32_i32_dpp v6, v6 row_shr:8 row_mask:0xf bank_mask:0xf bound_ctrl:1
	s_delay_alu instid0(VALU_DEP_2) | instskip(NEXT) | instid1(VALU_DEP_2)
	v_cvt_f32_i32_dpp v14, v14 row_shr:8 row_mask:0xf bank_mask:0xf bound_ctrl:1
	v_add_f32_e32 v6, v69, v6
	s_delay_alu instid0(VALU_DEP_2) | instskip(NEXT) | instid1(VALU_DEP_2)
	v_add_f32_e32 v14, v65, v14
	v_cvt_i32_f32_e32 v17, v6
	s_delay_alu instid0(VALU_DEP_2) | instskip(NEXT) | instid1(VALU_DEP_2)
	v_cvt_i32_f32_e32 v24, v14
	v_cvt_f32_i32_dpp v17, v17 row_shr:4 row_mask:0xf bank_mask:0xf bound_ctrl:1
	s_delay_alu instid0(VALU_DEP_2) | instskip(NEXT) | instid1(VALU_DEP_2)
	v_cvt_f32_i32_dpp v24, v24 row_shr:4 row_mask:0xf bank_mask:0xf bound_ctrl:1
	v_add_f32_e32 v6, v6, v17
	s_delay_alu instid0(VALU_DEP_2) | instskip(NEXT) | instid1(VALU_DEP_2)
	v_add_f32_e32 v14, v14, v24
	v_cvt_i32_f32_e32 v17, v6
	s_delay_alu instid0(VALU_DEP_2) | instskip(NEXT) | instid1(VALU_DEP_2)
	;; [unrolled: 9-line block ×3, first 2 shown]
	v_cvt_i32_f32_e32 v24, v14
	v_cvt_f32_i32_dpp v17, v17 row_shr:1 row_mask:0xf bank_mask:0xf bound_ctrl:1
	s_delay_alu instid0(VALU_DEP_2) | instskip(NEXT) | instid1(VALU_DEP_2)
	v_cvt_f32_i32_dpp v25, v24 row_shr:1 row_mask:0xf bank_mask:0xf bound_ctrl:1
	v_add_f32_e32 v40, v6, v17
	v_cvt_i32_f32_e32 v17, v61
	v_cvt_i32_f32_e32 v6, v64
	ds_bpermute_b32 v48, v5, v40
	v_cvt_f32_i32_dpp v17, v17 row_shr:8 row_mask:0xf bank_mask:0xf bound_ctrl:1
	v_add_f32_e32 v8, v8, v15
	v_cvt_f32_i32_dpp v6, v6 row_shr:8 row_mask:0xf bank_mask:0xf bound_ctrl:1
	s_delay_alu instid0(VALU_DEP_3) | instskip(NEXT) | instid1(VALU_DEP_3)
	v_add_f32_e32 v17, v61, v17
	v_cvt_i32_f32_e32 v15, v8
	s_delay_alu instid0(VALU_DEP_3) | instskip(NEXT) | instid1(VALU_DEP_3)
	v_add_f32_e32 v6, v64, v6
	v_cvt_i32_f32_e32 v35, v17
	s_delay_alu instid0(VALU_DEP_3) | instskip(NEXT) | instid1(VALU_DEP_2)
	v_cvt_f32_i32_dpp v15, v15 row_shr:2 row_mask:0xf bank_mask:0xf bound_ctrl:1
	v_cvt_f32_i32_dpp v35, v35 row_shr:4 row_mask:0xf bank_mask:0xf bound_ctrl:1
	s_delay_alu instid0(VALU_DEP_2) | instskip(NEXT) | instid1(VALU_DEP_2)
	v_add_f32_e32 v8, v8, v15
	v_add_f32_e32 v17, v17, v35
	s_delay_alu instid0(VALU_DEP_2) | instskip(SKIP_3) | instid1(VALU_DEP_2)
	v_cvt_i32_f32_e32 v15, v8
	ds_bpermute_b32 v50, v5, v46
	v_cvt_i32_f32_e32 v35, v17
	v_cvt_f32_i32_dpp v15, v15 row_shr:1 row_mask:0xf bank_mask:0xf bound_ctrl:1
	v_cvt_f32_i32_dpp v35, v35 row_shr:2 row_mask:0xf bank_mask:0xf bound_ctrl:1
	s_delay_alu instid0(VALU_DEP_2)
	v_add_f32_e32 v34, v8, v15
	v_cvt_i32_f32_e32 v8, v68
	ds_bpermute_b32 v15, v5, v11
	v_add_f32_e32 v17, v17, v35
	ds_bpermute_b32 v38, v5, v34
	v_cvt_f32_i32_dpp v8, v8 row_shr:8 row_mask:0xf bank_mask:0xf bound_ctrl:1
	ds_bpermute_b32 v20, v5, v16
	v_cvt_i32_f32_e32 v35, v17
	s_delay_alu instid0(VALU_DEP_1) | instskip(NEXT) | instid1(VALU_DEP_1)
	v_cvt_f32_i32_dpp v35, v35 row_shr:1 row_mask:0xf bank_mask:0xf bound_ctrl:1
	v_dual_add_f32 v10, v67, v10 :: v_dual_add_f32 v17, v17, v35
	s_delay_alu instid0(VALU_DEP_1) | instskip(NEXT) | instid1(VALU_DEP_1)
	v_cvt_i32_f32_e32 v21, v10
	v_cvt_f32_i32_dpp v21, v21 row_shr:4 row_mask:0xf bank_mask:0xf bound_ctrl:1
	s_delay_alu instid0(VALU_DEP_1) | instskip(NEXT) | instid1(VALU_DEP_1)
	v_add_f32_e32 v10, v10, v21
	v_cvt_i32_f32_e32 v21, v10
	s_delay_alu instid0(VALU_DEP_1) | instskip(NEXT) | instid1(VALU_DEP_1)
	v_cvt_f32_i32_dpp v21, v21 row_shr:2 row_mask:0xf bank_mask:0xf bound_ctrl:1
	v_add_f32_e32 v10, v10, v21
	s_delay_alu instid0(VALU_DEP_1) | instskip(NEXT) | instid1(VALU_DEP_1)
	v_cvt_i32_f32_e32 v21, v10
	v_cvt_f32_i32_dpp v21, v21 row_shr:1 row_mask:0xf bank_mask:0xf bound_ctrl:1
	s_delay_alu instid0(VALU_DEP_1)
	v_add_f32_e32 v24, v10, v21
	v_cvt_i32_f32_e32 v21, v60
	v_add_f32_e32 v10, v14, v25
	v_cvt_i32_f32_e32 v25, v6
	ds_bpermute_b32 v27, v5, v24
	v_cvt_f32_i32_dpp v21, v21 row_shr:8 row_mask:0xf bank_mask:0xf bound_ctrl:1
	ds_bpermute_b32 v14, v5, v10
	v_cvt_f32_i32_dpp v25, v25 row_shr:4 row_mask:0xf bank_mask:0xf bound_ctrl:1
	v_add_f32_e32 v21, v60, v21
	s_delay_alu instid0(VALU_DEP_2) | instskip(NEXT) | instid1(VALU_DEP_2)
	v_add_f32_e32 v6, v6, v25
	v_cvt_i32_f32_e32 v39, v21
	s_delay_alu instid0(VALU_DEP_2) | instskip(NEXT) | instid1(VALU_DEP_2)
	v_cvt_i32_f32_e32 v25, v6
	v_cvt_f32_i32_dpp v39, v39 row_shr:4 row_mask:0xf bank_mask:0xf bound_ctrl:1
	s_delay_alu instid0(VALU_DEP_2) | instskip(NEXT) | instid1(VALU_DEP_2)
	v_cvt_f32_i32_dpp v25, v25 row_shr:2 row_mask:0xf bank_mask:0xf bound_ctrl:1
	v_add_f32_e32 v21, v21, v39
	ds_bpermute_b32 v30, v5, v26
	v_add_f32_e32 v6, v6, v25
	v_cvt_i32_f32_e32 v39, v21
	s_delay_alu instid0(VALU_DEP_2) | instskip(NEXT) | instid1(VALU_DEP_2)
	v_cvt_i32_f32_e32 v25, v6
	v_cvt_f32_i32_dpp v39, v39 row_shr:2 row_mask:0xf bank_mask:0xf bound_ctrl:1
	v_add_f32_e32 v8, v68, v8
	s_delay_alu instid0(VALU_DEP_3) | instskip(NEXT) | instid1(VALU_DEP_3)
	v_cvt_f32_i32_dpp v25, v25 row_shr:1 row_mask:0xf bank_mask:0xf bound_ctrl:1
	v_add_f32_e32 v21, v21, v39
	s_delay_alu instid0(VALU_DEP_3) | instskip(NEXT) | instid1(VALU_DEP_2)
	v_cvt_i32_f32_e32 v19, v8
	v_cvt_i32_f32_e32 v39, v21
	s_delay_alu instid0(VALU_DEP_2) | instskip(NEXT) | instid1(VALU_DEP_2)
	v_cvt_f32_i32_dpp v19, v19 row_shr:4 row_mask:0xf bank_mask:0xf bound_ctrl:1
	v_cvt_f32_i32_dpp v47, v39 row_shr:1 row_mask:0xf bank_mask:0xf bound_ctrl:1
	s_delay_alu instid0(VALU_DEP_2) | instskip(NEXT) | instid1(VALU_DEP_1)
	v_dual_add_f32 v8, v8, v19 :: v_dual_add_f32 v39, v6, v25
	v_cvt_i32_f32_e32 v19, v8
	s_delay_alu instid0(VALU_DEP_1) | instskip(NEXT) | instid1(VALU_DEP_1)
	v_cvt_f32_i32_dpp v19, v19 row_shr:2 row_mask:0xf bank_mask:0xf bound_ctrl:1
	v_add_f32_e32 v8, v8, v19
	s_delay_alu instid0(VALU_DEP_1) | instskip(NEXT) | instid1(VALU_DEP_1)
	v_cvt_i32_f32_e32 v19, v8
	v_cvt_f32_i32_dpp v19, v19 row_shr:1 row_mask:0xf bank_mask:0xf bound_ctrl:1
	s_delay_alu instid0(VALU_DEP_1)
	v_add_f32_e32 v32, v8, v19
	v_add_f32_e32 v19, v12, v23
	v_cvt_i32_f32_e32 v8, v63
	v_cvt_i32_f32_e32 v12, v62
	ds_bpermute_b32 v36, v5, v32
	ds_bpermute_b32 v23, v5, v19
	v_cvt_f32_i32_dpp v8, v8 row_shr:8 row_mask:0xf bank_mask:0xf bound_ctrl:1
	v_cvt_f32_i32_dpp v12, v12 row_shr:8 row_mask:0xf bank_mask:0xf bound_ctrl:1
	s_delay_alu instid0(VALU_DEP_2) | instskip(NEXT) | instid1(VALU_DEP_2)
	v_add_f32_e32 v8, v63, v8
	v_add_f32_e32 v12, v62, v12
	s_delay_alu instid0(VALU_DEP_2) | instskip(NEXT) | instid1(VALU_DEP_2)
	v_cvt_i32_f32_e32 v28, v8
	v_cvt_i32_f32_e32 v31, v12
	s_delay_alu instid0(VALU_DEP_2) | instskip(NEXT) | instid1(VALU_DEP_2)
	v_cvt_f32_i32_dpp v28, v28 row_shr:4 row_mask:0xf bank_mask:0xf bound_ctrl:1
	v_cvt_f32_i32_dpp v31, v31 row_shr:4 row_mask:0xf bank_mask:0xf bound_ctrl:1
	s_delay_alu instid0(VALU_DEP_2) | instskip(NEXT) | instid1(VALU_DEP_2)
	v_add_f32_e32 v8, v8, v28
	v_add_f32_e32 v12, v12, v31
	s_delay_alu instid0(VALU_DEP_2) | instskip(NEXT) | instid1(VALU_DEP_2)
	v_cvt_i32_f32_e32 v28, v8
	v_cvt_i32_f32_e32 v31, v12
	s_delay_alu instid0(VALU_DEP_2) | instskip(NEXT) | instid1(VALU_DEP_2)
	;; [unrolled: 9-line block ×3, first 2 shown]
	v_cvt_f32_i32_dpp v28, v28 row_shr:1 row_mask:0xf bank_mask:0xf bound_ctrl:1
	v_cvt_f32_i32_dpp v42, v31 row_shr:1 row_mask:0xf bank_mask:0xf bound_ctrl:1
	s_delay_alu instid0(VALU_DEP_2) | instskip(NEXT) | instid1(VALU_DEP_2)
	v_add_f32_e32 v31, v8, v28
	v_dual_add_f32 v25, v12, v42 :: v_dual_add_f32 v8, v21, v47
	ds_bpermute_b32 v47, v5, v39
	ds_bpermute_b32 v21, v5, v17
	;; [unrolled: 1-line block ×5, first 2 shown]
	s_and_saveexec_b32 s5, s0
	s_cbranch_execz .LBB139_54
; %bb.31:                               ;   in Loop: Header=BB139_12 Depth=1
	v_dual_mov_b32 v77, 0 :: v_dual_add_nc_u32 v6, 2, v41
	v_dual_mov_b32 v76, 0 :: v_dual_add_nc_u32 v5, 3, v41
	v_dual_mov_b32 v75, 0 :: v_dual_mov_b32 v74, 0
	v_dual_mov_b32 v73, 0 :: v_dual_mov_b32 v72, 0
	;; [unrolled: 1-line block ×8, first 2 shown]
	s_waitcnt vmcnt(0)
	v_dual_mov_b32 v52, 0 :: v_dual_mov_b32 v51, 0
	s_and_not1_b32 vcc_lo, exec_lo, s30
	s_cbranch_vccnz .LBB139_33
; %bb.32:                               ;   in Loop: Header=BB139_12 Depth=1
	v_mul_hi_u32 v42, v41, v59
	v_mul_hi_u32 v52, v6, v59
	v_add_nc_u32_e32 v51, 1, v41
	v_mul_hi_u32 v60, v5, v59
	v_mov_b32_e32 v75, v43
	v_mov_b32_e32 v79, v43
	;; [unrolled: 1-line block ×4, first 2 shown]
	v_mul_lo_u32 v42, v42, s8
	v_mul_lo_u32 v62, v52, s8
	v_mov_b32_e32 v52, v43
	v_mul_hi_u32 v61, v51, v59
	v_mul_lo_u32 v60, v60, s8
	v_mov_b32_e32 v91, v43
	v_mov_b32_e32 v89, v43
	v_sub_nc_u32_e32 v42, v41, v42
	v_sub_nc_u32_e32 v62, v6, v62
	v_mul_lo_u32 v64, v61, s8
	v_sub_nc_u32_e32 v60, v5, v60
	s_delay_alu instid0(VALU_DEP_4) | instskip(SKIP_2) | instid1(VALU_DEP_4)
	v_subrev_nc_u32_e32 v65, s8, v42
	v_cmp_le_u32_e32 vcc_lo, s8, v42
	v_mov_b32_e32 v61, v43
	v_subrev_nc_u32_e32 v66, s8, v60
	s_delay_alu instid0(VALU_DEP_4) | instskip(SKIP_4) | instid1(VALU_DEP_4)
	v_cndmask_b32_e32 v42, v42, v65, vcc_lo
	v_sub_nc_u32_e32 v51, v51, v64
	v_subrev_nc_u32_e32 v64, s8, v62
	v_cmp_le_u32_e32 vcc_lo, s8, v62
	v_mov_b32_e32 v63, v43
	v_subrev_nc_u32_e32 v65, s8, v51
	s_delay_alu instid0(VALU_DEP_4)
	v_cndmask_b32_e32 v62, v62, v64, vcc_lo
	v_cmp_le_u32_e32 vcc_lo, s8, v60
	v_cndmask_b32_e32 v64, v60, v66, vcc_lo
	v_cmp_le_u32_e32 vcc_lo, s8, v51
	v_subrev_nc_u32_e32 v60, s8, v42
	v_cndmask_b32_e32 v51, v51, v65, vcc_lo
	v_cmp_le_u32_e32 vcc_lo, s8, v42
	v_subrev_nc_u32_e32 v65, s8, v62
	v_subrev_nc_u32_e32 v66, s8, v64
	s_delay_alu instid0(VALU_DEP_4)
	v_subrev_nc_u32_e32 v67, s8, v51
	v_cndmask_b32_e32 v42, v42, v60, vcc_lo
	v_cmp_le_u32_e32 vcc_lo, s8, v62
	v_cndmask_b32_e32 v60, v62, v65, vcc_lo
	v_cmp_le_u32_e32 vcc_lo, s8, v64
	;; [unrolled: 2-line block ×3, first 2 shown]
	s_delay_alu instid0(VALU_DEP_2)
	v_lshlrev_b64 v[68:69], 1, v[62:63]
	v_cndmask_b32_e32 v51, v51, v67, vcc_lo
	v_lshlrev_b64 v[64:65], 1, v[42:43]
	v_add_nc_u32_e32 v63, s33, v42
	v_lshlrev_b64 v[66:67], 1, v[60:61]
	v_add_nc_u32_e32 v76, s33, v60
	;; [unrolled: 2-line block ×3, first 2 shown]
	v_add_co_u32 v72, vcc_lo, s14, v64
	v_mov_b32_e32 v64, v43
	v_add_co_ci_u32_e32 v73, vcc_lo, s15, v65, vcc_lo
	v_add_co_u32 v70, vcc_lo, s14, v70
	v_add_co_ci_u32_e32 v71, vcc_lo, s15, v71, vcc_lo
	v_add_co_u32 v65, vcc_lo, s14, v66
	v_lshlrev_b64 v[63:64], 1, v[63:64]
	v_add_co_ci_u32_e32 v66, vcc_lo, s15, v67, vcc_lo
	v_add_co_u32 v67, vcc_lo, s14, v68
	v_lshlrev_b64 v[74:75], 1, v[74:75]
	;; [unrolled: 3-line block ×3, first 2 shown]
	v_add_nc_u32_e32 v78, s33, v62
	v_add_co_ci_u32_e32 v64, vcc_lo, s15, v64, vcc_lo
	v_add_co_u32 v80, vcc_lo, s14, v74
	v_add_co_ci_u32_e32 v81, vcc_lo, s15, v75, vcc_lo
	s_delay_alu instid0(VALU_DEP_4)
	v_lshlrev_b64 v[74:75], 1, v[78:79]
	v_add_co_u32 v78, vcc_lo, s14, v76
	v_add_co_ci_u32_e32 v79, vcc_lo, s15, v77, vcc_lo
	v_dual_mov_b32 v77, v43 :: v_dual_add_nc_u32 v76, s34, v42
	v_add_nc_u32_e32 v86, s34, v51
	v_add_co_u32 v82, vcc_lo, s14, v74
	v_add_co_ci_u32_e32 v83, vcc_lo, s15, v75, vcc_lo
	s_delay_alu instid0(VALU_DEP_4)
	v_lshlrev_b64 v[84:85], 1, v[76:77]
	s_clause 0x7
	global_load_u16 v77, v[72:73], off
	global_load_u16 v76, v[70:71], off
	;; [unrolled: 1-line block ×8, first 2 shown]
	v_dual_mov_b32 v79, v43 :: v_dual_add_nc_u32 v78, s34, v60
	v_mov_b32_e32 v83, v43
	v_lshlrev_b64 v[63:64], 1, v[86:87]
	v_add_nc_u32_e32 v82, s34, v62
	v_add_co_u32 v80, vcc_lo, s14, v84
	v_lshlrev_b64 v[78:79], 1, v[78:79]
	v_add_co_ci_u32_e32 v81, vcc_lo, s15, v85, vcc_lo
	v_dual_mov_b32 v85, v43 :: v_dual_add_nc_u32 v84, s35, v42
	v_add_co_u32 v63, vcc_lo, s14, v63
	v_lshlrev_b64 v[82:83], 1, v[82:83]
	v_add_nc_u32_e32 v86, s35, v51
	v_add_co_ci_u32_e32 v64, vcc_lo, s15, v64, vcc_lo
	v_add_co_u32 v78, vcc_lo, s14, v78
	v_lshlrev_b64 v[84:85], 1, v[84:85]
	v_add_nc_u32_e32 v88, s35, v60
	v_add_co_ci_u32_e32 v79, vcc_lo, s15, v79, vcc_lo
	;; [unrolled: 4-line block ×4, first 2 shown]
	v_add_co_u32 v86, vcc_lo, s14, v86
	v_lshlrev_b64 v[90:91], 1, v[90:91]
	v_add_co_ci_u32_e32 v87, vcc_lo, s15, v87, vcc_lo
	v_add_co_u32 v88, vcc_lo, s14, v88
	v_lshlrev_b64 v[92:93], 1, v[42:43]
	v_add_nc_u32_e32 v42, s40, v51
	v_add_co_ci_u32_e32 v89, vcc_lo, s15, v89, vcc_lo
	v_add_co_u32 v51, vcc_lo, s14, v90
	v_add_co_ci_u32_e32 v52, vcc_lo, s15, v91, vcc_lo
	s_delay_alu instid0(VALU_DEP_4) | instskip(SKIP_3) | instid1(VALU_DEP_3)
	v_lshlrev_b64 v[90:91], 1, v[42:43]
	v_add_nc_u32_e32 v42, s40, v60
	v_add_co_u32 v60, vcc_lo, s14, v92
	v_add_co_ci_u32_e32 v61, vcc_lo, s15, v93, vcc_lo
	v_lshlrev_b64 v[92:93], 1, v[42:43]
	v_add_nc_u32_e32 v42, s40, v62
	v_add_co_u32 v90, vcc_lo, s14, v90
	v_add_co_ci_u32_e32 v91, vcc_lo, s15, v91, vcc_lo
	s_delay_alu instid0(VALU_DEP_3) | instskip(SKIP_2) | instid1(VALU_DEP_3)
	v_lshlrev_b64 v[94:95], 1, v[42:43]
	v_add_co_u32 v92, vcc_lo, s14, v92
	v_add_co_ci_u32_e32 v93, vcc_lo, s15, v93, vcc_lo
	v_add_co_u32 v94, vcc_lo, s14, v94
	s_delay_alu instid0(VALU_DEP_4)
	v_add_co_ci_u32_e32 v95, vcc_lo, s15, v95, vcc_lo
	s_clause 0xb
	global_load_u16 v74, v[80:81], off
	global_load_u16 v72, v[63:64], off
	;; [unrolled: 1-line block ×12, first 2 shown]
.LBB139_33:                             ;   in Loop: Header=BB139_12 Depth=1
	v_cmp_ne_u32_e32 vcc_lo, 0, v1
	s_and_saveexec_b32 s2, vcc_lo
	s_cbranch_execnz .LBB139_59
; %bb.34:                               ;   in Loop: Header=BB139_12 Depth=1
	s_or_b32 exec_lo, exec_lo, s2
	v_cmp_ne_u32_e64 s1, 0, v2
	s_delay_alu instid0(VALU_DEP_1)
	s_and_saveexec_b32 s3, s1
	s_cbranch_execnz .LBB139_60
.LBB139_35:                             ;   in Loop: Header=BB139_12 Depth=1
	s_or_b32 exec_lo, exec_lo, s3
	v_cmp_ne_u32_e64 s2, 0, v3
	s_delay_alu instid0(VALU_DEP_1)
	s_and_saveexec_b32 s4, s2
	s_cbranch_execnz .LBB139_61
.LBB139_36:                             ;   in Loop: Header=BB139_12 Depth=1
	s_or_b32 exec_lo, exec_lo, s4
	v_cmp_ne_u32_e64 s3, 0, v4
	s_delay_alu instid0(VALU_DEP_1)
	s_and_saveexec_b32 s43, s3
	s_cbranch_execnz .LBB139_62
.LBB139_37:                             ;   in Loop: Header=BB139_12 Depth=1
	s_or_b32 exec_lo, exec_lo, s43
	v_add_nc_u32_e32 v42, s19, v41
	s_and_saveexec_b32 s43, vcc_lo
	s_cbranch_execnz .LBB139_63
.LBB139_38:                             ;   in Loop: Header=BB139_12 Depth=1
	s_or_b32 exec_lo, exec_lo, s43
	s_and_saveexec_b32 s43, s1
	s_cbranch_execnz .LBB139_64
.LBB139_39:                             ;   in Loop: Header=BB139_12 Depth=1
	s_or_b32 exec_lo, exec_lo, s43
	s_and_saveexec_b32 s43, s2
	s_cbranch_execnz .LBB139_65
.LBB139_40:                             ;   in Loop: Header=BB139_12 Depth=1
	s_or_b32 exec_lo, exec_lo, s43
	s_and_saveexec_b32 s43, s3
	s_cbranch_execnz .LBB139_66
.LBB139_41:                             ;   in Loop: Header=BB139_12 Depth=1
	s_or_b32 exec_lo, exec_lo, s43
	v_add_nc_u32_e32 v42, s19, v42
	s_and_saveexec_b32 s43, vcc_lo
	s_cbranch_execnz .LBB139_67
.LBB139_42:                             ;   in Loop: Header=BB139_12 Depth=1
	s_or_b32 exec_lo, exec_lo, s43
	s_and_saveexec_b32 s43, s1
	s_cbranch_execnz .LBB139_68
.LBB139_43:                             ;   in Loop: Header=BB139_12 Depth=1
	s_or_b32 exec_lo, exec_lo, s43
	s_and_saveexec_b32 s43, s2
	s_cbranch_execnz .LBB139_69
.LBB139_44:                             ;   in Loop: Header=BB139_12 Depth=1
	s_or_b32 exec_lo, exec_lo, s43
	s_and_saveexec_b32 s43, s3
	s_cbranch_execnz .LBB139_70
.LBB139_45:                             ;   in Loop: Header=BB139_12 Depth=1
	s_or_b32 exec_lo, exec_lo, s43
	v_add_nc_u32_e32 v42, s19, v42
	s_and_saveexec_b32 s43, vcc_lo
	s_cbranch_execnz .LBB139_71
.LBB139_46:                             ;   in Loop: Header=BB139_12 Depth=1
	s_or_b32 exec_lo, exec_lo, s43
	s_and_saveexec_b32 s43, s1
	s_cbranch_execnz .LBB139_72
.LBB139_47:                             ;   in Loop: Header=BB139_12 Depth=1
	s_or_b32 exec_lo, exec_lo, s43
	s_and_saveexec_b32 s43, s2
	s_cbranch_execnz .LBB139_73
.LBB139_48:                             ;   in Loop: Header=BB139_12 Depth=1
	s_or_b32 exec_lo, exec_lo, s43
	s_and_saveexec_b32 s43, s3
	s_cbranch_execnz .LBB139_74
.LBB139_49:                             ;   in Loop: Header=BB139_12 Depth=1
	s_or_b32 exec_lo, exec_lo, s43
	v_add_nc_u32_e32 v42, s19, v42
	s_and_saveexec_b32 s4, vcc_lo
	s_cbranch_execnz .LBB139_75
.LBB139_50:                             ;   in Loop: Header=BB139_12 Depth=1
	s_or_b32 exec_lo, exec_lo, s4
	s_and_saveexec_b32 s4, s1
	s_cbranch_execnz .LBB139_76
.LBB139_51:                             ;   in Loop: Header=BB139_12 Depth=1
	s_or_b32 exec_lo, exec_lo, s4
	s_and_saveexec_b32 s1, s2
	s_cbranch_execnz .LBB139_77
.LBB139_52:                             ;   in Loop: Header=BB139_12 Depth=1
	s_or_b32 exec_lo, exec_lo, s1
	s_delay_alu instid0(SALU_CYCLE_1)
	s_and_b32 exec_lo, exec_lo, s3
	s_cbranch_execz .LBB139_54
.LBB139_53:                             ;   in Loop: Header=BB139_12 Depth=1
	s_waitcnt lgkmcnt(0)
	v_dual_add_f32 v5, v8, v12 :: v_dual_add_nc_u32 v42, 3, v42
	s_waitcnt vmcnt(0)
	v_cvt_f32_f16_e32 v6, v51
	s_delay_alu instid0(VALU_DEP_1) | instskip(NEXT) | instid1(VALU_DEP_3)
	v_add_f32_e32 v7, v5, v6
	v_lshlrev_b64 v[5:6], 1, v[42:43]
	s_delay_alu instid0(VALU_DEP_2) | instskip(NEXT) | instid1(VALU_DEP_2)
	v_cvt_f16_f32_e32 v7, v7
	v_add_co_u32 v5, vcc_lo, s6, v5
	s_delay_alu instid0(VALU_DEP_3)
	v_add_co_ci_u32_e32 v6, vcc_lo, s7, v6, vcc_lo
	global_store_b16 v[5:6], v7, off
.LBB139_54:                             ;   in Loop: Header=BB139_12 Depth=1
	s_or_b32 exec_lo, exec_lo, s5
	v_add_nc_u32_e32 v41, s29, v41
	s_delay_alu instid0(VALU_DEP_1) | instskip(SKIP_1) | instid1(VALU_DEP_2)
	v_add_nc_u32_e32 v5, 4, v41
	v_cmp_gt_u32_e32 vcc_lo, s19, v41
	v_cmp_le_u32_e64 s1, s19, v5
	s_delay_alu instid0(VALU_DEP_1) | instskip(NEXT) | instid1(SALU_CYCLE_1)
	s_and_b32 s1, vcc_lo, s1
	s_and_saveexec_b32 s43, s1
	s_cbranch_execz .LBB139_10
; %bb.55:                               ;   in Loop: Header=BB139_12 Depth=1
	s_mov_b32 s44, exec_lo
	v_cmpx_ne_u32_e64 s31, v41
	s_cbranch_execz .LBB139_9
; %bb.56:                               ;   in Loop: Header=BB139_12 Depth=1
	v_subrev_nc_u32_e32 v5, s31, v41
	s_mov_b32 s45, 0
	s_mov_b64 s[4:5], 0
	s_delay_alu instid0(VALU_DEP_1)
	v_cmp_lt_u32_e32 vcc_lo, 1, v5
	v_cndmask_b32_e32 v5, 1, v5, vcc_lo
	.p2align	6
.LBB139_57:                             ;   Parent Loop BB139_12 Depth=1
                                        ; =>  This Inner Loop Header: Depth=2
	s_cmp_lg_u32 s4, 3
	s_cselect_b32 vcc_lo, -1, 0
	s_cmp_lg_u32 s4, 2
	v_cndmask_b32_e32 v4, 0, v4, vcc_lo
	s_cselect_b32 s1, -1, 0
	s_cmp_lg_u32 s4, 1
	v_cndmask_b32_e64 v3, 0, v3, s1
	s_cselect_b32 s2, -1, 0
	s_cmp_lg_u32 s4, 0
	v_cndmask_b32_e64 v2, 0, v2, s2
	s_cselect_b32 s3, -1, 0
	s_add_u32 s4, s4, 1
	v_cndmask_b32_e64 v1, 0, v1, s3
	v_cmp_eq_u32_e32 vcc_lo, s4, v5
	s_addc_u32 s5, s5, 0
	s_or_b32 s45, vcc_lo, s45
	s_delay_alu instid0(SALU_CYCLE_1)
	s_and_not1_b32 exec_lo, exec_lo, s45
	s_cbranch_execnz .LBB139_57
; %bb.58:                               ;   in Loop: Header=BB139_12 Depth=1
	s_or_b32 exec_lo, exec_lo, s45
	s_branch .LBB139_9
.LBB139_59:                             ;   in Loop: Header=BB139_12 Depth=1
	s_waitcnt lgkmcnt(19)
	v_dual_add_f32 v45, v45, v49 :: v_dual_mov_b32 v42, v43
	s_waitcnt vmcnt(19)
	v_cvt_f32_f16_e32 v49, v77
	s_delay_alu instid0(VALU_DEP_2) | instskip(NEXT) | instid1(VALU_DEP_2)
	v_lshlrev_b64 v[77:78], 1, v[41:42]
	v_add_f32_e32 v45, v45, v49
	s_delay_alu instid0(VALU_DEP_1) | instskip(NEXT) | instid1(VALU_DEP_3)
	v_cvt_f16_f32_e32 v42, v45
	v_add_co_u32 v77, s1, s6, v77
	s_delay_alu instid0(VALU_DEP_1) | instskip(SKIP_3) | instid1(VALU_DEP_1)
	v_add_co_ci_u32_e64 v78, s1, s7, v78, s1
	global_store_b16 v[77:78], v42, off
	s_or_b32 exec_lo, exec_lo, s2
	v_cmp_ne_u32_e64 s1, 0, v2
	s_and_saveexec_b32 s3, s1
	s_cbranch_execz .LBB139_35
.LBB139_60:                             ;   in Loop: Header=BB139_12 Depth=1
	s_waitcnt lgkmcnt(18)
	v_dual_add_f32 v33, v33, v37 :: v_dual_mov_b32 v42, v43
	s_waitcnt vmcnt(18)
	v_cvt_f32_f16_e32 v37, v76
	s_delay_alu instid0(VALU_DEP_2) | instskip(NEXT) | instid1(VALU_DEP_2)
	v_lshlrev_b64 v[76:77], 1, v[41:42]
	v_add_f32_e32 v33, v33, v37
	s_delay_alu instid0(VALU_DEP_1) | instskip(NEXT) | instid1(VALU_DEP_3)
	v_cvt_f16_f32_e32 v33, v33
	v_add_co_u32 v76, s2, s36, v76
	s_delay_alu instid0(VALU_DEP_1) | instskip(SKIP_3) | instid1(VALU_DEP_1)
	v_add_co_ci_u32_e64 v77, s2, s37, v77, s2
	global_store_b16 v[76:77], v33, off
	s_or_b32 exec_lo, exec_lo, s3
	v_cmp_ne_u32_e64 s2, 0, v3
	s_and_saveexec_b32 s4, s2
	s_cbranch_execz .LBB139_36
.LBB139_61:                             ;   in Loop: Header=BB139_12 Depth=1
	s_waitcnt lgkmcnt(17)
	v_add_f32_e32 v29, v7, v29
	v_mov_b32_e32 v7, v43
	s_waitcnt vmcnt(17)
	v_cvt_f32_f16_e32 v33, v75
	s_delay_alu instid0(VALU_DEP_2) | instskip(NEXT) | instid1(VALU_DEP_2)
	v_lshlrev_b64 v[6:7], 1, v[6:7]
	v_add_f32_e32 v29, v29, v33
	s_delay_alu instid0(VALU_DEP_1) | instskip(NEXT) | instid1(VALU_DEP_3)
	v_cvt_f16_f32_e32 v29, v29
	v_add_co_u32 v6, s3, s6, v6
	s_delay_alu instid0(VALU_DEP_1) | instskip(SKIP_3) | instid1(VALU_DEP_1)
	v_add_co_ci_u32_e64 v7, s3, s7, v7, s3
	global_store_b16 v[6:7], v29, off
	s_or_b32 exec_lo, exec_lo, s4
	v_cmp_ne_u32_e64 s3, 0, v4
	s_and_saveexec_b32 s43, s3
	s_cbranch_execz .LBB139_37
.LBB139_62:                             ;   in Loop: Header=BB139_12 Depth=1
	s_waitcnt lgkmcnt(16)
	v_dual_add_f32 v7, v18, v22 :: v_dual_mov_b32 v6, v43
	s_waitcnt vmcnt(16)
	v_cvt_f32_f16_e32 v18, v73
	s_delay_alu instid0(VALU_DEP_2) | instskip(NEXT) | instid1(VALU_DEP_2)
	v_lshlrev_b64 v[5:6], 1, v[5:6]
	v_add_f32_e32 v7, v7, v18
	s_delay_alu instid0(VALU_DEP_1) | instskip(NEXT) | instid1(VALU_DEP_3)
	v_cvt_f16_f32_e32 v7, v7
	v_add_co_u32 v5, s4, s6, v5
	s_delay_alu instid0(VALU_DEP_1)
	v_add_co_ci_u32_e64 v6, s4, s7, v6, s4
	global_store_b16 v[5:6], v7, off
	s_or_b32 exec_lo, exec_lo, s43
	v_add_nc_u32_e32 v42, s19, v41
	s_and_saveexec_b32 s43, vcc_lo
	s_cbranch_execz .LBB139_38
.LBB139_63:                             ;   in Loop: Header=BB139_12 Depth=1
	s_waitcnt lgkmcnt(15)
	v_add_f32_e32 v5, v9, v13
	s_waitcnt vmcnt(15)
	v_cvt_f32_f16_e32 v6, v71
	s_delay_alu instid0(VALU_DEP_1) | instskip(SKIP_1) | instid1(VALU_DEP_2)
	v_add_f32_e32 v7, v5, v6
	v_lshlrev_b64 v[5:6], 1, v[42:43]
	v_cvt_f16_f32_e32 v7, v7
	s_delay_alu instid0(VALU_DEP_2) | instskip(NEXT) | instid1(VALU_DEP_1)
	v_add_co_u32 v5, s4, s6, v5
	v_add_co_ci_u32_e64 v6, s4, s7, v6, s4
	global_store_b16 v[5:6], v7, off
	s_or_b32 exec_lo, exec_lo, s43
	s_and_saveexec_b32 s43, s1
	s_cbranch_execz .LBB139_39
.LBB139_64:                             ;   in Loop: Header=BB139_12 Depth=1
	s_waitcnt lgkmcnt(13)
	v_dual_add_f32 v7, v46, v50 :: v_dual_mov_b32 v6, v43
	v_add_nc_u32_e32 v5, 1, v42
	s_waitcnt vmcnt(14)
	v_cvt_f32_f16_e32 v9, v69
	s_delay_alu instid0(VALU_DEP_2) | instskip(NEXT) | instid1(VALU_DEP_2)
	v_lshlrev_b64 v[5:6], 1, v[5:6]
	v_add_f32_e32 v7, v7, v9
	s_delay_alu instid0(VALU_DEP_1) | instskip(NEXT) | instid1(VALU_DEP_3)
	v_cvt_f16_f32_e32 v7, v7
	v_add_co_u32 v5, s4, s6, v5
	s_delay_alu instid0(VALU_DEP_1)
	v_add_co_ci_u32_e64 v6, s4, s7, v6, s4
	global_store_b16 v[5:6], v7, off
	s_or_b32 exec_lo, exec_lo, s43
	s_and_saveexec_b32 s43, s2
	s_cbranch_execz .LBB139_40
.LBB139_65:                             ;   in Loop: Header=BB139_12 Depth=1
	s_waitcnt lgkmcnt(11)
	v_dual_add_f32 v7, v34, v38 :: v_dual_mov_b32 v6, v43
	v_add_nc_u32_e32 v5, 2, v42
	s_waitcnt vmcnt(13)
	v_cvt_f32_f16_e32 v9, v67
	s_delay_alu instid0(VALU_DEP_2) | instskip(NEXT) | instid1(VALU_DEP_2)
	v_lshlrev_b64 v[5:6], 1, v[5:6]
	v_add_f32_e32 v7, v7, v9
	s_delay_alu instid0(VALU_DEP_1) | instskip(NEXT) | instid1(VALU_DEP_3)
	v_cvt_f16_f32_e32 v7, v7
	v_add_co_u32 v5, s4, s6, v5
	s_delay_alu instid0(VALU_DEP_1)
	v_add_co_ci_u32_e64 v6, s4, s7, v6, s4
	global_store_b16 v[5:6], v7, off
	s_or_b32 exec_lo, exec_lo, s43
	s_and_saveexec_b32 s43, s3
	s_cbranch_execz .LBB139_41
.LBB139_66:                             ;   in Loop: Header=BB139_12 Depth=1
	s_waitcnt lgkmcnt(7)
	v_dual_add_f32 v7, v26, v30 :: v_dual_mov_b32 v6, v43
	v_add_nc_u32_e32 v5, 3, v42
	s_waitcnt vmcnt(12)
	v_cvt_f32_f16_e32 v9, v65
	s_delay_alu instid0(VALU_DEP_2) | instskip(NEXT) | instid1(VALU_DEP_2)
	v_lshlrev_b64 v[5:6], 1, v[5:6]
	v_add_f32_e32 v7, v7, v9
	s_delay_alu instid0(VALU_DEP_1) | instskip(NEXT) | instid1(VALU_DEP_3)
	v_cvt_f16_f32_e32 v7, v7
	v_add_co_u32 v5, s4, s6, v5
	s_delay_alu instid0(VALU_DEP_1)
	v_add_co_ci_u32_e64 v6, s4, s7, v6, s4
	global_store_b16 v[5:6], v7, off
	s_or_b32 exec_lo, exec_lo, s43
	v_add_nc_u32_e32 v42, s19, v42
	s_and_saveexec_b32 s43, vcc_lo
	s_cbranch_execz .LBB139_42
.LBB139_67:                             ;   in Loop: Header=BB139_12 Depth=1
	s_waitcnt lgkmcnt(10)
	v_add_f32_e32 v5, v16, v20
	s_waitcnt vmcnt(11)
	v_cvt_f32_f16_e32 v6, v74
	s_delay_alu instid0(VALU_DEP_1) | instskip(SKIP_1) | instid1(VALU_DEP_2)
	v_add_f32_e32 v7, v5, v6
	v_lshlrev_b64 v[5:6], 1, v[42:43]
	v_cvt_f16_f32_e32 v7, v7
	s_delay_alu instid0(VALU_DEP_2) | instskip(NEXT) | instid1(VALU_DEP_1)
	v_add_co_u32 v5, s4, s6, v5
	v_add_co_ci_u32_e64 v6, s4, s7, v6, s4
	global_store_b16 v[5:6], v7, off
	s_or_b32 exec_lo, exec_lo, s43
	s_and_saveexec_b32 s43, s1
	s_cbranch_execz .LBB139_43
.LBB139_68:                             ;   in Loop: Header=BB139_12 Depth=1
	v_dual_mov_b32 v6, v43 :: v_dual_add_nc_u32 v5, 1, v42
	s_waitcnt lgkmcnt(12)
	v_add_f32_e32 v7, v11, v15
	s_waitcnt vmcnt(10)
	v_cvt_f32_f16_e32 v9, v72
	v_lshlrev_b64 v[5:6], 1, v[5:6]
	s_delay_alu instid0(VALU_DEP_2) | instskip(NEXT) | instid1(VALU_DEP_2)
	v_add_f32_e32 v7, v7, v9
	v_add_co_u32 v5, s4, s6, v5
	s_delay_alu instid0(VALU_DEP_2) | instskip(NEXT) | instid1(VALU_DEP_4)
	v_cvt_f16_f32_e32 v7, v7
	v_add_co_ci_u32_e64 v6, s4, s7, v6, s4
	global_store_b16 v[5:6], v7, off
	s_or_b32 exec_lo, exec_lo, s43
	s_and_saveexec_b32 s43, s2
	s_cbranch_execz .LBB139_44
.LBB139_69:                             ;   in Loop: Header=BB139_12 Depth=1
	s_waitcnt lgkmcnt(14)
	v_dual_add_f32 v7, v40, v48 :: v_dual_mov_b32 v6, v43
	v_add_nc_u32_e32 v5, 2, v42
	s_waitcnt vmcnt(9)
	v_cvt_f32_f16_e32 v9, v70
	s_delay_alu instid0(VALU_DEP_2) | instskip(NEXT) | instid1(VALU_DEP_2)
	v_lshlrev_b64 v[5:6], 1, v[5:6]
	v_add_f32_e32 v7, v7, v9
	s_delay_alu instid0(VALU_DEP_1) | instskip(NEXT) | instid1(VALU_DEP_3)
	v_cvt_f16_f32_e32 v7, v7
	v_add_co_u32 v5, s4, s6, v5
	s_delay_alu instid0(VALU_DEP_1)
	v_add_co_ci_u32_e64 v6, s4, s7, v6, s4
	global_store_b16 v[5:6], v7, off
	s_or_b32 exec_lo, exec_lo, s43
	s_and_saveexec_b32 s43, s3
	s_cbranch_execz .LBB139_45
.LBB139_70:                             ;   in Loop: Header=BB139_12 Depth=1
	s_waitcnt lgkmcnt(6)
	v_dual_add_f32 v7, v32, v36 :: v_dual_mov_b32 v6, v43
	v_add_nc_u32_e32 v5, 3, v42
	s_waitcnt vmcnt(8)
	v_cvt_f32_f16_e32 v9, v68
	s_delay_alu instid0(VALU_DEP_2) | instskip(NEXT) | instid1(VALU_DEP_2)
	v_lshlrev_b64 v[5:6], 1, v[5:6]
	v_add_f32_e32 v7, v7, v9
	s_delay_alu instid0(VALU_DEP_1) | instskip(NEXT) | instid1(VALU_DEP_3)
	v_cvt_f16_f32_e32 v7, v7
	v_add_co_u32 v5, s4, s6, v5
	s_delay_alu instid0(VALU_DEP_1)
	v_add_co_ci_u32_e64 v6, s4, s7, v6, s4
	global_store_b16 v[5:6], v7, off
	s_or_b32 exec_lo, exec_lo, s43
	v_add_nc_u32_e32 v42, s19, v42
	s_and_saveexec_b32 s43, vcc_lo
	s_cbranch_execz .LBB139_46
.LBB139_71:                             ;   in Loop: Header=BB139_12 Depth=1
	s_waitcnt lgkmcnt(9)
	v_add_f32_e32 v5, v24, v27
	s_waitcnt vmcnt(7)
	v_cvt_f32_f16_e32 v6, v66
	s_delay_alu instid0(VALU_DEP_1) | instskip(SKIP_1) | instid1(VALU_DEP_2)
	v_add_f32_e32 v7, v5, v6
	v_lshlrev_b64 v[5:6], 1, v[42:43]
	v_cvt_f16_f32_e32 v7, v7
	s_delay_alu instid0(VALU_DEP_2) | instskip(NEXT) | instid1(VALU_DEP_1)
	v_add_co_u32 v5, s4, s6, v5
	v_add_co_ci_u32_e64 v6, s4, s7, v6, s4
	global_store_b16 v[5:6], v7, off
	s_or_b32 exec_lo, exec_lo, s43
	s_and_saveexec_b32 s43, s1
	s_cbranch_execz .LBB139_47
.LBB139_72:                             ;   in Loop: Header=BB139_12 Depth=1
	v_dual_mov_b32 v6, v43 :: v_dual_add_nc_u32 v5, 1, v42
	s_waitcnt lgkmcnt(5)
	v_add_f32_e32 v7, v19, v23
	s_waitcnt vmcnt(6)
	v_cvt_f32_f16_e32 v9, v64
	v_lshlrev_b64 v[5:6], 1, v[5:6]
	s_delay_alu instid0(VALU_DEP_2) | instskip(NEXT) | instid1(VALU_DEP_2)
	v_add_f32_e32 v7, v7, v9
	v_add_co_u32 v5, s4, s6, v5
	s_delay_alu instid0(VALU_DEP_2) | instskip(NEXT) | instid1(VALU_DEP_4)
	v_cvt_f16_f32_e32 v7, v7
	v_add_co_ci_u32_e64 v6, s4, s7, v6, s4
	global_store_b16 v[5:6], v7, off
	s_or_b32 exec_lo, exec_lo, s43
	s_and_saveexec_b32 s43, s2
	s_cbranch_execz .LBB139_48
.LBB139_73:                             ;   in Loop: Header=BB139_12 Depth=1
	s_waitcnt lgkmcnt(8)
	v_dual_add_f32 v7, v10, v14 :: v_dual_mov_b32 v6, v43
	v_add_nc_u32_e32 v5, 2, v42
	s_waitcnt vmcnt(5)
	v_cvt_f32_f16_e32 v9, v63
	s_delay_alu instid0(VALU_DEP_2) | instskip(NEXT) | instid1(VALU_DEP_2)
	v_lshlrev_b64 v[5:6], 1, v[5:6]
	v_add_f32_e32 v7, v7, v9
	s_delay_alu instid0(VALU_DEP_1) | instskip(NEXT) | instid1(VALU_DEP_3)
	v_cvt_f16_f32_e32 v7, v7
	v_add_co_u32 v5, s4, s6, v5
	s_delay_alu instid0(VALU_DEP_1)
	v_add_co_ci_u32_e64 v6, s4, s7, v6, s4
	global_store_b16 v[5:6], v7, off
	s_or_b32 exec_lo, exec_lo, s43
	s_and_saveexec_b32 s43, s3
	s_cbranch_execz .LBB139_49
.LBB139_74:                             ;   in Loop: Header=BB139_12 Depth=1
	v_dual_mov_b32 v6, v43 :: v_dual_add_nc_u32 v5, 3, v42
	s_waitcnt lgkmcnt(4)
	v_add_f32_e32 v7, v39, v47
	s_waitcnt vmcnt(4)
	v_cvt_f32_f16_e32 v9, v62
	v_lshlrev_b64 v[5:6], 1, v[5:6]
	s_delay_alu instid0(VALU_DEP_2) | instskip(NEXT) | instid1(VALU_DEP_2)
	v_add_f32_e32 v7, v7, v9
	v_add_co_u32 v5, s4, s6, v5
	s_delay_alu instid0(VALU_DEP_2) | instskip(NEXT) | instid1(VALU_DEP_4)
	v_cvt_f16_f32_e32 v7, v7
	v_add_co_ci_u32_e64 v6, s4, s7, v6, s4
	global_store_b16 v[5:6], v7, off
	s_or_b32 exec_lo, exec_lo, s43
	v_add_nc_u32_e32 v42, s19, v42
	s_and_saveexec_b32 s4, vcc_lo
	s_cbranch_execz .LBB139_50
.LBB139_75:                             ;   in Loop: Header=BB139_12 Depth=1
	s_waitcnt lgkmcnt(2)
	v_add_f32_e32 v5, v31, v35
	s_waitcnt vmcnt(3)
	v_cvt_f32_f16_e32 v6, v61
	s_delay_alu instid0(VALU_DEP_1) | instskip(SKIP_1) | instid1(VALU_DEP_2)
	v_add_f32_e32 v7, v5, v6
	v_lshlrev_b64 v[5:6], 1, v[42:43]
	v_cvt_f16_f32_e32 v7, v7
	s_delay_alu instid0(VALU_DEP_2) | instskip(NEXT) | instid1(VALU_DEP_3)
	v_add_co_u32 v5, vcc_lo, s6, v5
	v_add_co_ci_u32_e32 v6, vcc_lo, s7, v6, vcc_lo
	global_store_b16 v[5:6], v7, off
	s_or_b32 exec_lo, exec_lo, s4
	s_and_saveexec_b32 s4, s1
	s_cbranch_execz .LBB139_51
.LBB139_76:                             ;   in Loop: Header=BB139_12 Depth=1
	s_waitcnt lgkmcnt(1)
	v_dual_add_f32 v7, v25, v28 :: v_dual_mov_b32 v6, v43
	v_add_nc_u32_e32 v5, 1, v42
	s_waitcnt vmcnt(2)
	v_cvt_f32_f16_e32 v9, v60
	s_delay_alu instid0(VALU_DEP_2) | instskip(NEXT) | instid1(VALU_DEP_2)
	v_lshlrev_b64 v[5:6], 1, v[5:6]
	v_add_f32_e32 v7, v7, v9
	s_delay_alu instid0(VALU_DEP_1) | instskip(NEXT) | instid1(VALU_DEP_3)
	v_cvt_f16_f32_e32 v7, v7
	v_add_co_u32 v5, vcc_lo, s6, v5
	s_delay_alu instid0(VALU_DEP_4)
	v_add_co_ci_u32_e32 v6, vcc_lo, s7, v6, vcc_lo
	global_store_b16 v[5:6], v7, off
	s_or_b32 exec_lo, exec_lo, s4
	s_and_saveexec_b32 s1, s2
	s_cbranch_execz .LBB139_52
.LBB139_77:                             ;   in Loop: Header=BB139_12 Depth=1
	s_waitcnt lgkmcnt(3)
	v_dual_add_f32 v7, v17, v21 :: v_dual_mov_b32 v6, v43
	v_add_nc_u32_e32 v5, 2, v42
	s_waitcnt vmcnt(1)
	v_cvt_f32_f16_e32 v9, v52
	s_delay_alu instid0(VALU_DEP_2) | instskip(NEXT) | instid1(VALU_DEP_2)
	v_lshlrev_b64 v[5:6], 1, v[5:6]
	v_add_f32_e32 v7, v7, v9
	s_delay_alu instid0(VALU_DEP_1) | instskip(NEXT) | instid1(VALU_DEP_3)
	v_cvt_f16_f32_e32 v7, v7
	v_add_co_u32 v5, vcc_lo, s6, v5
	s_delay_alu instid0(VALU_DEP_4) | instskip(SKIP_2) | instid1(SALU_CYCLE_1)
	v_add_co_ci_u32_e32 v6, vcc_lo, s7, v6, vcc_lo
	global_store_b16 v[5:6], v7, off
	s_or_b32 exec_lo, exec_lo, s1
	s_and_b32 exec_lo, exec_lo, s3
	s_cbranch_execnz .LBB139_53
	s_branch .LBB139_54
.LBB139_78:
	s_nop 0
	s_sendmsg sendmsg(MSG_DEALLOC_VGPRS)
	s_endpgm
	.section	.rodata,"a",@progbits
	.p2align	6, 0x0
	.amdhsa_kernel _Z16wvSplitK_hf_big_I6__halfLi32ELi4ELi16ELi8ELi1ELi5EEviiiiiiPKT_S3_S3_PS1_ii
		.amdhsa_group_segment_fixed_size 65536
		.amdhsa_private_segment_fixed_size 0
		.amdhsa_kernarg_size 64
		.amdhsa_user_sgpr_count 15
		.amdhsa_user_sgpr_dispatch_ptr 0
		.amdhsa_user_sgpr_queue_ptr 0
		.amdhsa_user_sgpr_kernarg_segment_ptr 1
		.amdhsa_user_sgpr_dispatch_id 0
		.amdhsa_user_sgpr_private_segment_size 0
		.amdhsa_wavefront_size32 1
		.amdhsa_uses_dynamic_stack 0
		.amdhsa_enable_private_segment 0
		.amdhsa_system_sgpr_workgroup_id_x 1
		.amdhsa_system_sgpr_workgroup_id_y 0
		.amdhsa_system_sgpr_workgroup_id_z 0
		.amdhsa_system_sgpr_workgroup_info 0
		.amdhsa_system_vgpr_workitem_id 1
		.amdhsa_next_free_vgpr 96
		.amdhsa_next_free_sgpr 46
		.amdhsa_reserve_vcc 1
		.amdhsa_float_round_mode_32 0
		.amdhsa_float_round_mode_16_64 0
		.amdhsa_float_denorm_mode_32 3
		.amdhsa_float_denorm_mode_16_64 3
		.amdhsa_dx10_clamp 1
		.amdhsa_ieee_mode 1
		.amdhsa_fp16_overflow 0
		.amdhsa_workgroup_processor_mode 1
		.amdhsa_memory_ordered 1
		.amdhsa_forward_progress 0
		.amdhsa_shared_vgpr_count 0
		.amdhsa_exception_fp_ieee_invalid_op 0
		.amdhsa_exception_fp_denorm_src 0
		.amdhsa_exception_fp_ieee_div_zero 0
		.amdhsa_exception_fp_ieee_overflow 0
		.amdhsa_exception_fp_ieee_underflow 0
		.amdhsa_exception_fp_ieee_inexact 0
		.amdhsa_exception_int_div_zero 0
	.end_amdhsa_kernel
	.section	.text._Z16wvSplitK_hf_big_I6__halfLi32ELi4ELi16ELi8ELi1ELi5EEviiiiiiPKT_S3_S3_PS1_ii,"axG",@progbits,_Z16wvSplitK_hf_big_I6__halfLi32ELi4ELi16ELi8ELi1ELi5EEviiiiiiPKT_S3_S3_PS1_ii,comdat
.Lfunc_end139:
	.size	_Z16wvSplitK_hf_big_I6__halfLi32ELi4ELi16ELi8ELi1ELi5EEviiiiiiPKT_S3_S3_PS1_ii, .Lfunc_end139-_Z16wvSplitK_hf_big_I6__halfLi32ELi4ELi16ELi8ELi1ELi5EEviiiiiiPKT_S3_S3_PS1_ii
                                        ; -- End function
	.section	.AMDGPU.csdata,"",@progbits
; Kernel info:
; codeLenInByte = 8716
; NumSgprs: 48
; NumVgprs: 96
; ScratchSize: 0
; MemoryBound: 0
; FloatMode: 240
; IeeeMode: 1
; LDSByteSize: 65536 bytes/workgroup (compile time only)
; SGPRBlocks: 5
; VGPRBlocks: 11
; NumSGPRsForWavesPerEU: 48
; NumVGPRsForWavesPerEU: 96
; Occupancy: 8
; WaveLimiterHint : 0
; COMPUTE_PGM_RSRC2:SCRATCH_EN: 0
; COMPUTE_PGM_RSRC2:USER_SGPR: 15
; COMPUTE_PGM_RSRC2:TRAP_HANDLER: 0
; COMPUTE_PGM_RSRC2:TGID_X_EN: 1
; COMPUTE_PGM_RSRC2:TGID_Y_EN: 0
; COMPUTE_PGM_RSRC2:TGID_Z_EN: 0
; COMPUTE_PGM_RSRC2:TIDIG_COMP_CNT: 1
	.section	.text._Z16wvSplitK_hf_sml_I6__halfLi32ELi4ELi16ELi8ELi2ELi5EEviiiiiiPKT_S3_S3_PS1_ii,"axG",@progbits,_Z16wvSplitK_hf_sml_I6__halfLi32ELi4ELi16ELi8ELi2ELi5EEviiiiiiPKT_S3_S3_PS1_ii,comdat
	.protected	_Z16wvSplitK_hf_sml_I6__halfLi32ELi4ELi16ELi8ELi2ELi5EEviiiiiiPKT_S3_S3_PS1_ii ; -- Begin function _Z16wvSplitK_hf_sml_I6__halfLi32ELi4ELi16ELi8ELi2ELi5EEviiiiiiPKT_S3_S3_PS1_ii
	.globl	_Z16wvSplitK_hf_sml_I6__halfLi32ELi4ELi16ELi8ELi2ELi5EEviiiiiiPKT_S3_S3_PS1_ii
	.p2align	8
	.type	_Z16wvSplitK_hf_sml_I6__halfLi32ELi4ELi16ELi8ELi2ELi5EEviiiiiiPKT_S3_S3_PS1_ii,@function
_Z16wvSplitK_hf_sml_I6__halfLi32ELi4ELi16ELi8ELi2ELi5EEviiiiiiPKT_S3_S3_PS1_ii: ; @_Z16wvSplitK_hf_sml_I6__halfLi32ELi4ELi16ELi8ELi2ELi5EEviiiiiiPKT_S3_S3_PS1_ii
; %bb.0:
	s_load_b128 s[4:7], s[0:1], 0x0
	v_and_b32_e32 v1, 0x3ff, v0
	v_bfe_u32 v0, v0, 10, 10
	s_mov_b32 s8, exec_lo
	s_delay_alu instid0(VALU_DEP_2) | instskip(NEXT) | instid1(VALU_DEP_1)
	v_lshlrev_b32_e32 v83, 3, v1
	v_lshl_add_u32 v3, v0, 8, v83
	s_waitcnt lgkmcnt(0)
	s_mul_i32 s2, s6, 5
	s_delay_alu instid0(SALU_CYCLE_1)
	s_min_u32 s9, s2, 0x8000
	s_delay_alu instid0(VALU_DEP_1) | instid1(SALU_CYCLE_1)
	v_cmpx_gt_u32_e64 s9, v3
	s_cbranch_execz .LBB140_9
; %bb.1:
	s_load_b64 s[2:3], s[0:1], 0x20
	v_lshlrev_b32_e32 v2, 1, v3
	v_add_nc_u32_e32 v8, 0x1000, v3
	s_mov_b32 s10, exec_lo
	s_waitcnt lgkmcnt(0)
	global_load_b128 v[4:7], v2, s[2:3]
	s_waitcnt vmcnt(0)
	ds_store_b128 v2, v[4:7]
	v_cmpx_gt_u32_e64 s9, v8
	s_xor_b32 s10, exec_lo, s10
	s_cbranch_execz .LBB140_9
; %bb.2:
	v_add_co_u32 v4, s2, s2, v2
	s_delay_alu instid0(VALU_DEP_1) | instskip(SKIP_1) | instid1(VALU_DEP_3)
	v_add_co_ci_u32_e64 v5, null, s3, 0, s2
	v_add_nc_u32_e32 v10, 0x2000, v3
	v_add_co_u32 v6, vcc_lo, 0x2000, v4
	s_delay_alu instid0(VALU_DEP_3)
	v_add_co_ci_u32_e32 v7, vcc_lo, 0, v5, vcc_lo
	s_mov_b32 s2, exec_lo
	global_load_b128 v[6:9], v[6:7], off
	s_waitcnt vmcnt(0)
	ds_store_b128 v2, v[6:9] offset:8192
	v_cmpx_gt_u32_e64 s9, v10
	s_xor_b32 s2, exec_lo, s2
	s_cbranch_execz .LBB140_9
; %bb.3:
	v_add_co_u32 v6, vcc_lo, 0x4000, v4
	v_add_co_ci_u32_e32 v7, vcc_lo, 0, v5, vcc_lo
	v_add_nc_u32_e32 v10, 0x3000, v3
	s_mov_b32 s2, exec_lo
	global_load_b128 v[6:9], v[6:7], off
	s_waitcnt vmcnt(0)
	ds_store_b128 v2, v[6:9] offset:16384
	v_cmpx_gt_u32_e64 s9, v10
	s_xor_b32 s2, exec_lo, s2
	s_cbranch_execz .LBB140_9
; %bb.4:
	v_add_co_u32 v6, vcc_lo, 0x6000, v4
	v_add_co_ci_u32_e32 v7, vcc_lo, 0, v5, vcc_lo
	v_add_nc_u32_e32 v10, 0x4000, v3
	;; [unrolled: 11-line block ×5, first 2 shown]
	s_mov_b32 s2, exec_lo
	global_load_b128 v[6:9], v[6:7], off
	s_waitcnt vmcnt(0)
	ds_store_b128 v2, v[6:9] offset:49152
	v_cmpx_gt_u32_e64 s9, v3
	s_xor_b32 s2, exec_lo, s2
	s_cbranch_execz .LBB140_9
; %bb.8:
	v_add_co_u32 v3, vcc_lo, 0xe000, v4
	v_add_co_ci_u32_e32 v4, vcc_lo, 0, v5, vcc_lo
	global_load_b128 v[3:6], v[3:4], off
	s_waitcnt vmcnt(0)
	ds_store_b128 v2, v[3:6] offset:57344
.LBB140_9:
	s_or_b32 exec_lo, exec_lo, s8
	s_load_b64 s[16:17], s[0:1], 0x38
	s_waitcnt lgkmcnt(0)
	s_barrier
	buffer_gl0_inv
	s_mov_b32 s2, exec_lo
	v_cmpx_gt_u32_e64 s16, v0
	s_cbranch_execz .LBB140_26
; %bb.10:
	s_load_b64 s[2:3], s[0:1], 0x10
	s_mul_i32 s15, s15, s16
	s_delay_alu instid0(SALU_CYCLE_1) | instskip(NEXT) | instid1(VALU_DEP_1)
	v_add_lshl_u32 v64, s15, v0, 2
	v_cmp_gt_u32_e32 vcc_lo, s7, v64
	s_and_b32 exec_lo, exec_lo, vcc_lo
	s_cbranch_execz .LBB140_26
; %bb.11:
	s_clause 0x1
	s_load_b128 s[8:11], s[0:1], 0x28
	s_load_b64 s[12:13], s[0:1], 0x18
	s_cmp_lg_u32 s4, 0
	s_waitcnt lgkmcnt(0)
	v_cvt_f32_u32_e32 v2, s2
	s_cselect_b32 s1, -1, 0
	s_add_i32 s14, s4, -8
	s_add_i32 s15, s7, -1
	v_lshlrev_b32_e32 v84, 4, v1
	v_mov_b32_e32 v66, 0
	v_mbcnt_lo_u32_b32 v85, -1, 0
	s_cmp_lg_u64 s[8:9], 0
	s_cselect_b32 s18, -1, 0
	s_abs_i32 s21, s3
	s_mul_i32 s3, s16, s17
	v_cvt_f32_u32_e32 v0, s21
	s_sub_i32 s16, 0, s21
	s_lshl_b32 s3, s3, 2
	s_sub_i32 s17, 0, s2
	s_sub_i32 s19, 1, s21
	v_rcp_iflag_f32_e32 v0, v0
	s_waitcnt_depctr 0xfff
	v_mul_f32_e32 v0, 0x4f7ffffe, v0
	s_delay_alu instid0(VALU_DEP_1) | instskip(NEXT) | instid1(VALU_DEP_1)
	v_cvt_u32_f32_e32 v0, v0
	v_readfirstlane_b32 s0, v0
	v_rcp_iflag_f32_e32 v0, v2
	s_delay_alu instid0(VALU_DEP_1) | instskip(NEXT) | instid1(SALU_CYCLE_1)
	s_mul_i32 s16, s16, s0
	s_mul_hi_u32 s16, s0, s16
	s_delay_alu instid0(SALU_CYCLE_1) | instskip(SKIP_4) | instid1(SALU_CYCLE_1)
	s_add_i32 s20, s0, s16
	s_cmp_lt_u32 s21, 2
	s_waitcnt_depctr 0xfff
	v_mul_f32_e32 v0, 0x4f7ffffe, v0
	s_cselect_b32 s0, s19, 1
	s_sub_i32 s16, s0, s21
	s_cmp_ge_u32 s0, s21
	s_delay_alu instid0(VALU_DEP_1)
	v_cvt_u32_f32_e32 v0, v0
	s_cselect_b32 s19, s16, s0
	s_lshr_b32 s0, s20, 31
	s_mov_b32 s16, 0
	s_mul_i32 s0, s0, s21
	v_mul_lo_u32 v2, s17, v0
	s_sub_i32 s22, 2, s0
	v_cmp_eq_u32_e64 s0, 31, v1
	s_sub_i32 s23, s22, s21
	s_cmp_ge_u32 s22, s21
	s_mul_i32 s19, s19, s2
	s_cselect_b32 s17, s23, s22
	s_mul_hi_u32 s22, s20, 3
	s_sub_i32 s23, s17, s21
	s_cmp_ge_u32 s17, s21
	s_mul_i32 s22, s22, s21
	s_cselect_b32 s23, s23, s17
	s_sub_i32 s17, 3, s22
	v_mul_hi_u32 v1, v0, v2
	s_sub_i32 s22, s17, s21
	s_cmp_ge_u32 s17, s21
	s_cselect_b32 s22, s22, s17
	s_mul_i32 s17, s6, 6
	s_sub_i32 s24, s22, s21
	s_cmp_ge_u32 s22, s21
	s_delay_alu instid0(VALU_DEP_1) | instskip(SKIP_2) | instid1(SALU_CYCLE_1)
	v_add_nc_u32_e32 v86, v0, v1
	s_cselect_b32 s22, s24, s22
	s_lshr_b32 s20, s20, 30
	s_mul_i32 s20, s20, s21
	s_delay_alu instid0(SALU_CYCLE_1) | instskip(NEXT) | instid1(SALU_CYCLE_1)
	s_sub_i32 s20, 4, s20
	s_sub_i32 s24, s20, s21
	s_cmp_ge_u32 s20, s21
	s_cselect_b32 s24, s24, s20
	s_mul_i32 s20, s23, s2
	s_sub_i32 s23, s24, s21
	s_cmp_ge_u32 s24, s21
	s_mul_i32 s21, s22, s2
	s_cselect_b32 s24, s23, s24
	s_lshl_b32 s22, s6, 3
	s_lshl_b32 s23, s6, 2
	s_mul_i32 s24, s24, s2
	s_lshl_b32 s6, s6, 1
	s_branch .LBB140_14
.LBB140_12:                             ;   in Loop: Header=BB140_14 Depth=1
	s_waitcnt lgkmcnt(18)
	v_dual_add_f32 v0, v0, v5 :: v_dual_add_f32 v1, v1, v6
	s_waitcnt lgkmcnt(16)
	v_dual_add_f32 v2, v2, v7 :: v_dual_add_f32 v3, v3, v8
	s_waitcnt vmcnt(19)
	v_cvt_f32_f16_e32 v7, v56
	s_waitcnt lgkmcnt(14)
	v_dual_add_f32 v4, v4, v9 :: v_dual_add_f32 v5, v10, v15
	s_waitcnt lgkmcnt(11)
	v_dual_add_f32 v6, v11, v16 :: v_dual_add_f32 v9, v13, v18
	;; [unrolled: 2-line block ×3, first 2 shown]
	v_dual_add_f32 v10, v14, v19 :: v_dual_add_f32 v11, v20, v25
	s_waitcnt lgkmcnt(5)
	v_dual_add_f32 v12, v21, v26 :: v_dual_add_f32 v15, v24, v29
	s_waitcnt vmcnt(18)
	v_cvt_f32_f16_e32 v19, v55
	s_waitcnt vmcnt(17)
	v_cvt_f32_f16_e32 v20, v54
	;; [unrolled: 2-line block ×3, first 2 shown]
	v_add_f32_e32 v0, v0, v7
	s_waitcnt lgkmcnt(4)
	v_dual_add_f32 v16, v35, v38 :: v_dual_add_f32 v7, v1, v19
	s_delay_alu instid0(VALU_DEP_3) | instskip(NEXT) | instid1(VALU_DEP_3)
	v_dual_add_f32 v2, v2, v20 :: v_dual_add_f32 v3, v3, v21
	v_cvt_f16_f32_e32 v19, v0
	v_lshlrev_b64 v[0:1], 1, v[64:65]
	s_delay_alu instid0(VALU_DEP_4) | instskip(NEXT) | instid1(VALU_DEP_4)
	v_cvt_f16_f32_e32 v7, v7
	v_cvt_f16_f32_e32 v2, v2
	;; [unrolled: 1-line block ×3, first 2 shown]
	s_waitcnt vmcnt(15)
	v_cvt_f32_f16_e32 v20, v51
	s_waitcnt lgkmcnt(2)
	v_dual_add_f32 v18, v34, v37 :: v_dual_add_nc_u32 v65, s7, v64
	v_add_co_u32 v0, vcc_lo, s10, v0
	v_add_co_ci_u32_e32 v1, vcc_lo, s11, v1, vcc_lo
	v_pack_b32_f16 v3, v2, v3
	v_pack_b32_f16 v2, v19, v7
	s_waitcnt vmcnt(14)
	v_cvt_f32_f16_e32 v7, v49
	s_waitcnt vmcnt(13)
	v_cvt_f32_f16_e32 v21, v47
	;; [unrolled: 2-line block ×3, first 2 shown]
	v_add_f32_e32 v4, v4, v20
	global_store_b64 v[0:1], v[2:3], off
	v_dual_mov_b32 v3, v66 :: v_dual_add_nc_u32 v2, 1, v65
	v_add_f32_e32 v7, v5, v7
	v_mov_b32_e32 v5, v66
	v_dual_add_f32 v21, v6, v21 :: v_dual_add_f32 v8, v8, v24
	v_lshlrev_b64 v[0:1], 1, v[65:66]
	v_cvt_f16_f32_e32 v20, v4
	v_add_nc_u32_e32 v4, 2, v65
	v_lshlrev_b64 v[2:3], 1, v[2:3]
	v_dual_add_f32 v14, v23, v28 :: v_dual_add_f32 v17, v36, v39
	v_cvt_f16_f32_e32 v23, v7
	v_mov_b32_e32 v7, v66
	v_cvt_f16_f32_e32 v24, v8
	s_waitcnt vmcnt(11)
	v_cvt_f32_f16_e32 v8, v59
	v_add_nc_u32_e32 v6, 3, v65
	v_add_co_u32 v0, vcc_lo, s10, v0
	v_lshlrev_b64 v[4:5], 1, v[4:5]
	s_delay_alu instid0(VALU_DEP_4)
	v_add_f32_e32 v25, v9, v8
	v_add_co_ci_u32_e32 v1, vcc_lo, s11, v1, vcc_lo
	v_add_co_u32 v2, vcc_lo, s10, v2
	v_lshlrev_b64 v[6:7], 1, v[6:7]
	v_add_co_ci_u32_e32 v3, vcc_lo, s11, v3, vcc_lo
	v_add_co_u32 v4, vcc_lo, s10, v4
	v_add_co_ci_u32_e32 v5, vcc_lo, s11, v5, vcc_lo
	s_waitcnt vmcnt(10)
	v_cvt_f32_f16_e32 v26, v58
	v_add_co_u32 v6, vcc_lo, s10, v6
	v_cvt_f16_f32_e32 v21, v21
	v_add_nc_u32_e32 v65, s7, v65
	v_add_co_ci_u32_e32 v7, vcc_lo, s11, v7, vcc_lo
	s_clause 0x3
	global_store_b16 v[0:1], v20, off
	global_store_b16 v[2:3], v23, off
	;; [unrolled: 1-line block ×4, first 2 shown]
	v_add_f32_e32 v2, v10, v26
	v_lshlrev_b64 v[8:9], 1, v[65:66]
	s_waitcnt vmcnt(9)
	v_cvt_f32_f16_e32 v4, v57
	v_mov_b32_e32 v3, v66
	v_mov_b32_e32 v5, v66
	v_cvt_f16_f32_e32 v7, v2
	v_add_nc_u32_e32 v2, 2, v65
	v_add_co_u32 v0, vcc_lo, s10, v8
	v_add_f32_e32 v8, v11, v4
	v_add_nc_u32_e32 v4, 3, v65
	s_delay_alu instid0(VALU_DEP_4)
	v_lshlrev_b64 v[2:3], 1, v[2:3]
	v_cvt_f16_f32_e32 v6, v25
	v_add_co_ci_u32_e32 v1, vcc_lo, s11, v9, vcc_lo
	s_waitcnt vmcnt(8)
	v_cvt_f32_f16_e32 v9, v52
	v_lshlrev_b64 v[4:5], 1, v[4:5]
	v_pack_b32_f16 v6, v6, v7
	v_cvt_f16_f32_e32 v7, v8
	v_add_co_u32 v2, vcc_lo, s10, v2
	v_add_f32_e32 v8, v12, v9
	v_add_co_ci_u32_e32 v3, vcc_lo, s11, v3, vcc_lo
	s_waitcnt vmcnt(7)
	v_cvt_f32_f16_e32 v9, v50
	v_add_co_u32 v4, vcc_lo, s10, v4
	v_cvt_f16_f32_e32 v8, v8
	v_add_co_ci_u32_e32 v5, vcc_lo, s11, v5, vcc_lo
	s_clause 0x2
	global_store_b32 v[0:1], v6, off
	global_store_b16 v[2:3], v7, off
	global_store_b16 v[4:5], v8, off
	v_mov_b32_e32 v5, v66
	s_waitcnt vmcnt(5)
	v_cvt_f32_f16_e32 v7, v46
	v_add_f32_e32 v9, v13, v9
	v_cvt_f32_f16_e32 v10, v48
	v_add_nc_u32_e32 v65, s7, v65
	s_delay_alu instid0(VALU_DEP_4) | instskip(NEXT) | instid1(VALU_DEP_4)
	v_dual_mov_b32 v3, v66 :: v_dual_add_f32 v8, v15, v7
	v_cvt_f16_f32_e32 v12, v9
	s_delay_alu instid0(VALU_DEP_4)
	v_add_f32_e32 v6, v14, v10
	s_waitcnt vmcnt(4)
	v_cvt_f32_f16_e32 v9, v44
	v_dual_mov_b32 v7, v66 :: v_dual_add_nc_u32 v2, 1, v65
	v_lshlrev_b64 v[0:1], 1, v[65:66]
	v_cvt_f16_f32_e32 v14, v8
	s_delay_alu instid0(VALU_DEP_4)
	v_add_f32_e32 v8, v16, v9
	s_waitcnt lgkmcnt(0)
	v_dual_add_f32 v22, v32, v33 :: v_dual_add_f32 v19, v30, v31
	s_waitcnt vmcnt(0)
	v_cvt_f32_f16_e32 v11, v40
	v_add_nc_u32_e32 v4, 2, v65
	v_lshlrev_b64 v[2:3], 1, v[2:3]
	v_cvt_f16_f32_e32 v13, v6
	s_delay_alu instid0(VALU_DEP_4)
	v_dual_add_f32 v11, v19, v11 :: v_dual_add_nc_u32 v6, 3, v65
	v_cvt_f16_f32_e32 v15, v8
	v_cvt_f32_f16_e32 v8, v43
	v_cvt_f32_f16_e32 v9, v42
	;; [unrolled: 1-line block ×3, first 2 shown]
	v_add_co_u32 v0, vcc_lo, s10, v0
	v_lshlrev_b64 v[4:5], 1, v[4:5]
	v_dual_add_f32 v16, v17, v8 :: v_dual_add_nc_u32 v65, s7, v65
	v_add_co_ci_u32_e32 v1, vcc_lo, s11, v1, vcc_lo
	v_add_co_u32 v2, vcc_lo, s10, v2
	v_lshlrev_b64 v[6:7], 1, v[6:7]
	v_add_f32_e32 v17, v18, v9
	v_add_f32_e32 v10, v22, v10
	v_add_co_ci_u32_e32 v3, vcc_lo, s11, v3, vcc_lo
	v_add_co_u32 v4, vcc_lo, s10, v4
	v_lshlrev_b64 v[8:9], 1, v[65:66]
	v_add_co_ci_u32_e32 v5, vcc_lo, s11, v5, vcc_lo
	v_add_co_u32 v6, vcc_lo, s10, v6
	v_cvt_f16_f32_e32 v16, v16
	v_cvt_f16_f32_e32 v17, v17
	;; [unrolled: 1-line block ×4, first 2 shown]
	v_add_co_ci_u32_e32 v7, vcc_lo, s11, v7, vcc_lo
	v_add_co_u32 v8, vcc_lo, s10, v8
	v_add_co_ci_u32_e32 v9, vcc_lo, s11, v9, vcc_lo
	s_delay_alu instid0(VALU_DEP_4)
	v_pack_b32_f16 v11, v10, v11
	v_pack_b32_f16 v10, v16, v17
	s_clause 0x4
	global_store_b16 v[0:1], v12, off
	global_store_b16 v[2:3], v13, off
	;; [unrolled: 1-line block ×4, first 2 shown]
	global_store_b64 v[8:9], v[10:11], off
.LBB140_13:                             ;   in Loop: Header=BB140_14 Depth=1
	s_or_b32 exec_lo, exec_lo, s25
	v_add_nc_u32_e32 v64, s3, v64
	s_delay_alu instid0(VALU_DEP_1) | instskip(SKIP_1) | instid1(SALU_CYCLE_1)
	v_cmp_le_u32_e32 vcc_lo, s7, v64
	s_or_b32 s16, vcc_lo, s16
	s_and_not1_b32 exec_lo, exec_lo, s16
	s_cbranch_execz .LBB140_26
.LBB140_14:                             ; =>This Loop Header: Depth=1
                                        ;     Child Loop BB140_18 Depth 2
	v_mov_b32_e32 v106, v66
	v_mov_b32_e32 v105, v66
	;; [unrolled: 1-line block ×20, first 2 shown]
	s_and_not1_b32 vcc_lo, exec_lo, s1
	s_cbranch_vccnz .LBB140_21
; %bb.15:                               ;   in Loop: Header=BB140_14 Depth=1
	v_or_b32_e32 v0, 1, v64
	v_or_b32_e32 v1, 2, v64
	;; [unrolled: 1-line block ×3, first 2 shown]
	v_min_u32_e32 v3, s15, v64
	s_waitcnt lgkmcnt(19)
	v_dual_mov_b32 v5, v66 :: v_dual_mov_b32 v94, 0
	v_min_u32_e32 v0, s15, v0
	v_min_u32_e32 v1, s15, v1
	;; [unrolled: 1-line block ×3, first 2 shown]
	v_mul_lo_u32 v65, v3, s5
	v_dual_mov_b32 v3, v66 :: v_dual_mov_b32 v96, 0
	v_mul_lo_u32 v0, v0, s5
	v_mul_lo_u32 v2, v1, s5
	v_mul_lo_u32 v4, v4, s5
	v_dual_mov_b32 v1, v66 :: v_dual_mov_b32 v98, 0
	v_lshlrev_b64 v[67:68], 1, v[65:66]
	v_dual_mov_b32 v97, 0 :: v_dual_mov_b32 v92, 0
	s_delay_alu instid0(VALU_DEP_3)
	v_lshlrev_b64 v[69:70], 1, v[0:1]
	v_lshlrev_b64 v[71:72], 1, v[2:3]
	;; [unrolled: 1-line block ×3, first 2 shown]
	v_dual_mov_b32 v107, v84 :: v_dual_mov_b32 v90, 0
	v_dual_mov_b32 v95, 0 :: v_dual_mov_b32 v88, 0
	;; [unrolled: 1-line block ×6, first 2 shown]
	v_mov_b32_e32 v99, 0
	v_mov_b32_e32 v101, 0
	;; [unrolled: 1-line block ×4, first 2 shown]
	s_mov_b32 s25, 0
	s_branch .LBB140_18
.LBB140_16:                             ;   in Loop: Header=BB140_18 Depth=2
	s_or_b32 exec_lo, exec_lo, s27
.LBB140_17:                             ;   in Loop: Header=BB140_18 Depth=2
	s_delay_alu instid0(SALU_CYCLE_1)
	s_or_b32 exec_lo, exec_lo, s26
	s_waitcnt vmcnt(7) lgkmcnt(1)
	;;#ASMSTART
	v_dot2_f32_f16 v106, v60, v32, v106
	;;#ASMEND
	s_waitcnt vmcnt(6)
	;;#ASMSTART
	v_dot2_f32_f16 v105, v60, v28, v105
	;;#ASMEND
	s_waitcnt vmcnt(5)
	;;#ASMSTART
	v_dot2_f32_f16 v104, v60, v40, v104
	;;#ASMEND
	s_waitcnt vmcnt(4)
	;;#ASMSTART
	v_dot2_f32_f16 v103, v60, v36, v103
	;;#ASMEND
	;;#ASMSTART
	v_dot2_f32_f16 v102, v56, v32, v102
	;;#ASMEND
	;; [unrolled: 3-line block ×13, first 2 shown]
	s_waitcnt lgkmcnt(0)
	;;#ASMSTART
	v_dot2_f32_f16 v90, v48, v32, v90
	;;#ASMEND
	;;#ASMSTART
	v_dot2_f32_f16 v89, v48, v28, v89
	;;#ASMEND
	;; [unrolled: 3-line block ×44, first 2 shown]
	v_add_nc_u32_e32 v107, 0x400, v107
	;;#ASMSTART
	v_dot2_f32_f16 v106, v63, v35, v106
	;;#ASMEND
	;;#ASMSTART
	v_dot2_f32_f16 v105, v63, v31, v105
	;;#ASMEND
	;;#ASMSTART
	v_dot2_f32_f16 v104, v63, v43, v104
	;;#ASMEND
	;;#ASMSTART
	v_dot2_f32_f16 v103, v63, v39, v103
	;;#ASMEND
	;;#ASMSTART
	v_dot2_f32_f16 v102, v59, v35, v102
	;;#ASMEND
	;;#ASMSTART
	v_dot2_f32_f16 v101, v59, v31, v101
	;;#ASMEND
	;;#ASMSTART
	v_dot2_f32_f16 v100, v59, v43, v100
	;;#ASMEND
	;;#ASMSTART
	v_dot2_f32_f16 v99, v59, v39, v99
	;;#ASMEND
	;;#ASMSTART
	v_dot2_f32_f16 v97, v80, v35, v97
	;;#ASMEND
	;;#ASMSTART
	v_dot2_f32_f16 v98, v80, v31, v98
	;;#ASMEND
	;;#ASMSTART
	v_dot2_f32_f16 v96, v80, v43, v96
	;;#ASMEND
	;;#ASMSTART
	v_dot2_f32_f16 v95, v80, v39, v95
	;;#ASMEND
	;;#ASMSTART
	v_dot2_f32_f16 v94, v55, v35, v94
	;;#ASMEND
	;;#ASMSTART
	v_dot2_f32_f16 v93, v55, v31, v93
	;;#ASMEND
	;;#ASMSTART
	v_dot2_f32_f16 v92, v55, v43, v92
	;;#ASMEND
	;;#ASMSTART
	v_dot2_f32_f16 v91, v55, v39, v91
	;;#ASMEND
	;;#ASMSTART
	v_dot2_f32_f16 v90, v51, v35, v90
	;;#ASMEND
	;;#ASMSTART
	v_dot2_f32_f16 v89, v51, v31, v89
	;;#ASMEND
	;;#ASMSTART
	v_dot2_f32_f16 v88, v51, v43, v88
	;;#ASMEND
	;;#ASMSTART
	v_dot2_f32_f16 v87, v51, v39, v87
	;;#ASMEND
	s_addk_i32 s25, 0x200
	s_waitcnt vmcnt(3)
	;;#ASMSTART
	v_dot2_f32_f16 v106, v44, v12, v106
	;;#ASMEND
	s_waitcnt vmcnt(2)
	;;#ASMSTART
	v_dot2_f32_f16 v105, v44, v8, v105
	;;#ASMEND
	;; [unrolled: 4-line block ×4, first 2 shown]
	;;#ASMSTART
	v_dot2_f32_f16 v102, v24, v12, v102
	;;#ASMEND
	;;#ASMSTART
	v_dot2_f32_f16 v101, v24, v8, v101
	;;#ASMEND
	;; [unrolled: 3-line block ×36, first 2 shown]
	s_cmp_ge_u32 s25, s4
	;;#ASMSTART
	v_dot2_f32_f16 v106, v46, v14, v106
	;;#ASMEND
	;;#ASMSTART
	v_dot2_f32_f16 v105, v46, v10, v105
	;;#ASMEND
	;; [unrolled: 3-line block ×40, first 2 shown]
	s_cbranch_scc1 .LBB140_21
.LBB140_18:                             ;   Parent Loop BB140_14 Depth=1
                                        ; =>  This Inner Loop Header: Depth=2
	v_dual_mov_b32 v61, 0 :: v_dual_add_nc_u32 v20, s25, v83
	v_dual_mov_b32 v60, 0 :: v_dual_mov_b32 v45, 0
	v_dual_mov_b32 v62, 0 :: v_dual_mov_b32 v47, 0
	s_delay_alu instid0(VALU_DEP_3) | instskip(SKIP_2) | instid1(VALU_DEP_3)
	v_min_u32_e32 v65, s14, v20
	v_dual_mov_b32 v63, 0 :: v_dual_add_nc_u32 v108, 0x100, v20
	v_dual_mov_b32 v44, 0 :: v_dual_mov_b32 v57, 0
	v_lshlrev_b64 v[0:1], 1, v[65:66]
	s_delay_alu instid0(VALU_DEP_3) | instskip(SKIP_3) | instid1(VALU_DEP_4)
	v_min_u32_e32 v65, s14, v108
	v_dual_mov_b32 v46, 0 :: v_dual_mov_b32 v59, 0
	s_waitcnt lgkmcnt(9)
	v_dual_mov_b32 v56, 0 :: v_dual_mov_b32 v25, 0
	v_add_co_u32 v8, vcc_lo, s12, v0
	v_add_co_ci_u32_e32 v9, vcc_lo, s13, v1, vcc_lo
	v_lshlrev_b64 v[0:1], 1, v[65:66]
	s_delay_alu instid0(VALU_DEP_3) | instskip(NEXT) | instid1(VALU_DEP_3)
	v_add_co_u32 v2, vcc_lo, v8, v67
	v_add_co_ci_u32_e32 v3, vcc_lo, v9, v68, vcc_lo
	v_add_co_u32 v4, vcc_lo, v8, v69
	v_add_co_ci_u32_e32 v5, vcc_lo, v9, v70, vcc_lo
	v_add_co_u32 v6, vcc_lo, v8, v71
	v_add_co_ci_u32_e32 v7, vcc_lo, v9, v72, vcc_lo
	v_add_co_u32 v10, vcc_lo, s12, v0
	v_add_co_ci_u32_e32 v11, vcc_lo, s13, v1, vcc_lo
	v_add_co_u32 v0, vcc_lo, v8, v73
	v_add_co_ci_u32_e32 v1, vcc_lo, v9, v74, vcc_lo
	s_waitcnt lgkmcnt(1)
	global_load_b128 v[32:35], v[2:3], off slc dlc
	s_waitcnt lgkmcnt(0)
	global_load_b128 v[28:31], v[4:5], off slc dlc
	v_add_co_u32 v2, vcc_lo, v10, v67
	v_add_co_ci_u32_e32 v3, vcc_lo, v11, v68, vcc_lo
	v_add_co_u32 v4, vcc_lo, v10, v69
	v_add_co_ci_u32_e32 v5, vcc_lo, v11, v70, vcc_lo
	;; [unrolled: 2-line block ×4, first 2 shown]
	s_clause 0x5
	global_load_b128 v[40:43], v[6:7], off slc dlc
	global_load_b128 v[36:39], v[0:1], off slc dlc
	global_load_b128 v[12:15], v[2:3], off slc dlc
	global_load_b128 v[8:11], v[4:5], off slc dlc
	global_load_b128 v[4:7], v[16:17], off slc dlc
	global_load_b128 v[0:3], v[18:19], off slc dlc
	v_cmp_gt_u32_e32 vcc_lo, s4, v20
	v_dual_mov_b32 v58, 0 :: v_dual_mov_b32 v27, 0
	v_dual_mov_b32 v24, 0 :: v_dual_mov_b32 v81, 0
	;; [unrolled: 1-line block ×13, first 2 shown]
	v_mov_b32_e32 v16, 0
	v_mov_b32_e32 v18, 0
	s_and_saveexec_b32 s26, vcc_lo
	s_cbranch_execz .LBB140_17
; %bb.19:                               ;   in Loop: Header=BB140_18 Depth=2
	v_dual_mov_b32 v18, 0 :: v_dual_add_nc_u32 v111, s6, v107
	v_dual_mov_b32 v16, 0 :: v_dual_add_nc_u32 v109, s23, v107
	;; [unrolled: 1-line block ×4, first 2 shown]
	ds_load_b128 v[56:59], v111
	ds_load_2addr_b32 v[81:82], v109 offset1:1
	ds_load_2addr_b32 v[79:80], v109 offset0:2 offset1:3
	ds_load_b128 v[52:55], v110
	ds_load_b128 v[60:63], v107
	ds_load_2addr_b64 v[48:51], v65 offset1:1
	v_cmp_gt_u32_e32 vcc_lo, s4, v108
	v_dual_mov_b32 v17, 0 :: v_dual_mov_b32 v20, 0
	v_dual_mov_b32 v23, 0 :: v_dual_mov_b32 v76, 0
	;; [unrolled: 1-line block ×7, first 2 shown]
	v_mov_b32_e32 v47, 0
	v_mov_b32_e32 v45, 0
	s_and_saveexec_b32 s27, vcc_lo
	s_cbranch_execz .LBB140_16
; %bb.20:                               ;   in Loop: Header=BB140_18 Depth=2
	ds_load_b128 v[24:27], v111 offset:512
	ds_load_2addr_b32 v[77:78], v109 offset0:128 offset1:129
	ds_load_2addr_b32 v[75:76], v109 offset0:130 offset1:131
	ds_load_b128 v[20:23], v110 offset:512
	ds_load_b128 v[44:47], v107 offset:512
	ds_load_2addr_b64 v[16:19], v65 offset0:64 offset1:65
	s_branch .LBB140_16
.LBB140_21:                             ;   in Loop: Header=BB140_14 Depth=1
	; sched_barrier mask(0x00000000)
	v_xor_b32_e32 v0, 16, v85
	v_cvt_i32_f32_e32 v1, v106
	v_cvt_i32_f32_e32 v2, v105
	;; [unrolled: 1-line block ×4, first 2 shown]
	v_cmp_gt_i32_e32 vcc_lo, 32, v0
	v_cvt_f32_i32_dpp v1, v1 row_shr:8 row_mask:0xf bank_mask:0xf bound_ctrl:1
	s_waitcnt lgkmcnt(19)
	v_cvt_i32_f32_e32 v5, v102
	v_cvt_f32_i32_dpp v2, v2 row_shr:8 row_mask:0xf bank_mask:0xf bound_ctrl:1
	v_cvt_i32_f32_e32 v11, v100
	v_dual_cndmask_b32 v0, v85, v0 :: v_dual_add_f32 v1, v106, v1
	v_cvt_i32_f32_e32 v10, v101
	v_cvt_i32_f32_e32 v12, v99
	s_delay_alu instid0(VALU_DEP_4)
	v_cvt_f32_i32_dpp v11, v11 row_shr:8 row_mask:0xf bank_mask:0xf bound_ctrl:1
	s_waitcnt lgkmcnt(0)
	v_dual_add_f32 v2, v105, v2 :: v_dual_lshlrev_b32 v31, 2, v0
	v_cvt_f32_i32_dpp v0, v3 row_shr:8 row_mask:0xf bank_mask:0xf bound_ctrl:1
	v_cvt_f32_i32_dpp v3, v4 row_shr:8 row_mask:0xf bank_mask:0xf bound_ctrl:1
	;; [unrolled: 1-line block ×3, first 2 shown]
	v_cvt_i32_f32_e32 v5, v1
	v_cvt_i32_f32_e32 v6, v2
	s_delay_alu instid0(VALU_DEP_4) | instskip(SKIP_1) | instid1(VALU_DEP_4)
	v_dual_add_f32 v0, v104, v0 :: v_dual_add_f32 v3, v103, v3
	v_cvt_i32_f32_e32 v13, v97
	v_cvt_f32_i32_dpp v5, v5 row_shr:4 row_mask:0xf bank_mask:0xf bound_ctrl:1
	v_add_f32_e32 v4, v102, v4
	s_delay_alu instid0(VALU_DEP_4)
	v_cvt_i32_f32_e32 v7, v0
	v_cvt_i32_f32_e32 v8, v3
	v_cvt_f32_i32_dpp v6, v6 row_shr:4 row_mask:0xf bank_mask:0xf bound_ctrl:1
	v_add_f32_e32 v1, v1, v5
	v_cvt_i32_f32_e32 v9, v4
	v_cvt_f32_i32_dpp v7, v7 row_shr:4 row_mask:0xf bank_mask:0xf bound_ctrl:1
	v_cvt_f32_i32_dpp v8, v8 row_shr:4 row_mask:0xf bank_mask:0xf bound_ctrl:1
	v_add_f32_e32 v2, v2, v6
	v_cvt_i32_f32_e32 v5, v1
	v_cvt_f32_i32_dpp v9, v9 row_shr:4 row_mask:0xf bank_mask:0xf bound_ctrl:1
	;; [unrolled: 4-line block ×3, first 2 shown]
	v_add_f32_e32 v0, v0, v7
	v_cvt_f32_i32_dpp v12, v12 row_shr:8 row_mask:0xf bank_mask:0xf bound_ctrl:1
	v_cvt_i32_f32_e32 v8, v3
	v_cvt_f32_i32_dpp v6, v6 row_shr:2 row_mask:0xf bank_mask:0xf bound_ctrl:1
	v_add_f32_e32 v1, v1, v5
	v_cvt_i32_f32_e32 v7, v0
	v_cvt_f32_i32_dpp v13, v13 row_shr:8 row_mask:0xf bank_mask:0xf bound_ctrl:1
	v_cvt_f32_i32_dpp v8, v8 row_shr:2 row_mask:0xf bank_mask:0xf bound_ctrl:1
	v_add_f32_e32 v4, v4, v9
	v_add_f32_e32 v12, v99, v12
	v_cvt_f32_i32_dpp v7, v7 row_shr:2 row_mask:0xf bank_mask:0xf bound_ctrl:1
	v_dual_add_f32 v13, v97, v13 :: v_dual_add_f32 v2, v2, v6
	v_add_f32_e32 v3, v3, v8
	v_cvt_i32_f32_e32 v9, v4
	s_delay_alu instid0(VALU_DEP_4)
	v_add_f32_e32 v5, v0, v7
	v_cvt_i32_f32_e32 v0, v1
	v_cvt_i32_f32_e32 v6, v2
	;; [unrolled: 1-line block ×3, first 2 shown]
	v_cvt_f32_i32_dpp v9, v9 row_shr:2 row_mask:0xf bank_mask:0xf bound_ctrl:1
	v_add_f32_e32 v11, v100, v11
	v_cvt_f32_i32_dpp v0, v0 row_shr:1 row_mask:0xf bank_mask:0xf bound_ctrl:1
	v_cvt_f32_i32_dpp v6, v6 row_shr:1 row_mask:0xf bank_mask:0xf bound_ctrl:1
	;; [unrolled: 1-line block ×3, first 2 shown]
	v_add_f32_e32 v4, v4, v9
	v_cvt_i32_f32_e32 v16, v11
	s_delay_alu instid0(VALU_DEP_4) | instskip(SKIP_1) | instid1(VALU_DEP_4)
	v_dual_add_f32 v0, v1, v0 :: v_dual_add_f32 v1, v2, v6
	v_cvt_i32_f32_e32 v14, v98
	v_cvt_i32_f32_e32 v9, v4
	s_delay_alu instid0(VALU_DEP_4)
	v_cvt_f32_i32_dpp v16, v16 row_shr:4 row_mask:0xf bank_mask:0xf bound_ctrl:1
	v_cvt_i32_f32_e32 v17, v12
	v_cvt_i32_f32_e32 v21, v95
	v_cvt_f32_i32_dpp v14, v14 row_shr:8 row_mask:0xf bank_mask:0xf bound_ctrl:1
	v_cvt_f32_i32_dpp v9, v9 row_shr:1 row_mask:0xf bank_mask:0xf bound_ctrl:1
	v_add_f32_e32 v11, v11, v16
	v_cvt_f32_i32_dpp v17, v17 row_shr:4 row_mask:0xf bank_mask:0xf bound_ctrl:1
	v_cvt_f32_i32_dpp v21, v21 row_shr:8 row_mask:0xf bank_mask:0xf bound_ctrl:1
	v_cvt_i32_f32_e32 v23, v93
	v_add_f32_e32 v4, v4, v9
	v_cvt_i32_f32_e32 v16, v11
	v_cvt_i32_f32_e32 v20, v96
	;; [unrolled: 1-line block ×3, first 2 shown]
	v_cvt_f32_i32_dpp v23, v23 row_shr:8 row_mask:0xf bank_mask:0xf bound_ctrl:1
	v_cvt_i32_f32_e32 v24, v92
	v_cvt_f32_i32_dpp v16, v16 row_shr:2 row_mask:0xf bank_mask:0xf bound_ctrl:1
	v_add_f32_e32 v10, v101, v10
	v_cvt_f32_i32_dpp v20, v20 row_shr:8 row_mask:0xf bank_mask:0xf bound_ctrl:1
	v_cvt_i32_f32_e32 v30, v91
	v_cvt_i32_f32_e32 v32, v90
	v_add_f32_e32 v11, v11, v16
	v_cvt_i32_f32_e32 v15, v10
	v_cvt_i32_f32_e32 v33, v89
	;; [unrolled: 1-line block ×5, first 2 shown]
	v_cvt_f32_i32_dpp v15, v15 row_shr:4 row_mask:0xf bank_mask:0xf bound_ctrl:1
	v_cvt_f32_i32_dpp v22, v22 row_shr:8 row_mask:0xf bank_mask:0xf bound_ctrl:1
	;; [unrolled: 1-line block ×3, first 2 shown]
	v_add_f32_e32 v13, v13, v18
	v_cvt_f32_i32_dpp v16, v16 row_shr:1 row_mask:0xf bank_mask:0xf bound_ctrl:1
	v_add_f32_e32 v10, v10, v15
	v_add_f32_e32 v14, v98, v14
	v_cvt_f32_i32_dpp v30, v30 row_shr:8 row_mask:0xf bank_mask:0xf bound_ctrl:1
	v_cvt_i32_f32_e32 v18, v13
	v_add_f32_e32 v11, v11, v16
	v_cvt_i32_f32_e32 v15, v10
	v_cvt_i32_f32_e32 v19, v14
	v_cvt_f32_i32_dpp v32, v32 row_shr:8 row_mask:0xf bank_mask:0xf bound_ctrl:1
	v_cvt_f32_i32_dpp v18, v18 row_shr:2 row_mask:0xf bank_mask:0xf bound_ctrl:1
	v_add_f32_e32 v12, v12, v17
	v_cvt_f32_i32_dpp v15, v15 row_shr:2 row_mask:0xf bank_mask:0xf bound_ctrl:1
	v_cvt_f32_i32_dpp v19, v19 row_shr:4 row_mask:0xf bank_mask:0xf bound_ctrl:1
	;; [unrolled: 1-line block ×3, first 2 shown]
	v_add_f32_e32 v13, v13, v18
	s_delay_alu instid0(VALU_DEP_4) | instskip(SKIP_2) | instid1(VALU_DEP_4)
	v_dual_add_f32 v21, v95, v21 :: v_dual_add_f32 v10, v10, v15
	v_cvt_i32_f32_e32 v17, v12
	v_cvt_f32_i32_dpp v34, v34 row_shr:8 row_mask:0xf bank_mask:0xf bound_ctrl:1
	v_cvt_i32_f32_e32 v18, v13
	s_delay_alu instid0(VALU_DEP_4)
	v_cvt_i32_f32_e32 v26, v21
	v_cvt_i32_f32_e32 v15, v10
	v_cvt_f32_i32_dpp v17, v17 row_shr:2 row_mask:0xf bank_mask:0xf bound_ctrl:1
	v_cvt_f32_i32_dpp v35, v35 row_shr:8 row_mask:0xf bank_mask:0xf bound_ctrl:1
	;; [unrolled: 1-line block ×3, first 2 shown]
	v_add_f32_e32 v14, v14, v19
	v_cvt_f32_i32_dpp v26, v26 row_shr:4 row_mask:0xf bank_mask:0xf bound_ctrl:1
	v_dual_add_f32 v12, v12, v17 :: v_dual_add_f32 v23, v93, v23
	s_delay_alu instid0(VALU_DEP_4) | instskip(NEXT) | instid1(VALU_DEP_4)
	v_add_f32_e32 v13, v13, v18
	v_cvt_i32_f32_e32 v19, v14
	v_cvt_f32_i32_dpp v15, v15 row_shr:1 row_mask:0xf bank_mask:0xf bound_ctrl:1
	s_delay_alu instid0(VALU_DEP_4) | instskip(SKIP_3) | instid1(VALU_DEP_4)
	v_cvt_i32_f32_e32 v17, v12
	v_cvt_i32_f32_e32 v28, v23
	v_dual_add_f32 v24, v92, v24 :: v_dual_add_f32 v33, v89, v33
	v_cvt_f32_i32_dpp v19, v19 row_shr:2 row_mask:0xf bank_mask:0xf bound_ctrl:1
	v_cvt_f32_i32_dpp v17, v17 row_shr:1 row_mask:0xf bank_mask:0xf bound_ctrl:1
	s_delay_alu instid0(VALU_DEP_4) | instskip(SKIP_1) | instid1(VALU_DEP_4)
	v_cvt_f32_i32_dpp v28, v28 row_shr:4 row_mask:0xf bank_mask:0xf bound_ctrl:1
	v_dual_add_f32 v21, v21, v26 :: v_dual_add_f32 v10, v10, v15
	v_add_f32_e32 v14, v14, v19
	v_add_f32_e32 v30, v91, v30
	s_delay_alu instid0(VALU_DEP_4) | instskip(NEXT) | instid1(VALU_DEP_4)
	v_add_f32_e32 v23, v23, v28
	v_cvt_i32_f32_e32 v26, v21
	v_add_f32_e32 v32, v90, v32
	v_cvt_i32_f32_e32 v19, v14
	v_add_f32_e32 v34, v88, v34
	v_cvt_i32_f32_e32 v28, v23
	v_cvt_f32_i32_dpp v26, v26 row_shr:2 row_mask:0xf bank_mask:0xf bound_ctrl:1
	v_add_f32_e32 v12, v12, v17
	v_cvt_f32_i32_dpp v19, v19 row_shr:1 row_mask:0xf bank_mask:0xf bound_ctrl:1
	v_cvt_i32_f32_e32 v29, v24
	v_cvt_f32_i32_dpp v28, v28 row_shr:2 row_mask:0xf bank_mask:0xf bound_ctrl:1
	v_add_f32_e32 v21, v21, v26
	v_cvt_i32_f32_e32 v36, v30
	v_add_f32_e32 v14, v14, v19
	v_cvt_i32_f32_e32 v37, v32
	;; [unrolled: 2-line block ×3, first 2 shown]
	v_cvt_i32_f32_e32 v38, v33
	v_cvt_i32_f32_e32 v39, v34
	v_cvt_f32_i32_dpp v29, v29 row_shr:4 row_mask:0xf bank_mask:0xf bound_ctrl:1
	v_cvt_i32_f32_e32 v28, v23
	v_cvt_f32_i32_dpp v26, v26 row_shr:1 row_mask:0xf bank_mask:0xf bound_ctrl:1
	v_add_f32_e32 v20, v96, v20
	v_cvt_f32_i32_dpp v36, v36 row_shr:4 row_mask:0xf bank_mask:0xf bound_ctrl:1
	v_cvt_f32_i32_dpp v37, v37 row_shr:4 row_mask:0xf bank_mask:0xf bound_ctrl:1
	;; [unrolled: 1-line block ×3, first 2 shown]
	v_add_f32_e32 v21, v21, v26
	v_cvt_i32_f32_e32 v25, v20
	v_add_f32_e32 v22, v94, v22
	v_cvt_f32_i32_dpp v38, v38 row_shr:4 row_mask:0xf bank_mask:0xf bound_ctrl:1
	v_add_f32_e32 v23, v23, v28
	v_cvt_f32_i32_dpp v39, v39 row_shr:4 row_mask:0xf bank_mask:0xf bound_ctrl:1
	v_cvt_f32_i32_dpp v25, v25 row_shr:4 row_mask:0xf bank_mask:0xf bound_ctrl:1
	v_cvt_i32_f32_e32 v27, v22
	v_add_f32_e32 v30, v30, v36
	v_dual_add_f32 v32, v32, v37 :: v_dual_add_f32 v35, v87, v35
	s_delay_alu instid0(VALU_DEP_4) | instskip(NEXT) | instid1(VALU_DEP_4)
	v_add_f32_e32 v20, v20, v25
	v_cvt_f32_i32_dpp v27, v27 row_shr:4 row_mask:0xf bank_mask:0xf bound_ctrl:1
	v_dual_add_f32 v33, v33, v38 :: v_dual_add_f32 v34, v34, v39
	s_delay_alu instid0(VALU_DEP_4) | instskip(NEXT) | instid1(VALU_DEP_4)
	v_cvt_i32_f32_e32 v40, v35
	v_cvt_i32_f32_e32 v25, v20
	s_delay_alu instid0(VALU_DEP_4)
	v_add_f32_e32 v22, v22, v27
	v_cvt_i32_f32_e32 v36, v30
	v_cvt_i32_f32_e32 v37, v32
	v_cvt_f32_i32_dpp v40, v40 row_shr:4 row_mask:0xf bank_mask:0xf bound_ctrl:1
	v_add_f32_e32 v24, v24, v29
	v_cvt_i32_f32_e32 v27, v22
	v_cvt_i32_f32_e32 v38, v33
	v_cvt_i32_f32_e32 v39, v34
	v_add_f32_e32 v35, v35, v40
	v_cvt_i32_f32_e32 v29, v24
	v_cvt_f32_i32_dpp v25, v25 row_shr:2 row_mask:0xf bank_mask:0xf bound_ctrl:1
	v_cvt_f32_i32_dpp v27, v27 row_shr:2 row_mask:0xf bank_mask:0xf bound_ctrl:1
	;; [unrolled: 1-line block ×3, first 2 shown]
	v_cvt_i32_f32_e32 v40, v35
	v_cvt_f32_i32_dpp v29, v29 row_shr:2 row_mask:0xf bank_mask:0xf bound_ctrl:1
	v_cvt_f32_i32_dpp v37, v37 row_shr:2 row_mask:0xf bank_mask:0xf bound_ctrl:1
	;; [unrolled: 1-line block ×5, first 2 shown]
	v_add_f32_e32 v20, v20, v25
	s_delay_alu instid0(VALU_DEP_4)
	v_dual_add_f32 v22, v22, v27 :: v_dual_add_f32 v33, v33, v38
	v_add_f32_e32 v24, v24, v29
	v_add_f32_e32 v30, v30, v36
	v_dual_add_f32 v32, v32, v37 :: v_dual_add_f32 v37, v34, v39
	v_add_f32_e32 v38, v35, v40
	v_cvt_i32_f32_e32 v7, v5
	v_cvt_i32_f32_e32 v8, v3
	;; [unrolled: 1-line block ×10, first 2 shown]
	v_cvt_f32_i32_dpp v7, v7 row_shr:1 row_mask:0xf bank_mask:0xf bound_ctrl:1
	v_cvt_f32_i32_dpp v8, v8 row_shr:1 row_mask:0xf bank_mask:0xf bound_ctrl:1
	;; [unrolled: 1-line block ×10, first 2 shown]
	v_dual_add_f32 v2, v5, v7 :: v_dual_add_f32 v3, v3, v8
	v_dual_add_f32 v20, v20, v25 :: v_dual_add_f32 v35, v30, v34
	v_add_f32_e32 v22, v22, v27
	v_add_f32_e32 v24, v24, v29
	;; [unrolled: 1-line block ×6, first 2 shown]
	ds_bpermute_b32 v5, v31, v0
	ds_bpermute_b32 v6, v31, v1
	;; [unrolled: 1-line block ×20, first 2 shown]
	s_and_saveexec_b32 s25, s0
	s_cbranch_execz .LBB140_13
; %bb.22:                               ;   in Loop: Header=BB140_14 Depth=1
	s_and_b32 vcc_lo, exec_lo, s18
	s_cbranch_vccz .LBB140_24
; %bb.23:                               ;   in Loop: Header=BB140_14 Depth=1
	v_mul_hi_u32 v40, v64, v86
	v_or_b32_e32 v42, 1, v64
	v_or_b32_e32 v44, 2, v64
	;; [unrolled: 1-line block ×3, first 2 shown]
	v_mov_b32_e32 v57, v66
	s_delay_alu instid0(VALU_DEP_4) | instskip(NEXT) | instid1(VALU_DEP_4)
	v_mul_hi_u32 v41, v42, v86
	v_mul_hi_u32 v43, v44, v86
	v_mul_lo_u32 v40, v40, s2
	v_mul_hi_u32 v46, v45, v86
	v_mov_b32_e32 v59, v66
	v_mov_b32_e32 v55, v66
	v_mul_lo_u32 v47, v41, s2
	v_mul_lo_u32 v48, v43, s2
	v_sub_nc_u32_e32 v40, v64, v40
	v_mul_lo_u32 v46, v46, s2
	s_delay_alu instid0(VALU_DEP_2)
	v_subrev_nc_u32_e32 v49, s2, v40
	v_sub_nc_u32_e32 v42, v42, v47
	v_cmp_le_u32_e32 vcc_lo, s2, v40
	v_mov_b32_e32 v41, v66
	v_sub_nc_u32_e32 v44, v44, v48
	v_sub_nc_u32_e32 v46, v45, v46
	v_subrev_nc_u32_e32 v47, s2, v42
	v_cndmask_b32_e32 v40, v40, v49, vcc_lo
	v_cmp_le_u32_e32 vcc_lo, s2, v42
	v_subrev_nc_u32_e32 v48, s2, v44
	v_subrev_nc_u32_e32 v49, s2, v46
	s_delay_alu instid0(VALU_DEP_4) | instskip(SKIP_4) | instid1(VALU_DEP_2)
	v_subrev_nc_u32_e32 v50, s2, v40
	v_cndmask_b32_e32 v42, v42, v47, vcc_lo
	v_cmp_le_u32_e32 vcc_lo, s2, v44
	v_dual_mov_b32 v43, v66 :: v_dual_cndmask_b32 v44, v44, v48
	v_cmp_le_u32_e32 vcc_lo, s2, v46
	v_subrev_nc_u32_e32 v47, s2, v44
	v_cndmask_b32_e32 v48, v46, v49, vcc_lo
	v_cmp_le_u32_e32 vcc_lo, s2, v40
	v_cndmask_b32_e32 v65, v40, v50, vcc_lo
	v_subrev_nc_u32_e32 v46, s2, v42
	v_cmp_le_u32_e32 vcc_lo, s2, v42
	s_delay_alu instid0(VALU_DEP_3) | instskip(NEXT) | instid1(VALU_DEP_3)
	v_add_nc_u32_e32 v54, s19, v65
	v_cndmask_b32_e32 v40, v42, v46, vcc_lo
	v_cmp_le_u32_e32 vcc_lo, s2, v44
	v_mov_b32_e32 v45, v66
	s_delay_alu instid0(VALU_DEP_4) | instskip(NEXT) | instid1(VALU_DEP_4)
	v_lshlrev_b64 v[54:55], 1, v[54:55]
	v_dual_cndmask_b32 v42, v44, v47 :: v_dual_add_nc_u32 v71, s20, v40
	v_subrev_nc_u32_e32 v49, s2, v48
	v_cmp_le_u32_e32 vcc_lo, s2, v48
	v_lshlrev_b64 v[46:47], 1, v[65:66]
	v_add_nc_u32_e32 v56, s19, v40
	v_lshlrev_b64 v[50:51], 1, v[42:43]
	v_add_nc_u32_e32 v58, s19, v42
	v_cndmask_b32_e32 v44, v48, v49, vcc_lo
	v_lshlrev_b64 v[48:49], 1, v[40:41]
	v_add_co_u32 v46, vcc_lo, s8, v46
	v_add_co_ci_u32_e32 v47, vcc_lo, s9, v47, vcc_lo
	s_delay_alu instid0(VALU_DEP_4) | instskip(NEXT) | instid1(VALU_DEP_4)
	v_lshlrev_b64 v[52:53], 1, v[44:45]
	v_add_co_u32 v48, vcc_lo, s8, v48
	v_add_co_ci_u32_e32 v49, vcc_lo, s9, v49, vcc_lo
	v_add_co_u32 v50, vcc_lo, s8, v50
	v_add_co_ci_u32_e32 v51, vcc_lo, s9, v51, vcc_lo
	;; [unrolled: 2-line block ×3, first 2 shown]
	v_lshlrev_b64 v[56:57], 1, v[56:57]
	v_add_co_u32 v60, vcc_lo, s8, v54
	v_add_co_ci_u32_e32 v61, vcc_lo, s9, v55, vcc_lo
	v_lshlrev_b64 v[54:55], 1, v[58:59]
	v_add_nc_u32_e32 v58, s19, v44
	v_add_co_u32 v62, vcc_lo, s8, v56
	v_add_co_ci_u32_e32 v63, vcc_lo, s9, v57, vcc_lo
	s_delay_alu instid0(VALU_DEP_3)
	v_lshlrev_b64 v[56:57], 1, v[58:59]
	v_add_co_u32 v58, vcc_lo, s8, v54
	v_add_co_ci_u32_e32 v59, vcc_lo, s9, v55, vcc_lo
	v_dual_mov_b32 v55, v66 :: v_dual_add_nc_u32 v54, s20, v65
	v_mov_b32_e32 v72, v66
	v_add_co_u32 v67, vcc_lo, s8, v56
	v_add_co_ci_u32_e32 v68, vcc_lo, s9, v57, vcc_lo
	s_delay_alu instid0(VALU_DEP_4)
	v_lshlrev_b64 v[69:70], 1, v[54:55]
	s_clause 0x7
	global_load_u16 v56, v[46:47], off
	global_load_u16 v55, v[48:49], off
	;; [unrolled: 1-line block ×8, first 2 shown]
	v_dual_mov_b32 v60, v66 :: v_dual_add_nc_u32 v59, s20, v42
	v_lshlrev_b64 v[57:58], 1, v[71:72]
	v_add_nc_u32_e32 v67, s20, v44
	v_add_co_u32 v61, vcc_lo, s8, v69
	v_add_nc_u32_e32 v69, s21, v65
	v_lshlrev_b64 v[59:60], 1, v[59:60]
	v_add_co_ci_u32_e32 v62, vcc_lo, s9, v70, vcc_lo
	v_mov_b32_e32 v68, v66
	v_add_co_u32 v57, vcc_lo, s8, v57
	v_dual_mov_b32 v70, v66 :: v_dual_add_nc_u32 v73, s21, v42
	v_add_co_ci_u32_e32 v58, vcc_lo, s9, v58, vcc_lo
	v_add_co_u32 v71, vcc_lo, s8, v59
	v_add_co_ci_u32_e32 v72, vcc_lo, s9, v60, vcc_lo
	s_delay_alu instid0(VALU_DEP_4) | instskip(SKIP_3) | instid1(VALU_DEP_3)
	v_lshlrev_b64 v[59:60], 1, v[69:70]
	v_add_nc_u32_e32 v69, s21, v40
	v_lshlrev_b64 v[67:68], 1, v[67:68]
	v_dual_mov_b32 v74, v66 :: v_dual_add_nc_u32 v65, s24, v65
	v_lshlrev_b64 v[69:70], 1, v[69:70]
	s_delay_alu instid0(VALU_DEP_3) | instskip(NEXT) | instid1(VALU_DEP_4)
	v_add_co_u32 v67, vcc_lo, s8, v67
	v_add_co_ci_u32_e32 v68, vcc_lo, s9, v68, vcc_lo
	v_add_co_u32 v75, vcc_lo, s8, v59
	v_add_co_ci_u32_e32 v76, vcc_lo, s9, v60, vcc_lo
	v_lshlrev_b64 v[59:60], 1, v[73:74]
	v_add_nc_u32_e32 v73, s21, v44
	v_add_co_u32 v69, vcc_lo, s8, v69
	v_add_co_ci_u32_e32 v70, vcc_lo, s9, v70, vcc_lo
	s_delay_alu instid0(VALU_DEP_3)
	v_lshlrev_b64 v[73:74], 1, v[73:74]
	v_add_co_u32 v77, vcc_lo, s8, v59
	v_add_co_ci_u32_e32 v78, vcc_lo, s9, v60, vcc_lo
	v_lshlrev_b64 v[59:60], 1, v[65:66]
	v_add_nc_u32_e32 v65, s24, v40
	v_add_co_u32 v40, vcc_lo, s8, v73
	v_add_co_ci_u32_e32 v41, vcc_lo, s9, v74, vcc_lo
	s_delay_alu instid0(VALU_DEP_3) | instskip(SKIP_3) | instid1(VALU_DEP_3)
	v_lshlrev_b64 v[73:74], 1, v[65:66]
	v_add_nc_u32_e32 v65, s24, v42
	v_add_co_u32 v42, vcc_lo, s8, v59
	v_add_co_ci_u32_e32 v43, vcc_lo, s9, v60, vcc_lo
	v_lshlrev_b64 v[59:60], 1, v[65:66]
	v_add_nc_u32_e32 v65, s24, v44
	v_add_co_u32 v73, vcc_lo, s8, v73
	v_add_co_ci_u32_e32 v74, vcc_lo, s9, v74, vcc_lo
	s_delay_alu instid0(VALU_DEP_3) | instskip(SKIP_3) | instid1(VALU_DEP_4)
	v_lshlrev_b64 v[79:80], 1, v[65:66]
	v_add_co_u32 v81, vcc_lo, s8, v59
	v_add_co_ci_u32_e32 v82, vcc_lo, s9, v60, vcc_lo
	v_mov_b32_e32 v65, v66
	v_add_co_u32 v79, vcc_lo, s8, v79
	v_add_co_ci_u32_e32 v80, vcc_lo, s9, v80, vcc_lo
	s_clause 0xb
	global_load_u16 v59, v[61:62], off
	global_load_u16 v58, v[57:58], off
	;; [unrolled: 1-line block ×12, first 2 shown]
	s_cbranch_execnz .LBB140_12
	s_branch .LBB140_25
.LBB140_24:                             ;   in Loop: Header=BB140_14 Depth=1
                                        ; implicit-def: $vgpr40
                                        ; implicit-def: $vgpr41
                                        ; implicit-def: $vgpr42
                                        ; implicit-def: $vgpr43
                                        ; implicit-def: $vgpr44
                                        ; implicit-def: $vgpr46
                                        ; implicit-def: $vgpr48
                                        ; implicit-def: $vgpr50
                                        ; implicit-def: $vgpr52
                                        ; implicit-def: $vgpr57
                                        ; implicit-def: $vgpr58
                                        ; implicit-def: $vgpr59
                                        ; implicit-def: $vgpr45
                                        ; implicit-def: $vgpr47
                                        ; implicit-def: $vgpr49
                                        ; implicit-def: $vgpr51
                                        ; implicit-def: $vgpr53
                                        ; implicit-def: $vgpr54
                                        ; implicit-def: $vgpr55
                                        ; implicit-def: $vgpr56
.LBB140_25:                             ;   in Loop: Header=BB140_14 Depth=1
	s_waitcnt vmcnt(19)
	v_dual_mov_b32 v65, v66 :: v_dual_mov_b32 v56, 0
	s_waitcnt vmcnt(17)
	v_dual_mov_b32 v55, 0 :: v_dual_mov_b32 v54, 0
	;; [unrolled: 2-line block ×10, first 2 shown]
	v_mov_b32_e32 v41, 0
	s_branch .LBB140_12
.LBB140_26:
	s_nop 0
	s_sendmsg sendmsg(MSG_DEALLOC_VGPRS)
	s_endpgm
	.section	.rodata,"a",@progbits
	.p2align	6, 0x0
	.amdhsa_kernel _Z16wvSplitK_hf_sml_I6__halfLi32ELi4ELi16ELi8ELi2ELi5EEviiiiiiPKT_S3_S3_PS1_ii
		.amdhsa_group_segment_fixed_size 65536
		.amdhsa_private_segment_fixed_size 0
		.amdhsa_kernarg_size 64
		.amdhsa_user_sgpr_count 15
		.amdhsa_user_sgpr_dispatch_ptr 0
		.amdhsa_user_sgpr_queue_ptr 0
		.amdhsa_user_sgpr_kernarg_segment_ptr 1
		.amdhsa_user_sgpr_dispatch_id 0
		.amdhsa_user_sgpr_private_segment_size 0
		.amdhsa_wavefront_size32 1
		.amdhsa_uses_dynamic_stack 0
		.amdhsa_enable_private_segment 0
		.amdhsa_system_sgpr_workgroup_id_x 1
		.amdhsa_system_sgpr_workgroup_id_y 0
		.amdhsa_system_sgpr_workgroup_id_z 0
		.amdhsa_system_sgpr_workgroup_info 0
		.amdhsa_system_vgpr_workitem_id 1
		.amdhsa_next_free_vgpr 112
		.amdhsa_next_free_sgpr 28
		.amdhsa_reserve_vcc 1
		.amdhsa_float_round_mode_32 0
		.amdhsa_float_round_mode_16_64 0
		.amdhsa_float_denorm_mode_32 3
		.amdhsa_float_denorm_mode_16_64 3
		.amdhsa_dx10_clamp 1
		.amdhsa_ieee_mode 1
		.amdhsa_fp16_overflow 0
		.amdhsa_workgroup_processor_mode 1
		.amdhsa_memory_ordered 1
		.amdhsa_forward_progress 0
		.amdhsa_shared_vgpr_count 0
		.amdhsa_exception_fp_ieee_invalid_op 0
		.amdhsa_exception_fp_denorm_src 0
		.amdhsa_exception_fp_ieee_div_zero 0
		.amdhsa_exception_fp_ieee_overflow 0
		.amdhsa_exception_fp_ieee_underflow 0
		.amdhsa_exception_fp_ieee_inexact 0
		.amdhsa_exception_int_div_zero 0
	.end_amdhsa_kernel
	.section	.text._Z16wvSplitK_hf_sml_I6__halfLi32ELi4ELi16ELi8ELi2ELi5EEviiiiiiPKT_S3_S3_PS1_ii,"axG",@progbits,_Z16wvSplitK_hf_sml_I6__halfLi32ELi4ELi16ELi8ELi2ELi5EEviiiiiiPKT_S3_S3_PS1_ii,comdat
.Lfunc_end140:
	.size	_Z16wvSplitK_hf_sml_I6__halfLi32ELi4ELi16ELi8ELi2ELi5EEviiiiiiPKT_S3_S3_PS1_ii, .Lfunc_end140-_Z16wvSplitK_hf_sml_I6__halfLi32ELi4ELi16ELi8ELi2ELi5EEviiiiiiPKT_S3_S3_PS1_ii
                                        ; -- End function
	.section	.AMDGPU.csdata,"",@progbits
; Kernel info:
; codeLenInByte = 8824
; NumSgprs: 30
; NumVgprs: 112
; ScratchSize: 0
; MemoryBound: 0
; FloatMode: 240
; IeeeMode: 1
; LDSByteSize: 65536 bytes/workgroup (compile time only)
; SGPRBlocks: 3
; VGPRBlocks: 13
; NumSGPRsForWavesPerEU: 30
; NumVGPRsForWavesPerEU: 112
; Occupancy: 8
; WaveLimiterHint : 0
; COMPUTE_PGM_RSRC2:SCRATCH_EN: 0
; COMPUTE_PGM_RSRC2:USER_SGPR: 15
; COMPUTE_PGM_RSRC2:TRAP_HANDLER: 0
; COMPUTE_PGM_RSRC2:TGID_X_EN: 1
; COMPUTE_PGM_RSRC2:TGID_Y_EN: 0
; COMPUTE_PGM_RSRC2:TGID_Z_EN: 0
; COMPUTE_PGM_RSRC2:TIDIG_COMP_CNT: 1
	.section	.text._Z12wvSplitK_hf_I6__halfLi32ELi4ELi16ELi8ELi2ELi5EEviiiiiiPKT_S3_S3_PS1_ii,"axG",@progbits,_Z12wvSplitK_hf_I6__halfLi32ELi4ELi16ELi8ELi2ELi5EEviiiiiiPKT_S3_S3_PS1_ii,comdat
	.protected	_Z12wvSplitK_hf_I6__halfLi32ELi4ELi16ELi8ELi2ELi5EEviiiiiiPKT_S3_S3_PS1_ii ; -- Begin function _Z12wvSplitK_hf_I6__halfLi32ELi4ELi16ELi8ELi2ELi5EEviiiiiiPKT_S3_S3_PS1_ii
	.globl	_Z12wvSplitK_hf_I6__halfLi32ELi4ELi16ELi8ELi2ELi5EEviiiiiiPKT_S3_S3_PS1_ii
	.p2align	8
	.type	_Z12wvSplitK_hf_I6__halfLi32ELi4ELi16ELi8ELi2ELi5EEviiiiiiPKT_S3_S3_PS1_ii,@function
_Z12wvSplitK_hf_I6__halfLi32ELi4ELi16ELi8ELi2ELi5EEviiiiiiPKT_S3_S3_PS1_ii: ; @_Z12wvSplitK_hf_I6__halfLi32ELi4ELi16ELi8ELi2ELi5EEviiiiiiPKT_S3_S3_PS1_ii
; %bb.0:
	s_clause 0x1
	s_load_b64 s[20:21], s[0:1], 0x38
	s_load_b128 s[8:11], s[0:1], 0x0
	v_bfe_u32 v5, v0, 10, 10
	s_clause 0x1
	s_load_b64 s[16:17], s[0:1], 0x20
	s_load_b64 s[18:19], s[0:1], 0x10
	s_mov_b32 s4, 1
	s_delay_alu instid0(SALU_CYCLE_1) | instskip(SKIP_4) | instid1(SALU_CYCLE_1)
	s_mov_b32 s5, s4
	s_mov_b32 s6, s4
	s_mov_b32 s7, s4
	s_waitcnt lgkmcnt(0)
	s_mul_i32 s15, s15, s20
	v_add_lshl_u32 v77, s15, v5, 2
	s_delay_alu instid0(VALU_DEP_1) | instskip(SKIP_1) | instid1(VALU_DEP_2)
	v_add_nc_u32_e32 v1, 4, v77
	v_cmp_gt_u32_e32 vcc_lo, s11, v77
	v_cmp_le_u32_e64 s2, s11, v1
	v_dual_mov_b32 v1, s4 :: v_dual_mov_b32 v4, s7
	v_dual_mov_b32 v2, s5 :: v_dual_mov_b32 v3, s6
	s_delay_alu instid0(VALU_DEP_3) | instskip(NEXT) | instid1(SALU_CYCLE_1)
	s_and_b32 s2, vcc_lo, s2
	s_and_saveexec_b32 s12, s2
	s_cbranch_execz .LBB141_6
; %bb.1:
	v_dual_mov_b32 v1, s4 :: v_dual_mov_b32 v2, s5
	v_dual_mov_b32 v3, s6 :: v_dual_mov_b32 v4, s7
	s_add_i32 s13, s11, -4
	s_mov_b32 s14, exec_lo
	v_cmpx_ne_u32_e64 s13, v77
	s_cbranch_execz .LBB141_5
; %bb.2:
	v_subrev_nc_u32_e32 v1, s13, v77
	s_mov_b32 s15, 0
	s_mov_b64 s[2:3], 0
	s_mov_b32 s5, s4
	s_mov_b32 s6, s4
	v_cmp_lt_u32_e32 vcc_lo, 1, v1
	s_mov_b32 s7, s4
	v_cndmask_b32_e32 v6, 1, v1, vcc_lo
	.p2align	6
.LBB141_3:                              ; =>This Inner Loop Header: Depth=1
	s_cmp_lg_u32 s2, 3
	s_cselect_b32 s7, s7, 0
	s_cmp_lg_u32 s2, 2
	s_cselect_b32 s6, s6, 0
	;; [unrolled: 2-line block ×4, first 2 shown]
	s_add_u32 s2, s2, 1
	v_dual_mov_b32 v1, s4 :: v_dual_mov_b32 v2, s5
	v_cmp_eq_u32_e32 vcc_lo, s2, v6
	v_dual_mov_b32 v3, s6 :: v_dual_mov_b32 v4, s7
	s_addc_u32 s3, s3, 0
	s_or_b32 s15, vcc_lo, s15
	s_delay_alu instid0(SALU_CYCLE_1)
	s_and_not1_b32 exec_lo, exec_lo, s15
	s_cbranch_execnz .LBB141_3
; %bb.4:
	s_or_b32 exec_lo, exec_lo, s15
	v_mov_b32_e32 v77, s13
.LBB141_5:
	s_or_b32 exec_lo, exec_lo, s14
.LBB141_6:
	s_delay_alu instid0(SALU_CYCLE_1) | instskip(SKIP_2) | instid1(SALU_CYCLE_1)
	s_or_b32 exec_lo, exec_lo, s12
	v_and_b32_e32 v6, 0x3ff, v0
	s_mul_i32 s2, s10, 5
	s_min_u32 s3, s2, 0x8000
	s_mov_b32 s2, exec_lo
	s_delay_alu instid0(VALU_DEP_1) | instskip(NEXT) | instid1(VALU_DEP_1)
	v_lshlrev_b32_e32 v0, 3, v6
	v_lshl_add_u32 v8, v5, 8, v0
	s_delay_alu instid0(VALU_DEP_1)
	v_cmpx_gt_u32_e64 s3, v8
	s_cbranch_execz .LBB141_15
; %bb.7:
	v_lshlrev_b32_e32 v7, 1, v8
	v_add_nc_u32_e32 v13, 0x1000, v8
	s_mov_b32 s4, exec_lo
	global_load_b128 v[9:12], v7, s[16:17]
	s_waitcnt vmcnt(0)
	ds_store_b128 v7, v[9:12]
	v_cmpx_gt_u32_e64 s3, v13
	s_xor_b32 s4, exec_lo, s4
	s_cbranch_execz .LBB141_15
; %bb.8:
	v_add_co_u32 v9, s4, s16, v7
	s_delay_alu instid0(VALU_DEP_1) | instskip(SKIP_1) | instid1(VALU_DEP_3)
	v_add_co_ci_u32_e64 v10, null, s17, 0, s4
	v_add_nc_u32_e32 v15, 0x2000, v8
	v_add_co_u32 v11, vcc_lo, 0x2000, v9
	s_delay_alu instid0(VALU_DEP_3)
	v_add_co_ci_u32_e32 v12, vcc_lo, 0, v10, vcc_lo
	s_mov_b32 s4, exec_lo
	global_load_b128 v[11:14], v[11:12], off
	s_waitcnt vmcnt(0)
	ds_store_b128 v7, v[11:14] offset:8192
	v_cmpx_gt_u32_e64 s3, v15
	s_xor_b32 s4, exec_lo, s4
	s_cbranch_execz .LBB141_15
; %bb.9:
	v_add_co_u32 v11, vcc_lo, 0x4000, v9
	v_add_co_ci_u32_e32 v12, vcc_lo, 0, v10, vcc_lo
	v_add_nc_u32_e32 v15, 0x3000, v8
	s_mov_b32 s4, exec_lo
	global_load_b128 v[11:14], v[11:12], off
	s_waitcnt vmcnt(0)
	ds_store_b128 v7, v[11:14] offset:16384
	v_cmpx_gt_u32_e64 s3, v15
	s_xor_b32 s4, exec_lo, s4
	s_cbranch_execz .LBB141_15
; %bb.10:
	v_add_co_u32 v11, vcc_lo, 0x6000, v9
	v_add_co_ci_u32_e32 v12, vcc_lo, 0, v10, vcc_lo
	v_add_nc_u32_e32 v15, 0x4000, v8
	;; [unrolled: 11-line block ×5, first 2 shown]
	global_load_b128 v[11:14], v[11:12], off
	v_cmp_gt_u32_e32 vcc_lo, s3, v8
	s_waitcnt vmcnt(0)
	ds_store_b128 v7, v[11:14] offset:49152
	s_and_saveexec_b32 s3, vcc_lo
	s_delay_alu instid0(SALU_CYCLE_1)
	s_xor_b32 s3, exec_lo, s3
	s_cbranch_execz .LBB141_15
; %bb.14:
	v_add_co_u32 v8, vcc_lo, 0xe000, v9
	v_add_co_ci_u32_e32 v9, vcc_lo, 0, v10, vcc_lo
	global_load_b128 v[8:11], v[8:9], off
	s_waitcnt vmcnt(0)
	ds_store_b128 v7, v[8:11] offset:57344
.LBB141_15:
	s_or_b32 exec_lo, exec_lo, s2
	v_cmp_gt_u32_e32 vcc_lo, s20, v5
	v_cmp_gt_u32_e64 s2, s11, v77
	s_waitcnt lgkmcnt(0)
	s_barrier
	buffer_gl0_inv
	s_and_b32 s2, vcc_lo, s2
	s_delay_alu instid0(SALU_CYCLE_1)
	s_and_saveexec_b32 s3, s2
	s_cbranch_execz .LBB141_114
; %bb.16:
	s_clause 0x1
	s_load_b128 s[12:15], s[0:1], 0x28
	s_load_b64 s[6:7], s[0:1], 0x18
	s_cmp_lg_u32 s8, 0
	s_mul_i32 s0, s20, s21
	s_cselect_b32 s22, -1, 0
	s_add_i32 s23, s8, -8
	s_add_i32 s24, s11, -1
	v_cvt_f32_u32_e32 v7, s18
	v_mad_u64_u32 v[80:81], null, s10, 3, v[0:1]
	v_add_nc_u32_e32 v101, s10, v0
	v_mbcnt_lo_u32_b32 v105, -1, 0
	s_mov_b32 s26, 0
	s_mul_i32 s33, s10, 6
	v_lshlrev_b32_e32 v100, 4, v6
	s_waitcnt lgkmcnt(0)
	s_cmp_lg_u64 s[12:13], 0
	s_cselect_b32 s25, -1, 0
	s_abs_i32 s1, s19
	s_lshl_b32 s19, s0, 2
	v_cvt_f32_u32_e32 v5, s1
	s_sub_i32 s0, 0, s1
	s_add_i32 s20, s11, -4
	s_lshl_b32 s21, s10, 1
	s_sub_i32 s3, 0, s18
	v_rcp_iflag_f32_e32 v5, v5
	s_sub_i32 s4, 1, s1
	s_waitcnt_depctr 0xfff
	v_dual_mul_f32 v5, 0x4f7ffffe, v5 :: v_dual_add_nc_u32 v102, s21, v0
	s_delay_alu instid0(VALU_DEP_1) | instskip(NEXT) | instid1(VALU_DEP_1)
	v_cvt_u32_f32_e32 v5, v5
	v_readfirstlane_b32 s2, v5
	v_rcp_iflag_f32_e32 v5, v7
	s_delay_alu instid0(VALU_DEP_1) | instskip(NEXT) | instid1(SALU_CYCLE_1)
	s_mul_i32 s0, s0, s2
	s_mul_hi_u32 s0, s2, s0
	s_delay_alu instid0(SALU_CYCLE_1) | instskip(SKIP_4) | instid1(SALU_CYCLE_1)
	s_add_i32 s2, s2, s0
	s_cmp_lt_u32 s1, 2
	s_waitcnt_depctr 0xfff
	v_mul_f32_e32 v5, 0x4f7ffffe, v5
	s_cselect_b32 s0, s4, 1
	s_sub_i32 s4, s0, s1
	s_cmp_ge_u32 s0, s1
	s_delay_alu instid0(VALU_DEP_1)
	v_cvt_u32_f32_e32 v5, v5
	s_cselect_b32 s27, s4, s0
	s_lshr_b32 s4, s2, 31
	v_cmp_eq_u32_e64 s0, 31, v6
	s_mul_i32 s4, s4, s1
	v_mul_lo_u32 v7, s3, v5
	s_sub_i32 s4, 2, s4
	s_mul_i32 s27, s27, s18
	s_sub_i32 s5, s4, s1
	s_cmp_ge_u32 s4, s1
	s_cselect_b32 s4, s5, s4
	s_mul_hi_u32 s5, s2, 3
	s_sub_i32 s28, s4, s1
	s_cmp_ge_u32 s4, s1
	s_mul_i32 s5, s5, s1
	s_cselect_b32 s28, s28, s4
	s_sub_i32 s4, 3, s5
	v_mul_hi_u32 v6, v5, v7
	s_sub_i32 s3, s4, s1
	s_cmp_ge_u32 s4, s1
	s_mul_i32 s28, s28, s18
	s_cselect_b32 s3, s3, s4
	s_delay_alu instid0(SALU_CYCLE_1) | instskip(SKIP_1) | instid1(VALU_DEP_1)
	s_sub_i32 s4, s3, s1
	s_cmp_ge_u32 s3, s1
	v_add_nc_u32_e32 v103, v5, v6
	s_cselect_b32 s30, s4, s3
	s_lshr_b32 s2, s2, 30
	s_mul_i32 s30, s30, s18
	s_mul_i32 s2, s2, s1
	s_delay_alu instid0(SALU_CYCLE_1) | instskip(NEXT) | instid1(SALU_CYCLE_1)
	s_sub_i32 s2, 4, s2
	s_sub_i32 s3, s2, s1
	s_cmp_ge_u32 s2, s1
	s_cselect_b32 s2, s3, s2
	s_delay_alu instid0(SALU_CYCLE_1) | instskip(SKIP_3) | instid1(SALU_CYCLE_1)
	s_sub_i32 s3, s2, s1
	s_cmp_ge_u32 s2, s1
	s_cselect_b32 s31, s3, s2
	s_lshl_b32 s29, s10, 2
	v_dual_mov_b32 v79, 0 :: v_dual_add_nc_u32 v104, s29, v0
	s_mul_i32 s31, s31, s18
	s_lshl_b32 s10, s10, 3
	s_branch .LBB141_19
.LBB141_17:                             ;   in Loop: Header=BB141_19 Depth=1
	s_or_b32 exec_lo, exec_lo, s35
	v_mov_b32_e32 v77, s20
.LBB141_18:                             ;   in Loop: Header=BB141_19 Depth=1
	s_or_b32 exec_lo, exec_lo, s34
	s_delay_alu instid0(VALU_DEP_1) | instskip(SKIP_1) | instid1(SALU_CYCLE_1)
	v_cmp_le_u32_e32 vcc_lo, s11, v77
	s_or_b32 s26, vcc_lo, s26
	s_and_not1_b32 exec_lo, exec_lo, s26
	s_cbranch_execz .LBB141_114
.LBB141_19:                             ; =>This Loop Header: Depth=1
                                        ;     Child Loop BB141_24 Depth 2
                                        ;     Child Loop BB141_93 Depth 2
	s_delay_alu instid0(VALU_DEP_1)
	v_dual_mov_b32 v124, v79 :: v_dual_add_nc_u32 v83, 1, v77
	v_dual_mov_b32 v125, v79 :: v_dual_add_nc_u32 v82, 2, v77
	;; [unrolled: 1-line block ×3, first 2 shown]
	v_mov_b32_e32 v123, v79
	v_mov_b32_e32 v121, v79
	;; [unrolled: 1-line block ×17, first 2 shown]
	s_and_not1_b32 vcc_lo, exec_lo, s22
	s_cbranch_vccnz .LBB141_66
; %bb.20:                               ;   in Loop: Header=BB141_19 Depth=1
	v_min_u32_e32 v5, s24, v77
	v_min_u32_e32 v6, s24, v83
	;; [unrolled: 1-line block ×4, first 2 shown]
	s_waitcnt lgkmcnt(17)
	v_dual_mov_b32 v10, v79 :: v_dual_mov_b32 v113, 0
	v_mul_lo_u32 v78, v5, s9
	v_mul_lo_u32 v5, v6, s9
	;; [unrolled: 1-line block ×3, first 2 shown]
	s_waitcnt lgkmcnt(1)
	v_mul_lo_u32 v9, v8, s9
	v_dual_mov_b32 v6, v79 :: v_dual_mov_b32 v117, 0
	v_dual_mov_b32 v8, v79 :: v_dual_mov_b32 v115, 0
	v_lshlrev_b64 v[84:85], 1, v[78:79]
	s_delay_alu instid0(VALU_DEP_3) | instskip(SKIP_1) | instid1(VALU_DEP_4)
	v_lshlrev_b64 v[86:87], 1, v[5:6]
	v_dual_mov_b32 v116, 0 :: v_dual_mov_b32 v111, 0
	v_lshlrev_b64 v[88:89], 1, v[7:8]
	v_lshlrev_b64 v[90:91], 1, v[9:10]
	v_dual_mov_b32 v126, v100 :: v_dual_mov_b32 v109, 0
	v_dual_mov_b32 v114, 0 :: v_dual_mov_b32 v107, 0
	;; [unrolled: 1-line block ×6, first 2 shown]
	v_mov_b32_e32 v118, 0
	v_mov_b32_e32 v120, 0
	;; [unrolled: 1-line block ×4, first 2 shown]
	s_mov_b32 s1, 0
	s_branch .LBB141_24
.LBB141_21:                             ;   in Loop: Header=BB141_24 Depth=2
	s_or_b32 exec_lo, exec_lo, s4
.LBB141_22:                             ;   in Loop: Header=BB141_24 Depth=2
	s_delay_alu instid0(SALU_CYCLE_1)
	s_or_b32 exec_lo, exec_lo, s3
.LBB141_23:                             ;   in Loop: Header=BB141_24 Depth=2
	s_delay_alu instid0(SALU_CYCLE_1)
	s_or_b32 exec_lo, exec_lo, s2
	s_waitcnt vmcnt(0) lgkmcnt(0)
	;;#ASMSTART
	v_dot2_f32_f16 v125, v53, v25, v125
	;;#ASMEND
	;;#ASMSTART
	v_dot2_f32_f16 v124, v53, v21, v124
	;;#ASMEND
	;; [unrolled: 3-line block ×60, first 2 shown]
	v_add_nc_u32_e32 v126, 0x400, v126
	;;#ASMSTART
	v_dot2_f32_f16 v125, v56, v28, v125
	;;#ASMEND
	;;#ASMSTART
	v_dot2_f32_f16 v124, v56, v24, v124
	;;#ASMEND
	;; [unrolled: 3-line block ×20, first 2 shown]
	s_addk_i32 s1, 0x200
	;;#ASMSTART
	v_dot2_f32_f16 v125, v73, v17, v125
	;;#ASMEND
	;;#ASMSTART
	v_dot2_f32_f16 v124, v73, v13, v124
	;;#ASMEND
	;; [unrolled: 3-line block ×40, first 2 shown]
	s_cmp_ge_u32 s1, s8
	;;#ASMSTART
	v_dot2_f32_f16 v125, v75, v19, v125
	;;#ASMEND
	;;#ASMSTART
	v_dot2_f32_f16 v124, v75, v15, v124
	;;#ASMEND
	;; [unrolled: 3-line block ×40, first 2 shown]
	s_cbranch_scc1 .LBB141_66
.LBB141_24:                             ;   Parent Loop BB141_19 Depth=1
                                        ; =>  This Inner Loop Header: Depth=2
	s_waitcnt vmcnt(16)
	v_dual_mov_b32 v60, 0 :: v_dual_add_nc_u32 v93, s1, v0
	s_waitcnt vmcnt(9)
	v_dual_mov_b32 v58, 0 :: v_dual_mov_b32 v57, 0
	v_dual_mov_b32 v64, 0 :: v_dual_mov_b32 v63, 0
	s_delay_alu instid0(VALU_DEP_3) | instskip(SKIP_2) | instid1(VALU_DEP_3)
	v_min_u32_e32 v78, s23, v93
	v_dual_mov_b32 v59, 0 :: v_dual_add_nc_u32 v92, 0x100, v93
	v_dual_mov_b32 v62, 0 :: v_dual_mov_b32 v61, 0
	v_lshlrev_b64 v[5:6], 1, v[78:79]
	s_delay_alu instid0(VALU_DEP_3) | instskip(SKIP_2) | instid1(VALU_DEP_4)
	v_min_u32_e32 v78, s23, v92
	v_dual_mov_b32 v44, 0 :: v_dual_mov_b32 v43, 0
	v_dual_mov_b32 v42, 0 :: v_dual_mov_b32 v41, 0
	v_add_co_u32 v13, vcc_lo, s6, v5
	v_add_co_ci_u32_e32 v14, vcc_lo, s7, v6, vcc_lo
	v_lshlrev_b64 v[5:6], 1, v[78:79]
	s_delay_alu instid0(VALU_DEP_3) | instskip(NEXT) | instid1(VALU_DEP_3)
	v_add_co_u32 v7, vcc_lo, v13, v84
	v_add_co_ci_u32_e32 v8, vcc_lo, v14, v85, vcc_lo
	v_add_co_u32 v9, vcc_lo, v13, v86
	v_add_co_ci_u32_e32 v10, vcc_lo, v14, v87, vcc_lo
	;; [unrolled: 2-line block ×5, first 2 shown]
	s_clause 0x1
	global_load_b128 v[25:28], v[7:8], off slc dlc
	global_load_b128 v[21:24], v[9:10], off slc dlc
	v_add_co_u32 v7, vcc_lo, v15, v84
	v_add_co_ci_u32_e32 v8, vcc_lo, v16, v85, vcc_lo
	v_add_co_u32 v9, vcc_lo, v15, v86
	v_add_co_ci_u32_e32 v10, vcc_lo, v16, v87, vcc_lo
	;; [unrolled: 2-line block ×4, first 2 shown]
	s_waitcnt lgkmcnt(0)
	s_clause 0x5
	global_load_b128 v[33:36], v[11:12], off slc dlc
	global_load_b128 v[29:32], v[5:6], off slc dlc
	;; [unrolled: 1-line block ×6, first 2 shown]
	v_cmp_gt_u32_e32 vcc_lo, s8, v93
	v_dual_mov_b32 v40, 0 :: v_dual_mov_b32 v39, 0
	v_dual_mov_b32 v38, 0 :: v_dual_mov_b32 v37, 0
	;; [unrolled: 1-line block ×4, first 2 shown]
	s_waitcnt vmcnt(10)
	v_dual_mov_b32 v48, 0 :: v_dual_mov_b32 v47, 0
	s_waitcnt vmcnt(8)
	v_dual_mov_b32 v46, 0 :: v_dual_mov_b32 v45, 0
	v_dual_mov_b32 v72, 0 :: v_dual_mov_b32 v71, 0
	;; [unrolled: 1-line block ×9, first 2 shown]
	s_and_saveexec_b32 s2, vcc_lo
	s_cbranch_execz .LBB141_23
; %bb.25:                               ;   in Loop: Header=BB141_24 Depth=2
	s_mov_b32 s3, exec_lo
                                        ; implicit-def: $vgpr56
	v_cmpx_lt_u32_e32 0x7fff, v93
	s_xor_b32 s3, exec_lo, s3
	s_cbranch_execz .LBB141_27
; %bb.26:                               ;   in Loop: Header=BB141_24 Depth=2
	v_mov_b32_e32 v94, v79
	s_delay_alu instid0(VALU_DEP_1) | instskip(NEXT) | instid1(VALU_DEP_1)
	v_lshlrev_b64 v[37:38], 1, v[93:94]
	v_add_co_u32 v37, vcc_lo, s16, v37
	s_delay_alu instid0(VALU_DEP_2)
	v_add_co_ci_u32_e32 v38, vcc_lo, s17, v38, vcc_lo
	global_load_b128 v[53:56], v[37:38], off
.LBB141_27:                             ;   in Loop: Header=BB141_24 Depth=2
	s_and_not1_saveexec_b32 s3, s3
	s_cbranch_execz .LBB141_29
; %bb.28:                               ;   in Loop: Header=BB141_24 Depth=2
	s_waitcnt vmcnt(0)
	ds_load_b128 v[53:56], v126
.LBB141_29:                             ;   in Loop: Header=BB141_24 Depth=2
	s_or_b32 exec_lo, exec_lo, s3
	v_add_nc_u32_e32 v78, s1, v101
	s_mov_b32 s3, exec_lo
                                        ; implicit-def: $vgpr52
	s_delay_alu instid0(VALU_DEP_1)
	v_cmpx_lt_u32_e32 0x7fff, v78
	s_xor_b32 s3, exec_lo, s3
	s_cbranch_execz .LBB141_31
; %bb.30:                               ;   in Loop: Header=BB141_24 Depth=2
	v_lshlrev_b64 v[37:38], 1, v[78:79]
	s_delay_alu instid0(VALU_DEP_1) | instskip(NEXT) | instid1(VALU_DEP_2)
	v_add_co_u32 v37, vcc_lo, s16, v37
	v_add_co_ci_u32_e32 v38, vcc_lo, s17, v38, vcc_lo
	global_load_b128 v[49:52], v[37:38], off
.LBB141_31:                             ;   in Loop: Header=BB141_24 Depth=2
	s_and_not1_saveexec_b32 s3, s3
	s_cbranch_execz .LBB141_33
; %bb.32:                               ;   in Loop: Header=BB141_24 Depth=2
	v_add_nc_u32_e32 v37, s21, v126
	s_waitcnt vmcnt(0)
	ds_load_b128 v[49:52], v37
.LBB141_33:                             ;   in Loop: Header=BB141_24 Depth=2
	s_or_b32 exec_lo, exec_lo, s3
	v_add_nc_u32_e32 v98, s1, v102
	s_mov_b32 s3, exec_lo
                                        ; implicit-def: $vgpr48
	s_delay_alu instid0(VALU_DEP_1)
	v_cmpx_lt_u32_e32 0x7fff, v98
	s_xor_b32 s3, exec_lo, s3
	s_cbranch_execz .LBB141_35
; %bb.34:                               ;   in Loop: Header=BB141_24 Depth=2
	v_mov_b32_e32 v99, v79
	s_delay_alu instid0(VALU_DEP_1) | instskip(NEXT) | instid1(VALU_DEP_1)
	v_lshlrev_b64 v[37:38], 1, v[98:99]
	v_add_co_u32 v37, vcc_lo, s16, v37
	s_delay_alu instid0(VALU_DEP_2)
	v_add_co_ci_u32_e32 v38, vcc_lo, s17, v38, vcc_lo
	global_load_b128 v[45:48], v[37:38], off
.LBB141_35:                             ;   in Loop: Header=BB141_24 Depth=2
	s_and_not1_saveexec_b32 s3, s3
	s_cbranch_execz .LBB141_37
; %bb.36:                               ;   in Loop: Header=BB141_24 Depth=2
	v_add_nc_u32_e32 v37, s29, v126
	s_waitcnt vmcnt(0)
	ds_load_2addr_b32 v[45:46], v37 offset1:1
	ds_load_2addr_b32 v[47:48], v37 offset0:2 offset1:3
.LBB141_37:                             ;   in Loop: Header=BB141_24 Depth=2
	s_or_b32 exec_lo, exec_lo, s3
	v_add_nc_u32_e32 v96, s1, v80
	s_mov_b32 s3, exec_lo
                                        ; implicit-def: $vgpr44
	s_delay_alu instid0(VALU_DEP_1)
	v_cmpx_lt_u32_e32 0x7fff, v96
	s_xor_b32 s3, exec_lo, s3
	s_cbranch_execz .LBB141_39
; %bb.38:                               ;   in Loop: Header=BB141_24 Depth=2
	v_mov_b32_e32 v97, v79
	s_delay_alu instid0(VALU_DEP_1) | instskip(NEXT) | instid1(VALU_DEP_1)
	v_lshlrev_b64 v[37:38], 1, v[96:97]
	v_add_co_u32 v37, vcc_lo, s16, v37
	s_delay_alu instid0(VALU_DEP_2)
	v_add_co_ci_u32_e32 v38, vcc_lo, s17, v38, vcc_lo
	global_load_b128 v[41:44], v[37:38], off
.LBB141_39:                             ;   in Loop: Header=BB141_24 Depth=2
	s_and_not1_saveexec_b32 s3, s3
	s_cbranch_execz .LBB141_41
; %bb.40:                               ;   in Loop: Header=BB141_24 Depth=2
	v_add_nc_u32_e32 v37, s33, v126
	s_waitcnt vmcnt(0)
	ds_load_b128 v[41:44], v37
.LBB141_41:                             ;   in Loop: Header=BB141_24 Depth=2
	s_or_b32 exec_lo, exec_lo, s3
	v_add_nc_u32_e32 v94, s1, v104
	s_mov_b32 s3, exec_lo
                                        ; implicit-def: $vgpr40
	s_delay_alu instid0(VALU_DEP_1)
	v_cmpx_lt_u32_e32 0x7fff, v94
	s_xor_b32 s3, exec_lo, s3
	s_cbranch_execz .LBB141_43
; %bb.42:                               ;   in Loop: Header=BB141_24 Depth=2
	v_mov_b32_e32 v95, v79
	s_delay_alu instid0(VALU_DEP_1) | instskip(NEXT) | instid1(VALU_DEP_1)
	v_lshlrev_b64 v[37:38], 1, v[94:95]
	v_add_co_u32 v37, vcc_lo, s16, v37
	s_delay_alu instid0(VALU_DEP_2)
	v_add_co_ci_u32_e32 v38, vcc_lo, s17, v38, vcc_lo
	global_load_b128 v[37:40], v[37:38], off
.LBB141_43:                             ;   in Loop: Header=BB141_24 Depth=2
	s_and_not1_saveexec_b32 s3, s3
	s_cbranch_execz .LBB141_45
; %bb.44:                               ;   in Loop: Header=BB141_24 Depth=2
	s_waitcnt vmcnt(0)
	v_add_nc_u32_e32 v37, s10, v126
	ds_load_2addr_b64 v[37:40], v37 offset1:1
.LBB141_45:                             ;   in Loop: Header=BB141_24 Depth=2
	s_or_b32 exec_lo, exec_lo, s3
	v_cmp_gt_u32_e32 vcc_lo, s8, v92
	v_dual_mov_b32 v60, 0 :: v_dual_mov_b32 v59, 0
	v_dual_mov_b32 v58, 0 :: v_dual_mov_b32 v57, 0
	;; [unrolled: 1-line block ×10, first 2 shown]
	s_and_saveexec_b32 s3, vcc_lo
	s_cbranch_execz .LBB141_22
; %bb.46:                               ;   in Loop: Header=BB141_24 Depth=2
	s_mov_b32 s4, exec_lo
                                        ; implicit-def: $vgpr76
	v_cmpx_lt_u32_e32 0x7fff, v92
	s_xor_b32 s4, exec_lo, s4
	s_cbranch_execz .LBB141_48
; %bb.47:                               ;   in Loop: Header=BB141_24 Depth=2
	v_mov_b32_e32 v93, v79
	s_delay_alu instid0(VALU_DEP_1) | instskip(NEXT) | instid1(VALU_DEP_1)
	v_lshlrev_b64 v[57:58], 1, v[92:93]
	v_add_co_u32 v57, vcc_lo, s16, v57
	s_delay_alu instid0(VALU_DEP_2)
	v_add_co_ci_u32_e32 v58, vcc_lo, s17, v58, vcc_lo
	global_load_b128 v[73:76], v[57:58], off
.LBB141_48:                             ;   in Loop: Header=BB141_24 Depth=2
	s_and_not1_saveexec_b32 s4, s4
	s_cbranch_execz .LBB141_50
; %bb.49:                               ;   in Loop: Header=BB141_24 Depth=2
	s_waitcnt vmcnt(0)
	ds_load_b128 v[73:76], v126 offset:512
.LBB141_50:                             ;   in Loop: Header=BB141_24 Depth=2
	s_or_b32 exec_lo, exec_lo, s4
	v_add_nc_u32_e32 v78, 0x100, v78
	s_mov_b32 s4, exec_lo
                                        ; implicit-def: $vgpr72
	s_delay_alu instid0(VALU_DEP_1)
	v_cmpx_lt_u32_e32 0x7fff, v78
	s_xor_b32 s4, exec_lo, s4
	s_cbranch_execz .LBB141_52
; %bb.51:                               ;   in Loop: Header=BB141_24 Depth=2
	v_lshlrev_b64 v[57:58], 1, v[78:79]
	s_delay_alu instid0(VALU_DEP_1) | instskip(NEXT) | instid1(VALU_DEP_2)
	v_add_co_u32 v57, vcc_lo, s16, v57
	v_add_co_ci_u32_e32 v58, vcc_lo, s17, v58, vcc_lo
	global_load_b128 v[69:72], v[57:58], off
.LBB141_52:                             ;   in Loop: Header=BB141_24 Depth=2
	s_and_not1_saveexec_b32 s4, s4
	s_cbranch_execz .LBB141_54
; %bb.53:                               ;   in Loop: Header=BB141_24 Depth=2
	v_add_nc_u32_e32 v57, s21, v126
	s_waitcnt vmcnt(0)
	ds_load_b128 v[69:72], v57 offset:512
.LBB141_54:                             ;   in Loop: Header=BB141_24 Depth=2
	s_or_b32 exec_lo, exec_lo, s4
	v_add_nc_u32_e32 v78, 0x100, v98
	s_mov_b32 s4, exec_lo
                                        ; implicit-def: $vgpr68
	s_delay_alu instid0(VALU_DEP_1)
	v_cmpx_lt_u32_e32 0x7fff, v78
	s_xor_b32 s4, exec_lo, s4
	s_cbranch_execz .LBB141_56
; %bb.55:                               ;   in Loop: Header=BB141_24 Depth=2
	v_lshlrev_b64 v[57:58], 1, v[78:79]
	s_delay_alu instid0(VALU_DEP_1) | instskip(NEXT) | instid1(VALU_DEP_2)
	v_add_co_u32 v57, vcc_lo, s16, v57
	v_add_co_ci_u32_e32 v58, vcc_lo, s17, v58, vcc_lo
	global_load_b128 v[65:68], v[57:58], off
.LBB141_56:                             ;   in Loop: Header=BB141_24 Depth=2
	s_and_not1_saveexec_b32 s4, s4
	s_cbranch_execz .LBB141_58
; %bb.57:                               ;   in Loop: Header=BB141_24 Depth=2
	v_add_nc_u32_e32 v57, s29, v126
	s_waitcnt vmcnt(0)
	ds_load_2addr_b32 v[65:66], v57 offset0:128 offset1:129
	ds_load_2addr_b32 v[67:68], v57 offset0:130 offset1:131
.LBB141_58:                             ;   in Loop: Header=BB141_24 Depth=2
	s_or_b32 exec_lo, exec_lo, s4
	v_add_nc_u32_e32 v78, 0x100, v96
	s_mov_b32 s4, exec_lo
                                        ; implicit-def: $vgpr64
	s_delay_alu instid0(VALU_DEP_1)
	v_cmpx_lt_u32_e32 0x7fff, v78
	s_xor_b32 s4, exec_lo, s4
	s_cbranch_execz .LBB141_60
; %bb.59:                               ;   in Loop: Header=BB141_24 Depth=2
	v_lshlrev_b64 v[57:58], 1, v[78:79]
	s_delay_alu instid0(VALU_DEP_1) | instskip(NEXT) | instid1(VALU_DEP_2)
	v_add_co_u32 v57, vcc_lo, s16, v57
	v_add_co_ci_u32_e32 v58, vcc_lo, s17, v58, vcc_lo
	global_load_b128 v[61:64], v[57:58], off
.LBB141_60:                             ;   in Loop: Header=BB141_24 Depth=2
	s_and_not1_saveexec_b32 s4, s4
	s_cbranch_execz .LBB141_62
; %bb.61:                               ;   in Loop: Header=BB141_24 Depth=2
	v_add_nc_u32_e32 v57, s33, v126
	s_waitcnt vmcnt(0)
	ds_load_b128 v[61:64], v57 offset:512
.LBB141_62:                             ;   in Loop: Header=BB141_24 Depth=2
	s_or_b32 exec_lo, exec_lo, s4
	v_add_nc_u32_e32 v78, 0x100, v94
	s_mov_b32 s4, exec_lo
                                        ; implicit-def: $vgpr60
	s_delay_alu instid0(VALU_DEP_1)
	v_cmpx_lt_u32_e32 0x7fff, v78
	s_xor_b32 s4, exec_lo, s4
	s_cbranch_execz .LBB141_64
; %bb.63:                               ;   in Loop: Header=BB141_24 Depth=2
	v_lshlrev_b64 v[57:58], 1, v[78:79]
	s_delay_alu instid0(VALU_DEP_1) | instskip(NEXT) | instid1(VALU_DEP_2)
	v_add_co_u32 v57, vcc_lo, s16, v57
	v_add_co_ci_u32_e32 v58, vcc_lo, s17, v58, vcc_lo
	global_load_b128 v[57:60], v[57:58], off
.LBB141_64:                             ;   in Loop: Header=BB141_24 Depth=2
	s_and_not1_saveexec_b32 s4, s4
	s_cbranch_execz .LBB141_21
; %bb.65:                               ;   in Loop: Header=BB141_24 Depth=2
	s_waitcnt vmcnt(0)
	v_add_nc_u32_e32 v57, s10, v126
	ds_load_2addr_b64 v[57:60], v57 offset0:64 offset1:65
	s_branch .LBB141_21
.LBB141_66:                             ;   in Loop: Header=BB141_19 Depth=1
	v_xor_b32_e32 v5, 16, v105
	v_cvt_i32_f32_e32 v6, v125
	v_cvt_i32_f32_e32 v7, v124
	v_cvt_i32_f32_e32 v8, v123
	s_waitcnt lgkmcnt(1)
	v_cvt_i32_f32_e32 v9, v122
	v_cmp_gt_i32_e32 vcc_lo, 32, v5
	v_cvt_f32_i32_dpp v6, v6 row_shr:8 row_mask:0xf bank_mask:0xf bound_ctrl:1
	v_cvt_i32_f32_e32 v10, v121
	v_cvt_f32_i32_dpp v7, v7 row_shr:8 row_mask:0xf bank_mask:0xf bound_ctrl:1
	v_cndmask_b32_e32 v5, v105, v5, vcc_lo
	s_waitcnt vmcnt(0)
	s_delay_alu instid0(VALU_DEP_1) | instskip(SKIP_3) | instid1(VALU_DEP_4)
	v_dual_add_f32 v6, v125, v6 :: v_dual_lshlrev_b32 v45, 2, v5
	v_cvt_f32_i32_dpp v5, v8 row_shr:8 row_mask:0xf bank_mask:0xf bound_ctrl:1
	v_cvt_f32_i32_dpp v8, v9 row_shr:8 row_mask:0xf bank_mask:0xf bound_ctrl:1
	;; [unrolled: 1-line block ×3, first 2 shown]
	v_cvt_i32_f32_e32 v10, v6
	s_delay_alu instid0(VALU_DEP_3) | instskip(NEXT) | instid1(VALU_DEP_2)
	v_add_f32_e32 v8, v122, v8
	v_cvt_f32_i32_dpp v10, v10 row_shr:4 row_mask:0xf bank_mask:0xf bound_ctrl:1
	v_add_f32_e32 v7, v124, v7
	s_delay_alu instid0(VALU_DEP_3) | instskip(NEXT) | instid1(VALU_DEP_3)
	v_cvt_i32_f32_e32 v13, v8
	v_add_f32_e32 v6, v6, v10
	s_delay_alu instid0(VALU_DEP_3) | instskip(NEXT) | instid1(VALU_DEP_3)
	v_cvt_i32_f32_e32 v11, v7
	v_cvt_f32_i32_dpp v13, v13 row_shr:4 row_mask:0xf bank_mask:0xf bound_ctrl:1
	s_delay_alu instid0(VALU_DEP_3) | instskip(NEXT) | instid1(VALU_DEP_3)
	v_cvt_i32_f32_e32 v10, v6
	v_cvt_f32_i32_dpp v11, v11 row_shr:4 row_mask:0xf bank_mask:0xf bound_ctrl:1
	s_delay_alu instid0(VALU_DEP_3) | instskip(NEXT) | instid1(VALU_DEP_3)
	v_add_f32_e32 v8, v8, v13
	v_cvt_f32_i32_dpp v10, v10 row_shr:2 row_mask:0xf bank_mask:0xf bound_ctrl:1
	s_delay_alu instid0(VALU_DEP_3) | instskip(SKIP_1) | instid1(VALU_DEP_4)
	v_add_f32_e32 v7, v7, v11
	v_add_f32_e32 v5, v123, v5
	v_cvt_i32_f32_e32 v13, v8
	s_delay_alu instid0(VALU_DEP_4) | instskip(NEXT) | instid1(VALU_DEP_4)
	v_add_f32_e32 v6, v6, v10
	v_cvt_i32_f32_e32 v11, v7
	s_delay_alu instid0(VALU_DEP_4) | instskip(NEXT) | instid1(VALU_DEP_4)
	v_cvt_i32_f32_e32 v12, v5
	v_cvt_f32_i32_dpp v13, v13 row_shr:2 row_mask:0xf bank_mask:0xf bound_ctrl:1
	s_delay_alu instid0(VALU_DEP_4) | instskip(NEXT) | instid1(VALU_DEP_4)
	v_cvt_i32_f32_e32 v10, v6
	v_cvt_f32_i32_dpp v11, v11 row_shr:2 row_mask:0xf bank_mask:0xf bound_ctrl:1
	s_delay_alu instid0(VALU_DEP_4) | instskip(NEXT) | instid1(VALU_DEP_4)
	v_cvt_f32_i32_dpp v12, v12 row_shr:4 row_mask:0xf bank_mask:0xf bound_ctrl:1
	v_add_f32_e32 v8, v8, v13
	s_delay_alu instid0(VALU_DEP_4) | instskip(NEXT) | instid1(VALU_DEP_4)
	v_cvt_f32_i32_dpp v10, v10 row_shr:1 row_mask:0xf bank_mask:0xf bound_ctrl:1
	v_add_f32_e32 v7, v7, v11
	s_delay_alu instid0(VALU_DEP_4) | instskip(NEXT) | instid1(VALU_DEP_4)
	v_add_f32_e32 v5, v5, v12
	v_cvt_i32_f32_e32 v13, v8
	s_delay_alu instid0(VALU_DEP_4) | instskip(NEXT) | instid1(VALU_DEP_4)
	v_add_f32_e32 v39, v6, v10
	v_cvt_i32_f32_e32 v11, v7
	s_delay_alu instid0(VALU_DEP_4) | instskip(NEXT) | instid1(VALU_DEP_4)
	v_cvt_i32_f32_e32 v12, v5
	v_cvt_f32_i32_dpp v13, v13 row_shr:1 row_mask:0xf bank_mask:0xf bound_ctrl:1
	s_delay_alu instid0(VALU_DEP_3) | instskip(NEXT) | instid1(VALU_DEP_3)
	v_cvt_f32_i32_dpp v11, v11 row_shr:1 row_mask:0xf bank_mask:0xf bound_ctrl:1
	v_cvt_f32_i32_dpp v12, v12 row_shr:2 row_mask:0xf bank_mask:0xf bound_ctrl:1
	s_delay_alu instid0(VALU_DEP_3) | instskip(SKIP_1) | instid1(VALU_DEP_4)
	v_add_f32_e32 v15, v8, v13
	v_cvt_i32_f32_e32 v8, v118
	v_add_f32_e32 v31, v7, v11
	v_cvt_i32_f32_e32 v7, v119
	v_cvt_i32_f32_e32 v11, v117
	s_delay_alu instid0(VALU_DEP_4) | instskip(SKIP_1) | instid1(VALU_DEP_4)
	v_cvt_f32_i32_dpp v8, v8 row_shr:8 row_mask:0xf bank_mask:0xf bound_ctrl:1
	v_add_f32_e32 v9, v121, v9
	v_cvt_f32_i32_dpp v7, v7 row_shr:8 row_mask:0xf bank_mask:0xf bound_ctrl:1
	s_delay_alu instid0(VALU_DEP_4) | instskip(NEXT) | instid1(VALU_DEP_4)
	v_cvt_f32_i32_dpp v11, v11 row_shr:8 row_mask:0xf bank_mask:0xf bound_ctrl:1
	v_add_f32_e32 v8, v118, v8
	s_delay_alu instid0(VALU_DEP_4) | instskip(NEXT) | instid1(VALU_DEP_4)
	v_cvt_i32_f32_e32 v14, v9
	v_add_f32_e32 v7, v119, v7
	s_delay_alu instid0(VALU_DEP_2) | instskip(NEXT) | instid1(VALU_DEP_2)
	v_cvt_f32_i32_dpp v14, v14 row_shr:4 row_mask:0xf bank_mask:0xf bound_ctrl:1
	v_cvt_i32_f32_e32 v13, v7
	s_delay_alu instid0(VALU_DEP_1) | instskip(NEXT) | instid1(VALU_DEP_1)
	v_cvt_f32_i32_dpp v13, v13 row_shr:4 row_mask:0xf bank_mask:0xf bound_ctrl:1
	v_add_f32_e32 v7, v7, v13
	s_delay_alu instid0(VALU_DEP_1) | instskip(NEXT) | instid1(VALU_DEP_1)
	v_cvt_i32_f32_e32 v13, v7
	v_cvt_f32_i32_dpp v13, v13 row_shr:2 row_mask:0xf bank_mask:0xf bound_ctrl:1
	s_delay_alu instid0(VALU_DEP_1) | instskip(NEXT) | instid1(VALU_DEP_1)
	v_add_f32_e32 v7, v7, v13
	v_cvt_i32_f32_e32 v13, v7
	s_delay_alu instid0(VALU_DEP_1) | instskip(NEXT) | instid1(VALU_DEP_1)
	v_cvt_f32_i32_dpp v13, v13 row_shr:1 row_mask:0xf bank_mask:0xf bound_ctrl:1
	v_dual_add_f32 v9, v9, v14 :: v_dual_add_f32 v32, v7, v13
	v_cvt_i32_f32_e32 v7, v114
	s_delay_alu instid0(VALU_DEP_2) | instskip(SKIP_3) | instid1(VALU_DEP_2)
	v_cvt_i32_f32_e32 v14, v9
	ds_bpermute_b32 v36, v45, v32
	v_cvt_f32_i32_dpp v7, v7 row_shr:8 row_mask:0xf bank_mask:0xf bound_ctrl:1
	v_cvt_f32_i32_dpp v14, v14 row_shr:2 row_mask:0xf bank_mask:0xf bound_ctrl:1
	v_add_f32_e32 v7, v114, v7
	s_delay_alu instid0(VALU_DEP_1) | instskip(NEXT) | instid1(VALU_DEP_1)
	v_cvt_i32_f32_e32 v18, v7
	v_cvt_f32_i32_dpp v18, v18 row_shr:4 row_mask:0xf bank_mask:0xf bound_ctrl:1
	s_delay_alu instid0(VALU_DEP_1) | instskip(NEXT) | instid1(VALU_DEP_1)
	v_add_f32_e32 v7, v7, v18
	v_cvt_i32_f32_e32 v18, v7
	s_delay_alu instid0(VALU_DEP_1) | instskip(NEXT) | instid1(VALU_DEP_1)
	v_cvt_f32_i32_dpp v18, v18 row_shr:2 row_mask:0xf bank_mask:0xf bound_ctrl:1
	v_add_f32_e32 v7, v7, v18
	s_delay_alu instid0(VALU_DEP_1) | instskip(NEXT) | instid1(VALU_DEP_1)
	v_cvt_i32_f32_e32 v18, v7
	v_cvt_f32_i32_dpp v18, v18 row_shr:1 row_mask:0xf bank_mask:0xf bound_ctrl:1
	s_delay_alu instid0(VALU_DEP_1) | instskip(NEXT) | instid1(VALU_DEP_1)
	v_dual_add_f32 v11, v117, v11 :: v_dual_add_f32 v30, v7, v18
	v_cvt_i32_f32_e32 v17, v11
	v_cvt_i32_f32_e32 v18, v107
	ds_bpermute_b32 v34, v45, v30
	v_cvt_f32_i32_dpp v17, v17 row_shr:4 row_mask:0xf bank_mask:0xf bound_ctrl:1
	v_cvt_f32_i32_dpp v18, v18 row_shr:8 row_mask:0xf bank_mask:0xf bound_ctrl:1
	s_delay_alu instid0(VALU_DEP_2) | instskip(NEXT) | instid1(VALU_DEP_2)
	v_add_f32_e32 v11, v11, v17
	v_add_f32_e32 v18, v107, v18
	s_delay_alu instid0(VALU_DEP_2) | instskip(NEXT) | instid1(VALU_DEP_2)
	v_cvt_i32_f32_e32 v17, v11
	v_cvt_i32_f32_e32 v37, v18
	s_delay_alu instid0(VALU_DEP_2) | instskip(NEXT) | instid1(VALU_DEP_2)
	v_cvt_f32_i32_dpp v17, v17 row_shr:2 row_mask:0xf bank_mask:0xf bound_ctrl:1
	v_cvt_f32_i32_dpp v37, v37 row_shr:4 row_mask:0xf bank_mask:0xf bound_ctrl:1
	s_delay_alu instid0(VALU_DEP_2) | instskip(NEXT) | instid1(VALU_DEP_2)
	v_add_f32_e32 v11, v11, v17
	v_add_f32_e32 v18, v18, v37
	s_delay_alu instid0(VALU_DEP_2) | instskip(NEXT) | instid1(VALU_DEP_2)
	v_cvt_i32_f32_e32 v17, v11
	v_cvt_i32_f32_e32 v37, v18
	s_delay_alu instid0(VALU_DEP_2) | instskip(SKIP_1) | instid1(VALU_DEP_3)
	v_cvt_f32_i32_dpp v17, v17 row_shr:1 row_mask:0xf bank_mask:0xf bound_ctrl:1
	v_add_f32_e32 v9, v9, v14
	v_cvt_f32_i32_dpp v37, v37 row_shr:2 row_mask:0xf bank_mask:0xf bound_ctrl:1
	s_delay_alu instid0(VALU_DEP_2) | instskip(NEXT) | instid1(VALU_DEP_2)
	v_cvt_i32_f32_e32 v14, v9
	v_add_f32_e32 v18, v18, v37
	s_delay_alu instid0(VALU_DEP_2) | instskip(NEXT) | instid1(VALU_DEP_2)
	v_cvt_f32_i32_dpp v14, v14 row_shr:1 row_mask:0xf bank_mask:0xf bound_ctrl:1
	v_cvt_i32_f32_e32 v37, v18
	s_delay_alu instid0(VALU_DEP_2) | instskip(SKIP_2) | instid1(VALU_DEP_4)
	v_add_f32_e32 v6, v9, v14
	v_cvt_i32_f32_e32 v14, v8
	v_cvt_i32_f32_e32 v9, v116
	v_cvt_f32_i32_dpp v46, v37 row_shr:1 row_mask:0xf bank_mask:0xf bound_ctrl:1
	ds_bpermute_b32 v10, v45, v6
	v_cvt_f32_i32_dpp v14, v14 row_shr:4 row_mask:0xf bank_mask:0xf bound_ctrl:1
	v_add_f32_e32 v5, v5, v12
	v_cvt_f32_i32_dpp v9, v9 row_shr:8 row_mask:0xf bank_mask:0xf bound_ctrl:1
	s_delay_alu instid0(VALU_DEP_3) | instskip(NEXT) | instid1(VALU_DEP_3)
	v_add_f32_e32 v8, v8, v14
	v_cvt_i32_f32_e32 v12, v5
	s_delay_alu instid0(VALU_DEP_3) | instskip(NEXT) | instid1(VALU_DEP_3)
	v_add_f32_e32 v9, v116, v9
	v_cvt_i32_f32_e32 v14, v8
	s_delay_alu instid0(VALU_DEP_3) | instskip(NEXT) | instid1(VALU_DEP_3)
	v_cvt_f32_i32_dpp v12, v12 row_shr:1 row_mask:0xf bank_mask:0xf bound_ctrl:1
	v_cvt_i32_f32_e32 v16, v9
	s_delay_alu instid0(VALU_DEP_3) | instskip(NEXT) | instid1(VALU_DEP_2)
	v_cvt_f32_i32_dpp v14, v14 row_shr:2 row_mask:0xf bank_mask:0xf bound_ctrl:1
	v_cvt_f32_i32_dpp v16, v16 row_shr:4 row_mask:0xf bank_mask:0xf bound_ctrl:1
	s_delay_alu instid0(VALU_DEP_2) | instskip(SKIP_3) | instid1(VALU_DEP_2)
	v_add_f32_e32 v8, v8, v14
	ds_bpermute_b32 v35, v45, v31
	v_add_f32_e32 v9, v9, v16
	v_cvt_i32_f32_e32 v14, v8
	v_cvt_i32_f32_e32 v16, v9
	s_delay_alu instid0(VALU_DEP_2) | instskip(SKIP_2) | instid1(VALU_DEP_4)
	v_cvt_f32_i32_dpp v14, v14 row_shr:1 row_mask:0xf bank_mask:0xf bound_ctrl:1
	v_add_f32_e32 v23, v5, v12
	v_cvt_i32_f32_e32 v5, v120
	v_cvt_f32_i32_dpp v16, v16 row_shr:2 row_mask:0xf bank_mask:0xf bound_ctrl:1
	s_delay_alu instid0(VALU_DEP_4)
	v_add_f32_e32 v24, v8, v14
	v_cvt_i32_f32_e32 v14, v111
	v_add_f32_e32 v8, v11, v17
	v_cvt_i32_f32_e32 v11, v112
	v_cvt_f32_i32_dpp v5, v5 row_shr:8 row_mask:0xf bank_mask:0xf bound_ctrl:1
	v_add_f32_e32 v9, v9, v16
	v_cvt_f32_i32_dpp v14, v14 row_shr:8 row_mask:0xf bank_mask:0xf bound_ctrl:1
	ds_bpermute_b32 v27, v45, v23
	v_cvt_f32_i32_dpp v11, v11 row_shr:8 row_mask:0xf bank_mask:0xf bound_ctrl:1
	ds_bpermute_b32 v28, v45, v24
	v_cvt_i32_f32_e32 v16, v9
	v_add_f32_e32 v14, v111, v14
	ds_bpermute_b32 v19, v45, v15
	v_add_f32_e32 v11, v112, v11
	v_cvt_f32_i32_dpp v16, v16 row_shr:1 row_mask:0xf bank_mask:0xf bound_ctrl:1
	v_cvt_i32_f32_e32 v22, v14
	s_delay_alu instid0(VALU_DEP_3) | instskip(NEXT) | instid1(VALU_DEP_2)
	v_cvt_i32_f32_e32 v21, v11
	v_cvt_f32_i32_dpp v22, v22 row_shr:4 row_mask:0xf bank_mask:0xf bound_ctrl:1
	v_add_f32_e32 v5, v120, v5
	s_delay_alu instid0(VALU_DEP_3) | instskip(NEXT) | instid1(VALU_DEP_3)
	v_cvt_f32_i32_dpp v21, v21 row_shr:4 row_mask:0xf bank_mask:0xf bound_ctrl:1
	v_add_f32_e32 v14, v14, v22
	s_delay_alu instid0(VALU_DEP_3) | instskip(NEXT) | instid1(VALU_DEP_3)
	v_cvt_i32_f32_e32 v12, v5
	v_add_f32_e32 v11, v11, v21
	s_delay_alu instid0(VALU_DEP_3) | instskip(NEXT) | instid1(VALU_DEP_3)
	v_cvt_i32_f32_e32 v22, v14
	v_cvt_f32_i32_dpp v12, v12 row_shr:4 row_mask:0xf bank_mask:0xf bound_ctrl:1
	s_delay_alu instid0(VALU_DEP_3) | instskip(NEXT) | instid1(VALU_DEP_3)
	v_cvt_i32_f32_e32 v21, v11
	v_cvt_f32_i32_dpp v22, v22 row_shr:2 row_mask:0xf bank_mask:0xf bound_ctrl:1
	s_delay_alu instid0(VALU_DEP_2) | instskip(NEXT) | instid1(VALU_DEP_1)
	v_cvt_f32_i32_dpp v21, v21 row_shr:2 row_mask:0xf bank_mask:0xf bound_ctrl:1
	v_dual_add_f32 v14, v14, v22 :: v_dual_add_f32 v11, v11, v21
	s_delay_alu instid0(VALU_DEP_1) | instskip(NEXT) | instid1(VALU_DEP_2)
	v_cvt_i32_f32_e32 v22, v14
	v_cvt_i32_f32_e32 v21, v11
	s_delay_alu instid0(VALU_DEP_2) | instskip(NEXT) | instid1(VALU_DEP_2)
	v_cvt_f32_i32_dpp v22, v22 row_shr:1 row_mask:0xf bank_mask:0xf bound_ctrl:1
	v_cvt_f32_i32_dpp v25, v21 row_shr:1 row_mask:0xf bank_mask:0xf bound_ctrl:1
	v_add_f32_e32 v5, v5, v12
	s_delay_alu instid0(VALU_DEP_3) | instskip(SKIP_2) | instid1(VALU_DEP_4)
	v_add_f32_e32 v7, v14, v22
	v_cvt_i32_f32_e32 v14, v108
	v_cvt_i32_f32_e32 v22, v106
	;; [unrolled: 1-line block ×3, first 2 shown]
	s_delay_alu instid0(VALU_DEP_3) | instskip(NEXT) | instid1(VALU_DEP_3)
	v_cvt_f32_i32_dpp v14, v14 row_shr:8 row_mask:0xf bank_mask:0xf bound_ctrl:1
	v_cvt_f32_i32_dpp v22, v22 row_shr:8 row_mask:0xf bank_mask:0xf bound_ctrl:1
	s_delay_alu instid0(VALU_DEP_3) | instskip(NEXT) | instid1(VALU_DEP_3)
	v_cvt_f32_i32_dpp v12, v12 row_shr:2 row_mask:0xf bank_mask:0xf bound_ctrl:1
	v_add_f32_e32 v14, v108, v14
	s_delay_alu instid0(VALU_DEP_3) | instskip(SKIP_1) | instid1(VALU_DEP_2)
	v_add_f32_e32 v22, v106, v22
	s_waitcnt lgkmcnt(7)
	v_cvt_i32_f32_e32 v33, v14
	s_delay_alu instid0(VALU_DEP_2) | instskip(NEXT) | instid1(VALU_DEP_2)
	v_cvt_i32_f32_e32 v41, v22
	v_cvt_f32_i32_dpp v33, v33 row_shr:4 row_mask:0xf bank_mask:0xf bound_ctrl:1
	v_add_f32_e32 v5, v5, v12
	s_delay_alu instid0(VALU_DEP_3)
	v_cvt_f32_i32_dpp v41, v41 row_shr:4 row_mask:0xf bank_mask:0xf bound_ctrl:1
	v_add_f32_e32 v13, v9, v16
	v_cvt_i32_f32_e32 v9, v113
	v_add_f32_e32 v14, v14, v33
	v_cvt_i32_f32_e32 v12, v5
	v_add_f32_e32 v22, v22, v41
	ds_bpermute_b32 v17, v45, v13
	v_cvt_f32_i32_dpp v9, v9 row_shr:8 row_mask:0xf bank_mask:0xf bound_ctrl:1
	v_cvt_i32_f32_e32 v33, v14
	v_cvt_f32_i32_dpp v12, v12 row_shr:1 row_mask:0xf bank_mask:0xf bound_ctrl:1
	v_cvt_i32_f32_e32 v41, v22
	s_delay_alu instid0(VALU_DEP_4) | instskip(NEXT) | instid1(VALU_DEP_4)
	v_add_f32_e32 v9, v113, v9
	v_cvt_f32_i32_dpp v33, v33 row_shr:2 row_mask:0xf bank_mask:0xf bound_ctrl:1
	s_delay_alu instid0(VALU_DEP_4)
	v_add_f32_e32 v40, v5, v12
	v_cvt_i32_f32_e32 v5, v115
	v_cvt_f32_i32_dpp v41, v41 row_shr:2 row_mask:0xf bank_mask:0xf bound_ctrl:1
	v_cvt_i32_f32_e32 v20, v9
	v_add_f32_e32 v14, v14, v33
	ds_bpermute_b32 v43, v45, v39
	v_cvt_f32_i32_dpp v5, v5 row_shr:8 row_mask:0xf bank_mask:0xf bound_ctrl:1
	ds_bpermute_b32 v44, v45, v40
	v_cvt_f32_i32_dpp v20, v20 row_shr:4 row_mask:0xf bank_mask:0xf bound_ctrl:1
	v_cvt_i32_f32_e32 v33, v14
	ds_bpermute_b32 v12, v45, v8
	v_add_f32_e32 v5, v115, v5
	v_cvt_f32_i32_dpp v33, v33 row_shr:1 row_mask:0xf bank_mask:0xf bound_ctrl:1
	v_add_f32_e32 v9, v9, v20
	s_delay_alu instid0(VALU_DEP_3) | instskip(NEXT) | instid1(VALU_DEP_1)
	v_cvt_i32_f32_e32 v16, v5
	v_cvt_f32_i32_dpp v16, v16 row_shr:4 row_mask:0xf bank_mask:0xf bound_ctrl:1
	s_delay_alu instid0(VALU_DEP_1) | instskip(NEXT) | instid1(VALU_DEP_1)
	v_add_f32_e32 v5, v5, v16
	v_cvt_i32_f32_e32 v16, v5
	s_delay_alu instid0(VALU_DEP_1) | instskip(NEXT) | instid1(VALU_DEP_1)
	v_cvt_f32_i32_dpp v16, v16 row_shr:2 row_mask:0xf bank_mask:0xf bound_ctrl:1
	v_add_f32_e32 v5, v5, v16
	s_delay_alu instid0(VALU_DEP_1) | instskip(NEXT) | instid1(VALU_DEP_1)
	v_cvt_i32_f32_e32 v16, v5
	v_cvt_f32_i32_dpp v16, v16 row_shr:1 row_mask:0xf bank_mask:0xf bound_ctrl:1
	s_delay_alu instid0(VALU_DEP_1)
	v_add_f32_e32 v38, v5, v16
	v_cvt_i32_f32_e32 v5, v110
	v_add_f32_e32 v16, v11, v25
	ds_bpermute_b32 v11, v45, v7
	ds_bpermute_b32 v42, v45, v38
	v_cvt_f32_i32_dpp v5, v5 row_shr:8 row_mask:0xf bank_mask:0xf bound_ctrl:1
	s_delay_alu instid0(VALU_DEP_1) | instskip(NEXT) | instid1(VALU_DEP_1)
	v_add_f32_e32 v5, v110, v5
	v_cvt_i32_f32_e32 v26, v5
	s_delay_alu instid0(VALU_DEP_1) | instskip(NEXT) | instid1(VALU_DEP_1)
	v_cvt_f32_i32_dpp v26, v26 row_shr:4 row_mask:0xf bank_mask:0xf bound_ctrl:1
	v_add_f32_e32 v5, v5, v26
	s_delay_alu instid0(VALU_DEP_1) | instskip(NEXT) | instid1(VALU_DEP_1)
	v_cvt_i32_f32_e32 v26, v5
	v_cvt_f32_i32_dpp v26, v26 row_shr:2 row_mask:0xf bank_mask:0xf bound_ctrl:1
	s_delay_alu instid0(VALU_DEP_1) | instskip(NEXT) | instid1(VALU_DEP_1)
	v_dual_add_f32 v5, v5, v26 :: v_dual_add_f32 v26, v22, v41
	v_cvt_i32_f32_e32 v22, v5
	s_delay_alu instid0(VALU_DEP_2) | instskip(NEXT) | instid1(VALU_DEP_2)
	v_cvt_i32_f32_e32 v41, v26
	v_cvt_f32_i32_dpp v22, v22 row_shr:1 row_mask:0xf bank_mask:0xf bound_ctrl:1
	s_delay_alu instid0(VALU_DEP_2) | instskip(NEXT) | instid1(VALU_DEP_2)
	v_cvt_f32_i32_dpp v41, v41 row_shr:1 row_mask:0xf bank_mask:0xf bound_ctrl:1
	v_dual_add_f32 v37, v5, v22 :: v_dual_add_f32 v22, v14, v33
	v_cvt_i32_f32_e32 v20, v9
	v_add_f32_e32 v14, v18, v46
	s_delay_alu instid0(VALU_DEP_4)
	v_add_f32_e32 v5, v26, v41
	ds_bpermute_b32 v41, v45, v37
	ds_bpermute_b32 v26, v45, v22
	v_cvt_f32_i32_dpp v20, v20 row_shr:2 row_mask:0xf bank_mask:0xf bound_ctrl:1
	ds_bpermute_b32 v18, v45, v14
	v_add_f32_e32 v9, v9, v20
	s_delay_alu instid0(VALU_DEP_1) | instskip(NEXT) | instid1(VALU_DEP_1)
	v_cvt_i32_f32_e32 v20, v9
	v_cvt_f32_i32_dpp v20, v20 row_shr:1 row_mask:0xf bank_mask:0xf bound_ctrl:1
	s_delay_alu instid0(VALU_DEP_1) | instskip(SKIP_4) | instid1(VALU_DEP_1)
	v_add_f32_e32 v21, v9, v20
	v_cvt_i32_f32_e32 v9, v109
	ds_bpermute_b32 v20, v45, v16
	ds_bpermute_b32 v25, v45, v21
	v_cvt_f32_i32_dpp v9, v9 row_shr:8 row_mask:0xf bank_mask:0xf bound_ctrl:1
	v_add_f32_e32 v9, v109, v9
	s_delay_alu instid0(VALU_DEP_1) | instskip(NEXT) | instid1(VALU_DEP_1)
	v_cvt_i32_f32_e32 v29, v9
	v_cvt_f32_i32_dpp v29, v29 row_shr:4 row_mask:0xf bank_mask:0xf bound_ctrl:1
	s_delay_alu instid0(VALU_DEP_1) | instskip(NEXT) | instid1(VALU_DEP_1)
	v_add_f32_e32 v9, v9, v29
	v_cvt_i32_f32_e32 v29, v9
	s_delay_alu instid0(VALU_DEP_1) | instskip(NEXT) | instid1(VALU_DEP_1)
	v_cvt_f32_i32_dpp v29, v29 row_shr:2 row_mask:0xf bank_mask:0xf bound_ctrl:1
	v_add_f32_e32 v9, v9, v29
	s_delay_alu instid0(VALU_DEP_1) | instskip(NEXT) | instid1(VALU_DEP_1)
	v_cvt_i32_f32_e32 v29, v9
	v_cvt_f32_i32_dpp v29, v29 row_shr:1 row_mask:0xf bank_mask:0xf bound_ctrl:1
	s_delay_alu instid0(VALU_DEP_1)
	v_add_f32_e32 v29, v9, v29
	ds_bpermute_b32 v9, v45, v5
	ds_bpermute_b32 v33, v45, v29
	s_and_saveexec_b32 s5, s0
	s_cbranch_execz .LBB141_90
; %bb.67:                               ;   in Loop: Header=BB141_19 Depth=1
	v_dual_mov_b32 v64, 0 :: v_dual_mov_b32 v63, 0
	v_dual_mov_b32 v62, 0 :: v_dual_mov_b32 v61, 0
	;; [unrolled: 1-line block ×10, first 2 shown]
	s_and_not1_b32 vcc_lo, exec_lo, s25
	s_cbranch_vccnz .LBB141_69
; %bb.68:                               ;   in Loop: Header=BB141_19 Depth=1
	v_mul_hi_u32 v45, v77, v103
	v_mul_hi_u32 v46, v83, v103
	;; [unrolled: 1-line block ×4, first 2 shown]
	v_mov_b32_e32 v60, v79
	v_mov_b32_e32 v64, v79
	;; [unrolled: 1-line block ×4, first 2 shown]
	v_mul_lo_u32 v45, v45, s18
	v_mul_lo_u32 v49, v46, s18
	;; [unrolled: 1-line block ×4, first 2 shown]
	s_delay_alu instid0(VALU_DEP_4) | instskip(NEXT) | instid1(VALU_DEP_4)
	v_sub_nc_u32_e32 v45, v77, v45
	v_sub_nc_u32_e32 v49, v83, v49
	s_delay_alu instid0(VALU_DEP_4) | instskip(NEXT) | instid1(VALU_DEP_4)
	v_sub_nc_u32_e32 v47, v82, v47
	v_sub_nc_u32_e32 v50, v81, v48
	s_delay_alu instid0(VALU_DEP_4)
	v_subrev_nc_u32_e32 v51, s18, v45
	v_cmp_le_u32_e32 vcc_lo, s18, v45
	v_mov_b32_e32 v46, v79
	v_subrev_nc_u32_e32 v52, s18, v49
	v_subrev_nc_u32_e32 v53, s18, v47
	;; [unrolled: 1-line block ×3, first 2 shown]
	v_cndmask_b32_e32 v45, v45, v51, vcc_lo
	v_cmp_le_u32_e32 vcc_lo, s18, v49
	v_mov_b32_e32 v48, v79
	s_delay_alu instid0(VALU_DEP_3) | instskip(SKIP_2) | instid1(VALU_DEP_2)
	v_subrev_nc_u32_e32 v51, s18, v45
	v_cndmask_b32_e32 v49, v49, v52, vcc_lo
	v_cmp_le_u32_e32 vcc_lo, s18, v47
	v_subrev_nc_u32_e32 v52, s18, v49
	v_cndmask_b32_e32 v47, v47, v53, vcc_lo
	v_cmp_le_u32_e32 vcc_lo, s18, v50
	v_dual_cndmask_b32 v53, v50, v54 :: v_dual_mov_b32 v50, v79
	v_cmp_le_u32_e32 vcc_lo, s18, v45
	s_delay_alu instid0(VALU_DEP_2) | instskip(SKIP_4) | instid1(VALU_DEP_4)
	v_subrev_nc_u32_e32 v55, s18, v53
	v_cndmask_b32_e32 v78, v45, v51, vcc_lo
	v_cmp_le_u32_e32 vcc_lo, s18, v49
	v_subrev_nc_u32_e32 v54, s18, v47
	v_mov_b32_e32 v85, v79
	v_add_nc_u32_e32 v59, s27, v78
	v_cndmask_b32_e32 v45, v49, v52, vcc_lo
	v_cmp_le_u32_e32 vcc_lo, s18, v47
	v_lshlrev_b64 v[51:52], 1, v[78:79]
	s_delay_alu instid0(VALU_DEP_4) | instskip(NEXT) | instid1(VALU_DEP_4)
	v_lshlrev_b64 v[59:60], 1, v[59:60]
	v_add_nc_u32_e32 v61, s27, v45
	v_cndmask_b32_e32 v47, v47, v54, vcc_lo
	v_cmp_le_u32_e32 vcc_lo, s18, v53
	v_add_nc_u32_e32 v75, s28, v45
	s_delay_alu instid0(VALU_DEP_4) | instskip(SKIP_4) | instid1(VALU_DEP_4)
	v_lshlrev_b64 v[61:62], 1, v[61:62]
	v_cndmask_b32_e32 v49, v53, v55, vcc_lo
	v_lshlrev_b64 v[53:54], 1, v[45:46]
	v_add_co_u32 v51, vcc_lo, s12, v51
	v_add_co_ci_u32_e32 v52, vcc_lo, s13, v52, vcc_lo
	v_add_nc_u32_e32 v84, s30, v49
	v_lshlrev_b64 v[55:56], 1, v[47:48]
	v_add_co_u32 v53, vcc_lo, s12, v53
	v_lshlrev_b64 v[57:58], 1, v[49:50]
	v_add_co_ci_u32_e32 v54, vcc_lo, s13, v54, vcc_lo
	s_delay_alu instid0(VALU_DEP_4) | instskip(SKIP_1) | instid1(VALU_DEP_4)
	v_add_co_u32 v55, vcc_lo, s12, v55
	v_add_co_ci_u32_e32 v56, vcc_lo, s13, v56, vcc_lo
	v_add_co_u32 v57, vcc_lo, s12, v57
	v_add_nc_u32_e32 v63, s27, v47
	v_add_co_ci_u32_e32 v58, vcc_lo, s13, v58, vcc_lo
	v_add_co_u32 v65, vcc_lo, s12, v59
	v_add_co_ci_u32_e32 v66, vcc_lo, s13, v60, vcc_lo
	s_delay_alu instid0(VALU_DEP_4) | instskip(SKIP_3) | instid1(VALU_DEP_4)
	v_lshlrev_b64 v[59:60], 1, v[63:64]
	v_add_nc_u32_e32 v63, s27, v49
	v_add_co_u32 v67, vcc_lo, s12, v61
	v_add_co_ci_u32_e32 v68, vcc_lo, s13, v62, vcc_lo
	v_add_co_u32 v69, vcc_lo, s12, v59
	s_delay_alu instid0(VALU_DEP_4) | instskip(SKIP_2) | instid1(VALU_DEP_3)
	v_lshlrev_b64 v[61:62], 1, v[63:64]
	v_add_co_ci_u32_e32 v70, vcc_lo, s13, v60, vcc_lo
	v_dual_mov_b32 v60, v79 :: v_dual_add_nc_u32 v59, s28, v78
	v_add_co_u32 v71, vcc_lo, s12, v61
	s_delay_alu instid0(VALU_DEP_4) | instskip(NEXT) | instid1(VALU_DEP_3)
	v_add_co_ci_u32_e32 v72, vcc_lo, s13, v62, vcc_lo
	v_lshlrev_b64 v[73:74], 1, v[59:60]
	s_clause 0x7
	global_load_u16 v64, v[51:52], off
	global_load_u16 v63, v[53:54], off
	;; [unrolled: 1-line block ×8, first 2 shown]
	v_dual_mov_b32 v70, v79 :: v_dual_add_nc_u32 v65, s28, v47
	v_mov_b32_e32 v66, v79
	v_mov_b32_e32 v72, v79
	v_lshlrev_b64 v[50:51], 1, v[75:76]
	v_add_co_u32 v67, vcc_lo, s12, v73
	v_add_nc_u32_e32 v69, s28, v49
	v_add_co_ci_u32_e32 v68, vcc_lo, s13, v74, vcc_lo
	v_mov_b32_e32 v74, v79
	v_lshlrev_b64 v[65:66], 1, v[65:66]
	v_add_nc_u32_e32 v71, s30, v78
	v_add_co_u32 v50, vcc_lo, s12, v50
	v_lshlrev_b64 v[69:70], 1, v[69:70]
	v_add_nc_u32_e32 v73, s30, v45
	v_add_co_ci_u32_e32 v51, vcc_lo, s13, v51, vcc_lo
	v_add_co_u32 v65, vcc_lo, s12, v65
	v_lshlrev_b64 v[71:72], 1, v[71:72]
	v_add_nc_u32_e32 v75, s30, v47
	v_add_co_ci_u32_e32 v66, vcc_lo, s13, v66, vcc_lo
	v_add_co_u32 v69, vcc_lo, s12, v69
	v_lshlrev_b64 v[73:74], 1, v[73:74]
	v_add_co_ci_u32_e32 v70, vcc_lo, s13, v70, vcc_lo
	v_add_co_u32 v71, vcc_lo, s12, v71
	v_lshlrev_b64 v[75:76], 1, v[75:76]
	v_add_nc_u32_e32 v78, s31, v78
	v_add_co_ci_u32_e32 v72, vcc_lo, s13, v72, vcc_lo
	v_add_co_u32 v73, vcc_lo, s12, v73
	v_lshlrev_b64 v[84:85], 1, v[84:85]
	v_add_co_ci_u32_e32 v74, vcc_lo, s13, v74, vcc_lo
	v_add_co_u32 v75, vcc_lo, s12, v75
	v_lshlrev_b64 v[86:87], 1, v[78:79]
	v_add_nc_u32_e32 v78, s31, v45
	v_add_co_ci_u32_e32 v76, vcc_lo, s13, v76, vcc_lo
	v_add_co_u32 v45, vcc_lo, s12, v84
	v_add_co_ci_u32_e32 v46, vcc_lo, s13, v85, vcc_lo
	s_delay_alu instid0(VALU_DEP_4) | instskip(SKIP_3) | instid1(VALU_DEP_3)
	v_lshlrev_b64 v[84:85], 1, v[78:79]
	v_add_nc_u32_e32 v78, s31, v47
	v_add_co_u32 v47, vcc_lo, s12, v86
	v_add_co_ci_u32_e32 v48, vcc_lo, s13, v87, vcc_lo
	v_lshlrev_b64 v[86:87], 1, v[78:79]
	v_add_nc_u32_e32 v78, s31, v49
	v_add_co_u32 v84, vcc_lo, s12, v84
	v_add_co_ci_u32_e32 v85, vcc_lo, s13, v85, vcc_lo
	s_delay_alu instid0(VALU_DEP_3) | instskip(SKIP_2) | instid1(VALU_DEP_3)
	v_lshlrev_b64 v[88:89], 1, v[78:79]
	v_add_co_u32 v86, vcc_lo, s12, v86
	v_add_co_ci_u32_e32 v87, vcc_lo, s13, v87, vcc_lo
	v_add_co_u32 v88, vcc_lo, s12, v88
	s_delay_alu instid0(VALU_DEP_4)
	v_add_co_ci_u32_e32 v89, vcc_lo, s13, v89, vcc_lo
	s_clause 0xb
	global_load_u16 v61, v[67:68], off
	global_load_u16 v59, v[50:51], off
	;; [unrolled: 1-line block ×12, first 2 shown]
.LBB141_69:                             ;   in Loop: Header=BB141_19 Depth=1
	v_cmp_ne_u32_e32 vcc_lo, 0, v1
	s_and_saveexec_b32 s2, vcc_lo
	s_cbranch_execnz .LBB141_95
; %bb.70:                               ;   in Loop: Header=BB141_19 Depth=1
	s_or_b32 exec_lo, exec_lo, s2
	v_cmp_ne_u32_e64 s1, 0, v2
	s_delay_alu instid0(VALU_DEP_1)
	s_and_saveexec_b32 s3, s1
	s_cbranch_execnz .LBB141_96
.LBB141_71:                             ;   in Loop: Header=BB141_19 Depth=1
	s_or_b32 exec_lo, exec_lo, s3
	v_cmp_ne_u32_e64 s2, 0, v3
	s_delay_alu instid0(VALU_DEP_1)
	s_and_saveexec_b32 s4, s2
	s_cbranch_execnz .LBB141_97
.LBB141_72:                             ;   in Loop: Header=BB141_19 Depth=1
	s_or_b32 exec_lo, exec_lo, s4
	v_cmp_ne_u32_e64 s3, 0, v4
	s_delay_alu instid0(VALU_DEP_1)
	s_and_saveexec_b32 s34, s3
	s_cbranch_execnz .LBB141_98
.LBB141_73:                             ;   in Loop: Header=BB141_19 Depth=1
	s_or_b32 exec_lo, exec_lo, s34
	v_add_nc_u32_e32 v78, s11, v77
	s_and_saveexec_b32 s34, vcc_lo
	s_cbranch_execnz .LBB141_99
.LBB141_74:                             ;   in Loop: Header=BB141_19 Depth=1
	s_or_b32 exec_lo, exec_lo, s34
	s_and_saveexec_b32 s34, s1
	s_cbranch_execnz .LBB141_100
.LBB141_75:                             ;   in Loop: Header=BB141_19 Depth=1
	s_or_b32 exec_lo, exec_lo, s34
	s_and_saveexec_b32 s34, s2
	s_cbranch_execnz .LBB141_101
.LBB141_76:                             ;   in Loop: Header=BB141_19 Depth=1
	s_or_b32 exec_lo, exec_lo, s34
	s_and_saveexec_b32 s34, s3
	s_cbranch_execnz .LBB141_102
.LBB141_77:                             ;   in Loop: Header=BB141_19 Depth=1
	s_or_b32 exec_lo, exec_lo, s34
	v_add_nc_u32_e32 v78, s11, v78
	s_and_saveexec_b32 s34, vcc_lo
	s_cbranch_execnz .LBB141_103
.LBB141_78:                             ;   in Loop: Header=BB141_19 Depth=1
	s_or_b32 exec_lo, exec_lo, s34
	s_and_saveexec_b32 s34, s1
	s_cbranch_execnz .LBB141_104
.LBB141_79:                             ;   in Loop: Header=BB141_19 Depth=1
	s_or_b32 exec_lo, exec_lo, s34
	s_and_saveexec_b32 s34, s2
	s_cbranch_execnz .LBB141_105
.LBB141_80:                             ;   in Loop: Header=BB141_19 Depth=1
	s_or_b32 exec_lo, exec_lo, s34
	s_and_saveexec_b32 s34, s3
	s_cbranch_execnz .LBB141_106
.LBB141_81:                             ;   in Loop: Header=BB141_19 Depth=1
	s_or_b32 exec_lo, exec_lo, s34
	v_add_nc_u32_e32 v78, s11, v78
	s_and_saveexec_b32 s34, vcc_lo
	s_cbranch_execnz .LBB141_107
.LBB141_82:                             ;   in Loop: Header=BB141_19 Depth=1
	s_or_b32 exec_lo, exec_lo, s34
	s_and_saveexec_b32 s34, s1
	s_cbranch_execnz .LBB141_108
.LBB141_83:                             ;   in Loop: Header=BB141_19 Depth=1
	s_or_b32 exec_lo, exec_lo, s34
	s_and_saveexec_b32 s34, s2
	s_cbranch_execnz .LBB141_109
.LBB141_84:                             ;   in Loop: Header=BB141_19 Depth=1
	s_or_b32 exec_lo, exec_lo, s34
	s_and_saveexec_b32 s34, s3
	s_cbranch_execnz .LBB141_110
.LBB141_85:                             ;   in Loop: Header=BB141_19 Depth=1
	s_or_b32 exec_lo, exec_lo, s34
	v_add_nc_u32_e32 v78, s11, v78
	s_and_saveexec_b32 s4, vcc_lo
	s_cbranch_execnz .LBB141_111
.LBB141_86:                             ;   in Loop: Header=BB141_19 Depth=1
	s_or_b32 exec_lo, exec_lo, s4
	s_and_saveexec_b32 s4, s1
	s_cbranch_execnz .LBB141_112
.LBB141_87:                             ;   in Loop: Header=BB141_19 Depth=1
	s_or_b32 exec_lo, exec_lo, s4
	s_and_saveexec_b32 s1, s2
	s_cbranch_execnz .LBB141_113
.LBB141_88:                             ;   in Loop: Header=BB141_19 Depth=1
	s_or_b32 exec_lo, exec_lo, s1
	s_delay_alu instid0(SALU_CYCLE_1)
	s_and_b32 exec_lo, exec_lo, s3
	s_cbranch_execz .LBB141_90
.LBB141_89:                             ;   in Loop: Header=BB141_19 Depth=1
	s_waitcnt lgkmcnt(1)
	v_dual_add_f32 v5, v5, v9 :: v_dual_add_nc_u32 v78, 3, v78
	s_waitcnt vmcnt(0)
	v_cvt_f32_f16_e32 v6, v45
	s_delay_alu instid0(VALU_DEP_1) | instskip(NEXT) | instid1(VALU_DEP_3)
	v_add_f32_e32 v7, v5, v6
	v_lshlrev_b64 v[5:6], 1, v[78:79]
	s_delay_alu instid0(VALU_DEP_2) | instskip(NEXT) | instid1(VALU_DEP_2)
	v_cvt_f16_f32_e32 v7, v7
	v_add_co_u32 v5, vcc_lo, s14, v5
	s_delay_alu instid0(VALU_DEP_3)
	v_add_co_ci_u32_e32 v6, vcc_lo, s15, v6, vcc_lo
	global_store_b16 v[5:6], v7, off
.LBB141_90:                             ;   in Loop: Header=BB141_19 Depth=1
	s_or_b32 exec_lo, exec_lo, s5
	v_add_nc_u32_e32 v77, s19, v77
	s_delay_alu instid0(VALU_DEP_1) | instskip(SKIP_1) | instid1(VALU_DEP_2)
	v_add_nc_u32_e32 v5, 4, v77
	v_cmp_gt_u32_e32 vcc_lo, s11, v77
	v_cmp_le_u32_e64 s1, s11, v5
	s_delay_alu instid0(VALU_DEP_1) | instskip(NEXT) | instid1(SALU_CYCLE_1)
	s_and_b32 s1, vcc_lo, s1
	s_and_saveexec_b32 s34, s1
	s_cbranch_execz .LBB141_18
; %bb.91:                               ;   in Loop: Header=BB141_19 Depth=1
	s_mov_b32 s35, exec_lo
	v_cmpx_ne_u32_e64 s20, v77
	s_cbranch_execz .LBB141_17
; %bb.92:                               ;   in Loop: Header=BB141_19 Depth=1
	v_subrev_nc_u32_e32 v5, s20, v77
	s_mov_b32 s36, 0
	s_mov_b64 s[4:5], 0
	s_delay_alu instid0(VALU_DEP_1)
	v_cmp_lt_u32_e32 vcc_lo, 1, v5
	v_cndmask_b32_e32 v5, 1, v5, vcc_lo
	.p2align	6
.LBB141_93:                             ;   Parent Loop BB141_19 Depth=1
                                        ; =>  This Inner Loop Header: Depth=2
	s_cmp_lg_u32 s4, 3
	s_cselect_b32 vcc_lo, -1, 0
	s_cmp_lg_u32 s4, 2
	v_cndmask_b32_e32 v4, 0, v4, vcc_lo
	s_cselect_b32 s1, -1, 0
	s_cmp_lg_u32 s4, 1
	v_cndmask_b32_e64 v3, 0, v3, s1
	s_cselect_b32 s2, -1, 0
	s_cmp_lg_u32 s4, 0
	v_cndmask_b32_e64 v2, 0, v2, s2
	s_cselect_b32 s3, -1, 0
	s_add_u32 s4, s4, 1
	v_cndmask_b32_e64 v1, 0, v1, s3
	v_cmp_eq_u32_e32 vcc_lo, s4, v5
	s_addc_u32 s5, s5, 0
	s_or_b32 s36, vcc_lo, s36
	s_delay_alu instid0(SALU_CYCLE_1)
	s_and_not1_b32 exec_lo, exec_lo, s36
	s_cbranch_execnz .LBB141_93
; %bb.94:                               ;   in Loop: Header=BB141_19 Depth=1
	s_or_b32 exec_lo, exec_lo, s36
	s_branch .LBB141_17
.LBB141_95:                             ;   in Loop: Header=BB141_19 Depth=1
	v_mov_b32_e32 v78, v79
	s_waitcnt lgkmcnt(11)
	v_add_f32_e32 v39, v39, v43
	s_waitcnt vmcnt(19)
	v_cvt_f32_f16_e32 v43, v64
	v_lshlrev_b64 v[64:65], 1, v[77:78]
	s_delay_alu instid0(VALU_DEP_2) | instskip(NEXT) | instid1(VALU_DEP_2)
	v_add_f32_e32 v39, v39, v43
	v_add_co_u32 v64, s1, s14, v64
	s_delay_alu instid0(VALU_DEP_2) | instskip(NEXT) | instid1(VALU_DEP_4)
	v_cvt_f16_f32_e32 v39, v39
	v_add_co_ci_u32_e64 v65, s1, s15, v65, s1
	global_store_b16 v[64:65], v39, off
	s_or_b32 exec_lo, exec_lo, s2
	v_cmp_ne_u32_e64 s1, 0, v2
	s_delay_alu instid0(VALU_DEP_1)
	s_and_saveexec_b32 s3, s1
	s_cbranch_execz .LBB141_71
.LBB141_96:                             ;   in Loop: Header=BB141_19 Depth=1
	v_mov_b32_e32 v84, v79
	s_waitcnt lgkmcnt(16)
	v_add_f32_e32 v31, v31, v35
	s_waitcnt vmcnt(18)
	v_cvt_f32_f16_e32 v35, v63
	v_lshlrev_b64 v[63:64], 1, v[83:84]
	s_delay_alu instid0(VALU_DEP_2) | instskip(NEXT) | instid1(VALU_DEP_2)
	v_add_f32_e32 v31, v31, v35
	v_add_co_u32 v63, s2, s14, v63
	s_delay_alu instid0(VALU_DEP_2) | instskip(NEXT) | instid1(VALU_DEP_4)
	v_cvt_f16_f32_e32 v31, v31
	v_add_co_ci_u32_e64 v64, s2, s15, v64, s2
	global_store_b16 v[63:64], v31, off
	s_or_b32 exec_lo, exec_lo, s3
	v_cmp_ne_u32_e64 s2, 0, v3
	s_delay_alu instid0(VALU_DEP_1)
	s_and_saveexec_b32 s4, s2
	s_cbranch_execz .LBB141_72
.LBB141_97:                             ;   in Loop: Header=BB141_19 Depth=1
	v_mov_b32_e32 v83, v79
	s_waitcnt lgkmcnt(15)
	v_add_f32_e32 v23, v23, v27
	s_waitcnt vmcnt(17)
	v_cvt_f32_f16_e32 v27, v62
	v_lshlrev_b64 v[62:63], 1, v[82:83]
	s_delay_alu instid0(VALU_DEP_2) | instskip(NEXT) | instid1(VALU_DEP_2)
	v_add_f32_e32 v23, v23, v27
	v_add_co_u32 v62, s3, s14, v62
	s_delay_alu instid0(VALU_DEP_2) | instskip(NEXT) | instid1(VALU_DEP_4)
	v_cvt_f16_f32_e32 v23, v23
	v_add_co_ci_u32_e64 v63, s3, s15, v63, s3
	global_store_b16 v[62:63], v23, off
	s_or_b32 exec_lo, exec_lo, s4
	v_cmp_ne_u32_e64 s3, 0, v4
	s_delay_alu instid0(VALU_DEP_1)
	s_and_saveexec_b32 s34, s3
	s_cbranch_execz .LBB141_73
.LBB141_98:                             ;   in Loop: Header=BB141_19 Depth=1
	v_mov_b32_e32 v82, v79
	s_waitcnt lgkmcnt(13)
	v_add_f32_e32 v15, v15, v19
	s_waitcnt vmcnt(16)
	v_cvt_f32_f16_e32 v19, v60
	v_lshlrev_b64 v[62:63], 1, v[81:82]
	s_delay_alu instid0(VALU_DEP_2) | instskip(NEXT) | instid1(VALU_DEP_2)
	v_add_f32_e32 v15, v15, v19
	v_add_co_u32 v62, s4, s14, v62
	s_delay_alu instid0(VALU_DEP_2) | instskip(NEXT) | instid1(VALU_DEP_4)
	v_cvt_f16_f32_e32 v15, v15
	v_add_co_ci_u32_e64 v63, s4, s15, v63, s4
	global_store_b16 v[62:63], v15, off
	s_or_b32 exec_lo, exec_lo, s34
	v_add_nc_u32_e32 v78, s11, v77
	s_and_saveexec_b32 s34, vcc_lo
	s_cbranch_execz .LBB141_74
.LBB141_99:                             ;   in Loop: Header=BB141_19 Depth=1
	s_waitcnt lgkmcnt(17)
	v_add_f32_e32 v6, v6, v10
	s_waitcnt vmcnt(15)
	v_cvt_f32_f16_e32 v10, v58
	v_lshlrev_b64 v[62:63], 1, v[78:79]
	s_delay_alu instid0(VALU_DEP_2) | instskip(NEXT) | instid1(VALU_DEP_2)
	v_add_f32_e32 v6, v6, v10
	v_add_co_u32 v62, s4, s14, v62
	s_delay_alu instid0(VALU_DEP_1) | instskip(NEXT) | instid1(VALU_DEP_3)
	v_add_co_ci_u32_e64 v63, s4, s15, v63, s4
	v_cvt_f16_f32_e32 v6, v6
	global_store_b16 v[62:63], v6, off
	s_or_b32 exec_lo, exec_lo, s34
	s_and_saveexec_b32 s34, s1
	s_cbranch_execz .LBB141_75
.LBB141_100:                            ;   in Loop: Header=BB141_19 Depth=1
	s_waitcnt lgkmcnt(10)
	v_dual_add_f32 v6, v40, v44 :: v_dual_add_nc_u32 v39, 1, v78
	v_mov_b32_e32 v40, v79
	s_waitcnt vmcnt(14)
	v_cvt_f32_f16_e32 v10, v56
	s_delay_alu instid0(VALU_DEP_2) | instskip(NEXT) | instid1(VALU_DEP_2)
	v_lshlrev_b64 v[39:40], 1, v[39:40]
	v_add_f32_e32 v6, v6, v10
	s_delay_alu instid0(VALU_DEP_1) | instskip(NEXT) | instid1(VALU_DEP_3)
	v_cvt_f16_f32_e32 v6, v6
	v_add_co_u32 v39, s4, s14, v39
	s_delay_alu instid0(VALU_DEP_1)
	v_add_co_ci_u32_e64 v40, s4, s15, v40, s4
	global_store_b16 v[39:40], v6, off
	s_or_b32 exec_lo, exec_lo, s34
	s_and_saveexec_b32 s34, s2
	s_cbranch_execz .LBB141_76
.LBB141_101:                            ;   in Loop: Header=BB141_19 Depth=1
	s_waitcnt lgkmcnt(19)
	v_dual_add_f32 v6, v32, v36 :: v_dual_add_nc_u32 v31, 2, v78
	v_mov_b32_e32 v32, v79
	s_waitcnt vmcnt(13) lgkmcnt(17)
	v_cvt_f32_f16_e32 v10, v54
	s_delay_alu instid0(VALU_DEP_2) | instskip(NEXT) | instid1(VALU_DEP_2)
	v_lshlrev_b64 v[31:32], 1, v[31:32]
	v_add_f32_e32 v6, v6, v10
	s_delay_alu instid0(VALU_DEP_1) | instskip(NEXT) | instid1(VALU_DEP_3)
	v_cvt_f16_f32_e32 v6, v6
	v_add_co_u32 v31, s4, s14, v31
	s_delay_alu instid0(VALU_DEP_1)
	v_add_co_ci_u32_e64 v32, s4, s15, v32, s4
	global_store_b16 v[31:32], v6, off
	s_or_b32 exec_lo, exec_lo, s34
	s_and_saveexec_b32 s34, s3
	s_cbranch_execz .LBB141_77
.LBB141_102:                            ;   in Loop: Header=BB141_19 Depth=1
	s_waitcnt lgkmcnt(14)
	v_dual_add_f32 v6, v24, v28 :: v_dual_add_nc_u32 v23, 3, v78
	v_mov_b32_e32 v24, v79
	s_waitcnt vmcnt(12)
	v_cvt_f32_f16_e32 v10, v52
	s_delay_alu instid0(VALU_DEP_2) | instskip(NEXT) | instid1(VALU_DEP_2)
	v_lshlrev_b64 v[23:24], 1, v[23:24]
	v_add_f32_e32 v6, v6, v10
	s_delay_alu instid0(VALU_DEP_1) | instskip(NEXT) | instid1(VALU_DEP_3)
	v_cvt_f16_f32_e32 v6, v6
	v_add_co_u32 v23, s4, s14, v23
	s_delay_alu instid0(VALU_DEP_1)
	v_add_co_ci_u32_e64 v24, s4, s15, v24, s4
	global_store_b16 v[23:24], v6, off
	s_or_b32 exec_lo, exec_lo, s34
	v_add_nc_u32_e32 v78, s11, v78
	s_and_saveexec_b32 s34, vcc_lo
	s_cbranch_execz .LBB141_78
.LBB141_103:                            ;   in Loop: Header=BB141_19 Depth=1
	s_waitcnt lgkmcnt(12)
	v_add_f32_e32 v6, v13, v17
	s_waitcnt vmcnt(11)
	v_cvt_f32_f16_e32 v10, v61
	v_lshlrev_b64 v[23:24], 1, v[78:79]
	s_delay_alu instid0(VALU_DEP_2) | instskip(NEXT) | instid1(VALU_DEP_2)
	v_add_f32_e32 v6, v6, v10
	v_add_co_u32 v23, s4, s14, v23
	s_delay_alu instid0(VALU_DEP_1) | instskip(NEXT) | instid1(VALU_DEP_3)
	v_add_co_ci_u32_e64 v24, s4, s15, v24, s4
	v_cvt_f16_f32_e32 v6, v6
	global_store_b16 v[23:24], v6, off
	s_or_b32 exec_lo, exec_lo, s34
	s_and_saveexec_b32 s34, s1
	s_cbranch_execz .LBB141_79
.LBB141_104:                            ;   in Loop: Header=BB141_19 Depth=1
	s_waitcnt lgkmcnt(9)
	v_dual_add_f32 v6, v8, v12 :: v_dual_mov_b32 v13, v79
	v_add_nc_u32_e32 v12, 1, v78
	s_waitcnt vmcnt(10)
	v_cvt_f32_f16_e32 v8, v59
	s_delay_alu instid0(VALU_DEP_2) | instskip(NEXT) | instid1(VALU_DEP_2)
	v_lshlrev_b64 v[12:13], 1, v[12:13]
	v_add_f32_e32 v6, v6, v8
	s_delay_alu instid0(VALU_DEP_1) | instskip(NEXT) | instid1(VALU_DEP_3)
	v_cvt_f16_f32_e32 v6, v6
	v_add_co_u32 v12, s4, s14, v12
	s_delay_alu instid0(VALU_DEP_1)
	v_add_co_ci_u32_e64 v13, s4, s15, v13, s4
	global_store_b16 v[12:13], v6, off
	s_or_b32 exec_lo, exec_lo, s34
	s_and_saveexec_b32 s34, s2
	s_cbranch_execz .LBB141_80
.LBB141_105:                            ;   in Loop: Header=BB141_19 Depth=1
	s_waitcnt lgkmcnt(7)
	v_dual_add_f32 v6, v38, v42 :: v_dual_mov_b32 v13, v79
	v_add_nc_u32_e32 v12, 2, v78
	s_waitcnt vmcnt(9)
	v_cvt_f32_f16_e32 v8, v57
	s_delay_alu instid0(VALU_DEP_2) | instskip(NEXT) | instid1(VALU_DEP_2)
	v_lshlrev_b64 v[12:13], 1, v[12:13]
	v_add_f32_e32 v6, v6, v8
	s_delay_alu instid0(VALU_DEP_1) | instskip(NEXT) | instid1(VALU_DEP_3)
	v_cvt_f16_f32_e32 v6, v6
	v_add_co_u32 v12, s4, s14, v12
	s_delay_alu instid0(VALU_DEP_1)
	v_add_co_ci_u32_e64 v13, s4, s15, v13, s4
	global_store_b16 v[12:13], v6, off
	s_or_b32 exec_lo, exec_lo, s34
	s_and_saveexec_b32 s34, s3
	s_cbranch_execz .LBB141_81
.LBB141_106:                            ;   in Loop: Header=BB141_19 Depth=1
	s_waitcnt lgkmcnt(18)
	v_dual_add_f32 v6, v30, v34 :: v_dual_mov_b32 v13, v79
	s_waitcnt lgkmcnt(9)
	v_add_nc_u32_e32 v12, 3, v78
	s_waitcnt vmcnt(8)
	v_cvt_f32_f16_e32 v8, v55
	s_delay_alu instid0(VALU_DEP_2) | instskip(NEXT) | instid1(VALU_DEP_2)
	v_lshlrev_b64 v[12:13], 1, v[12:13]
	v_add_f32_e32 v6, v6, v8
	s_delay_alu instid0(VALU_DEP_1) | instskip(NEXT) | instid1(VALU_DEP_3)
	v_cvt_f16_f32_e32 v6, v6
	v_add_co_u32 v12, s4, s14, v12
	s_delay_alu instid0(VALU_DEP_1)
	v_add_co_ci_u32_e64 v13, s4, s15, v13, s4
	global_store_b16 v[12:13], v6, off
	s_or_b32 exec_lo, exec_lo, s34
	v_add_nc_u32_e32 v78, s11, v78
	s_and_saveexec_b32 s34, vcc_lo
	s_cbranch_execz .LBB141_82
.LBB141_107:                            ;   in Loop: Header=BB141_19 Depth=1
	s_waitcnt lgkmcnt(2)
	v_add_f32_e32 v6, v21, v25
	s_waitcnt vmcnt(7)
	v_cvt_f32_f16_e32 v8, v53
	v_lshlrev_b64 v[12:13], 1, v[78:79]
	s_delay_alu instid0(VALU_DEP_2) | instskip(NEXT) | instid1(VALU_DEP_2)
	v_add_f32_e32 v6, v6, v8
	v_add_co_u32 v12, s4, s14, v12
	s_delay_alu instid0(VALU_DEP_1) | instskip(NEXT) | instid1(VALU_DEP_3)
	v_add_co_ci_u32_e64 v13, s4, s15, v13, s4
	v_cvt_f16_f32_e32 v6, v6
	global_store_b16 v[12:13], v6, off
	s_or_b32 exec_lo, exec_lo, s34
	s_and_saveexec_b32 s34, s1
	s_cbranch_execz .LBB141_83
.LBB141_108:                            ;   in Loop: Header=BB141_19 Depth=1
	s_waitcnt lgkmcnt(3)
	v_dual_add_f32 v6, v16, v20 :: v_dual_mov_b32 v13, v79
	v_add_nc_u32_e32 v12, 1, v78
	s_waitcnt vmcnt(6)
	v_cvt_f32_f16_e32 v8, v51
	s_delay_alu instid0(VALU_DEP_2) | instskip(NEXT) | instid1(VALU_DEP_2)
	v_lshlrev_b64 v[12:13], 1, v[12:13]
	v_add_f32_e32 v6, v6, v8
	s_delay_alu instid0(VALU_DEP_1) | instskip(NEXT) | instid1(VALU_DEP_3)
	v_cvt_f16_f32_e32 v6, v6
	v_add_co_u32 v12, s4, s14, v12
	s_delay_alu instid0(VALU_DEP_1)
	v_add_co_ci_u32_e64 v13, s4, s15, v13, s4
	global_store_b16 v[12:13], v6, off
	s_or_b32 exec_lo, exec_lo, s34
	s_and_saveexec_b32 s34, s2
	s_cbranch_execz .LBB141_84
.LBB141_109:                            ;   in Loop: Header=BB141_19 Depth=1
	s_waitcnt lgkmcnt(8)
	v_add_f32_e32 v8, v7, v11
	v_dual_mov_b32 v7, v79 :: v_dual_add_nc_u32 v6, 2, v78
	s_waitcnt vmcnt(5)
	v_cvt_f32_f16_e32 v10, v50
	s_delay_alu instid0(VALU_DEP_2) | instskip(NEXT) | instid1(VALU_DEP_2)
	v_lshlrev_b64 v[6:7], 1, v[6:7]
	v_add_f32_e32 v8, v8, v10
	s_delay_alu instid0(VALU_DEP_1) | instskip(NEXT) | instid1(VALU_DEP_3)
	v_cvt_f16_f32_e32 v8, v8
	v_add_co_u32 v6, s4, s14, v6
	s_delay_alu instid0(VALU_DEP_1)
	v_add_co_ci_u32_e64 v7, s4, s15, v7, s4
	global_store_b16 v[6:7], v8, off
	s_or_b32 exec_lo, exec_lo, s34
	s_and_saveexec_b32 s34, s3
	s_cbranch_execz .LBB141_85
.LBB141_110:                            ;   in Loop: Header=BB141_19 Depth=1
	s_waitcnt lgkmcnt(6)
	v_dual_add_f32 v8, v37, v41 :: v_dual_mov_b32 v7, v79
	v_add_nc_u32_e32 v6, 3, v78
	s_waitcnt vmcnt(4)
	v_cvt_f32_f16_e32 v10, v49
	s_delay_alu instid0(VALU_DEP_2) | instskip(NEXT) | instid1(VALU_DEP_2)
	v_lshlrev_b64 v[6:7], 1, v[6:7]
	v_add_f32_e32 v8, v8, v10
	s_delay_alu instid0(VALU_DEP_1) | instskip(NEXT) | instid1(VALU_DEP_3)
	v_cvt_f16_f32_e32 v8, v8
	v_add_co_u32 v6, s4, s14, v6
	s_delay_alu instid0(VALU_DEP_1)
	v_add_co_ci_u32_e64 v7, s4, s15, v7, s4
	global_store_b16 v[6:7], v8, off
	s_or_b32 exec_lo, exec_lo, s34
	v_add_nc_u32_e32 v78, s11, v78
	s_and_saveexec_b32 s4, vcc_lo
	s_cbranch_execz .LBB141_86
.LBB141_111:                            ;   in Loop: Header=BB141_19 Depth=1
	s_waitcnt lgkmcnt(0)
	v_add_f32_e32 v6, v29, v33
	s_waitcnt vmcnt(3)
	v_cvt_f32_f16_e32 v7, v48
	s_delay_alu instid0(VALU_DEP_1) | instskip(SKIP_1) | instid1(VALU_DEP_2)
	v_add_f32_e32 v8, v6, v7
	v_lshlrev_b64 v[6:7], 1, v[78:79]
	v_cvt_f16_f32_e32 v8, v8
	s_delay_alu instid0(VALU_DEP_2) | instskip(NEXT) | instid1(VALU_DEP_3)
	v_add_co_u32 v6, vcc_lo, s14, v6
	v_add_co_ci_u32_e32 v7, vcc_lo, s15, v7, vcc_lo
	global_store_b16 v[6:7], v8, off
	s_or_b32 exec_lo, exec_lo, s4
	s_and_saveexec_b32 s4, s1
	s_cbranch_execz .LBB141_87
.LBB141_112:                            ;   in Loop: Header=BB141_19 Depth=1
	s_waitcnt lgkmcnt(5)
	v_dual_add_f32 v8, v22, v26 :: v_dual_mov_b32 v7, v79
	v_add_nc_u32_e32 v6, 1, v78
	s_waitcnt vmcnt(2)
	v_cvt_f32_f16_e32 v10, v47
	s_delay_alu instid0(VALU_DEP_2) | instskip(NEXT) | instid1(VALU_DEP_2)
	v_lshlrev_b64 v[6:7], 1, v[6:7]
	v_add_f32_e32 v8, v8, v10
	s_delay_alu instid0(VALU_DEP_1) | instskip(NEXT) | instid1(VALU_DEP_3)
	v_cvt_f16_f32_e32 v8, v8
	v_add_co_u32 v6, vcc_lo, s14, v6
	s_delay_alu instid0(VALU_DEP_4)
	v_add_co_ci_u32_e32 v7, vcc_lo, s15, v7, vcc_lo
	global_store_b16 v[6:7], v8, off
	s_or_b32 exec_lo, exec_lo, s4
	s_and_saveexec_b32 s1, s2
	s_cbranch_execz .LBB141_88
.LBB141_113:                            ;   in Loop: Header=BB141_19 Depth=1
	s_waitcnt lgkmcnt(4)
	v_dual_add_f32 v8, v14, v18 :: v_dual_mov_b32 v7, v79
	v_add_nc_u32_e32 v6, 2, v78
	s_waitcnt vmcnt(1)
	v_cvt_f32_f16_e32 v10, v46
	s_delay_alu instid0(VALU_DEP_2) | instskip(NEXT) | instid1(VALU_DEP_2)
	v_lshlrev_b64 v[6:7], 1, v[6:7]
	v_add_f32_e32 v8, v8, v10
	s_delay_alu instid0(VALU_DEP_1) | instskip(NEXT) | instid1(VALU_DEP_3)
	v_cvt_f16_f32_e32 v8, v8
	v_add_co_u32 v6, vcc_lo, s14, v6
	s_delay_alu instid0(VALU_DEP_4) | instskip(SKIP_2) | instid1(SALU_CYCLE_1)
	v_add_co_ci_u32_e32 v7, vcc_lo, s15, v7, vcc_lo
	global_store_b16 v[6:7], v8, off
	s_or_b32 exec_lo, exec_lo, s1
	s_and_b32 exec_lo, exec_lo, s3
	s_cbranch_execnz .LBB141_89
	s_branch .LBB141_90
.LBB141_114:
	s_nop 0
	s_sendmsg sendmsg(MSG_DEALLOC_VGPRS)
	s_endpgm
	.section	.rodata,"a",@progbits
	.p2align	6, 0x0
	.amdhsa_kernel _Z12wvSplitK_hf_I6__halfLi32ELi4ELi16ELi8ELi2ELi5EEviiiiiiPKT_S3_S3_PS1_ii
		.amdhsa_group_segment_fixed_size 65536
		.amdhsa_private_segment_fixed_size 0
		.amdhsa_kernarg_size 64
		.amdhsa_user_sgpr_count 15
		.amdhsa_user_sgpr_dispatch_ptr 0
		.amdhsa_user_sgpr_queue_ptr 0
		.amdhsa_user_sgpr_kernarg_segment_ptr 1
		.amdhsa_user_sgpr_dispatch_id 0
		.amdhsa_user_sgpr_private_segment_size 0
		.amdhsa_wavefront_size32 1
		.amdhsa_uses_dynamic_stack 0
		.amdhsa_enable_private_segment 0
		.amdhsa_system_sgpr_workgroup_id_x 1
		.amdhsa_system_sgpr_workgroup_id_y 0
		.amdhsa_system_sgpr_workgroup_id_z 0
		.amdhsa_system_sgpr_workgroup_info 0
		.amdhsa_system_vgpr_workitem_id 1
		.amdhsa_next_free_vgpr 127
		.amdhsa_next_free_sgpr 37
		.amdhsa_reserve_vcc 1
		.amdhsa_float_round_mode_32 0
		.amdhsa_float_round_mode_16_64 0
		.amdhsa_float_denorm_mode_32 3
		.amdhsa_float_denorm_mode_16_64 3
		.amdhsa_dx10_clamp 1
		.amdhsa_ieee_mode 1
		.amdhsa_fp16_overflow 0
		.amdhsa_workgroup_processor_mode 1
		.amdhsa_memory_ordered 1
		.amdhsa_forward_progress 0
		.amdhsa_shared_vgpr_count 0
		.amdhsa_exception_fp_ieee_invalid_op 0
		.amdhsa_exception_fp_denorm_src 0
		.amdhsa_exception_fp_ieee_div_zero 0
		.amdhsa_exception_fp_ieee_overflow 0
		.amdhsa_exception_fp_ieee_underflow 0
		.amdhsa_exception_fp_ieee_inexact 0
		.amdhsa_exception_int_div_zero 0
	.end_amdhsa_kernel
	.section	.text._Z12wvSplitK_hf_I6__halfLi32ELi4ELi16ELi8ELi2ELi5EEviiiiiiPKT_S3_S3_PS1_ii,"axG",@progbits,_Z12wvSplitK_hf_I6__halfLi32ELi4ELi16ELi8ELi2ELi5EEviiiiiiPKT_S3_S3_PS1_ii,comdat
.Lfunc_end141:
	.size	_Z12wvSplitK_hf_I6__halfLi32ELi4ELi16ELi8ELi2ELi5EEviiiiiiPKT_S3_S3_PS1_ii, .Lfunc_end141-_Z12wvSplitK_hf_I6__halfLi32ELi4ELi16ELi8ELi2ELi5EEviiiiiiPKT_S3_S3_PS1_ii
                                        ; -- End function
	.section	.AMDGPU.csdata,"",@progbits
; Kernel info:
; codeLenInByte = 11332
; NumSgprs: 39
; NumVgprs: 127
; ScratchSize: 0
; MemoryBound: 0
; FloatMode: 240
; IeeeMode: 1
; LDSByteSize: 65536 bytes/workgroup (compile time only)
; SGPRBlocks: 4
; VGPRBlocks: 15
; NumSGPRsForWavesPerEU: 39
; NumVGPRsForWavesPerEU: 127
; Occupancy: 8
; WaveLimiterHint : 0
; COMPUTE_PGM_RSRC2:SCRATCH_EN: 0
; COMPUTE_PGM_RSRC2:USER_SGPR: 15
; COMPUTE_PGM_RSRC2:TRAP_HANDLER: 0
; COMPUTE_PGM_RSRC2:TGID_X_EN: 1
; COMPUTE_PGM_RSRC2:TGID_Y_EN: 0
; COMPUTE_PGM_RSRC2:TGID_Z_EN: 0
; COMPUTE_PGM_RSRC2:TIDIG_COMP_CNT: 1
	.section	.text._Z16wvSplitK_hf_big_I6__halfLi32ELi4ELi16ELi8ELi2ELi5EEviiiiiiPKT_S3_S3_PS1_ii,"axG",@progbits,_Z16wvSplitK_hf_big_I6__halfLi32ELi4ELi16ELi8ELi2ELi5EEviiiiiiPKT_S3_S3_PS1_ii,comdat
	.protected	_Z16wvSplitK_hf_big_I6__halfLi32ELi4ELi16ELi8ELi2ELi5EEviiiiiiPKT_S3_S3_PS1_ii ; -- Begin function _Z16wvSplitK_hf_big_I6__halfLi32ELi4ELi16ELi8ELi2ELi5EEviiiiiiPKT_S3_S3_PS1_ii
	.globl	_Z16wvSplitK_hf_big_I6__halfLi32ELi4ELi16ELi8ELi2ELi5EEviiiiiiPKT_S3_S3_PS1_ii
	.p2align	8
	.type	_Z16wvSplitK_hf_big_I6__halfLi32ELi4ELi16ELi8ELi2ELi5EEviiiiiiPKT_S3_S3_PS1_ii,@function
_Z16wvSplitK_hf_big_I6__halfLi32ELi4ELi16ELi8ELi2ELi5EEviiiiiiPKT_S3_S3_PS1_ii: ; @_Z16wvSplitK_hf_big_I6__halfLi32ELi4ELi16ELi8ELi2ELi5EEviiiiiiPKT_S3_S3_PS1_ii
; %bb.0:
	s_load_b64 s[20:21], s[0:1], 0x38
	v_bfe_u32 v5, v0, 10, 10
	s_mov_b32 s2, exec_lo
	s_waitcnt lgkmcnt(0)
	s_delay_alu instid0(VALU_DEP_1)
	v_cmpx_gt_u32_e64 s20, v5
	s_cbranch_execz .LBB142_80
; %bb.1:
	s_load_b128 s[16:19], s[0:1], 0x0
	s_mul_i32 s15, s15, s20
	s_mov_b32 s4, 1
	v_add_lshl_u32 v76, s15, v5, 2
	s_mov_b32 s5, s4
	s_mov_b32 s6, s4
	;; [unrolled: 1-line block ×3, first 2 shown]
	s_delay_alu instid0(VALU_DEP_1) | instskip(SKIP_2) | instid1(VALU_DEP_2)
	v_add_nc_u32_e32 v1, 4, v76
	s_waitcnt lgkmcnt(0)
	v_cmp_gt_u32_e32 vcc_lo, s19, v76
	v_cmp_le_u32_e64 s2, s19, v1
	v_dual_mov_b32 v1, s4 :: v_dual_mov_b32 v4, s7
	v_dual_mov_b32 v2, s5 :: v_dual_mov_b32 v3, s6
	s_delay_alu instid0(VALU_DEP_3) | instskip(NEXT) | instid1(SALU_CYCLE_1)
	s_and_b32 s2, vcc_lo, s2
	s_and_saveexec_b32 s8, s2
	s_cbranch_execz .LBB142_7
; %bb.2:
	v_dual_mov_b32 v1, s4 :: v_dual_mov_b32 v2, s5
	v_dual_mov_b32 v3, s6 :: v_dual_mov_b32 v4, s7
	s_add_i32 s9, s19, -4
	s_mov_b32 s10, exec_lo
	v_cmpx_ne_u32_e64 s9, v76
	s_cbranch_execz .LBB142_6
; %bb.3:
	v_subrev_nc_u32_e32 v1, s9, v76
	s_mov_b32 s11, 0
	s_mov_b64 s[2:3], 0
	s_mov_b32 s5, s4
	s_mov_b32 s6, s4
	v_cmp_lt_u32_e32 vcc_lo, 1, v1
	s_mov_b32 s7, s4
	v_cndmask_b32_e32 v6, 1, v1, vcc_lo
	.p2align	6
.LBB142_4:                              ; =>This Inner Loop Header: Depth=1
	s_cmp_lg_u32 s2, 3
	s_cselect_b32 s7, s7, 0
	s_cmp_lg_u32 s2, 2
	s_cselect_b32 s6, s6, 0
	;; [unrolled: 2-line block ×4, first 2 shown]
	s_add_u32 s2, s2, 1
	v_dual_mov_b32 v1, s4 :: v_dual_mov_b32 v2, s5
	v_cmp_eq_u32_e32 vcc_lo, s2, v6
	v_dual_mov_b32 v3, s6 :: v_dual_mov_b32 v4, s7
	s_addc_u32 s3, s3, 0
	s_or_b32 s11, vcc_lo, s11
	s_delay_alu instid0(SALU_CYCLE_1)
	s_and_not1_b32 exec_lo, exec_lo, s11
	s_cbranch_execnz .LBB142_4
; %bb.5:
	s_or_b32 exec_lo, exec_lo, s11
	v_mov_b32_e32 v76, s9
.LBB142_6:
	s_or_b32 exec_lo, exec_lo, s10
.LBB142_7:
	s_delay_alu instid0(SALU_CYCLE_1)
	s_or_b32 exec_lo, exec_lo, s8
	s_lshl_b32 s2, s20, 2
	s_abs_i32 s6, s19
	s_abs_i32 s3, s2
	s_mov_b32 s23, 0
	v_cvt_f32_u32_e32 v6, s3
	s_sub_i32 s5, 0, s3
	s_delay_alu instid0(VALU_DEP_1) | instskip(SKIP_2) | instid1(VALU_DEP_1)
	v_rcp_iflag_f32_e32 v6, v6
	s_waitcnt_depctr 0xfff
	v_mul_f32_e32 v6, 0x4f7ffffe, v6
	v_cvt_u32_f32_e32 v6, v6
	s_delay_alu instid0(VALU_DEP_1) | instskip(NEXT) | instid1(VALU_DEP_1)
	v_readfirstlane_b32 s4, v6
	s_mul_i32 s5, s5, s4
	s_delay_alu instid0(SALU_CYCLE_1) | instskip(NEXT) | instid1(SALU_CYCLE_1)
	s_mul_hi_u32 s5, s4, s5
	s_add_i32 s4, s4, s5
	s_ashr_i32 s5, s19, 31
	s_mul_hi_u32 s4, s6, s4
	s_delay_alu instid0(SALU_CYCLE_1) | instskip(NEXT) | instid1(SALU_CYCLE_1)
	s_mul_i32 s4, s4, s3
	s_sub_i32 s4, s6, s4
	s_delay_alu instid0(SALU_CYCLE_1) | instskip(SKIP_2) | instid1(SALU_CYCLE_1)
	s_sub_i32 s6, s4, s3
	s_cmp_ge_u32 s4, s3
	s_cselect_b32 s4, s6, s4
	s_sub_i32 s6, s4, s3
	s_cmp_ge_u32 s4, s3
	s_cselect_b32 s3, s6, s4
	s_add_i32 s2, s2, s19
	s_xor_b32 s3, s3, s5
	s_delay_alu instid0(SALU_CYCLE_1) | instskip(NEXT) | instid1(SALU_CYCLE_1)
	s_sub_i32 s3, s3, s5
	s_sub_i32 s2, s2, s3
	s_cmp_eq_u32 s3, 0
	s_cselect_b32 s22, s19, s2
	s_delay_alu instid0(SALU_CYCLE_1)
	v_cmp_gt_u32_e32 vcc_lo, s22, v76
	s_and_b32 exec_lo, exec_lo, vcc_lo
	s_cbranch_execz .LBB142_80
; %bb.8:
	s_load_b256 s[8:15], s[0:1], 0x10
	s_min_u32 s24, s18, 0x1800
	s_cmp_lg_u32 s16, 0
	s_mul_i32 s2, s21, s20
	s_cselect_b32 s25, -1, 0
	s_cmp_lg_u32 s18, 0
	v_and_b32_e32 v0, 0x3ff, v0
	s_cselect_b32 s21, -1, 0
	s_lshl_b32 s26, s20, 8
	s_add_i32 s27, s16, -8
	s_add_i32 s28, s19, -1
	s_lshl_b32 s29, s2, 2
	s_load_b64 s[6:7], s[0:1], 0x30
	v_dual_mov_b32 v78, 0 :: v_dual_lshlrev_b32 v7, 4, v0
	v_mbcnt_lo_u32_b32 v88, -1, 0
	v_lshlrev_b32_e32 v89, 3, v0
	s_delay_alu instid0(VALU_DEP_3)
	v_lshl_add_u32 v90, v5, 9, v7
	s_waitcnt lgkmcnt(0)
	s_cmp_lg_u64 s[14:15], 0
	s_cselect_b32 s30, -1, 0
	s_abs_i32 s2, s9
	s_add_i32 s31, s19, -4
	v_cvt_f32_u32_e32 v6, s2
	s_sub_i32 s1, 0, s2
	s_sub_i32 s3, 0, s8
	;; [unrolled: 1-line block ×3, first 2 shown]
	s_mul_i32 s9, s24, 6
	v_rcp_iflag_f32_e32 v6, v6
	s_waitcnt_depctr 0xfff
	v_mul_f32_e32 v6, 0x4f7ffffe, v6
	s_delay_alu instid0(VALU_DEP_1) | instskip(NEXT) | instid1(VALU_DEP_1)
	v_cvt_u32_f32_e32 v6, v6
	v_readfirstlane_b32 s0, v6
	v_cvt_f32_u32_e32 v6, s8
	s_delay_alu instid0(VALU_DEP_2) | instskip(NEXT) | instid1(VALU_DEP_1)
	s_mul_i32 s1, s1, s0
	v_rcp_iflag_f32_e32 v6, v6
	s_mul_hi_u32 s1, s0, s1
	s_delay_alu instid0(SALU_CYCLE_1) | instskip(SKIP_3) | instid1(SALU_CYCLE_1)
	s_add_i32 s1, s0, s1
	s_cmp_lt_u32 s2, 2
	v_cmp_eq_u32_e64 s0, 31, v0
	s_cselect_b32 s4, s4, 1
	s_sub_i32 s5, s4, s2
	s_cmp_ge_u32 s4, s2
	s_waitcnt_depctr 0xfff
	v_mul_f32_e32 v0, 0x4f7ffffe, v6
	s_cselect_b32 s33, s5, s4
	s_lshr_b32 s4, s1, 31
	s_mul_i32 s33, s33, s8
	s_mul_i32 s4, s4, s2
	v_cvt_u32_f32_e32 v6, v0
	s_sub_i32 s4, 2, s4
	v_lshl_add_u32 v0, v5, 8, v89
	s_sub_i32 s5, s4, s2
	s_cmp_ge_u32 s4, s2
	v_mul_lo_u32 v8, s3, v6
	s_cselect_b32 s3, s5, s4
	s_mul_hi_u32 s4, s1, 3
	s_sub_i32 s5, s3, s2
	s_cmp_ge_u32 s3, s2
	s_mul_i32 s4, s4, s2
	s_cselect_b32 s34, s5, s3
	s_sub_i32 s3, 3, s4
	v_mul_hi_u32 v5, v6, v8
	s_sub_i32 s4, s3, s2
	s_cmp_ge_u32 s3, s2
	v_mad_u64_u32 v[79:80], null, s18, 3, v[0:1]
	s_cselect_b32 s3, s4, s3
	v_lshl_add_u32 v91, s18, 1, v0
	s_sub_i32 s4, s3, s2
	s_cmp_ge_u32 s3, s2
	v_lshl_add_u32 v92, s18, 2, v0
	s_cselect_b32 s35, s4, s3
	s_lshr_b32 s1, s1, 30
	v_add_nc_u32_e32 v93, s18, v0
	s_mul_i32 s1, s1, s2
	v_add_nc_u32_e32 v94, v6, v5
	s_sub_i32 s1, 4, s1
	s_mul_i32 s34, s34, s8
	s_sub_i32 s3, s1, s2
	s_cmp_ge_u32 s1, s2
	s_mul_i32 s35, s35, s8
	s_cselect_b32 s1, s3, s1
	s_delay_alu instid0(SALU_CYCLE_1)
	s_sub_i32 s3, s1, s2
	s_cmp_ge_u32 s1, s2
	s_cselect_b32 s40, s3, s1
	s_add_u32 s36, s6, 2
	s_addc_u32 s37, s7, 0
	s_lshl_b32 s38, s24, 3
	s_lshl_b32 s20, s20, 9
	;; [unrolled: 1-line block ×3, first 2 shown]
	s_mul_i32 s40, s40, s8
	s_lshl_b32 s41, s24, 1
	s_branch .LBB142_12
.LBB142_9:                              ;   in Loop: Header=BB142_12 Depth=1
	s_or_b32 exec_lo, exec_lo, s44
	v_mov_b32_e32 v76, s31
.LBB142_10:                             ;   in Loop: Header=BB142_12 Depth=1
	s_or_b32 exec_lo, exec_lo, s43
.LBB142_11:                             ;   in Loop: Header=BB142_12 Depth=1
	s_delay_alu instid0(SALU_CYCLE_1) | instskip(NEXT) | instid1(VALU_DEP_1)
	s_or_b32 exec_lo, exec_lo, s42
	v_cmp_le_u32_e32 vcc_lo, s22, v76
	s_or_b32 s23, vcc_lo, s23
	s_delay_alu instid0(SALU_CYCLE_1)
	s_and_not1_b32 exec_lo, exec_lo, s23
	s_cbranch_execz .LBB142_80
.LBB142_12:                             ; =>This Loop Header: Depth=1
                                        ;     Child Loop BB142_17 Depth 2
                                        ;       Child Loop BB142_22 Depth 3
                                        ;     Child Loop BB142_59 Depth 2
	v_mov_b32_e32 v114, v78
	v_mov_b32_e32 v113, v78
	;; [unrolled: 1-line block ×20, first 2 shown]
	s_and_not1_b32 vcc_lo, exec_lo, s25
	s_mov_b32 s3, 0
	s_cbranch_vccnz .LBB142_29
; %bb.13:                               ;   in Loop: Header=BB142_12 Depth=1
	v_dual_mov_b32 v109, 0 :: v_dual_add_nc_u32 v6, 2, v76
	v_add_nc_u32_e32 v5, 1, v76
	v_add_nc_u32_e32 v7, 3, v76
	v_min_u32_e32 v8, s28, v76
	s_delay_alu instid0(VALU_DEP_4) | instskip(SKIP_2) | instid1(VALU_DEP_4)
	v_min_u32_e32 v6, s28, v6
	v_dual_mov_b32 v10, v78 :: v_dual_mov_b32 v103, 0
	v_cmp_gt_u32_e64 s1, s19, v76
	v_mul_lo_u32 v77, v8, s17
	v_mov_b32_e32 v8, v78
	v_min_u32_e32 v9, s28, v7
	v_mul_lo_u32 v7, v6, s17
	v_mov_b32_e32 v6, v78
	v_min_u32_e32 v5, s28, v5
	v_dual_mov_b32 v108, 0 :: v_dual_mov_b32 v101, 0
	v_mul_lo_u32 v9, v9, s17
	v_lshlrev_b64 v[80:81], 1, v[77:78]
	s_delay_alu instid0(VALU_DEP_4)
	v_mul_lo_u32 v5, v5, s17
	v_lshlrev_b64 v[84:85], 1, v[7:8]
	v_dual_mov_b32 v104, 0 :: v_dual_mov_b32 v99, 0
	v_dual_mov_b32 v102, 0 :: v_dual_mov_b32 v97, 0
	v_lshlrev_b64 v[86:87], 1, v[9:10]
	v_dual_mov_b32 v100, 0 :: v_dual_mov_b32 v95, 0
	v_lshlrev_b64 v[82:83], 1, v[5:6]
	v_dual_mov_b32 v98, 0 :: v_dual_mov_b32 v105, 0
	v_dual_mov_b32 v96, 0 :: v_dual_mov_b32 v107, 0
	;; [unrolled: 1-line block ×4, first 2 shown]
	v_mov_b32_e32 v112, 0
	v_mov_b32_e32 v114, 0
	s_mov_b32 s4, 0
	s_branch .LBB142_17
.LBB142_14:                             ;   in Loop: Header=BB142_17 Depth=2
	s_or_b32 exec_lo, exec_lo, s42
.LBB142_15:                             ;   in Loop: Header=BB142_17 Depth=2
	s_delay_alu instid0(SALU_CYCLE_1)
	s_or_b32 exec_lo, exec_lo, s5
	s_waitcnt vmcnt(7) lgkmcnt(4)
	;;#ASMSTART
	v_dot2_f32_f16 v114, v69, v49, v114
	;;#ASMEND
	s_waitcnt vmcnt(6)
	;;#ASMSTART
	v_dot2_f32_f16 v113, v69, v41, v113
	;;#ASMEND
	s_waitcnt vmcnt(5)
	;; [unrolled: 4-line block ×3, first 2 shown]
	;;#ASMSTART
	v_dot2_f32_f16 v111, v69, v37, v111
	;;#ASMEND
	s_waitcnt lgkmcnt(3)
	;;#ASMSTART
	v_dot2_f32_f16 v110, v65, v49, v110
	;;#ASMEND
	;;#ASMSTART
	v_dot2_f32_f16 v107, v65, v41, v107
	;;#ASMEND
	;;#ASMSTART
	v_dot2_f32_f16 v106, v65, v45, v106
	;;#ASMEND
	;;#ASMSTART
	v_dot2_f32_f16 v105, v65, v37, v105
	;;#ASMEND
	s_waitcnt lgkmcnt(2)
	;;#ASMSTART
	v_dot2_f32_f16 v108, v61, v49, v108
	;;#ASMEND
	;;#ASMSTART
	v_dot2_f32_f16 v109, v61, v41, v109
	;;#ASMEND
	;;#ASMSTART
	v_dot2_f32_f16 v104, v61, v45, v104
	;;#ASMEND
	;; [unrolled: 13-line block ×4, first 2 shown]
	;;#ASMSTART
	v_dot2_f32_f16 v95, v53, v37, v95
	;;#ASMEND
	;;#ASMSTART
	v_dot2_f32_f16 v114, v70, v50, v114
	;;#ASMEND
	;; [unrolled: 3-line block ×61, first 2 shown]
	s_waitcnt vmcnt(3)
	;;#ASMSTART
	v_dot2_f32_f16 v114, v33, v17, v114
	;;#ASMEND
	s_waitcnt vmcnt(2)
	;;#ASMSTART
	v_dot2_f32_f16 v113, v33, v13, v113
	;;#ASMEND
	;; [unrolled: 4-line block ×4, first 2 shown]
	;;#ASMSTART
	v_dot2_f32_f16 v110, v29, v17, v110
	;;#ASMEND
	;;#ASMSTART
	v_dot2_f32_f16 v107, v29, v13, v107
	;;#ASMEND
	;; [unrolled: 3-line block ×76, first 2 shown]
.LBB142_16:                             ;   in Loop: Header=BB142_17 Depth=2
	s_or_b32 exec_lo, exec_lo, s2
	s_addk_i32 s4, 0x200
	s_delay_alu instid0(SALU_CYCLE_1)
	s_cmp_ge_u32 s4, s16
	s_cbranch_scc1 .LBB142_29
.LBB142_17:                             ;   Parent Loop BB142_12 Depth=1
                                        ; =>  This Loop Header: Depth=2
                                        ;       Child Loop BB142_22 Depth 3
	s_cmp_eq_u32 s4, 0
	s_cselect_b32 s5, -1, 0
	s_add_i32 s2, s3, s24
	s_delay_alu instid0(SALU_CYCLE_1) | instskip(SKIP_1) | instid1(SALU_CYCLE_1)
	s_cmp_eq_u32 s4, s2
	s_cselect_b32 s42, -1, 0
	s_or_b32 s42, s5, s42
	s_delay_alu instid0(SALU_CYCLE_1)
	s_and_not1_b32 vcc_lo, exec_lo, s42
	s_cbranch_vccz .LBB142_19
; %bb.18:                               ;   in Loop: Header=BB142_17 Depth=2
	s_and_saveexec_b32 s2, s1
	s_cbranch_execz .LBB142_16
	s_branch .LBB142_26
.LBB142_19:                             ;   in Loop: Header=BB142_17 Depth=2
	s_and_b32 s5, s5, exec_lo
	s_cselect_b32 s3, s3, s2
	s_and_not1_b32 vcc_lo, exec_lo, s21
	s_waitcnt vmcnt(0) lgkmcnt(0)
	s_waitcnt_vscnt null, 0x0
	s_barrier
	buffer_gl0_inv
	s_cbranch_vccnz .LBB142_25
; %bb.20:                               ;   in Loop: Header=BB142_17 Depth=2
	v_dual_mov_b32 v10, v90 :: v_dual_add_nc_u32 v5, s3, v91
	v_add_nc_u32_e32 v6, s3, v79
	v_add_nc_u32_e32 v7, s3, v92
	;; [unrolled: 1-line block ×4, first 2 shown]
	s_mov_b32 s5, 0
	s_mov_b32 s42, 0
                                        ; implicit-def: $sgpr43
	s_branch .LBB142_22
.LBB142_21:                             ;   in Loop: Header=BB142_22 Depth=3
	s_or_b32 exec_lo, exec_lo, s2
	s_delay_alu instid0(SALU_CYCLE_1) | instskip(NEXT) | instid1(SALU_CYCLE_1)
	s_and_b32 s2, exec_lo, s43
	s_or_b32 s5, s2, s5
	s_delay_alu instid0(SALU_CYCLE_1)
	s_and_not1_b32 exec_lo, exec_lo, s5
	s_cbranch_execz .LBB142_24
.LBB142_22:                             ;   Parent Loop BB142_12 Depth=1
                                        ;     Parent Loop BB142_17 Depth=2
                                        ; =>    This Inner Loop Header: Depth=3
	s_delay_alu instid0(VALU_DEP_1) | instskip(SKIP_2) | instid1(VALU_DEP_2)
	v_add_nc_u32_e32 v77, s42, v9
	v_add_nc_u32_e32 v11, s42, v0
	s_or_b32 s43, s43, exec_lo
	v_cmp_gt_u32_e32 vcc_lo, s18, v77
	s_delay_alu instid0(VALU_DEP_2) | instskip(NEXT) | instid1(VALU_DEP_1)
	v_cmp_gt_u32_e64 s2, s24, v11
	s_and_b32 s44, s2, vcc_lo
	s_delay_alu instid0(SALU_CYCLE_1)
	s_and_saveexec_b32 s2, s44
	s_cbranch_execz .LBB142_21
; %bb.23:                               ;   in Loop: Header=BB142_22 Depth=3
	v_lshlrev_b64 v[11:12], 1, v[77:78]
	v_add_nc_u32_e32 v77, s42, v8
	v_add_nc_u32_e32 v31, s41, v10
	v_add_nc_u32_e32 v32, s39, v10
	s_delay_alu instid0(VALU_DEP_3) | instskip(SKIP_3) | instid1(VALU_DEP_3)
	v_lshlrev_b64 v[13:14], 1, v[77:78]
	v_add_nc_u32_e32 v77, s42, v5
	v_add_co_u32 v11, vcc_lo, s12, v11
	v_add_co_ci_u32_e32 v12, vcc_lo, s13, v12, vcc_lo
	v_lshlrev_b64 v[15:16], 1, v[77:78]
	v_add_nc_u32_e32 v77, s42, v6
	v_add_co_u32 v17, vcc_lo, s12, v13
	v_add_co_ci_u32_e32 v18, vcc_lo, s13, v14, vcc_lo
	s_delay_alu instid0(VALU_DEP_3) | instskip(SKIP_3) | instid1(VALU_DEP_3)
	v_lshlrev_b64 v[23:24], 1, v[77:78]
	v_add_nc_u32_e32 v77, s42, v7
	v_add_co_u32 v19, vcc_lo, s12, v15
	v_add_co_ci_u32_e32 v20, vcc_lo, s13, v16, vcc_lo
	v_lshlrev_b64 v[25:26], 1, v[77:78]
	v_add_co_u32 v23, vcc_lo, s12, v23
	v_add_co_ci_u32_e32 v24, vcc_lo, s13, v24, vcc_lo
	s_clause 0x2
	global_load_b128 v[11:14], v[11:12], off
	global_load_b128 v[15:18], v[17:18], off
	;; [unrolled: 1-line block ×3, first 2 shown]
	v_add_co_u32 v27, vcc_lo, s12, v25
	v_add_co_ci_u32_e32 v28, vcc_lo, s13, v26, vcc_lo
	s_clause 0x1
	global_load_b128 v[23:26], v[23:24], off
	global_load_b128 v[27:30], v[27:28], off
	s_add_i32 s42, s42, s26
	s_waitcnt vmcnt(4)
	ds_store_b128 v10, v[11:14]
	s_waitcnt vmcnt(3)
	ds_store_2addr_b64 v31, v[15:16], v[17:18] offset1:1
	s_waitcnt vmcnt(2)
	ds_store_2addr_b32 v32, v19, v20 offset1:1
	ds_store_2addr_b32 v32, v21, v22 offset0:2 offset1:3
	s_cmp_ge_u32 s42, s24
	v_add_nc_u32_e32 v11, s9, v10
	s_cselect_b32 s44, -1, 0
	v_add_nc_u32_e32 v12, s38, v10
	v_add_nc_u32_e32 v10, s20, v10
	s_and_not1_b32 s43, s43, exec_lo
	s_and_b32 s44, s44, exec_lo
	s_waitcnt vmcnt(1)
	ds_store_2addr_b64 v11, v[23:24], v[25:26] offset1:1
	s_or_b32 s43, s43, s44
	s_waitcnt vmcnt(0)
	ds_store_2addr_b64 v12, v[27:28], v[29:30] offset1:1
	s_branch .LBB142_21
.LBB142_24:                             ;   in Loop: Header=BB142_17 Depth=2
	s_or_b32 exec_lo, exec_lo, s5
.LBB142_25:                             ;   in Loop: Header=BB142_17 Depth=2
	s_waitcnt lgkmcnt(0)
	s_barrier
	buffer_gl0_inv
	s_and_saveexec_b32 s2, s1
	s_cbranch_execz .LBB142_16
.LBB142_26:                             ;   in Loop: Header=BB142_17 Depth=2
	v_dual_mov_b32 v70, 0 :: v_dual_add_nc_u32 v115, s4, v89
	v_dual_mov_b32 v71, 0 :: v_dual_mov_b32 v72, 0
	v_dual_mov_b32 v33, 0 :: v_dual_mov_b32 v34, 0
	s_delay_alu instid0(VALU_DEP_3) | instskip(SKIP_3) | instid1(VALU_DEP_3)
	v_min_u32_e32 v77, s27, v115
	v_dual_mov_b32 v69, 0 :: v_dual_add_nc_u32 v116, 0x100, v115
	s_waitcnt lgkmcnt(2)
	v_dual_mov_b32 v35, 0 :: v_dual_mov_b32 v36, 0
	v_lshlrev_b64 v[5:6], 1, v[77:78]
	s_delay_alu instid0(VALU_DEP_3) | instskip(SKIP_3) | instid1(VALU_DEP_4)
	v_min_u32_e32 v77, s27, v116
	s_waitcnt vmcnt(18)
	v_dual_mov_b32 v65, 0 :: v_dual_mov_b32 v66, 0
	v_dual_mov_b32 v67, 0 :: v_dual_mov_b32 v68, 0
	v_add_co_u32 v13, vcc_lo, s10, v5
	v_add_co_ci_u32_e32 v14, vcc_lo, s11, v6, vcc_lo
	v_lshlrev_b64 v[5:6], 1, v[77:78]
	s_delay_alu instid0(VALU_DEP_3) | instskip(NEXT) | instid1(VALU_DEP_3)
	v_add_co_u32 v7, vcc_lo, v13, v80
	v_add_co_ci_u32_e32 v8, vcc_lo, v14, v81, vcc_lo
	v_add_co_u32 v9, vcc_lo, v13, v82
	v_add_co_ci_u32_e32 v10, vcc_lo, v14, v83, vcc_lo
	v_add_co_u32 v11, vcc_lo, v13, v84
	s_waitcnt lgkmcnt(0)
	v_add_co_ci_u32_e32 v12, vcc_lo, v14, v85, vcc_lo
	v_add_co_u32 v15, vcc_lo, s10, v5
	v_add_co_ci_u32_e32 v16, vcc_lo, s11, v6, vcc_lo
	v_add_co_u32 v5, vcc_lo, v13, v86
	v_add_co_ci_u32_e32 v6, vcc_lo, v14, v87, vcc_lo
	s_clause 0x1
	global_load_b128 v[49:52], v[7:8], off slc dlc
	global_load_b128 v[41:44], v[9:10], off slc dlc
	v_add_co_u32 v7, vcc_lo, v15, v80
	v_add_co_ci_u32_e32 v8, vcc_lo, v16, v81, vcc_lo
	v_add_co_u32 v9, vcc_lo, v15, v82
	v_add_co_ci_u32_e32 v10, vcc_lo, v16, v83, vcc_lo
	v_add_co_u32 v21, vcc_lo, v15, v84
	v_add_co_ci_u32_e32 v22, vcc_lo, v16, v85, vcc_lo
	v_add_co_u32 v23, vcc_lo, v15, v86
	v_add_co_ci_u32_e32 v24, vcc_lo, v16, v87, vcc_lo
	s_clause 0x5
	global_load_b128 v[45:48], v[11:12], off slc dlc
	global_load_b128 v[37:40], v[5:6], off slc dlc
	;; [unrolled: 1-line block ×6, first 2 shown]
	v_cmp_gt_u32_e32 vcc_lo, s16, v115
	v_dual_mov_b32 v29, 0 :: v_dual_mov_b32 v30, 0
	v_dual_mov_b32 v31, 0 :: v_dual_mov_b32 v32, 0
	s_waitcnt vmcnt(18)
	v_dual_mov_b32 v61, 0 :: v_dual_mov_b32 v62, 0
	v_dual_mov_b32 v63, 0 :: v_dual_mov_b32 v64, 0
	v_dual_mov_b32 v25, 0 :: v_dual_mov_b32 v26, 0
	v_dual_mov_b32 v27, 0 :: v_dual_mov_b32 v28, 0
	s_waitcnt vmcnt(16)
	v_dual_mov_b32 v57, 0 :: v_dual_mov_b32 v58, 0
	v_dual_mov_b32 v59, 0 :: v_dual_mov_b32 v60, 0
	;; [unrolled: 5-line block ×3, first 2 shown]
	v_dual_mov_b32 v77, 0 :: v_dual_mov_b32 v74, 0
	v_mov_b32_e32 v73, 0
	v_mov_b32_e32 v75, 0
	s_and_saveexec_b32 s5, vcc_lo
	s_cbranch_execz .LBB142_15
; %bb.27:                               ;   in Loop: Header=BB142_17 Depth=2
	v_subrev_nc_u32_e32 v21, s3, v115
	v_cmp_gt_u32_e32 vcc_lo, s16, v116
	v_dual_mov_b32 v77, 0 :: v_dual_mov_b32 v22, 0
	v_dual_mov_b32 v23, 0 :: v_dual_mov_b32 v26, 0
	s_delay_alu instid0(VALU_DEP_4) | instskip(SKIP_1) | instid1(VALU_DEP_2)
	v_dual_mov_b32 v74, 0 :: v_dual_lshlrev_b32 v119, 1, v21
	v_dual_mov_b32 v21, 0 :: v_dual_mov_b32 v32, 0
	v_dual_mov_b32 v75, 0 :: v_dual_add_nc_u32 v118, s41, v119
	v_dual_mov_b32 v27, 0 :: v_dual_mov_b32 v30, 0
	v_dual_mov_b32 v25, 0 :: v_dual_mov_b32 v36, 0
	s_delay_alu instid0(VALU_DEP_3) | instskip(SKIP_1) | instid1(VALU_DEP_2)
	v_dual_mov_b32 v24, 0 :: v_dual_add_nc_u32 v115, s41, v118
	v_dual_mov_b32 v31, 0 :: v_dual_mov_b32 v34, 0
	v_dual_mov_b32 v73, 0 :: v_dual_add_nc_u32 v116, s41, v115
	v_mov_b32_e32 v29, 0
	v_mov_b32_e32 v35, 0
	v_dual_mov_b32 v33, 0 :: v_dual_mov_b32 v28, 0
	s_delay_alu instid0(VALU_DEP_4)
	v_add_nc_u32_e32 v117, s41, v116
	ds_load_b128 v[69:72], v119
	ds_load_b128 v[65:68], v118
	;; [unrolled: 1-line block ×5, first 2 shown]
	s_and_saveexec_b32 s42, vcc_lo
	s_cbranch_execz .LBB142_14
; %bb.28:                               ;   in Loop: Header=BB142_17 Depth=2
	ds_load_b128 v[33:36], v119 offset:512
	ds_load_b128 v[29:32], v118 offset:512
	;; [unrolled: 1-line block ×4, first 2 shown]
	ds_load_b32 v77, v117 offset:512
	ds_load_b96 v[73:75], v117 offset:516
	s_branch .LBB142_14
.LBB142_29:                             ;   in Loop: Header=BB142_12 Depth=1
	s_mov_b32 s1, exec_lo
	v_cmpx_le_u32_e64 s19, v76
	s_xor_b32 s1, exec_lo, s1
; %bb.30:                               ;   in Loop: Header=BB142_12 Depth=1
	v_add_nc_u32_e32 v76, s29, v76
                                        ; implicit-def: $vgpr114
                                        ; implicit-def: $vgpr113
                                        ; implicit-def: $vgpr112
                                        ; implicit-def: $vgpr111
                                        ; implicit-def: $vgpr110
                                        ; implicit-def: $vgpr107
                                        ; implicit-def: $vgpr106
                                        ; implicit-def: $vgpr105
                                        ; implicit-def: $vgpr95
                                        ; implicit-def: $vgpr96
                                        ; implicit-def: $vgpr97
                                        ; implicit-def: $vgpr98
                                        ; implicit-def: $vgpr99
                                        ; implicit-def: $vgpr100
                                        ; implicit-def: $vgpr101
                                        ; implicit-def: $vgpr102
                                        ; implicit-def: $vgpr103
                                        ; implicit-def: $vgpr104
                                        ; implicit-def: $vgpr109
                                        ; implicit-def: $vgpr108
; %bb.31:                               ;   in Loop: Header=BB142_12 Depth=1
	s_and_not1_saveexec_b32 s42, s1
	s_cbranch_execz .LBB142_11
; %bb.32:                               ;   in Loop: Header=BB142_12 Depth=1
	v_xor_b32_e32 v5, 16, v88
	v_cvt_i32_f32_e32 v6, v114
	v_cvt_i32_f32_e32 v7, v113
	;; [unrolled: 1-line block ×4, first 2 shown]
	v_cmp_gt_i32_e32 vcc_lo, 32, v5
	v_cvt_f32_i32_dpp v6, v6 row_shr:8 row_mask:0xf bank_mask:0xf bound_ctrl:1
	v_cvt_i32_f32_e32 v10, v110
	v_cvt_f32_i32_dpp v7, v7 row_shr:8 row_mask:0xf bank_mask:0xf bound_ctrl:1
	v_cvt_f32_i32_dpp v8, v8 row_shr:8 row_mask:0xf bank_mask:0xf bound_ctrl:1
	s_delay_alu instid0(VALU_DEP_4) | instskip(SKIP_3) | instid1(VALU_DEP_4)
	v_dual_cndmask_b32 v5, v88, v5 :: v_dual_add_f32 v6, v114, v6
	v_cvt_f32_i32_dpp v9, v9 row_shr:8 row_mask:0xf bank_mask:0xf bound_ctrl:1
	v_cvt_f32_i32_dpp v10, v10 row_shr:8 row_mask:0xf bank_mask:0xf bound_ctrl:1
	v_add_f32_e32 v7, v113, v7
	v_dual_add_f32 v8, v112, v8 :: v_dual_lshlrev_b32 v5, 2, v5
	v_cvt_i32_f32_e32 v11, v6
	s_delay_alu instid0(VALU_DEP_4)
	v_add_f32_e32 v10, v110, v10
	s_waitcnt lgkmcnt(0)
	v_cvt_i32_f32_e32 v12, v7
	v_cvt_i32_f32_e32 v13, v8
	v_cvt_f32_i32_dpp v11, v11 row_shr:4 row_mask:0xf bank_mask:0xf bound_ctrl:1
	v_add_f32_e32 v9, v111, v9
	v_cvt_i32_f32_e32 v15, v10
	v_cvt_f32_i32_dpp v12, v12 row_shr:4 row_mask:0xf bank_mask:0xf bound_ctrl:1
	v_cvt_f32_i32_dpp v13, v13 row_shr:4 row_mask:0xf bank_mask:0xf bound_ctrl:1
	v_add_f32_e32 v6, v6, v11
	v_cvt_i32_f32_e32 v14, v9
	v_cvt_f32_i32_dpp v15, v15 row_shr:4 row_mask:0xf bank_mask:0xf bound_ctrl:1
	s_delay_alu instid0(VALU_DEP_4) | instskip(NEXT) | instid1(VALU_DEP_4)
	v_dual_add_f32 v7, v7, v12 :: v_dual_add_f32 v8, v8, v13
	v_cvt_i32_f32_e32 v11, v6
	s_delay_alu instid0(VALU_DEP_4) | instskip(NEXT) | instid1(VALU_DEP_4)
	v_cvt_f32_i32_dpp v14, v14 row_shr:4 row_mask:0xf bank_mask:0xf bound_ctrl:1
	v_add_f32_e32 v10, v10, v15
	s_delay_alu instid0(VALU_DEP_4)
	v_cvt_i32_f32_e32 v12, v7
	v_cvt_i32_f32_e32 v13, v8
	v_cvt_f32_i32_dpp v11, v11 row_shr:2 row_mask:0xf bank_mask:0xf bound_ctrl:1
	v_add_f32_e32 v9, v9, v14
	v_cvt_i32_f32_e32 v15, v10
	v_cvt_f32_i32_dpp v12, v12 row_shr:2 row_mask:0xf bank_mask:0xf bound_ctrl:1
	v_cvt_f32_i32_dpp v13, v13 row_shr:2 row_mask:0xf bank_mask:0xf bound_ctrl:1
	v_add_f32_e32 v6, v6, v11
	v_cvt_i32_f32_e32 v14, v9
	v_cvt_f32_i32_dpp v15, v15 row_shr:2 row_mask:0xf bank_mask:0xf bound_ctrl:1
	v_add_f32_e32 v7, v7, v12
	s_delay_alu instid0(VALU_DEP_4) | instskip(NEXT) | instid1(VALU_DEP_4)
	v_cvt_i32_f32_e32 v11, v6
	v_cvt_f32_i32_dpp v14, v14 row_shr:2 row_mask:0xf bank_mask:0xf bound_ctrl:1
	v_add_f32_e32 v8, v8, v13
	s_delay_alu instid0(VALU_DEP_4) | instskip(NEXT) | instid1(VALU_DEP_4)
	v_cvt_i32_f32_e32 v12, v7
	v_cvt_f32_i32_dpp v11, v11 row_shr:1 row_mask:0xf bank_mask:0xf bound_ctrl:1
	s_delay_alu instid0(VALU_DEP_4) | instskip(NEXT) | instid1(VALU_DEP_4)
	v_add_f32_e32 v9, v9, v14
	v_cvt_i32_f32_e32 v13, v8
	s_delay_alu instid0(VALU_DEP_4) | instskip(SKIP_1) | instid1(VALU_DEP_4)
	v_cvt_f32_i32_dpp v12, v12 row_shr:1 row_mask:0xf bank_mask:0xf bound_ctrl:1
	v_add_f32_e32 v10, v10, v15
	v_cvt_i32_f32_e32 v14, v9
	s_delay_alu instid0(VALU_DEP_4) | instskip(NEXT) | instid1(VALU_DEP_4)
	v_cvt_f32_i32_dpp v13, v13 row_shr:1 row_mask:0xf bank_mask:0xf bound_ctrl:1
	v_add_f32_e32 v33, v7, v12
	v_cvt_i32_f32_e32 v12, v109
	v_cvt_i32_f32_e32 v15, v10
	v_cvt_f32_i32_dpp v14, v14 row_shr:1 row_mask:0xf bank_mask:0xf bound_ctrl:1
	v_add_f32_e32 v41, v6, v11
	v_cvt_i32_f32_e32 v6, v107
	v_cvt_i32_f32_e32 v11, v108
	v_cvt_f32_i32_dpp v12, v12 row_shr:8 row_mask:0xf bank_mask:0xf bound_ctrl:1
	v_add_f32_e32 v18, v9, v14
	v_cvt_f32_i32_dpp v15, v15 row_shr:1 row_mask:0xf bank_mask:0xf bound_ctrl:1
	v_cvt_f32_i32_dpp v6, v6 row_shr:8 row_mask:0xf bank_mask:0xf bound_ctrl:1
	v_add_f32_e32 v7, v8, v13
	v_cvt_i32_f32_e32 v8, v106
	v_cvt_f32_i32_dpp v11, v11 row_shr:8 row_mask:0xf bank_mask:0xf bound_ctrl:1
	v_add_f32_e32 v9, v10, v15
	v_cvt_i32_f32_e32 v10, v105
	v_add_f32_e32 v6, v107, v6
	v_cvt_f32_i32_dpp v8, v8 row_shr:8 row_mask:0xf bank_mask:0xf bound_ctrl:1
	v_add_f32_e32 v11, v108, v11
	ds_bpermute_b32 v45, v5, v41
	v_cvt_f32_i32_dpp v10, v10 row_shr:8 row_mask:0xf bank_mask:0xf bound_ctrl:1
	v_cvt_i32_f32_e32 v14, v6
	v_add_f32_e32 v8, v106, v8
	v_cvt_i32_f32_e32 v17, v11
	ds_bpermute_b32 v37, v5, v33
	v_add_f32_e32 v10, v105, v10
	v_cvt_f32_i32_dpp v14, v14 row_shr:4 row_mask:0xf bank_mask:0xf bound_ctrl:1
	v_cvt_i32_f32_e32 v15, v8
	v_cvt_f32_i32_dpp v17, v17 row_shr:4 row_mask:0xf bank_mask:0xf bound_ctrl:1
	v_add_f32_e32 v12, v109, v12
	v_cvt_i32_f32_e32 v16, v10
	ds_bpermute_b32 v29, v5, v7
	v_cvt_f32_i32_dpp v15, v15 row_shr:4 row_mask:0xf bank_mask:0xf bound_ctrl:1
	v_add_f32_e32 v11, v11, v17
	v_cvt_i32_f32_e32 v19, v12
	v_cvt_f32_i32_dpp v16, v16 row_shr:4 row_mask:0xf bank_mask:0xf bound_ctrl:1
	ds_bpermute_b32 v22, v5, v18
	ds_bpermute_b32 v13, v5, v9
	v_cvt_i32_f32_e32 v17, v11
	v_cvt_f32_i32_dpp v19, v19 row_shr:4 row_mask:0xf bank_mask:0xf bound_ctrl:1
	s_delay_alu instid0(VALU_DEP_2) | instskip(NEXT) | instid1(VALU_DEP_2)
	v_cvt_f32_i32_dpp v17, v17 row_shr:2 row_mask:0xf bank_mask:0xf bound_ctrl:1
	v_add_f32_e32 v12, v12, v19
	s_delay_alu instid0(VALU_DEP_2) | instskip(NEXT) | instid1(VALU_DEP_2)
	v_dual_add_f32 v6, v6, v14 :: v_dual_add_f32 v11, v11, v17
	v_cvt_i32_f32_e32 v19, v12
	s_delay_alu instid0(VALU_DEP_2) | instskip(NEXT) | instid1(VALU_DEP_3)
	v_cvt_i32_f32_e32 v14, v6
	v_cvt_i32_f32_e32 v17, v11
	s_delay_alu instid0(VALU_DEP_3) | instskip(NEXT) | instid1(VALU_DEP_3)
	v_cvt_f32_i32_dpp v19, v19 row_shr:2 row_mask:0xf bank_mask:0xf bound_ctrl:1
	v_cvt_f32_i32_dpp v14, v14 row_shr:2 row_mask:0xf bank_mask:0xf bound_ctrl:1
	s_delay_alu instid0(VALU_DEP_3) | instskip(NEXT) | instid1(VALU_DEP_3)
	v_cvt_f32_i32_dpp v17, v17 row_shr:1 row_mask:0xf bank_mask:0xf bound_ctrl:1
	v_add_f32_e32 v12, v12, v19
	s_delay_alu instid0(VALU_DEP_1) | instskip(NEXT) | instid1(VALU_DEP_1)
	v_cvt_i32_f32_e32 v19, v12
	v_cvt_f32_i32_dpp v19, v19 row_shr:1 row_mask:0xf bank_mask:0xf bound_ctrl:1
	v_add_f32_e32 v10, v10, v16
	s_delay_alu instid0(VALU_DEP_1) | instskip(NEXT) | instid1(VALU_DEP_1)
	v_cvt_i32_f32_e32 v16, v10
	v_cvt_f32_i32_dpp v16, v16 row_shr:2 row_mask:0xf bank_mask:0xf bound_ctrl:1
	s_delay_alu instid0(VALU_DEP_1) | instskip(NEXT) | instid1(VALU_DEP_1)
	v_add_f32_e32 v10, v10, v16
	v_cvt_i32_f32_e32 v16, v10
	s_delay_alu instid0(VALU_DEP_1) | instskip(NEXT) | instid1(VALU_DEP_1)
	v_cvt_f32_i32_dpp v16, v16 row_shr:1 row_mask:0xf bank_mask:0xf bound_ctrl:1
	v_add_f32_e32 v26, v10, v16
	v_dual_add_f32 v16, v11, v17 :: v_dual_add_f32 v11, v12, v19
	v_cvt_i32_f32_e32 v12, v101
	v_cvt_i32_f32_e32 v10, v102
	s_delay_alu instid0(VALU_DEP_2) | instskip(NEXT) | instid1(VALU_DEP_2)
	v_cvt_f32_i32_dpp v12, v12 row_shr:8 row_mask:0xf bank_mask:0xf bound_ctrl:1
	v_cvt_f32_i32_dpp v10, v10 row_shr:8 row_mask:0xf bank_mask:0xf bound_ctrl:1
	s_delay_alu instid0(VALU_DEP_2) | instskip(NEXT) | instid1(VALU_DEP_2)
	v_add_f32_e32 v12, v101, v12
	v_add_f32_e32 v10, v102, v10
	s_delay_alu instid0(VALU_DEP_2) | instskip(NEXT) | instid1(VALU_DEP_2)
	v_cvt_i32_f32_e32 v23, v12
	v_cvt_i32_f32_e32 v21, v10
	s_delay_alu instid0(VALU_DEP_2) | instskip(NEXT) | instid1(VALU_DEP_2)
	v_cvt_f32_i32_dpp v23, v23 row_shr:4 row_mask:0xf bank_mask:0xf bound_ctrl:1
	v_cvt_f32_i32_dpp v21, v21 row_shr:4 row_mask:0xf bank_mask:0xf bound_ctrl:1
	s_delay_alu instid0(VALU_DEP_2) | instskip(NEXT) | instid1(VALU_DEP_2)
	v_add_f32_e32 v12, v12, v23
	v_add_f32_e32 v10, v10, v21
	s_delay_alu instid0(VALU_DEP_2) | instskip(NEXT) | instid1(VALU_DEP_2)
	;; [unrolled: 9-line block ×3, first 2 shown]
	v_cvt_i32_f32_e32 v23, v12
	v_cvt_i32_f32_e32 v21, v10
	s_delay_alu instid0(VALU_DEP_2) | instskip(SKIP_1) | instid1(VALU_DEP_3)
	v_cvt_f32_i32_dpp v23, v23 row_shr:1 row_mask:0xf bank_mask:0xf bound_ctrl:1
	v_add_f32_e32 v6, v6, v14
	v_cvt_f32_i32_dpp v21, v21 row_shr:1 row_mask:0xf bank_mask:0xf bound_ctrl:1
	s_delay_alu instid0(VALU_DEP_2) | instskip(NEXT) | instid1(VALU_DEP_1)
	v_cvt_i32_f32_e32 v14, v6
	v_cvt_f32_i32_dpp v14, v14 row_shr:1 row_mask:0xf bank_mask:0xf bound_ctrl:1
	s_delay_alu instid0(VALU_DEP_1) | instskip(SKIP_2) | instid1(VALU_DEP_2)
	v_add_f32_e32 v42, v6, v14
	v_cvt_i32_f32_e32 v14, v100
	v_cvt_i32_f32_e32 v6, v104
	v_cvt_f32_i32_dpp v14, v14 row_shr:8 row_mask:0xf bank_mask:0xf bound_ctrl:1
	s_delay_alu instid0(VALU_DEP_2) | instskip(NEXT) | instid1(VALU_DEP_2)
	v_cvt_f32_i32_dpp v6, v6 row_shr:8 row_mask:0xf bank_mask:0xf bound_ctrl:1
	v_add_f32_e32 v14, v100, v14
	s_delay_alu instid0(VALU_DEP_1) | instskip(NEXT) | instid1(VALU_DEP_1)
	v_cvt_i32_f32_e32 v24, v14
	v_cvt_f32_i32_dpp v24, v24 row_shr:4 row_mask:0xf bank_mask:0xf bound_ctrl:1
	s_delay_alu instid0(VALU_DEP_1) | instskip(NEXT) | instid1(VALU_DEP_1)
	v_add_f32_e32 v14, v14, v24
	v_cvt_i32_f32_e32 v24, v14
	s_delay_alu instid0(VALU_DEP_1) | instskip(NEXT) | instid1(VALU_DEP_1)
	v_cvt_f32_i32_dpp v24, v24 row_shr:2 row_mask:0xf bank_mask:0xf bound_ctrl:1
	v_add_f32_e32 v14, v14, v24
	s_delay_alu instid0(VALU_DEP_1) | instskip(NEXT) | instid1(VALU_DEP_1)
	v_cvt_i32_f32_e32 v24, v14
	v_cvt_f32_i32_dpp v25, v24 row_shr:1 row_mask:0xf bank_mask:0xf bound_ctrl:1
	v_add_f32_e32 v24, v10, v21
	v_cvt_i32_f32_e32 v21, v95
	s_delay_alu instid0(VALU_DEP_3)
	v_add_f32_e32 v10, v14, v25
	ds_bpermute_b32 v27, v5, v24
	v_cvt_f32_i32_dpp v21, v21 row_shr:8 row_mask:0xf bank_mask:0xf bound_ctrl:1
	v_add_f32_e32 v8, v8, v15
	ds_bpermute_b32 v14, v5, v10
	v_add_f32_e32 v21, v95, v21
	v_cvt_i32_f32_e32 v15, v8
	s_delay_alu instid0(VALU_DEP_2) | instskip(NEXT) | instid1(VALU_DEP_2)
	v_cvt_i32_f32_e32 v39, v21
	v_cvt_f32_i32_dpp v15, v15 row_shr:2 row_mask:0xf bank_mask:0xf bound_ctrl:1
	s_delay_alu instid0(VALU_DEP_2) | instskip(NEXT) | instid1(VALU_DEP_2)
	v_cvt_f32_i32_dpp v39, v39 row_shr:4 row_mask:0xf bank_mask:0xf bound_ctrl:1
	v_add_f32_e32 v8, v8, v15
	s_delay_alu instid0(VALU_DEP_2) | instskip(NEXT) | instid1(VALU_DEP_2)
	v_add_f32_e32 v21, v21, v39
	v_cvt_i32_f32_e32 v15, v8
	ds_bpermute_b32 v30, v5, v26
	v_cvt_i32_f32_e32 v39, v21
	v_cvt_f32_i32_dpp v15, v15 row_shr:1 row_mask:0xf bank_mask:0xf bound_ctrl:1
	s_delay_alu instid0(VALU_DEP_2) | instskip(NEXT) | instid1(VALU_DEP_2)
	v_cvt_f32_i32_dpp v39, v39 row_shr:2 row_mask:0xf bank_mask:0xf bound_ctrl:1
	v_add_f32_e32 v34, v8, v15
	v_cvt_i32_f32_e32 v8, v103
	v_add_f32_e32 v6, v104, v6
	ds_bpermute_b32 v15, v5, v11
	v_add_f32_e32 v21, v21, v39
	ds_bpermute_b32 v38, v5, v34
	v_cvt_f32_i32_dpp v8, v8 row_shr:8 row_mask:0xf bank_mask:0xf bound_ctrl:1
	v_cvt_i32_f32_e32 v17, v6
	v_cvt_i32_f32_e32 v39, v21
	s_delay_alu instid0(VALU_DEP_3) | instskip(NEXT) | instid1(VALU_DEP_3)
	v_add_f32_e32 v8, v103, v8
	v_cvt_f32_i32_dpp v17, v17 row_shr:4 row_mask:0xf bank_mask:0xf bound_ctrl:1
	s_waitcnt vmcnt(0)
	s_delay_alu instid0(VALU_DEP_3) | instskip(NEXT) | instid1(VALU_DEP_3)
	v_cvt_f32_i32_dpp v47, v39 row_shr:1 row_mask:0xf bank_mask:0xf bound_ctrl:1
	v_cvt_i32_f32_e32 v19, v8
	s_delay_alu instid0(VALU_DEP_3) | instskip(NEXT) | instid1(VALU_DEP_2)
	v_add_f32_e32 v6, v6, v17
	v_cvt_f32_i32_dpp v19, v19 row_shr:4 row_mask:0xf bank_mask:0xf bound_ctrl:1
	s_delay_alu instid0(VALU_DEP_2) | instskip(NEXT) | instid1(VALU_DEP_2)
	v_cvt_i32_f32_e32 v17, v6
	v_add_f32_e32 v8, v8, v19
	s_delay_alu instid0(VALU_DEP_2) | instskip(NEXT) | instid1(VALU_DEP_2)
	v_cvt_f32_i32_dpp v17, v17 row_shr:2 row_mask:0xf bank_mask:0xf bound_ctrl:1
	v_cvt_i32_f32_e32 v19, v8
	s_delay_alu instid0(VALU_DEP_2) | instskip(NEXT) | instid1(VALU_DEP_2)
	v_add_f32_e32 v6, v6, v17
	v_cvt_f32_i32_dpp v19, v19 row_shr:2 row_mask:0xf bank_mask:0xf bound_ctrl:1
	s_delay_alu instid0(VALU_DEP_2) | instskip(NEXT) | instid1(VALU_DEP_2)
	v_cvt_i32_f32_e32 v17, v6
	v_add_f32_e32 v8, v8, v19
	s_delay_alu instid0(VALU_DEP_2) | instskip(NEXT) | instid1(VALU_DEP_2)
	v_cvt_f32_i32_dpp v17, v17 row_shr:1 row_mask:0xf bank_mask:0xf bound_ctrl:1
	v_cvt_i32_f32_e32 v19, v8
	s_delay_alu instid0(VALU_DEP_2) | instskip(SKIP_2) | instid1(VALU_DEP_4)
	v_add_f32_e32 v40, v6, v17
	v_cvt_i32_f32_e32 v6, v99
	v_cvt_i32_f32_e32 v17, v96
	v_cvt_f32_i32_dpp v19, v19 row_shr:1 row_mask:0xf bank_mask:0xf bound_ctrl:1
	ds_bpermute_b32 v44, v5, v40
	v_cvt_f32_i32_dpp v6, v6 row_shr:8 row_mask:0xf bank_mask:0xf bound_ctrl:1
	v_cvt_f32_i32_dpp v17, v17 row_shr:8 row_mask:0xf bank_mask:0xf bound_ctrl:1
	v_add_f32_e32 v32, v8, v19
	v_add_f32_e32 v19, v12, v23
	v_cvt_i32_f32_e32 v8, v98
	v_cvt_i32_f32_e32 v12, v97
	v_dual_add_f32 v6, v99, v6 :: v_dual_add_f32 v17, v96, v17
	ds_bpermute_b32 v36, v5, v32
	v_cvt_f32_i32_dpp v8, v8 row_shr:8 row_mask:0xf bank_mask:0xf bound_ctrl:1
	v_cvt_f32_i32_dpp v12, v12 row_shr:8 row_mask:0xf bank_mask:0xf bound_ctrl:1
	v_cvt_i32_f32_e32 v25, v6
	v_cvt_i32_f32_e32 v35, v17
	ds_bpermute_b32 v23, v5, v19
	v_add_f32_e32 v8, v98, v8
	v_add_f32_e32 v12, v97, v12
	v_cvt_f32_i32_dpp v25, v25 row_shr:4 row_mask:0xf bank_mask:0xf bound_ctrl:1
	v_cvt_f32_i32_dpp v35, v35 row_shr:4 row_mask:0xf bank_mask:0xf bound_ctrl:1
	s_delay_alu instid0(VALU_DEP_4) | instskip(NEXT) | instid1(VALU_DEP_4)
	v_cvt_i32_f32_e32 v28, v8
	v_cvt_i32_f32_e32 v31, v12
	s_delay_alu instid0(VALU_DEP_3)
	v_dual_add_f32 v6, v6, v25 :: v_dual_add_f32 v17, v17, v35
	ds_bpermute_b32 v46, v5, v42
	v_cvt_f32_i32_dpp v28, v28 row_shr:4 row_mask:0xf bank_mask:0xf bound_ctrl:1
	v_cvt_f32_i32_dpp v31, v31 row_shr:4 row_mask:0xf bank_mask:0xf bound_ctrl:1
	v_cvt_i32_f32_e32 v25, v6
	v_cvt_i32_f32_e32 v35, v17
	s_delay_alu instid0(VALU_DEP_4) | instskip(NEXT) | instid1(VALU_DEP_4)
	v_add_f32_e32 v8, v8, v28
	v_add_f32_e32 v12, v12, v31
	s_delay_alu instid0(VALU_DEP_4) | instskip(NEXT) | instid1(VALU_DEP_4)
	v_cvt_f32_i32_dpp v25, v25 row_shr:2 row_mask:0xf bank_mask:0xf bound_ctrl:1
	v_cvt_f32_i32_dpp v35, v35 row_shr:2 row_mask:0xf bank_mask:0xf bound_ctrl:1
	s_delay_alu instid0(VALU_DEP_4) | instskip(NEXT) | instid1(VALU_DEP_4)
	v_cvt_i32_f32_e32 v28, v8
	v_cvt_i32_f32_e32 v31, v12
	s_delay_alu instid0(VALU_DEP_3)
	v_dual_add_f32 v6, v6, v25 :: v_dual_add_f32 v17, v17, v35
	ds_bpermute_b32 v20, v5, v16
	v_cvt_f32_i32_dpp v28, v28 row_shr:2 row_mask:0xf bank_mask:0xf bound_ctrl:1
	v_cvt_f32_i32_dpp v31, v31 row_shr:2 row_mask:0xf bank_mask:0xf bound_ctrl:1
	v_cvt_i32_f32_e32 v25, v6
	v_cvt_i32_f32_e32 v35, v17
	s_delay_alu instid0(VALU_DEP_4) | instskip(NEXT) | instid1(VALU_DEP_4)
	v_add_f32_e32 v8, v8, v28
	v_add_f32_e32 v12, v12, v31
	s_delay_alu instid0(VALU_DEP_4) | instskip(NEXT) | instid1(VALU_DEP_4)
	v_cvt_f32_i32_dpp v25, v25 row_shr:1 row_mask:0xf bank_mask:0xf bound_ctrl:1
	v_cvt_f32_i32_dpp v35, v35 row_shr:1 row_mask:0xf bank_mask:0xf bound_ctrl:1
	s_delay_alu instid0(VALU_DEP_4) | instskip(NEXT) | instid1(VALU_DEP_4)
	v_cvt_i32_f32_e32 v28, v8
	v_cvt_i32_f32_e32 v31, v12
	s_delay_alu instid0(VALU_DEP_4) | instskip(NEXT) | instid1(VALU_DEP_4)
	v_add_f32_e32 v39, v6, v25
	v_add_f32_e32 v17, v17, v35
	s_delay_alu instid0(VALU_DEP_4) | instskip(NEXT) | instid1(VALU_DEP_4)
	v_cvt_f32_i32_dpp v28, v28 row_shr:1 row_mask:0xf bank_mask:0xf bound_ctrl:1
	v_cvt_f32_i32_dpp v43, v31 row_shr:1 row_mask:0xf bank_mask:0xf bound_ctrl:1
	s_delay_alu instid0(VALU_DEP_2) | instskip(NEXT) | instid1(VALU_DEP_2)
	v_add_f32_e32 v31, v8, v28
	v_add_f32_e32 v25, v12, v43
	;; [unrolled: 1-line block ×3, first 2 shown]
	ds_bpermute_b32 v43, v5, v39
	ds_bpermute_b32 v21, v5, v17
	;; [unrolled: 1-line block ×5, first 2 shown]
	s_and_saveexec_b32 s5, s0
	s_cbranch_execz .LBB142_56
; %bb.33:                               ;   in Loop: Header=BB142_12 Depth=1
	v_dual_mov_b32 v66, 0 :: v_dual_add_nc_u32 v5, 3, v76
	v_dual_mov_b32 v65, 0 :: v_dual_add_nc_u32 v6, 2, v76
	v_dual_mov_b32 v64, 0 :: v_dual_mov_b32 v63, 0
	v_dual_mov_b32 v62, 0 :: v_dual_mov_b32 v61, 0
	;; [unrolled: 1-line block ×9, first 2 shown]
	s_and_not1_b32 vcc_lo, exec_lo, s30
	s_cbranch_vccnz .LBB142_35
; %bb.34:                               ;   in Loop: Header=BB142_12 Depth=1
	v_mul_hi_u32 v47, v76, v94
	v_mul_hi_u32 v48, v6, v94
	v_add_nc_u32_e32 v49, 1, v76
	v_mul_hi_u32 v50, v5, v94
	v_mov_b32_e32 v64, v78
	v_mov_b32_e32 v66, v78
	;; [unrolled: 1-line block ×4, first 2 shown]
	v_mul_lo_u32 v47, v47, s8
	v_mul_lo_u32 v52, v48, s8
	v_mov_b32_e32 v48, v78
	v_mul_hi_u32 v51, v49, v94
	v_mul_lo_u32 v53, v50, s8
	v_mov_b32_e32 v85, v78
	v_sub_nc_u32_e32 v47, v76, v47
	v_sub_nc_u32_e32 v54, v6, v52
	v_mul_lo_u32 v51, v51, s8
	v_sub_nc_u32_e32 v53, v5, v53
	s_delay_alu instid0(VALU_DEP_4) | instskip(SKIP_2) | instid1(VALU_DEP_4)
	v_subrev_nc_u32_e32 v55, s8, v47
	v_cmp_le_u32_e32 vcc_lo, s8, v47
	v_mov_b32_e32 v50, v78
	v_subrev_nc_u32_e32 v56, s8, v53
	s_delay_alu instid0(VALU_DEP_4) | instskip(SKIP_3) | instid1(VALU_DEP_3)
	v_cndmask_b32_e32 v47, v47, v55, vcc_lo
	v_sub_nc_u32_e32 v49, v49, v51
	v_subrev_nc_u32_e32 v51, s8, v54
	v_cmp_le_u32_e32 vcc_lo, s8, v54
	v_subrev_nc_u32_e32 v55, s8, v49
	s_delay_alu instid0(VALU_DEP_3)
	v_cndmask_b32_e32 v51, v54, v51, vcc_lo
	v_cmp_le_u32_e32 vcc_lo, s8, v53
	v_mov_b32_e32 v52, v78
	v_subrev_nc_u32_e32 v54, s8, v47
	v_cndmask_b32_e32 v53, v53, v56, vcc_lo
	v_cmp_le_u32_e32 vcc_lo, s8, v49
	s_delay_alu instid0(VALU_DEP_2)
	v_subrev_nc_u32_e32 v56, s8, v53
	v_cndmask_b32_e32 v55, v49, v55, vcc_lo
	v_cmp_le_u32_e32 vcc_lo, s8, v47
	v_subrev_nc_u32_e32 v49, s8, v51
	v_cndmask_b32_e32 v77, v47, v54, vcc_lo
	v_cmp_le_u32_e32 vcc_lo, s8, v51
	v_subrev_nc_u32_e32 v47, s8, v55
	s_delay_alu instid0(VALU_DEP_4) | instskip(SKIP_1) | instid1(VALU_DEP_2)
	v_cndmask_b32_e32 v49, v51, v49, vcc_lo
	v_cmp_le_u32_e32 vcc_lo, s8, v53
	v_add_nc_u32_e32 v65, s33, v49
	v_cndmask_b32_e32 v51, v53, v56, vcc_lo
	v_cmp_le_u32_e32 vcc_lo, s8, v55
	v_lshlrev_b64 v[53:54], 1, v[77:78]
	v_add_nc_u32_e32 v82, s35, v49
	v_lshlrev_b64 v[65:66], 1, v[65:66]
	v_lshlrev_b64 v[57:58], 1, v[51:52]
	v_cndmask_b32_e32 v47, v55, v47, vcc_lo
	v_lshlrev_b64 v[55:56], 1, v[49:50]
	v_add_co_u32 v61, vcc_lo, s14, v53
	v_add_nc_u32_e32 v52, s33, v77
	s_delay_alu instid0(VALU_DEP_4)
	v_lshlrev_b64 v[59:60], 1, v[47:48]
	v_mov_b32_e32 v53, v78
	v_add_co_ci_u32_e32 v62, vcc_lo, s15, v54, vcc_lo
	v_add_nc_u32_e32 v63, s33, v47
	v_add_nc_u32_e32 v67, s33, v51
	v_add_co_u32 v59, vcc_lo, s14, v59
	v_add_co_ci_u32_e32 v60, vcc_lo, s15, v60, vcc_lo
	v_add_co_u32 v54, vcc_lo, s14, v55
	v_lshlrev_b64 v[52:53], 1, v[52:53]
	v_add_co_ci_u32_e32 v55, vcc_lo, s15, v56, vcc_lo
	v_add_co_u32 v56, vcc_lo, s14, v57
	v_lshlrev_b64 v[63:64], 1, v[63:64]
	v_add_co_ci_u32_e32 v57, vcc_lo, s15, v58, vcc_lo
	v_add_co_u32 v52, vcc_lo, s14, v52
	v_add_co_ci_u32_e32 v53, vcc_lo, s15, v53, vcc_lo
	s_delay_alu instid0(VALU_DEP_4)
	v_add_co_u32 v69, vcc_lo, s14, v63
	v_add_co_ci_u32_e32 v70, vcc_lo, s15, v64, vcc_lo
	v_lshlrev_b64 v[63:64], 1, v[67:68]
	v_add_co_u32 v67, vcc_lo, s14, v65
	v_add_co_ci_u32_e32 v68, vcc_lo, s15, v66, vcc_lo
	v_dual_mov_b32 v66, v78 :: v_dual_add_nc_u32 v65, s34, v77
	s_delay_alu instid0(VALU_DEP_4) | instskip(SKIP_1) | instid1(VALU_DEP_3)
	v_add_co_u32 v71, vcc_lo, s14, v63
	v_add_co_ci_u32_e32 v72, vcc_lo, s15, v64, vcc_lo
	v_lshlrev_b64 v[73:74], 1, v[65:66]
	s_clause 0x7
	global_load_u16 v66, v[61:62], off
	global_load_u16 v65, v[59:60], off
	;; [unrolled: 1-line block ×8, first 2 shown]
	v_mov_b32_e32 v72, v78
	v_mov_b32_e32 v68, v78
	v_dual_mov_b32 v81, v78 :: v_dual_add_nc_u32 v80, s34, v47
	v_add_nc_u32_e32 v67, s34, v49
	v_add_nc_u32_e32 v71, s34, v51
	v_add_co_u32 v69, vcc_lo, s14, v73
	s_delay_alu instid0(VALU_DEP_4)
	v_lshlrev_b64 v[52:53], 1, v[80:81]
	v_add_nc_u32_e32 v80, s35, v47
	v_lshlrev_b64 v[67:68], 1, v[67:68]
	v_add_co_ci_u32_e32 v70, vcc_lo, s15, v74, vcc_lo
	v_dual_mov_b32 v74, v78 :: v_dual_add_nc_u32 v73, s35, v77
	v_add_co_u32 v52, vcc_lo, s14, v52
	v_lshlrev_b64 v[71:72], 1, v[71:72]
	v_add_co_ci_u32_e32 v53, vcc_lo, s15, v53, vcc_lo
	v_add_co_u32 v67, vcc_lo, s14, v67
	v_lshlrev_b64 v[73:74], 1, v[73:74]
	v_add_co_ci_u32_e32 v68, vcc_lo, s15, v68, vcc_lo
	v_add_co_u32 v71, vcc_lo, s14, v71
	v_lshlrev_b64 v[80:81], 1, v[80:81]
	v_add_nc_u32_e32 v84, s35, v51
	v_add_co_ci_u32_e32 v72, vcc_lo, s15, v72, vcc_lo
	v_add_co_u32 v73, vcc_lo, s14, v73
	v_lshlrev_b64 v[82:83], 1, v[82:83]
	v_add_nc_u32_e32 v77, s40, v77
	v_add_co_ci_u32_e32 v74, vcc_lo, s15, v74, vcc_lo
	v_add_co_u32 v80, vcc_lo, s14, v80
	v_lshlrev_b64 v[84:85], 1, v[84:85]
	v_add_co_ci_u32_e32 v81, vcc_lo, s15, v81, vcc_lo
	v_add_co_u32 v82, vcc_lo, s14, v82
	v_lshlrev_b64 v[86:87], 1, v[77:78]
	v_add_nc_u32_e32 v77, s40, v47
	v_add_co_ci_u32_e32 v83, vcc_lo, s15, v83, vcc_lo
	v_add_co_u32 v47, vcc_lo, s14, v84
	v_add_co_ci_u32_e32 v48, vcc_lo, s15, v85, vcc_lo
	s_delay_alu instid0(VALU_DEP_4) | instskip(SKIP_3) | instid1(VALU_DEP_3)
	v_lshlrev_b64 v[84:85], 1, v[77:78]
	v_add_nc_u32_e32 v77, s40, v49
	v_add_co_u32 v49, vcc_lo, s14, v86
	v_add_co_ci_u32_e32 v50, vcc_lo, s15, v87, vcc_lo
	v_lshlrev_b64 v[86:87], 1, v[77:78]
	v_add_nc_u32_e32 v77, s40, v51
	v_add_co_u32 v84, vcc_lo, s14, v84
	v_add_co_ci_u32_e32 v85, vcc_lo, s15, v85, vcc_lo
	s_delay_alu instid0(VALU_DEP_3) | instskip(SKIP_2) | instid1(VALU_DEP_3)
	v_lshlrev_b64 v[95:96], 1, v[77:78]
	v_add_co_u32 v86, vcc_lo, s14, v86
	v_add_co_ci_u32_e32 v87, vcc_lo, s15, v87, vcc_lo
	v_add_co_u32 v95, vcc_lo, s14, v95
	s_delay_alu instid0(VALU_DEP_4)
	v_add_co_ci_u32_e32 v96, vcc_lo, s15, v96, vcc_lo
	s_clause 0xb
	global_load_u16 v63, v[69:70], off
	global_load_u16 v61, v[52:53], off
	;; [unrolled: 1-line block ×12, first 2 shown]
.LBB142_35:                             ;   in Loop: Header=BB142_12 Depth=1
	v_cmp_ne_u32_e32 vcc_lo, 0, v1
	s_and_saveexec_b32 s2, vcc_lo
	s_cbranch_execnz .LBB142_61
; %bb.36:                               ;   in Loop: Header=BB142_12 Depth=1
	s_or_b32 exec_lo, exec_lo, s2
	v_cmp_ne_u32_e64 s1, 0, v2
	s_delay_alu instid0(VALU_DEP_1)
	s_and_saveexec_b32 s3, s1
	s_cbranch_execnz .LBB142_62
.LBB142_37:                             ;   in Loop: Header=BB142_12 Depth=1
	s_or_b32 exec_lo, exec_lo, s3
	v_cmp_ne_u32_e64 s2, 0, v3
	s_delay_alu instid0(VALU_DEP_1)
	s_and_saveexec_b32 s4, s2
	s_cbranch_execnz .LBB142_63
.LBB142_38:                             ;   in Loop: Header=BB142_12 Depth=1
	s_or_b32 exec_lo, exec_lo, s4
	v_cmp_ne_u32_e64 s3, 0, v4
	s_delay_alu instid0(VALU_DEP_1)
	s_and_saveexec_b32 s43, s3
	s_cbranch_execnz .LBB142_64
.LBB142_39:                             ;   in Loop: Header=BB142_12 Depth=1
	s_or_b32 exec_lo, exec_lo, s43
	v_add_nc_u32_e32 v77, s19, v76
	s_and_saveexec_b32 s43, vcc_lo
	s_cbranch_execnz .LBB142_65
.LBB142_40:                             ;   in Loop: Header=BB142_12 Depth=1
	s_or_b32 exec_lo, exec_lo, s43
	s_and_saveexec_b32 s43, s1
	s_cbranch_execnz .LBB142_66
.LBB142_41:                             ;   in Loop: Header=BB142_12 Depth=1
	s_or_b32 exec_lo, exec_lo, s43
	s_and_saveexec_b32 s43, s2
	s_cbranch_execnz .LBB142_67
.LBB142_42:                             ;   in Loop: Header=BB142_12 Depth=1
	s_or_b32 exec_lo, exec_lo, s43
	s_and_saveexec_b32 s43, s3
	s_cbranch_execnz .LBB142_68
.LBB142_43:                             ;   in Loop: Header=BB142_12 Depth=1
	s_or_b32 exec_lo, exec_lo, s43
	v_add_nc_u32_e32 v77, s19, v77
	s_and_saveexec_b32 s43, vcc_lo
	s_cbranch_execnz .LBB142_69
.LBB142_44:                             ;   in Loop: Header=BB142_12 Depth=1
	s_or_b32 exec_lo, exec_lo, s43
	s_and_saveexec_b32 s43, s1
	s_cbranch_execnz .LBB142_70
.LBB142_45:                             ;   in Loop: Header=BB142_12 Depth=1
	s_or_b32 exec_lo, exec_lo, s43
	s_and_saveexec_b32 s43, s2
	s_cbranch_execnz .LBB142_71
.LBB142_46:                             ;   in Loop: Header=BB142_12 Depth=1
	s_or_b32 exec_lo, exec_lo, s43
	s_and_saveexec_b32 s43, s3
	s_cbranch_execnz .LBB142_72
.LBB142_47:                             ;   in Loop: Header=BB142_12 Depth=1
	s_or_b32 exec_lo, exec_lo, s43
	v_add_nc_u32_e32 v77, s19, v77
	s_and_saveexec_b32 s43, vcc_lo
	s_cbranch_execnz .LBB142_73
.LBB142_48:                             ;   in Loop: Header=BB142_12 Depth=1
	s_or_b32 exec_lo, exec_lo, s43
	s_and_saveexec_b32 s43, s1
	s_cbranch_execnz .LBB142_74
.LBB142_49:                             ;   in Loop: Header=BB142_12 Depth=1
	s_or_b32 exec_lo, exec_lo, s43
	s_and_saveexec_b32 s43, s2
	s_cbranch_execnz .LBB142_75
.LBB142_50:                             ;   in Loop: Header=BB142_12 Depth=1
	s_or_b32 exec_lo, exec_lo, s43
	s_and_saveexec_b32 s43, s3
	s_cbranch_execnz .LBB142_76
.LBB142_51:                             ;   in Loop: Header=BB142_12 Depth=1
	s_or_b32 exec_lo, exec_lo, s43
	v_add_nc_u32_e32 v77, s19, v77
	s_and_saveexec_b32 s4, vcc_lo
	s_cbranch_execnz .LBB142_77
.LBB142_52:                             ;   in Loop: Header=BB142_12 Depth=1
	s_or_b32 exec_lo, exec_lo, s4
	s_and_saveexec_b32 s4, s1
	s_cbranch_execnz .LBB142_78
.LBB142_53:                             ;   in Loop: Header=BB142_12 Depth=1
	s_or_b32 exec_lo, exec_lo, s4
	s_and_saveexec_b32 s1, s2
	s_cbranch_execnz .LBB142_79
.LBB142_54:                             ;   in Loop: Header=BB142_12 Depth=1
	s_or_b32 exec_lo, exec_lo, s1
	s_delay_alu instid0(SALU_CYCLE_1)
	s_and_b32 exec_lo, exec_lo, s3
	s_cbranch_execz .LBB142_56
.LBB142_55:                             ;   in Loop: Header=BB142_12 Depth=1
	s_waitcnt lgkmcnt(0)
	v_add_f32_e32 v5, v8, v12
	s_waitcnt vmcnt(0)
	v_cvt_f32_f16_e32 v6, v47
	v_add_nc_u32_e32 v77, 3, v77
	s_delay_alu instid0(VALU_DEP_2) | instskip(NEXT) | instid1(VALU_DEP_2)
	v_add_f32_e32 v7, v5, v6
	v_lshlrev_b64 v[5:6], 1, v[77:78]
	s_delay_alu instid0(VALU_DEP_2) | instskip(NEXT) | instid1(VALU_DEP_2)
	v_cvt_f16_f32_e32 v7, v7
	v_add_co_u32 v5, vcc_lo, s6, v5
	s_delay_alu instid0(VALU_DEP_3)
	v_add_co_ci_u32_e32 v6, vcc_lo, s7, v6, vcc_lo
	global_store_b16 v[5:6], v7, off
.LBB142_56:                             ;   in Loop: Header=BB142_12 Depth=1
	s_or_b32 exec_lo, exec_lo, s5
	v_add_nc_u32_e32 v76, s29, v76
	s_delay_alu instid0(VALU_DEP_1) | instskip(SKIP_1) | instid1(VALU_DEP_2)
	v_add_nc_u32_e32 v5, 4, v76
	v_cmp_gt_u32_e32 vcc_lo, s19, v76
	v_cmp_le_u32_e64 s1, s19, v5
	s_delay_alu instid0(VALU_DEP_1) | instskip(NEXT) | instid1(SALU_CYCLE_1)
	s_and_b32 s1, vcc_lo, s1
	s_and_saveexec_b32 s43, s1
	s_cbranch_execz .LBB142_10
; %bb.57:                               ;   in Loop: Header=BB142_12 Depth=1
	s_mov_b32 s44, exec_lo
	v_cmpx_ne_u32_e64 s31, v76
	s_cbranch_execz .LBB142_9
; %bb.58:                               ;   in Loop: Header=BB142_12 Depth=1
	v_subrev_nc_u32_e32 v5, s31, v76
	s_mov_b32 s45, 0
	s_mov_b64 s[4:5], 0
	s_delay_alu instid0(VALU_DEP_1)
	v_cmp_lt_u32_e32 vcc_lo, 1, v5
	v_cndmask_b32_e32 v5, 1, v5, vcc_lo
	.p2align	6
.LBB142_59:                             ;   Parent Loop BB142_12 Depth=1
                                        ; =>  This Inner Loop Header: Depth=2
	s_cmp_lg_u32 s4, 3
	s_cselect_b32 vcc_lo, -1, 0
	s_cmp_lg_u32 s4, 2
	v_cndmask_b32_e32 v4, 0, v4, vcc_lo
	s_cselect_b32 s1, -1, 0
	s_cmp_lg_u32 s4, 1
	v_cndmask_b32_e64 v3, 0, v3, s1
	s_cselect_b32 s2, -1, 0
	s_cmp_lg_u32 s4, 0
	v_cndmask_b32_e64 v2, 0, v2, s2
	s_cselect_b32 s3, -1, 0
	s_add_u32 s4, s4, 1
	v_cndmask_b32_e64 v1, 0, v1, s3
	v_cmp_eq_u32_e32 vcc_lo, s4, v5
	s_addc_u32 s5, s5, 0
	s_or_b32 s45, vcc_lo, s45
	s_delay_alu instid0(SALU_CYCLE_1)
	s_and_not1_b32 exec_lo, exec_lo, s45
	s_cbranch_execnz .LBB142_59
; %bb.60:                               ;   in Loop: Header=BB142_12 Depth=1
	s_or_b32 exec_lo, exec_lo, s45
	s_branch .LBB142_9
.LBB142_61:                             ;   in Loop: Header=BB142_12 Depth=1
	v_mov_b32_e32 v77, v78
	s_waitcnt lgkmcnt(19)
	v_add_f32_e32 v41, v41, v45
	s_waitcnt vmcnt(19)
	v_cvt_f32_f16_e32 v45, v66
	v_lshlrev_b64 v[66:67], 1, v[76:77]
	s_delay_alu instid0(VALU_DEP_2) | instskip(NEXT) | instid1(VALU_DEP_2)
	v_add_f32_e32 v41, v41, v45
	v_add_co_u32 v66, s1, s6, v66
	s_delay_alu instid0(VALU_DEP_2) | instskip(NEXT) | instid1(VALU_DEP_4)
	v_cvt_f16_f32_e32 v41, v41
	v_add_co_ci_u32_e64 v67, s1, s7, v67, s1
	global_store_b16 v[66:67], v41, off
	s_or_b32 exec_lo, exec_lo, s2
	v_cmp_ne_u32_e64 s1, 0, v2
	s_delay_alu instid0(VALU_DEP_1)
	s_and_saveexec_b32 s3, s1
	s_cbranch_execz .LBB142_37
.LBB142_62:                             ;   in Loop: Header=BB142_12 Depth=1
	v_mov_b32_e32 v77, v78
	s_waitcnt lgkmcnt(18)
	v_add_f32_e32 v33, v33, v37
	s_waitcnt vmcnt(18)
	v_cvt_f32_f16_e32 v37, v65
	v_lshlrev_b64 v[65:66], 1, v[76:77]
	s_delay_alu instid0(VALU_DEP_2) | instskip(NEXT) | instid1(VALU_DEP_2)
	v_add_f32_e32 v33, v33, v37
	v_add_co_u32 v65, s2, s36, v65
	s_delay_alu instid0(VALU_DEP_2) | instskip(NEXT) | instid1(VALU_DEP_4)
	v_cvt_f16_f32_e32 v33, v33
	v_add_co_ci_u32_e64 v66, s2, s37, v66, s2
	global_store_b16 v[65:66], v33, off
	s_or_b32 exec_lo, exec_lo, s3
	v_cmp_ne_u32_e64 s2, 0, v3
	s_delay_alu instid0(VALU_DEP_1)
	s_and_saveexec_b32 s4, s2
	s_cbranch_execz .LBB142_38
.LBB142_63:                             ;   in Loop: Header=BB142_12 Depth=1
	s_waitcnt lgkmcnt(17)
	v_add_f32_e32 v29, v7, v29
	v_mov_b32_e32 v7, v78
	s_waitcnt vmcnt(17)
	v_cvt_f32_f16_e32 v33, v64
	s_delay_alu instid0(VALU_DEP_2) | instskip(NEXT) | instid1(VALU_DEP_2)
	v_lshlrev_b64 v[6:7], 1, v[6:7]
	v_add_f32_e32 v29, v29, v33
	s_delay_alu instid0(VALU_DEP_1) | instskip(NEXT) | instid1(VALU_DEP_3)
	v_cvt_f16_f32_e32 v29, v29
	v_add_co_u32 v6, s3, s6, v6
	s_delay_alu instid0(VALU_DEP_1) | instskip(SKIP_3) | instid1(VALU_DEP_1)
	v_add_co_ci_u32_e64 v7, s3, s7, v7, s3
	global_store_b16 v[6:7], v29, off
	s_or_b32 exec_lo, exec_lo, s4
	v_cmp_ne_u32_e64 s3, 0, v4
	s_and_saveexec_b32 s43, s3
	s_cbranch_execz .LBB142_39
.LBB142_64:                             ;   in Loop: Header=BB142_12 Depth=1
	s_waitcnt lgkmcnt(16)
	v_add_f32_e32 v7, v18, v22
	s_waitcnt vmcnt(16)
	v_cvt_f32_f16_e32 v18, v62
	s_delay_alu instid0(VALU_DEP_1) | instskip(NEXT) | instid1(VALU_DEP_1)
	v_dual_mov_b32 v6, v78 :: v_dual_add_f32 v7, v7, v18
	v_lshlrev_b64 v[5:6], 1, v[5:6]
	s_delay_alu instid0(VALU_DEP_2) | instskip(NEXT) | instid1(VALU_DEP_2)
	v_cvt_f16_f32_e32 v7, v7
	v_add_co_u32 v5, s4, s6, v5
	s_delay_alu instid0(VALU_DEP_1)
	v_add_co_ci_u32_e64 v6, s4, s7, v6, s4
	global_store_b16 v[5:6], v7, off
	s_or_b32 exec_lo, exec_lo, s43
	v_add_nc_u32_e32 v77, s19, v76
	s_and_saveexec_b32 s43, vcc_lo
	s_cbranch_execz .LBB142_40
.LBB142_65:                             ;   in Loop: Header=BB142_12 Depth=1
	s_waitcnt lgkmcnt(15)
	v_add_f32_e32 v5, v9, v13
	s_waitcnt vmcnt(15)
	v_cvt_f32_f16_e32 v6, v60
	s_delay_alu instid0(VALU_DEP_1) | instskip(SKIP_1) | instid1(VALU_DEP_2)
	v_add_f32_e32 v7, v5, v6
	v_lshlrev_b64 v[5:6], 1, v[77:78]
	v_cvt_f16_f32_e32 v7, v7
	s_delay_alu instid0(VALU_DEP_2) | instskip(NEXT) | instid1(VALU_DEP_1)
	v_add_co_u32 v5, s4, s6, v5
	v_add_co_ci_u32_e64 v6, s4, s7, v6, s4
	global_store_b16 v[5:6], v7, off
	s_or_b32 exec_lo, exec_lo, s43
	s_and_saveexec_b32 s43, s1
	s_cbranch_execz .LBB142_41
.LBB142_66:                             ;   in Loop: Header=BB142_12 Depth=1
	v_dual_mov_b32 v6, v78 :: v_dual_add_nc_u32 v5, 1, v77
	s_waitcnt lgkmcnt(6)
	v_add_f32_e32 v7, v42, v46
	s_waitcnt vmcnt(14)
	v_cvt_f32_f16_e32 v9, v58
	v_lshlrev_b64 v[5:6], 1, v[5:6]
	s_delay_alu instid0(VALU_DEP_2) | instskip(NEXT) | instid1(VALU_DEP_2)
	v_add_f32_e32 v7, v7, v9
	v_add_co_u32 v5, s4, s6, v5
	s_delay_alu instid0(VALU_DEP_2) | instskip(NEXT) | instid1(VALU_DEP_4)
	v_cvt_f16_f32_e32 v7, v7
	v_add_co_ci_u32_e64 v6, s4, s7, v6, s4
	global_store_b16 v[5:6], v7, off
	s_or_b32 exec_lo, exec_lo, s43
	s_and_saveexec_b32 s43, s2
	s_cbranch_execz .LBB142_42
.LBB142_67:                             ;   in Loop: Header=BB142_12 Depth=1
	v_dual_mov_b32 v6, v78 :: v_dual_add_nc_u32 v5, 2, v77
	s_waitcnt lgkmcnt(10)
	v_add_f32_e32 v7, v34, v38
	s_waitcnt vmcnt(13)
	v_cvt_f32_f16_e32 v9, v56
	v_lshlrev_b64 v[5:6], 1, v[5:6]
	s_delay_alu instid0(VALU_DEP_2) | instskip(NEXT) | instid1(VALU_DEP_2)
	v_add_f32_e32 v7, v7, v9
	v_add_co_u32 v5, s4, s6, v5
	s_delay_alu instid0(VALU_DEP_2) | instskip(NEXT) | instid1(VALU_DEP_4)
	v_cvt_f16_f32_e32 v7, v7
	v_add_co_ci_u32_e64 v6, s4, s7, v6, s4
	global_store_b16 v[5:6], v7, off
	s_or_b32 exec_lo, exec_lo, s43
	s_and_saveexec_b32 s43, s3
	s_cbranch_execz .LBB142_43
.LBB142_68:                             ;   in Loop: Header=BB142_12 Depth=1
	v_dual_mov_b32 v6, v78 :: v_dual_add_nc_u32 v5, 3, v77
	s_waitcnt lgkmcnt(12)
	v_add_f32_e32 v7, v26, v30
	s_waitcnt vmcnt(12)
	v_cvt_f32_f16_e32 v9, v54
	v_lshlrev_b64 v[5:6], 1, v[5:6]
	s_delay_alu instid0(VALU_DEP_2) | instskip(NEXT) | instid1(VALU_DEP_2)
	v_add_f32_e32 v7, v7, v9
	v_add_co_u32 v5, s4, s6, v5
	s_delay_alu instid0(VALU_DEP_2) | instskip(NEXT) | instid1(VALU_DEP_4)
	v_cvt_f16_f32_e32 v7, v7
	v_add_co_ci_u32_e64 v6, s4, s7, v6, s4
	global_store_b16 v[5:6], v7, off
	s_or_b32 exec_lo, exec_lo, s43
	v_add_nc_u32_e32 v77, s19, v77
	s_and_saveexec_b32 s43, vcc_lo
	s_cbranch_execz .LBB142_44
.LBB142_69:                             ;   in Loop: Header=BB142_12 Depth=1
	s_waitcnt lgkmcnt(5)
	v_add_f32_e32 v5, v16, v20
	s_waitcnt vmcnt(11)
	v_cvt_f32_f16_e32 v6, v63
	s_delay_alu instid0(VALU_DEP_1) | instskip(SKIP_1) | instid1(VALU_DEP_2)
	v_add_f32_e32 v7, v5, v6
	v_lshlrev_b64 v[5:6], 1, v[77:78]
	v_cvt_f16_f32_e32 v7, v7
	s_delay_alu instid0(VALU_DEP_2) | instskip(NEXT) | instid1(VALU_DEP_1)
	v_add_co_u32 v5, s4, s6, v5
	v_add_co_ci_u32_e64 v6, s4, s7, v6, s4
	global_store_b16 v[5:6], v7, off
	s_or_b32 exec_lo, exec_lo, s43
	s_and_saveexec_b32 s43, s1
	s_cbranch_execz .LBB142_45
.LBB142_70:                             ;   in Loop: Header=BB142_12 Depth=1
	s_waitcnt lgkmcnt(11)
	v_dual_add_f32 v7, v11, v15 :: v_dual_mov_b32 v6, v78
	v_add_nc_u32_e32 v5, 1, v77
	s_waitcnt vmcnt(10)
	v_cvt_f32_f16_e32 v9, v61
	s_delay_alu instid0(VALU_DEP_2) | instskip(NEXT) | instid1(VALU_DEP_2)
	v_lshlrev_b64 v[5:6], 1, v[5:6]
	v_add_f32_e32 v7, v7, v9
	s_delay_alu instid0(VALU_DEP_1) | instskip(NEXT) | instid1(VALU_DEP_3)
	v_cvt_f16_f32_e32 v7, v7
	v_add_co_u32 v5, s4, s6, v5
	s_delay_alu instid0(VALU_DEP_1)
	v_add_co_ci_u32_e64 v6, s4, s7, v6, s4
	global_store_b16 v[5:6], v7, off
	s_or_b32 exec_lo, exec_lo, s43
	s_and_saveexec_b32 s43, s2
	s_cbranch_execz .LBB142_46
.LBB142_71:                             ;   in Loop: Header=BB142_12 Depth=1
	s_waitcnt lgkmcnt(9)
	v_dual_add_f32 v7, v40, v44 :: v_dual_mov_b32 v6, v78
	v_add_nc_u32_e32 v5, 2, v77
	s_waitcnt vmcnt(9)
	v_cvt_f32_f16_e32 v9, v59
	s_delay_alu instid0(VALU_DEP_2) | instskip(NEXT) | instid1(VALU_DEP_2)
	v_lshlrev_b64 v[5:6], 1, v[5:6]
	v_add_f32_e32 v7, v7, v9
	s_delay_alu instid0(VALU_DEP_1) | instskip(NEXT) | instid1(VALU_DEP_3)
	v_cvt_f16_f32_e32 v7, v7
	v_add_co_u32 v5, s4, s6, v5
	s_delay_alu instid0(VALU_DEP_1)
	v_add_co_ci_u32_e64 v6, s4, s7, v6, s4
	global_store_b16 v[5:6], v7, off
	s_or_b32 exec_lo, exec_lo, s43
	s_and_saveexec_b32 s43, s3
	s_cbranch_execz .LBB142_47
.LBB142_72:                             ;   in Loop: Header=BB142_12 Depth=1
	s_waitcnt lgkmcnt(8)
	v_dual_add_f32 v7, v32, v36 :: v_dual_mov_b32 v6, v78
	v_add_nc_u32_e32 v5, 3, v77
	s_waitcnt vmcnt(8)
	v_cvt_f32_f16_e32 v9, v57
	s_delay_alu instid0(VALU_DEP_2) | instskip(NEXT) | instid1(VALU_DEP_2)
	v_lshlrev_b64 v[5:6], 1, v[5:6]
	v_add_f32_e32 v7, v7, v9
	s_delay_alu instid0(VALU_DEP_1) | instskip(NEXT) | instid1(VALU_DEP_3)
	v_cvt_f16_f32_e32 v7, v7
	v_add_co_u32 v5, s4, s6, v5
	s_delay_alu instid0(VALU_DEP_1)
	v_add_co_ci_u32_e64 v6, s4, s7, v6, s4
	global_store_b16 v[5:6], v7, off
	s_or_b32 exec_lo, exec_lo, s43
	v_add_nc_u32_e32 v77, s19, v77
	s_and_saveexec_b32 s43, vcc_lo
	s_cbranch_execz .LBB142_48
.LBB142_73:                             ;   in Loop: Header=BB142_12 Depth=1
	s_waitcnt lgkmcnt(14)
	v_add_f32_e32 v5, v24, v27
	s_waitcnt vmcnt(7)
	v_cvt_f32_f16_e32 v6, v55
	s_delay_alu instid0(VALU_DEP_1) | instskip(SKIP_1) | instid1(VALU_DEP_2)
	v_add_f32_e32 v7, v5, v6
	v_lshlrev_b64 v[5:6], 1, v[77:78]
	v_cvt_f16_f32_e32 v7, v7
	s_delay_alu instid0(VALU_DEP_2) | instskip(NEXT) | instid1(VALU_DEP_1)
	v_add_co_u32 v5, s4, s6, v5
	v_add_co_ci_u32_e64 v6, s4, s7, v6, s4
	global_store_b16 v[5:6], v7, off
	s_or_b32 exec_lo, exec_lo, s43
	s_and_saveexec_b32 s43, s1
	s_cbranch_execz .LBB142_49
.LBB142_74:                             ;   in Loop: Header=BB142_12 Depth=1
	s_waitcnt lgkmcnt(7)
	v_dual_add_f32 v7, v19, v23 :: v_dual_mov_b32 v6, v78
	v_add_nc_u32_e32 v5, 1, v77
	s_waitcnt vmcnt(6)
	v_cvt_f32_f16_e32 v9, v53
	s_delay_alu instid0(VALU_DEP_2) | instskip(NEXT) | instid1(VALU_DEP_2)
	v_lshlrev_b64 v[5:6], 1, v[5:6]
	v_add_f32_e32 v7, v7, v9
	s_delay_alu instid0(VALU_DEP_1) | instskip(NEXT) | instid1(VALU_DEP_3)
	v_cvt_f16_f32_e32 v7, v7
	v_add_co_u32 v5, s4, s6, v5
	s_delay_alu instid0(VALU_DEP_1)
	v_add_co_ci_u32_e64 v6, s4, s7, v6, s4
	global_store_b16 v[5:6], v7, off
	s_or_b32 exec_lo, exec_lo, s43
	s_and_saveexec_b32 s43, s2
	s_cbranch_execz .LBB142_50
.LBB142_75:                             ;   in Loop: Header=BB142_12 Depth=1
	v_dual_mov_b32 v6, v78 :: v_dual_add_nc_u32 v5, 2, v77
	s_waitcnt lgkmcnt(13)
	v_add_f32_e32 v7, v10, v14
	s_waitcnt vmcnt(5)
	v_cvt_f32_f16_e32 v9, v52
	v_lshlrev_b64 v[5:6], 1, v[5:6]
	s_delay_alu instid0(VALU_DEP_2) | instskip(NEXT) | instid1(VALU_DEP_2)
	v_add_f32_e32 v7, v7, v9
	v_add_co_u32 v5, s4, s6, v5
	s_delay_alu instid0(VALU_DEP_2) | instskip(NEXT) | instid1(VALU_DEP_4)
	v_cvt_f16_f32_e32 v7, v7
	v_add_co_ci_u32_e64 v6, s4, s7, v6, s4
	global_store_b16 v[5:6], v7, off
	s_or_b32 exec_lo, exec_lo, s43
	s_and_saveexec_b32 s43, s3
	s_cbranch_execz .LBB142_51
.LBB142_76:                             ;   in Loop: Header=BB142_12 Depth=1
	s_waitcnt lgkmcnt(4)
	v_dual_add_f32 v7, v39, v43 :: v_dual_mov_b32 v6, v78
	v_add_nc_u32_e32 v5, 3, v77
	s_waitcnt vmcnt(4)
	v_cvt_f32_f16_e32 v9, v51
	s_delay_alu instid0(VALU_DEP_2) | instskip(NEXT) | instid1(VALU_DEP_2)
	v_lshlrev_b64 v[5:6], 1, v[5:6]
	v_add_f32_e32 v7, v7, v9
	s_delay_alu instid0(VALU_DEP_1) | instskip(NEXT) | instid1(VALU_DEP_3)
	v_cvt_f16_f32_e32 v7, v7
	v_add_co_u32 v5, s4, s6, v5
	s_delay_alu instid0(VALU_DEP_1)
	v_add_co_ci_u32_e64 v6, s4, s7, v6, s4
	global_store_b16 v[5:6], v7, off
	s_or_b32 exec_lo, exec_lo, s43
	v_add_nc_u32_e32 v77, s19, v77
	s_and_saveexec_b32 s4, vcc_lo
	s_cbranch_execz .LBB142_52
.LBB142_77:                             ;   in Loop: Header=BB142_12 Depth=1
	s_waitcnt lgkmcnt(2)
	v_add_f32_e32 v5, v31, v35
	s_waitcnt vmcnt(3)
	v_cvt_f32_f16_e32 v6, v50
	s_delay_alu instid0(VALU_DEP_1) | instskip(SKIP_1) | instid1(VALU_DEP_2)
	v_add_f32_e32 v7, v5, v6
	v_lshlrev_b64 v[5:6], 1, v[77:78]
	v_cvt_f16_f32_e32 v7, v7
	s_delay_alu instid0(VALU_DEP_2) | instskip(NEXT) | instid1(VALU_DEP_3)
	v_add_co_u32 v5, vcc_lo, s6, v5
	v_add_co_ci_u32_e32 v6, vcc_lo, s7, v6, vcc_lo
	global_store_b16 v[5:6], v7, off
	s_or_b32 exec_lo, exec_lo, s4
	s_and_saveexec_b32 s4, s1
	s_cbranch_execz .LBB142_53
.LBB142_78:                             ;   in Loop: Header=BB142_12 Depth=1
	s_waitcnt lgkmcnt(1)
	v_dual_add_f32 v7, v25, v28 :: v_dual_mov_b32 v6, v78
	v_add_nc_u32_e32 v5, 1, v77
	s_waitcnt vmcnt(2)
	v_cvt_f32_f16_e32 v9, v49
	s_delay_alu instid0(VALU_DEP_2) | instskip(NEXT) | instid1(VALU_DEP_2)
	v_lshlrev_b64 v[5:6], 1, v[5:6]
	v_add_f32_e32 v7, v7, v9
	s_delay_alu instid0(VALU_DEP_1) | instskip(NEXT) | instid1(VALU_DEP_3)
	v_cvt_f16_f32_e32 v7, v7
	v_add_co_u32 v5, vcc_lo, s6, v5
	s_delay_alu instid0(VALU_DEP_4)
	v_add_co_ci_u32_e32 v6, vcc_lo, s7, v6, vcc_lo
	global_store_b16 v[5:6], v7, off
	s_or_b32 exec_lo, exec_lo, s4
	s_and_saveexec_b32 s1, s2
	s_cbranch_execz .LBB142_54
.LBB142_79:                             ;   in Loop: Header=BB142_12 Depth=1
	s_waitcnt lgkmcnt(3)
	v_dual_add_f32 v7, v17, v21 :: v_dual_mov_b32 v6, v78
	v_add_nc_u32_e32 v5, 2, v77
	s_waitcnt vmcnt(1)
	v_cvt_f32_f16_e32 v9, v48
	s_delay_alu instid0(VALU_DEP_2) | instskip(NEXT) | instid1(VALU_DEP_2)
	v_lshlrev_b64 v[5:6], 1, v[5:6]
	v_add_f32_e32 v7, v7, v9
	s_delay_alu instid0(VALU_DEP_1) | instskip(NEXT) | instid1(VALU_DEP_3)
	v_cvt_f16_f32_e32 v7, v7
	v_add_co_u32 v5, vcc_lo, s6, v5
	s_delay_alu instid0(VALU_DEP_4) | instskip(SKIP_2) | instid1(SALU_CYCLE_1)
	v_add_co_ci_u32_e32 v6, vcc_lo, s7, v6, vcc_lo
	global_store_b16 v[5:6], v7, off
	s_or_b32 exec_lo, exec_lo, s1
	s_and_b32 exec_lo, exec_lo, s3
	s_cbranch_execnz .LBB142_55
	s_branch .LBB142_56
.LBB142_80:
	s_nop 0
	s_sendmsg sendmsg(MSG_DEALLOC_VGPRS)
	s_endpgm
	.section	.rodata,"a",@progbits
	.p2align	6, 0x0
	.amdhsa_kernel _Z16wvSplitK_hf_big_I6__halfLi32ELi4ELi16ELi8ELi2ELi5EEviiiiiiPKT_S3_S3_PS1_ii
		.amdhsa_group_segment_fixed_size 65536
		.amdhsa_private_segment_fixed_size 0
		.amdhsa_kernarg_size 64
		.amdhsa_user_sgpr_count 15
		.amdhsa_user_sgpr_dispatch_ptr 0
		.amdhsa_user_sgpr_queue_ptr 0
		.amdhsa_user_sgpr_kernarg_segment_ptr 1
		.amdhsa_user_sgpr_dispatch_id 0
		.amdhsa_user_sgpr_private_segment_size 0
		.amdhsa_wavefront_size32 1
		.amdhsa_uses_dynamic_stack 0
		.amdhsa_enable_private_segment 0
		.amdhsa_system_sgpr_workgroup_id_x 1
		.amdhsa_system_sgpr_workgroup_id_y 0
		.amdhsa_system_sgpr_workgroup_id_z 0
		.amdhsa_system_sgpr_workgroup_info 0
		.amdhsa_system_vgpr_workitem_id 1
		.amdhsa_next_free_vgpr 120
		.amdhsa_next_free_sgpr 46
		.amdhsa_reserve_vcc 1
		.amdhsa_float_round_mode_32 0
		.amdhsa_float_round_mode_16_64 0
		.amdhsa_float_denorm_mode_32 3
		.amdhsa_float_denorm_mode_16_64 3
		.amdhsa_dx10_clamp 1
		.amdhsa_ieee_mode 1
		.amdhsa_fp16_overflow 0
		.amdhsa_workgroup_processor_mode 1
		.amdhsa_memory_ordered 1
		.amdhsa_forward_progress 0
		.amdhsa_shared_vgpr_count 0
		.amdhsa_exception_fp_ieee_invalid_op 0
		.amdhsa_exception_fp_denorm_src 0
		.amdhsa_exception_fp_ieee_div_zero 0
		.amdhsa_exception_fp_ieee_overflow 0
		.amdhsa_exception_fp_ieee_underflow 0
		.amdhsa_exception_fp_ieee_inexact 0
		.amdhsa_exception_int_div_zero 0
	.end_amdhsa_kernel
	.section	.text._Z16wvSplitK_hf_big_I6__halfLi32ELi4ELi16ELi8ELi2ELi5EEviiiiiiPKT_S3_S3_PS1_ii,"axG",@progbits,_Z16wvSplitK_hf_big_I6__halfLi32ELi4ELi16ELi8ELi2ELi5EEviiiiiiPKT_S3_S3_PS1_ii,comdat
.Lfunc_end142:
	.size	_Z16wvSplitK_hf_big_I6__halfLi32ELi4ELi16ELi8ELi2ELi5EEviiiiiiPKT_S3_S3_PS1_ii, .Lfunc_end142-_Z16wvSplitK_hf_big_I6__halfLi32ELi4ELi16ELi8ELi2ELi5EEviiiiiiPKT_S3_S3_PS1_ii
                                        ; -- End function
	.section	.AMDGPU.csdata,"",@progbits
; Kernel info:
; codeLenInByte = 10644
; NumSgprs: 48
; NumVgprs: 120
; ScratchSize: 0
; MemoryBound: 0
; FloatMode: 240
; IeeeMode: 1
; LDSByteSize: 65536 bytes/workgroup (compile time only)
; SGPRBlocks: 5
; VGPRBlocks: 14
; NumSGPRsForWavesPerEU: 48
; NumVGPRsForWavesPerEU: 120
; Occupancy: 8
; WaveLimiterHint : 0
; COMPUTE_PGM_RSRC2:SCRATCH_EN: 0
; COMPUTE_PGM_RSRC2:USER_SGPR: 15
; COMPUTE_PGM_RSRC2:TRAP_HANDLER: 0
; COMPUTE_PGM_RSRC2:TGID_X_EN: 1
; COMPUTE_PGM_RSRC2:TGID_Y_EN: 0
; COMPUTE_PGM_RSRC2:TGID_Z_EN: 0
; COMPUTE_PGM_RSRC2:TIDIG_COMP_CNT: 1
	.section	.text._Z16wvSplitK_hf_sml_I6__halfLi64ELi1ELi16ELi8ELi4ELi5EEviiiiiiPKT_S3_S3_PS1_ii,"axG",@progbits,_Z16wvSplitK_hf_sml_I6__halfLi64ELi1ELi16ELi8ELi4ELi5EEviiiiiiPKT_S3_S3_PS1_ii,comdat
	.protected	_Z16wvSplitK_hf_sml_I6__halfLi64ELi1ELi16ELi8ELi4ELi5EEviiiiiiPKT_S3_S3_PS1_ii ; -- Begin function _Z16wvSplitK_hf_sml_I6__halfLi64ELi1ELi16ELi8ELi4ELi5EEviiiiiiPKT_S3_S3_PS1_ii
	.globl	_Z16wvSplitK_hf_sml_I6__halfLi64ELi1ELi16ELi8ELi4ELi5EEviiiiiiPKT_S3_S3_PS1_ii
	.p2align	8
	.type	_Z16wvSplitK_hf_sml_I6__halfLi64ELi1ELi16ELi8ELi4ELi5EEviiiiiiPKT_S3_S3_PS1_ii,@function
_Z16wvSplitK_hf_sml_I6__halfLi64ELi1ELi16ELi8ELi4ELi5EEviiiiiiPKT_S3_S3_PS1_ii: ; @_Z16wvSplitK_hf_sml_I6__halfLi64ELi1ELi16ELi8ELi4ELi5EEviiiiiiPKT_S3_S3_PS1_ii
; %bb.0:
	s_clause 0x2
	s_load_b128 s[4:7], s[0:1], 0x0
	s_load_b64 s[8:9], s[0:1], 0x10
	s_load_b64 s[10:11], s[0:1], 0x28
	v_and_b32_e32 v3, 0x3ff, v0
	v_bfe_u32 v0, v0, 10, 10
	s_mov_b32 s12, exec_lo
	s_delay_alu instid0(VALU_DEP_2) | instskip(NEXT) | instid1(VALU_DEP_1)
	v_lshlrev_b32_e32 v98, 3, v3
	v_lshl_add_u32 v4, v0, 9, v98
	s_waitcnt lgkmcnt(0)
	s_mul_i32 s2, s6, 5
	s_delay_alu instid0(SALU_CYCLE_1)
	s_min_u32 s3, s2, 0x8000
	s_delay_alu instid0(VALU_DEP_1) | instid1(SALU_CYCLE_1)
	v_cmpx_gt_u32_e64 s3, v4
	s_cbranch_execz .LBB143_3
; %bb.1:
	s_load_b64 s[16:17], s[0:1], 0x20
	v_lshlrev_b32_e32 v5, 10, v0
	v_lshlrev_b32_e32 v6, 4, v3
	s_mov_b32 s13, 0
	s_delay_alu instid0(VALU_DEP_1) | instskip(NEXT) | instid1(VALU_DEP_1)
	v_add_co_u32 v1, s2, v5, v6
	v_add_co_ci_u32_e64 v2, null, 0, 0, s2
	v_add_nc_u32_e32 v5, v5, v6
	s_waitcnt lgkmcnt(0)
	s_delay_alu instid0(VALU_DEP_3) | instskip(NEXT) | instid1(VALU_DEP_3)
	v_add_co_u32 v1, vcc_lo, s16, v1
	v_add_co_ci_u32_e32 v2, vcc_lo, s17, v2, vcc_lo
	.p2align	6
.LBB143_2:                              ; =>This Inner Loop Header: Depth=1
	global_load_b128 v[6:9], v[1:2], off
	v_add_nc_u32_e32 v4, 0x2000, v4
	v_add_co_u32 v1, vcc_lo, 0x4000, v1
	v_add_co_ci_u32_e32 v2, vcc_lo, 0, v2, vcc_lo
	s_delay_alu instid0(VALU_DEP_3) | instskip(NEXT) | instid1(VALU_DEP_1)
	v_cmp_le_u32_e64 s2, s3, v4
	s_or_b32 s13, s2, s13
	s_waitcnt vmcnt(0)
	ds_store_b128 v5, v[6:9]
	v_add_nc_u32_e32 v5, 0x4000, v5
	s_and_not1_b32 exec_lo, exec_lo, s13
	s_cbranch_execnz .LBB143_2
.LBB143_3:
	s_or_b32 exec_lo, exec_lo, s12
	s_load_b64 s[16:17], s[0:1], 0x38
	s_waitcnt lgkmcnt(0)
	s_barrier
	buffer_gl0_inv
	s_mov_b32 s2, exec_lo
	v_cmpx_gt_u32_e64 s16, v0
	s_cbranch_execz .LBB143_24
; %bb.4:
	v_mad_u64_u32 v[80:81], null, s15, s16, v[0:1]
	s_delay_alu instid0(VALU_DEP_1)
	v_cmp_gt_u32_e32 vcc_lo, s7, v80
	s_and_b32 exec_lo, exec_lo, vcc_lo
	s_cbranch_execz .LBB143_24
; %bb.5:
	s_cmp_lg_u32 s4, 0
	v_cvt_f32_u32_e32 v1, s8
	s_cselect_b32 s14, -1, 0
	s_add_i32 s15, s4, -8
	s_add_i32 s18, s7, -1
	s_cmp_lg_u64 s[10:11], 0
	v_mbcnt_lo_u32_b32 v100, -1, 0
	s_cselect_b32 s19, -1, 0
	s_abs_i32 s21, s9
	s_sub_i32 s20, 0, s8
	v_cvt_f32_u32_e32 v0, s21
	s_sub_i32 s3, 0, s21
	s_sub_i32 s9, 1, s21
	v_mov_b32_e32 v83, 0
	v_lshlrev_b32_e32 v99, 4, v3
	v_rcp_iflag_f32_e32 v0, v0
	s_waitcnt_depctr 0xfff
	v_mul_f32_e32 v0, 0x4f7ffffe, v0
	s_delay_alu instid0(VALU_DEP_1) | instskip(NEXT) | instid1(VALU_DEP_1)
	v_cvt_u32_f32_e32 v0, v0
	v_readfirstlane_b32 s2, v0
	v_rcp_iflag_f32_e32 v0, v1
	s_delay_alu instid0(VALU_DEP_1) | instskip(NEXT) | instid1(SALU_CYCLE_1)
	s_mul_i32 s3, s3, s2
	s_mul_hi_u32 s3, s2, s3
	s_delay_alu instid0(SALU_CYCLE_1)
	s_add_i32 s22, s2, s3
	s_cmp_lt_u32 s21, 2
	s_clause 0x1
	s_load_b64 s[2:3], s[0:1], 0x18
	s_load_b64 s[12:13], s[0:1], 0x30
	s_cselect_b32 s0, s9, 1
	s_waitcnt_depctr 0xfff
	v_mul_f32_e32 v0, 0x4f7ffffe, v0
	s_sub_i32 s9, s0, s21
	s_cmp_ge_u32 s0, s21
	s_mov_b32 s1, 0
	s_cselect_b32 s23, s9, s0
	s_lshr_b32 s9, s22, 31
	v_cvt_u32_f32_e32 v0, v0
	s_mul_i32 s9, s9, s21
	v_cmp_eq_u32_e64 s0, 63, v3
	s_sub_i32 s24, 2, s9
	s_mul_i32 s9, s17, s16
	s_sub_i32 s16, s24, s21
	s_cmp_ge_u32 s24, s21
	s_mul_hi_u32 s17, s22, 3
	s_cselect_b32 s16, s16, s24
	v_mul_lo_u32 v1, s20, v0
	s_sub_i32 s20, s16, s21
	s_cmp_ge_u32 s16, s21
	s_mul_i32 s17, s17, s21
	s_cselect_b32 s20, s20, s16
	s_sub_i32 s16, 3, s17
	s_mul_i32 s20, s20, s8
	s_sub_i32 s17, s16, s21
	s_cmp_ge_u32 s16, s21
	v_mul_hi_u32 v1, v0, v1
	s_cselect_b32 s17, s17, s16
	s_mul_i32 s16, s6, 6
	s_sub_i32 s24, s17, s21
	s_cmp_ge_u32 s17, s21
	s_cselect_b32 s24, s24, s17
	s_lshr_b32 s17, s22, 30
	s_delay_alu instid0(VALU_DEP_1) | instskip(SKIP_1) | instid1(SALU_CYCLE_1)
	v_add_nc_u32_e32 v101, v0, v1
	s_mul_i32 s17, s17, s21
	s_sub_i32 s22, 4, s17
	s_mul_i32 s17, s23, s8
	s_sub_i32 s25, s22, s21
	s_cmp_ge_u32 s22, s21
	s_cselect_b32 s22, s25, s22
	s_delay_alu instid0(SALU_CYCLE_1)
	s_sub_i32 s23, s22, s21
	s_cmp_ge_u32 s22, s21
	s_mul_i32 s21, s24, s8
	s_cselect_b32 s24, s23, s22
	s_lshl_b32 s22, s6, 3
	s_lshl_b32 s23, s6, 2
	s_mul_i32 s24, s24, s8
	s_lshl_b32 s6, s6, 1
	s_branch .LBB143_8
.LBB143_6:                              ;   in Loop: Header=BB143_8 Depth=1
	s_waitcnt lgkmcnt(0)
	v_add_f32_e32 v8, v8, v9
	s_waitcnt vmcnt(4)
	v_cvt_f32_f16_e32 v9, v14
	v_dual_add_f32 v2, v2, v5 :: v_dual_add_f32 v5, v3, v6
	v_add_f32_e32 v6, v4, v7
	s_waitcnt vmcnt(3)
	v_cvt_f32_f16_e32 v4, v13
	v_dual_add_f32 v3, v8, v9 :: v_dual_add_nc_u32 v82, s7, v80
	s_waitcnt vmcnt(2)
	v_cvt_f32_f16_e32 v7, v12
	s_waitcnt vmcnt(1)
	v_cvt_f32_f16_e32 v9, v11
	v_add_f32_e32 v8, v0, v1
	v_cvt_f16_f32_e32 v13, v3
	v_lshlrev_b64 v[0:1], 1, v[80:81]
	v_dual_add_f32 v7, v5, v7 :: v_dual_add_f32 v4, v2, v4
	v_lshlrev_b64 v[2:3], 1, v[82:83]
	v_dual_add_f32 v9, v6, v9 :: v_dual_add_nc_u32 v82, s7, v82
	s_delay_alu instid0(VALU_DEP_4) | instskip(NEXT) | instid1(VALU_DEP_4)
	v_add_co_u32 v0, vcc_lo, s12, v0
	v_cvt_f16_f32_e32 v12, v4
	s_delay_alu instid0(VALU_DEP_3)
	v_lshlrev_b64 v[4:5], 1, v[82:83]
	v_add_nc_u32_e32 v82, s7, v82
	v_cvt_f16_f32_e32 v11, v7
	s_waitcnt vmcnt(0)
	v_cvt_f32_f16_e32 v10, v10
	v_add_co_ci_u32_e32 v1, vcc_lo, s13, v1, vcc_lo
	v_lshlrev_b64 v[6:7], 1, v[82:83]
	v_add_nc_u32_e32 v82, s7, v82
	v_add_co_u32 v2, vcc_lo, s12, v2
	v_add_co_ci_u32_e32 v3, vcc_lo, s13, v3, vcc_lo
	v_add_co_u32 v4, vcc_lo, s12, v4
	v_cvt_f16_f32_e32 v14, v9
	v_add_f32_e32 v10, v8, v10
	v_lshlrev_b64 v[8:9], 1, v[82:83]
	v_add_co_ci_u32_e32 v5, vcc_lo, s13, v5, vcc_lo
	v_add_co_u32 v6, vcc_lo, s12, v6
	v_add_co_ci_u32_e32 v7, vcc_lo, s13, v7, vcc_lo
	s_delay_alu instid0(VALU_DEP_4)
	v_add_co_u32 v8, vcc_lo, s12, v8
	v_cvt_f16_f32_e32 v10, v10
	v_add_co_ci_u32_e32 v9, vcc_lo, s13, v9, vcc_lo
	s_clause 0x4
	global_store_b16 v[0:1], v13, off
	global_store_b16 v[2:3], v12, off
	global_store_b16 v[4:5], v11, off
	global_store_b16 v[6:7], v14, off
	global_store_b16 v[8:9], v10, off
.LBB143_7:                              ;   in Loop: Header=BB143_8 Depth=1
	s_or_b32 exec_lo, exec_lo, s25
	v_add_nc_u32_e32 v80, s9, v80
	s_delay_alu instid0(VALU_DEP_1) | instskip(SKIP_1) | instid1(SALU_CYCLE_1)
	v_cmp_le_u32_e32 vcc_lo, s7, v80
	s_or_b32 s1, vcc_lo, s1
	s_and_not1_b32 exec_lo, exec_lo, s1
	s_cbranch_execz .LBB143_24
.LBB143_8:                              ; =>This Loop Header: Depth=1
                                        ;     Child Loop BB143_14 Depth 2
	v_mov_b32_e32 v106, v83
	v_mov_b32_e32 v105, v83
	;; [unrolled: 1-line block ×5, first 2 shown]
	s_and_not1_b32 vcc_lo, exec_lo, s14
	s_cbranch_vccnz .LBB143_19
; %bb.9:                                ;   in Loop: Header=BB143_8 Depth=1
	v_min_u32_e32 v0, s18, v80
	v_dual_mov_b32 v102, 0 :: v_dual_mov_b32 v107, v99
	v_dual_mov_b32 v103, 0 :: v_dual_mov_b32 v104, 0
	s_delay_alu instid0(VALU_DEP_3) | instskip(SKIP_3) | instid1(VALU_DEP_2)
	v_mul_lo_u32 v82, v0, s5
	v_dual_mov_b32 v105, 0 :: v_dual_mov_b32 v106, 0
	s_mov_b32 s25, 0
	s_waitcnt lgkmcnt(0)
	v_lshlrev_b64 v[0:1], 1, v[82:83]
	s_waitcnt lgkmcnt(0)
	s_delay_alu instid0(VALU_DEP_1) | instskip(NEXT) | instid1(VALU_DEP_2)
	v_add_co_u32 v108, vcc_lo, s2, v0
	v_add_co_ci_u32_e32 v109, vcc_lo, s3, v1, vcc_lo
	s_branch .LBB143_14
.LBB143_10:                             ;   in Loop: Header=BB143_14 Depth=2
	s_or_b32 exec_lo, exec_lo, s29
.LBB143_11:                             ;   in Loop: Header=BB143_14 Depth=2
	s_delay_alu instid0(SALU_CYCLE_1)
	s_or_b32 exec_lo, exec_lo, s28
.LBB143_12:                             ;   in Loop: Header=BB143_14 Depth=2
	s_delay_alu instid0(SALU_CYCLE_1)
	s_or_b32 exec_lo, exec_lo, s27
.LBB143_13:                             ;   in Loop: Header=BB143_14 Depth=2
	s_delay_alu instid0(SALU_CYCLE_1)
	s_or_b32 exec_lo, exec_lo, s26
	s_waitcnt vmcnt(3) lgkmcnt(1)
	;;#ASMSTART
	v_dot2_f32_f16 v106, v32, v12, v106
	;;#ASMEND
	;;#ASMSTART
	v_dot2_f32_f16 v105, v36, v12, v105
	;;#ASMEND
	;; [unrolled: 3-line block ×4, first 2 shown]
	s_waitcnt lgkmcnt(0)
	;;#ASMSTART
	v_dot2_f32_f16 v102, v68, v12, v102
	;;#ASMEND
	;;#ASMSTART
	v_dot2_f32_f16 v106, v33, v13, v106
	;;#ASMEND
	;; [unrolled: 3-line block ×16, first 2 shown]
	s_waitcnt vmcnt(2)
	;;#ASMSTART
	v_dot2_f32_f16 v106, v64, v8, v106
	;;#ASMEND
	;;#ASMSTART
	v_dot2_f32_f16 v105, v52, v8, v105
	;;#ASMEND
	;; [unrolled: 3-line block ×20, first 2 shown]
	s_waitcnt vmcnt(1)
	;;#ASMSTART
	v_dot2_f32_f16 v106, v76, v4, v106
	;;#ASMEND
	;;#ASMSTART
	v_dot2_f32_f16 v105, v56, v4, v105
	;;#ASMEND
	;; [unrolled: 3-line block ×15, first 2 shown]
	v_add_nc_u32_e32 v107, 0x1000, v107
	;;#ASMSTART
	v_dot2_f32_f16 v106, v79, v7, v106
	;;#ASMEND
	;;#ASMSTART
	v_dot2_f32_f16 v105, v59, v7, v105
	;;#ASMEND
	;; [unrolled: 3-line block ×5, first 2 shown]
	s_addk_i32 s25, 0x800
	s_waitcnt vmcnt(0)
	;;#ASMSTART
	v_dot2_f32_f16 v106, v72, v0, v106
	;;#ASMEND
	;;#ASMSTART
	v_dot2_f32_f16 v105, v40, v0, v105
	;;#ASMEND
	;; [unrolled: 3-line block ×10, first 2 shown]
	s_cmp_ge_u32 s25, s4
	;;#ASMSTART
	v_dot2_f32_f16 v106, v74, v2, v106
	;;#ASMEND
	;;#ASMSTART
	v_dot2_f32_f16 v105, v42, v2, v105
	;;#ASMEND
	;; [unrolled: 3-line block ×10, first 2 shown]
	s_cbranch_scc1 .LBB143_19
.LBB143_14:                             ;   Parent Loop BB143_8 Depth=1
                                        ; =>  This Inner Loop Header: Depth=2
	v_dual_mov_b32 v33, 0 :: v_dual_add_nc_u32 v18, s25, v98
	v_dual_mov_b32 v34, 0 :: v_dual_mov_b32 v67, 0
	v_dual_mov_b32 v64, 0 :: v_dual_mov_b32 v77, 0
	s_delay_alu instid0(VALU_DEP_3) | instskip(SKIP_2) | instid1(VALU_DEP_3)
	v_min_u32_e32 v82, s15, v18
	v_dual_mov_b32 v35, 0 :: v_dual_add_nc_u32 v112, 0x200, v18
	v_dual_mov_b32 v32, 0 :: v_dual_add_nc_u32 v111, 0x400, v18
	v_lshlrev_b64 v[0:1], 1, v[82:83]
	s_delay_alu instid0(VALU_DEP_3) | instskip(SKIP_2) | instid1(VALU_DEP_3)
	v_min_u32_e32 v82, s15, v112
	v_dual_mov_b32 v65, 0 :: v_dual_add_nc_u32 v110, 0x600, v18
	v_dual_mov_b32 v66, 0 :: v_dual_mov_b32 v79, 0
	v_lshlrev_b64 v[2:3], 1, v[82:83]
	v_min_u32_e32 v82, s15, v111
	v_add_co_u32 v0, vcc_lo, v108, v0
	v_add_co_ci_u32_e32 v1, vcc_lo, v109, v1, vcc_lo
	s_delay_alu instid0(VALU_DEP_3) | instskip(SKIP_3) | instid1(VALU_DEP_3)
	v_lshlrev_b64 v[4:5], 1, v[82:83]
	v_min_u32_e32 v82, s15, v110
	v_add_co_u32 v2, vcc_lo, v108, v2
	v_add_co_ci_u32_e32 v3, vcc_lo, v109, v3, vcc_lo
	v_lshlrev_b64 v[6:7], 1, v[82:83]
	v_add_co_u32 v4, vcc_lo, v108, v4
	v_add_co_ci_u32_e32 v5, vcc_lo, v109, v5, vcc_lo
	v_dual_mov_b32 v76, 0 :: v_dual_mov_b32 v73, 0
	s_delay_alu instid0(VALU_DEP_4)
	v_add_co_u32 v16, vcc_lo, v108, v6
	v_add_co_ci_u32_e32 v17, vcc_lo, v109, v7, vcc_lo
	s_clause 0x3
	global_load_b128 v[12:15], v[0:1], off slc dlc
	global_load_b128 v[8:11], v[2:3], off slc dlc
	;; [unrolled: 1-line block ×4, first 2 shown]
	v_cmp_gt_u32_e32 vcc_lo, s4, v18
	v_dual_mov_b32 v78, 0 :: v_dual_mov_b32 v75, 0
	v_dual_mov_b32 v72, 0 :: v_dual_mov_b32 v37, 0
	;; [unrolled: 1-line block ×33, first 2 shown]
	v_mov_b32_e32 v16, 0
	v_mov_b32_e32 v18, 0
	s_and_saveexec_b32 s26, vcc_lo
	s_cbranch_execz .LBB143_13
; %bb.15:                               ;   in Loop: Header=BB143_14 Depth=2
	v_dual_mov_b32 v18, 0 :: v_dual_add_nc_u32 v113, s6, v107
	v_dual_mov_b32 v16, 0 :: v_dual_add_nc_u32 v115, s23, v107
	;; [unrolled: 1-line block ×4, first 2 shown]
	ds_load_b128 v[36:39], v113
	ds_load_2addr_b32 v[92:93], v115 offset1:1
	ds_load_2addr_b32 v[90:91], v115 offset0:2 offset1:3
	ds_load_b128 v[60:63], v114
	ds_load_b128 v[32:35], v107
	ds_load_2addr_b64 v[68:71], v116 offset1:1
	v_cmp_gt_u32_e32 vcc_lo, s4, v112
	v_dual_mov_b32 v27, 0 :: v_dual_mov_b32 v26, 0
	v_dual_mov_b32 v25, 0 :: v_dual_mov_b32 v24, 0
	;; [unrolled: 1-line block ×28, first 2 shown]
	s_and_saveexec_b32 s27, vcc_lo
	s_cbranch_execz .LBB143_12
; %bb.16:                               ;   in Loop: Header=BB143_14 Depth=2
	v_dual_mov_b32 v19, 0 :: v_dual_add_nc_u32 v16, 0x408, v115
	v_dual_mov_b32 v18, 0 :: v_dual_add_nc_u32 v17, 0x400, v115
	ds_load_b128 v[52:55], v113 offset:1024
	ds_load_b128 v[44:47], v114 offset:1024
	;; [unrolled: 1-line block ×3, first 2 shown]
	ds_load_2addr_b32 v[94:95], v16 offset1:1
	ds_load_2addr_b32 v[96:97], v17 offset1:1
	ds_load_2addr_b64 v[48:51], v116 offset0:128 offset1:129
	v_cmp_gt_u32_e32 vcc_lo, s4, v111
	v_dual_mov_b32 v17, 0 :: v_dual_mov_b32 v16, 0
	v_dual_mov_b32 v27, 0 :: v_dual_mov_b32 v26, 0
	;; [unrolled: 1-line block ×19, first 2 shown]
	s_and_saveexec_b32 s28, vcc_lo
	s_cbranch_execz .LBB143_11
; %bb.17:                               ;   in Loop: Header=BB143_14 Depth=2
	v_dual_mov_b32 v19, 0 :: v_dual_add_nc_u32 v16, 0x800, v115
	v_add_nc_u32_e32 v17, 0x808, v115
	v_add3_u32 v18, v107, s22, 0x800
	v_cmp_gt_u32_e32 vcc_lo, s4, v110
	ds_load_2addr_b32 v[88:89], v16 offset1:1
	ds_load_2addr_b32 v[86:87], v17 offset1:1
	ds_load_b128 v[56:59], v113 offset:2048
	ds_load_b128 v[28:31], v114 offset:2048
	;; [unrolled: 1-line block ×3, first 2 shown]
	ds_load_2addr_b64 v[24:27], v18 offset1:1
	v_dual_mov_b32 v18, 0 :: v_dual_mov_b32 v17, 0
	v_dual_mov_b32 v16, 0 :: v_dual_mov_b32 v23, 0
	;; [unrolled: 1-line block ×3, first 2 shown]
	v_mov_b32_e32 v20, 0
	v_dual_mov_b32 v82, 0 :: v_dual_mov_b32 v81, 0
	v_dual_mov_b32 v85, 0 :: v_dual_mov_b32 v84, 0
	;; [unrolled: 1-line block ×6, first 2 shown]
	s_and_saveexec_b32 s29, vcc_lo
	s_cbranch_execz .LBB143_10
; %bb.18:                               ;   in Loop: Header=BB143_14 Depth=2
	v_add_nc_u32_e32 v16, 0xc00, v115
	v_add_nc_u32_e32 v17, 0xc08, v115
	v_add3_u32 v18, v107, s22, 0xc00
	ds_load_2addr_b32 v[84:85], v16 offset1:1
	ds_load_2addr_b32 v[81:82], v17 offset1:1
	ds_load_b128 v[40:43], v113 offset:3072
	ds_load_b128 v[20:23], v114 offset:3072
	;; [unrolled: 1-line block ×3, first 2 shown]
	ds_load_2addr_b64 v[16:19], v18 offset1:1
	s_branch .LBB143_10
.LBB143_19:                             ;   in Loop: Header=BB143_8 Depth=1
	; sched_barrier mask(0x00000000)
	v_xor_b32_e32 v0, 16, v100
	s_waitcnt lgkmcnt(0)
	v_cvt_i32_f32_e32 v1, v106
	v_cvt_i32_f32_e32 v3, v104
	;; [unrolled: 1-line block ×4, first 2 shown]
	v_cmp_gt_i32_e32 vcc_lo, 32, v0
	v_cvt_f32_i32_dpp v1, v1 row_shr:8 row_mask:0xf bank_mask:0xf bound_ctrl:1
	v_cvt_i32_f32_e32 v2, v105
	s_delay_alu instid0(VALU_DEP_2) | instskip(NEXT) | instid1(VALU_DEP_2)
	v_dual_cndmask_b32 v0, v100, v0 :: v_dual_add_f32 v1, v106, v1
	v_cvt_f32_i32_dpp v2, v2 row_shr:8 row_mask:0xf bank_mask:0xf bound_ctrl:1
	s_delay_alu instid0(VALU_DEP_2) | instskip(SKIP_4) | instid1(VALU_DEP_3)
	v_lshlrev_b32_e32 v10, 2, v0
	v_cvt_f32_i32_dpp v0, v3 row_shr:8 row_mask:0xf bank_mask:0xf bound_ctrl:1
	v_cvt_f32_i32_dpp v3, v4 row_shr:8 row_mask:0xf bank_mask:0xf bound_ctrl:1
	;; [unrolled: 1-line block ×3, first 2 shown]
	v_cvt_i32_f32_e32 v5, v1
	v_add_f32_e32 v3, v103, v3
	s_delay_alu instid0(VALU_DEP_2) | instskip(SKIP_1) | instid1(VALU_DEP_3)
	v_cvt_f32_i32_dpp v5, v5 row_shr:4 row_mask:0xf bank_mask:0xf bound_ctrl:1
	v_add_f32_e32 v0, v104, v0
	v_cvt_i32_f32_e32 v8, v3
	s_delay_alu instid0(VALU_DEP_3) | instskip(NEXT) | instid1(VALU_DEP_3)
	v_add_f32_e32 v1, v1, v5
	v_cvt_i32_f32_e32 v7, v0
	s_delay_alu instid0(VALU_DEP_3) | instskip(SKIP_1) | instid1(VALU_DEP_4)
	v_cvt_f32_i32_dpp v8, v8 row_shr:4 row_mask:0xf bank_mask:0xf bound_ctrl:1
	v_add_f32_e32 v2, v105, v2
	v_cvt_i32_f32_e32 v5, v1
	s_delay_alu instid0(VALU_DEP_4) | instskip(NEXT) | instid1(VALU_DEP_4)
	v_cvt_f32_i32_dpp v7, v7 row_shr:4 row_mask:0xf bank_mask:0xf bound_ctrl:1
	v_add_f32_e32 v3, v3, v8
	s_delay_alu instid0(VALU_DEP_4) | instskip(NEXT) | instid1(VALU_DEP_4)
	v_cvt_i32_f32_e32 v6, v2
	v_cvt_f32_i32_dpp v5, v5 row_shr:2 row_mask:0xf bank_mask:0xf bound_ctrl:1
	v_add_f32_e32 v4, v102, v4
	v_add_f32_e32 v0, v0, v7
	v_cvt_i32_f32_e32 v8, v3
	v_cvt_f32_i32_dpp v6, v6 row_shr:4 row_mask:0xf bank_mask:0xf bound_ctrl:1
	v_add_f32_e32 v1, v1, v5
	v_cvt_i32_f32_e32 v9, v4
	v_cvt_i32_f32_e32 v7, v0
	v_cvt_f32_i32_dpp v8, v8 row_shr:2 row_mask:0xf bank_mask:0xf bound_ctrl:1
	v_add_f32_e32 v2, v2, v6
	s_delay_alu instid0(VALU_DEP_4) | instskip(NEXT) | instid1(VALU_DEP_4)
	v_cvt_f32_i32_dpp v9, v9 row_shr:4 row_mask:0xf bank_mask:0xf bound_ctrl:1
	v_cvt_f32_i32_dpp v7, v7 row_shr:2 row_mask:0xf bank_mask:0xf bound_ctrl:1
	s_delay_alu instid0(VALU_DEP_4) | instskip(NEXT) | instid1(VALU_DEP_4)
	v_add_f32_e32 v5, v3, v8
	v_cvt_i32_f32_e32 v6, v2
	v_cvt_i32_f32_e32 v3, v1
	v_add_f32_e32 v4, v4, v9
	v_add_f32_e32 v0, v0, v7
	v_cvt_i32_f32_e32 v8, v5
	v_cvt_f32_i32_dpp v6, v6 row_shr:2 row_mask:0xf bank_mask:0xf bound_ctrl:1
	v_cvt_f32_i32_dpp v3, v3 row_shr:1 row_mask:0xf bank_mask:0xf bound_ctrl:1
	v_cvt_i32_f32_e32 v9, v4
	v_cvt_i32_f32_e32 v7, v0
	v_cvt_f32_i32_dpp v11, v8 row_shr:1 row_mask:0xf bank_mask:0xf bound_ctrl:1
	s_delay_alu instid0(VALU_DEP_4) | instskip(NEXT) | instid1(VALU_DEP_4)
	v_add_f32_e32 v8, v1, v3
	v_cvt_f32_i32_dpp v9, v9 row_shr:2 row_mask:0xf bank_mask:0xf bound_ctrl:1
	s_delay_alu instid0(VALU_DEP_4) | instskip(SKIP_1) | instid1(VALU_DEP_3)
	v_cvt_f32_i32_dpp v7, v7 row_shr:1 row_mask:0xf bank_mask:0xf bound_ctrl:1
	v_add_f32_e32 v2, v2, v6
	v_add_f32_e32 v6, v4, v9
	s_delay_alu instid0(VALU_DEP_3) | instskip(NEXT) | instid1(VALU_DEP_3)
	v_add_f32_e32 v3, v0, v7
	v_cvt_i32_f32_e32 v4, v2
	s_delay_alu instid0(VALU_DEP_3) | instskip(NEXT) | instid1(VALU_DEP_2)
	v_cvt_i32_f32_e32 v9, v6
	v_cvt_f32_i32_dpp v4, v4 row_shr:1 row_mask:0xf bank_mask:0xf bound_ctrl:1
	s_delay_alu instid0(VALU_DEP_2) | instskip(NEXT) | instid1(VALU_DEP_2)
	v_cvt_f32_i32_dpp v9, v9 row_shr:1 row_mask:0xf bank_mask:0xf bound_ctrl:1
	v_add_f32_e32 v2, v2, v4
	v_add_f32_e32 v4, v5, v11
	s_delay_alu instid0(VALU_DEP_3)
	v_add_f32_e32 v0, v6, v9
	ds_bpermute_b32 v9, v10, v8
	ds_bpermute_b32 v5, v10, v2
	;; [unrolled: 1-line block ×5, first 2 shown]
	s_and_saveexec_b32 s25, s0
	s_cbranch_execz .LBB143_7
; %bb.20:                               ;   in Loop: Header=BB143_8 Depth=1
	s_and_b32 vcc_lo, exec_lo, s19
	s_cbranch_vccz .LBB143_22
; %bb.21:                               ;   in Loop: Header=BB143_8 Depth=1
	v_mul_hi_u32 v10, v80, v101
	v_mov_b32_e32 v13, v83
	v_mov_b32_e32 v81, v83
	s_delay_alu instid0(VALU_DEP_3) | instskip(NEXT) | instid1(VALU_DEP_1)
	v_mul_lo_u32 v10, v10, s8
	v_sub_nc_u32_e32 v10, v80, v10
	s_delay_alu instid0(VALU_DEP_1) | instskip(SKIP_1) | instid1(VALU_DEP_2)
	v_subrev_nc_u32_e32 v11, s8, v10
	v_cmp_le_u32_e32 vcc_lo, s8, v10
	v_cndmask_b32_e32 v10, v10, v11, vcc_lo
	s_delay_alu instid0(VALU_DEP_1) | instskip(SKIP_1) | instid1(VALU_DEP_2)
	v_subrev_nc_u32_e32 v11, s8, v10
	v_cmp_le_u32_e32 vcc_lo, s8, v10
	v_dual_cndmask_b32 v82, v10, v11 :: v_dual_mov_b32 v11, v83
	s_delay_alu instid0(VALU_DEP_1)
	v_dual_mov_b32 v15, v83 :: v_dual_add_nc_u32 v10, s17, v82
	v_lshlrev_b64 v[16:17], 1, v[82:83]
	v_add_nc_u32_e32 v12, s20, v82
	v_add_nc_u32_e32 v14, s21, v82
	;; [unrolled: 1-line block ×3, first 2 shown]
	v_lshlrev_b64 v[10:11], 1, v[10:11]
	s_delay_alu instid0(VALU_DEP_4)
	v_lshlrev_b64 v[12:13], 1, v[12:13]
	v_add_co_u32 v16, vcc_lo, s10, v16
	v_add_co_ci_u32_e32 v17, vcc_lo, s11, v17, vcc_lo
	v_lshlrev_b64 v[14:15], 1, v[14:15]
	v_add_co_u32 v10, vcc_lo, s10, v10
	v_add_co_ci_u32_e32 v11, vcc_lo, s11, v11, vcc_lo
	;; [unrolled: 3-line block ×3, first 2 shown]
	v_add_co_u32 v22, vcc_lo, s10, v14
	v_add_co_ci_u32_e32 v23, vcc_lo, s11, v15, vcc_lo
	v_add_co_u32 v18, vcc_lo, s10, v18
	v_add_co_ci_u32_e32 v19, vcc_lo, s11, v19, vcc_lo
	s_clause 0x4
	global_load_u16 v14, v[16:17], off
	global_load_u16 v13, v[10:11], off
	;; [unrolled: 1-line block ×5, first 2 shown]
	s_cbranch_execnz .LBB143_6
	s_branch .LBB143_23
.LBB143_22:                             ;   in Loop: Header=BB143_8 Depth=1
                                        ; implicit-def: $vgpr10
                                        ; implicit-def: $vgpr11
                                        ; implicit-def: $vgpr12
                                        ; implicit-def: $vgpr13
                                        ; implicit-def: $vgpr14
.LBB143_23:                             ;   in Loop: Header=BB143_8 Depth=1
	s_waitcnt vmcnt(4)
	v_dual_mov_b32 v81, v83 :: v_dual_mov_b32 v14, 0
	s_waitcnt vmcnt(2)
	v_dual_mov_b32 v13, 0 :: v_dual_mov_b32 v12, 0
	;; [unrolled: 2-line block ×3, first 2 shown]
	s_branch .LBB143_6
.LBB143_24:
	s_nop 0
	s_sendmsg sendmsg(MSG_DEALLOC_VGPRS)
	s_endpgm
	.section	.rodata,"a",@progbits
	.p2align	6, 0x0
	.amdhsa_kernel _Z16wvSplitK_hf_sml_I6__halfLi64ELi1ELi16ELi8ELi4ELi5EEviiiiiiPKT_S3_S3_PS1_ii
		.amdhsa_group_segment_fixed_size 65536
		.amdhsa_private_segment_fixed_size 0
		.amdhsa_kernarg_size 64
		.amdhsa_user_sgpr_count 15
		.amdhsa_user_sgpr_dispatch_ptr 0
		.amdhsa_user_sgpr_queue_ptr 0
		.amdhsa_user_sgpr_kernarg_segment_ptr 1
		.amdhsa_user_sgpr_dispatch_id 0
		.amdhsa_user_sgpr_private_segment_size 0
		.amdhsa_wavefront_size32 1
		.amdhsa_uses_dynamic_stack 0
		.amdhsa_enable_private_segment 0
		.amdhsa_system_sgpr_workgroup_id_x 1
		.amdhsa_system_sgpr_workgroup_id_y 0
		.amdhsa_system_sgpr_workgroup_id_z 0
		.amdhsa_system_sgpr_workgroup_info 0
		.amdhsa_system_vgpr_workitem_id 1
		.amdhsa_next_free_vgpr 117
		.amdhsa_next_free_sgpr 30
		.amdhsa_reserve_vcc 1
		.amdhsa_float_round_mode_32 0
		.amdhsa_float_round_mode_16_64 0
		.amdhsa_float_denorm_mode_32 3
		.amdhsa_float_denorm_mode_16_64 3
		.amdhsa_dx10_clamp 1
		.amdhsa_ieee_mode 1
		.amdhsa_fp16_overflow 0
		.amdhsa_workgroup_processor_mode 1
		.amdhsa_memory_ordered 1
		.amdhsa_forward_progress 0
		.amdhsa_shared_vgpr_count 0
		.amdhsa_exception_fp_ieee_invalid_op 0
		.amdhsa_exception_fp_denorm_src 0
		.amdhsa_exception_fp_ieee_div_zero 0
		.amdhsa_exception_fp_ieee_overflow 0
		.amdhsa_exception_fp_ieee_underflow 0
		.amdhsa_exception_fp_ieee_inexact 0
		.amdhsa_exception_int_div_zero 0
	.end_amdhsa_kernel
	.section	.text._Z16wvSplitK_hf_sml_I6__halfLi64ELi1ELi16ELi8ELi4ELi5EEviiiiiiPKT_S3_S3_PS1_ii,"axG",@progbits,_Z16wvSplitK_hf_sml_I6__halfLi64ELi1ELi16ELi8ELi4ELi5EEviiiiiiPKT_S3_S3_PS1_ii,comdat
.Lfunc_end143:
	.size	_Z16wvSplitK_hf_sml_I6__halfLi64ELi1ELi16ELi8ELi4ELi5EEviiiiiiPKT_S3_S3_PS1_ii, .Lfunc_end143-_Z16wvSplitK_hf_sml_I6__halfLi64ELi1ELi16ELi8ELi4ELi5EEviiiiiiPKT_S3_S3_PS1_ii
                                        ; -- End function
	.section	.AMDGPU.csdata,"",@progbits
; Kernel info:
; codeLenInByte = 4812
; NumSgprs: 32
; NumVgprs: 117
; ScratchSize: 0
; MemoryBound: 0
; FloatMode: 240
; IeeeMode: 1
; LDSByteSize: 65536 bytes/workgroup (compile time only)
; SGPRBlocks: 3
; VGPRBlocks: 14
; NumSGPRsForWavesPerEU: 32
; NumVGPRsForWavesPerEU: 117
; Occupancy: 12
; WaveLimiterHint : 0
; COMPUTE_PGM_RSRC2:SCRATCH_EN: 0
; COMPUTE_PGM_RSRC2:USER_SGPR: 15
; COMPUTE_PGM_RSRC2:TRAP_HANDLER: 0
; COMPUTE_PGM_RSRC2:TGID_X_EN: 1
; COMPUTE_PGM_RSRC2:TGID_Y_EN: 0
; COMPUTE_PGM_RSRC2:TGID_Z_EN: 0
; COMPUTE_PGM_RSRC2:TIDIG_COMP_CNT: 1
	.section	.text._Z12wvSplitK_hf_I6__halfLi64ELi1ELi16ELi8ELi4ELi5EEviiiiiiPKT_S3_S3_PS1_ii,"axG",@progbits,_Z12wvSplitK_hf_I6__halfLi64ELi1ELi16ELi8ELi4ELi5EEviiiiiiPKT_S3_S3_PS1_ii,comdat
	.protected	_Z12wvSplitK_hf_I6__halfLi64ELi1ELi16ELi8ELi4ELi5EEviiiiiiPKT_S3_S3_PS1_ii ; -- Begin function _Z12wvSplitK_hf_I6__halfLi64ELi1ELi16ELi8ELi4ELi5EEviiiiiiPKT_S3_S3_PS1_ii
	.globl	_Z12wvSplitK_hf_I6__halfLi64ELi1ELi16ELi8ELi4ELi5EEviiiiiiPKT_S3_S3_PS1_ii
	.p2align	8
	.type	_Z12wvSplitK_hf_I6__halfLi64ELi1ELi16ELi8ELi4ELi5EEviiiiiiPKT_S3_S3_PS1_ii,@function
_Z12wvSplitK_hf_I6__halfLi64ELi1ELi16ELi8ELi4ELi5EEviiiiiiPKT_S3_S3_PS1_ii: ; @_Z12wvSplitK_hf_I6__halfLi64ELi1ELi16ELi8ELi4ELi5EEviiiiiiPKT_S3_S3_PS1_ii
; %bb.0:
	s_clause 0x1
	s_load_b64 s[18:19], s[0:1], 0x38
	s_load_b128 s[4:7], s[0:1], 0x0
	v_bfe_u32 v1, v0, 10, 10
	s_clause 0x1
	s_load_b64 s[8:9], s[0:1], 0x20
	s_load_b64 s[10:11], s[0:1], 0x10
	v_mov_b32_e32 v113, 1
	s_waitcnt lgkmcnt(0)
	v_mad_u64_u32 v[96:97], null, s15, s18, v[1:2]
	s_delay_alu instid0(VALU_DEP_1) | instskip(SKIP_1) | instid1(VALU_DEP_2)
	v_add_nc_u32_e32 v2, 1, v96
	v_cmp_gt_u32_e32 vcc_lo, s7, v96
	v_cmp_le_u32_e64 s2, s7, v2
	s_delay_alu instid0(VALU_DEP_1) | instskip(NEXT) | instid1(SALU_CYCLE_1)
	s_and_b32 s3, vcc_lo, s2
	s_and_saveexec_b32 s2, s3
; %bb.1:
	v_subrev_nc_u32_e32 v2, s7, v96
	s_add_i32 s3, s7, -1
	s_delay_alu instid0(SALU_CYCLE_1) | instskip(NEXT) | instid1(VALU_DEP_2)
	v_mov_b32_e32 v96, s3
	v_cmp_eq_u32_e32 vcc_lo, -1, v2
	v_cndmask_b32_e64 v113, 0, 1, vcc_lo
; %bb.2:
	s_or_b32 exec_lo, exec_lo, s2
	s_load_b64 s[12:13], s[0:1], 0x28
	v_and_b32_e32 v0, 0x3ff, v0
	s_mul_i32 s2, s6, 5
	s_mov_b32 s14, exec_lo
	s_min_u32 s3, s2, 0x8000
	s_delay_alu instid0(VALU_DEP_1) | instskip(NEXT) | instid1(VALU_DEP_1)
	v_lshlrev_b32_e32 v98, 3, v0
	v_lshl_add_u32 v4, v1, 9, v98
	s_delay_alu instid0(VALU_DEP_1)
	v_cmpx_gt_u32_e64 s3, v4
	s_cbranch_execz .LBB144_5
; %bb.3:
	v_lshlrev_b32_e32 v5, 10, v1
	v_lshlrev_b32_e32 v6, 4, v0
	s_mov_b32 s15, 0
	s_delay_alu instid0(VALU_DEP_1) | instskip(NEXT) | instid1(VALU_DEP_1)
	v_add_co_u32 v2, s2, v5, v6
	v_add_co_ci_u32_e64 v3, null, 0, 0, s2
	v_add_nc_u32_e32 v5, v5, v6
	s_delay_alu instid0(VALU_DEP_3) | instskip(NEXT) | instid1(VALU_DEP_3)
	v_add_co_u32 v2, vcc_lo, s8, v2
	v_add_co_ci_u32_e32 v3, vcc_lo, s9, v3, vcc_lo
	.p2align	6
.LBB144_4:                              ; =>This Inner Loop Header: Depth=1
	global_load_b128 v[6:9], v[2:3], off
	v_add_nc_u32_e32 v4, 0x2000, v4
	v_add_co_u32 v2, vcc_lo, 0x4000, v2
	v_add_co_ci_u32_e32 v3, vcc_lo, 0, v3, vcc_lo
	s_delay_alu instid0(VALU_DEP_3) | instskip(NEXT) | instid1(VALU_DEP_1)
	v_cmp_le_u32_e64 s2, s3, v4
	s_or_b32 s15, s2, s15
	s_waitcnt vmcnt(0)
	ds_store_b128 v5, v[6:9]
	v_add_nc_u32_e32 v5, 0x4000, v5
	s_and_not1_b32 exec_lo, exec_lo, s15
	s_cbranch_execnz .LBB144_4
.LBB144_5:
	s_or_b32 exec_lo, exec_lo, s14
	v_cmp_gt_u32_e32 vcc_lo, s18, v1
	v_cmp_gt_u32_e64 s2, s7, v96
	s_waitcnt lgkmcnt(0)
	s_barrier
	buffer_gl0_inv
	s_and_b32 s2, vcc_lo, s2
	s_delay_alu instid0(SALU_CYCLE_1)
	s_and_saveexec_b32 s3, s2
	s_cbranch_execz .LBB144_104
; %bb.6:
	s_cmp_lg_u32 s4, 0
	s_clause 0x1
	s_load_b64 s[14:15], s[0:1], 0x18
	s_load_b64 s[16:17], s[0:1], 0x30
	s_cselect_b32 s3, -1, 0
	s_add_i32 s20, s4, -8
	s_add_i32 s21, s7, -1
	s_cmp_lg_u64 s[12:13], 0
	v_cvt_f32_u32_e32 v2, s10
	s_cselect_b32 s22, -1, 0
	s_abs_i32 s2, s11
	s_mul_i32 s18, s19, s18
	v_cvt_f32_u32_e32 v1, s2
	s_sub_i32 s1, 0, s2
	s_sub_i32 s24, s18, s7
	s_lshl_b32 s19, s6, 1
	s_lshl_b32 s23, s6, 2
	v_rcp_iflag_f32_e32 v1, v1
	s_sub_i32 s25, 0, s10
	s_add_i32 s24, s24, 2
	s_sub_i32 s26, 1, s2
	v_mad_u64_u32 v[101:102], null, s6, 3, v[98:99]
	v_dual_mov_b32 v100, 0 :: v_dual_add_nc_u32 v115, s6, v98
	v_mbcnt_lo_u32_b32 v116, -1, 0
	v_add_nc_u32_e32 v117, s19, v98
	s_waitcnt_depctr 0xfff
	v_dual_mul_f32 v1, 0x4f7ffffe, v1 :: v_dual_add_nc_u32 v118, s23, v98
	s_mov_b32 s11, 0
	v_lshlrev_b32_e32 v114, 4, v0
	s_delay_alu instid0(VALU_DEP_2) | instskip(NEXT) | instid1(VALU_DEP_1)
	v_cvt_u32_f32_e32 v1, v1
	v_readfirstlane_b32 s0, v1
	v_rcp_iflag_f32_e32 v1, v2
	s_delay_alu instid0(VALU_DEP_1) | instskip(NEXT) | instid1(SALU_CYCLE_1)
	s_mul_i32 s1, s1, s0
	s_mul_hi_u32 s1, s0, s1
	s_delay_alu instid0(SALU_CYCLE_1)
	s_add_i32 s1, s0, s1
	s_cmp_lt_u32 s2, 2
	s_waitcnt_depctr 0xfff
	v_mul_f32_e32 v1, 0x4f7ffffe, v1
	s_cselect_b32 s26, s26, 1
	v_cmp_eq_u32_e64 s0, 63, v0
	s_sub_i32 s27, s26, s2
	s_cmp_ge_u32 s26, s2
	v_cvt_u32_f32_e32 v0, v1
	s_cselect_b32 s26, s27, s26
	s_lshr_b32 s27, s1, 31
	s_delay_alu instid0(SALU_CYCLE_1) | instskip(NEXT) | instid1(VALU_DEP_1)
	s_mul_i32 s27, s27, s2
	v_mul_lo_u32 v1, s25, v0
	s_sub_i32 s27, 2, s27
	s_delay_alu instid0(SALU_CYCLE_1)
	s_sub_i32 s28, s27, s2
	s_cmp_ge_u32 s27, s2
	s_cselect_b32 s25, s28, s27
	s_mul_hi_u32 s27, s1, 3
	s_sub_i32 s28, s25, s2
	s_cmp_ge_u32 s25, s2
	s_mul_i32 s27, s27, s2
	s_cselect_b32 s28, s28, s25
	s_sub_i32 s25, 3, s27
	v_mul_hi_u32 v1, v0, v1
	s_sub_i32 s27, s25, s2
	s_cmp_ge_u32 s25, s2
	s_cselect_b32 s25, s27, s25
	s_delay_alu instid0(SALU_CYCLE_1) | instskip(SKIP_1) | instid1(VALU_DEP_1)
	s_sub_i32 s27, s25, s2
	s_cmp_ge_u32 s25, s2
	v_add_nc_u32_e32 v119, v0, v1
	s_cselect_b32 s27, s27, s25
	s_lshr_b32 s1, s1, 30
	s_mul_i32 s25, s26, s10
	s_mul_i32 s1, s1, s2
	;; [unrolled: 1-line block ×3, first 2 shown]
	s_sub_i32 s1, 4, s1
	s_mul_i32 s27, s27, s10
	s_sub_i32 s29, s1, s2
	s_cmp_ge_u32 s1, s2
	s_cselect_b32 s1, s29, s1
	s_delay_alu instid0(SALU_CYCLE_1)
	s_sub_i32 s28, s1, s2
	s_cmp_ge_u32 s1, s2
	s_cselect_b32 s29, s28, s1
	s_lshl_b32 s28, s6, 3
	s_mul_i32 s29, s29, s10
	s_mul_i32 s6, s6, 6
	s_branch .LBB144_8
.LBB144_7:                              ;   in Loop: Header=BB144_8 Depth=1
	s_or_b32 exec_lo, exec_lo, s1
	v_add_nc_u32_e32 v0, s18, v96
	s_waitcnt lgkmcnt(0)
	s_delay_alu instid0(VALU_DEP_1) | instskip(SKIP_1) | instid1(VALU_DEP_2)
	v_add_nc_u32_e32 v1, 1, v0
	v_cmp_le_u32_e32 vcc_lo, s7, v0
	v_cmp_gt_u32_e64 s1, s7, v1
	v_add_nc_u32_e32 v1, s24, v96
	s_delay_alu instid0(VALU_DEP_2) | instskip(NEXT) | instid1(VALU_DEP_1)
	s_or_b32 vcc_lo, vcc_lo, s1
	v_cmp_eq_u32_e64 s1, 1, v1
	v_cndmask_b32_e32 v96, s21, v0, vcc_lo
	s_delay_alu instid0(VALU_DEP_2) | instskip(NEXT) | instid1(VALU_DEP_1)
	s_or_b32 vcc_lo, vcc_lo, s1
	v_cmp_le_u32_e64 s2, s7, v96
	v_cndmask_b32_e32 v113, 0, v113, vcc_lo
	s_delay_alu instid0(VALU_DEP_2) | instskip(NEXT) | instid1(SALU_CYCLE_1)
	s_or_b32 s11, s2, s11
	s_and_not1_b32 exec_lo, exec_lo, s11
	s_cbranch_execz .LBB144_104
.LBB144_8:                              ; =>This Loop Header: Depth=1
                                        ;     Child Loop BB144_15 Depth 2
	v_mov_b32_e32 v123, v100
	v_mov_b32_e32 v122, v100
	;; [unrolled: 1-line block ×5, first 2 shown]
	s_and_not1_b32 vcc_lo, exec_lo, s3
	s_cbranch_vccnz .LBB144_99
; %bb.9:                                ;   in Loop: Header=BB144_8 Depth=1
	v_min_u32_e32 v0, s21, v96
	v_dual_mov_b32 v97, 0 :: v_dual_mov_b32 v124, v114
	v_dual_mov_b32 v120, 0 :: v_dual_mov_b32 v121, 0
	s_delay_alu instid0(VALU_DEP_3) | instskip(SKIP_2) | instid1(VALU_DEP_2)
	v_mul_lo_u32 v99, v0, s5
	v_dual_mov_b32 v122, 0 :: v_dual_mov_b32 v123, 0
	s_mov_b32 s1, 0
	v_lshlrev_b64 v[0:1], 1, v[99:100]
	s_waitcnt lgkmcnt(0)
	s_delay_alu instid0(VALU_DEP_1) | instskip(NEXT) | instid1(VALU_DEP_2)
	v_add_co_u32 v125, vcc_lo, s14, v0
	v_add_co_ci_u32_e32 v126, vcc_lo, s15, v1, vcc_lo
	s_branch .LBB144_15
.LBB144_10:                             ;   in Loop: Header=BB144_15 Depth=2
	s_or_b32 exec_lo, exec_lo, s34
.LBB144_11:                             ;   in Loop: Header=BB144_15 Depth=2
	s_delay_alu instid0(SALU_CYCLE_1)
	s_or_b32 exec_lo, exec_lo, s33
.LBB144_12:                             ;   in Loop: Header=BB144_15 Depth=2
	s_delay_alu instid0(SALU_CYCLE_1)
	s_or_b32 exec_lo, exec_lo, s31
.LBB144_13:                             ;   in Loop: Header=BB144_15 Depth=2
	s_delay_alu instid0(SALU_CYCLE_1)
	s_or_b32 exec_lo, exec_lo, s30
.LBB144_14:                             ;   in Loop: Header=BB144_15 Depth=2
	s_delay_alu instid0(SALU_CYCLE_1)
	s_or_b32 exec_lo, exec_lo, s2
	s_waitcnt vmcnt(0) lgkmcnt(0)
	;;#ASMSTART
	v_dot2_f32_f16 v123, v24, v12, v123
	;;#ASMEND
	;;#ASMSTART
	v_dot2_f32_f16 v122, v20, v12, v122
	;;#ASMEND
	;; [unrolled: 3-line block ×55, first 2 shown]
	v_add_nc_u32_e32 v124, 0x1000, v124
	;;#ASMSTART
	v_dot2_f32_f16 v123, v75, v7, v123
	;;#ASMEND
	;;#ASMSTART
	v_dot2_f32_f16 v122, v71, v7, v122
	;;#ASMEND
	;; [unrolled: 3-line block ×5, first 2 shown]
	s_addk_i32 s1, 0x800
	;;#ASMSTART
	v_dot2_f32_f16 v123, v92, v0, v123
	;;#ASMEND
	;;#ASMSTART
	v_dot2_f32_f16 v122, v88, v0, v122
	;;#ASMEND
	;; [unrolled: 3-line block ×10, first 2 shown]
	s_cmp_ge_u32 s1, s4
	;;#ASMSTART
	v_dot2_f32_f16 v123, v94, v2, v123
	;;#ASMEND
	;;#ASMSTART
	v_dot2_f32_f16 v122, v90, v2, v122
	;;#ASMEND
	;; [unrolled: 3-line block ×10, first 2 shown]
	s_cbranch_scc1 .LBB144_99
.LBB144_15:                             ;   Parent Loop BB144_8 Depth=1
                                        ; =>  This Inner Loop Header: Depth=2
	v_dual_mov_b32 v78, 0 :: v_dual_add_nc_u32 v103, s1, v98
	v_dual_mov_b32 v59, 0 :: v_dual_mov_b32 v58, 0
	v_dual_mov_b32 v57, 0 :: v_dual_mov_b32 v56, 0
	s_delay_alu instid0(VALU_DEP_3) | instskip(SKIP_2) | instid1(VALU_DEP_3)
	v_min_u32_e32 v99, s20, v103
	v_dual_mov_b32 v76, 0 :: v_dual_add_nc_u32 v111, 0x200, v103
	v_dual_mov_b32 v79, 0 :: v_dual_add_nc_u32 v110, 0x400, v103
	v_lshlrev_b64 v[0:1], 1, v[99:100]
	s_delay_alu instid0(VALU_DEP_3) | instskip(SKIP_2) | instid1(VALU_DEP_3)
	v_min_u32_e32 v99, s20, v111
	v_dual_mov_b32 v77, 0 :: v_dual_add_nc_u32 v102, 0x600, v103
	v_dual_mov_b32 v39, 0 :: v_dual_mov_b32 v38, 0
	v_lshlrev_b64 v[2:3], 1, v[99:100]
	v_min_u32_e32 v99, s20, v110
	v_add_co_u32 v0, vcc_lo, v125, v0
	v_add_co_ci_u32_e32 v1, vcc_lo, v126, v1, vcc_lo
	s_delay_alu instid0(VALU_DEP_3) | instskip(SKIP_3) | instid1(VALU_DEP_3)
	v_lshlrev_b64 v[4:5], 1, v[99:100]
	v_min_u32_e32 v99, s20, v102
	v_add_co_u32 v2, vcc_lo, v125, v2
	v_add_co_ci_u32_e32 v3, vcc_lo, v126, v3, vcc_lo
	v_lshlrev_b64 v[6:7], 1, v[99:100]
	v_add_co_u32 v4, vcc_lo, v125, v4
	v_add_co_ci_u32_e32 v5, vcc_lo, v126, v5, vcc_lo
	v_dual_mov_b32 v37, 0 :: v_dual_mov_b32 v36, 0
	s_delay_alu instid0(VALU_DEP_4)
	v_add_co_u32 v16, vcc_lo, v125, v6
	v_add_co_ci_u32_e32 v17, vcc_lo, v126, v7, vcc_lo
	s_clause 0x3
	global_load_b128 v[12:15], v[0:1], off slc dlc
	global_load_b128 v[8:11], v[2:3], off slc dlc
	;; [unrolled: 1-line block ×4, first 2 shown]
	v_cmp_gt_u32_e32 vcc_lo, s4, v103
	v_dual_mov_b32 v35, 0 :: v_dual_mov_b32 v34, 0
	v_dual_mov_b32 v33, 0 :: v_dual_mov_b32 v32, 0
	v_dual_mov_b32 v83, 0 :: v_dual_mov_b32 v82, 0
	v_dual_mov_b32 v81, 0 :: v_dual_mov_b32 v80, 0
	v_dual_mov_b32 v63, 0 :: v_dual_mov_b32 v62, 0
	v_dual_mov_b32 v61, 0 :: v_dual_mov_b32 v60, 0
	v_dual_mov_b32 v43, 0 :: v_dual_mov_b32 v42, 0
	v_dual_mov_b32 v41, 0 :: v_dual_mov_b32 v40, 0
	v_dual_mov_b32 v31, 0 :: v_dual_mov_b32 v30, 0
	v_dual_mov_b32 v29, 0 :: v_dual_mov_b32 v28, 0
	v_dual_mov_b32 v87, 0 :: v_dual_mov_b32 v86, 0
	v_dual_mov_b32 v85, 0 :: v_dual_mov_b32 v84, 0
	v_dual_mov_b32 v67, 0 :: v_dual_mov_b32 v66, 0
	v_dual_mov_b32 v65, 0 :: v_dual_mov_b32 v64, 0
	v_dual_mov_b32 v47, 0 :: v_dual_mov_b32 v46, 0
	v_dual_mov_b32 v45, 0 :: v_dual_mov_b32 v44, 0
	v_dual_mov_b32 v19, 0 :: v_dual_mov_b32 v18, 0
	v_dual_mov_b32 v17, 0 :: v_dual_mov_b32 v16, 0
	v_dual_mov_b32 v91, 0 :: v_dual_mov_b32 v90, 0
	v_dual_mov_b32 v89, 0 :: v_dual_mov_b32 v88, 0
	v_dual_mov_b32 v71, 0 :: v_dual_mov_b32 v70, 0
	v_dual_mov_b32 v69, 0 :: v_dual_mov_b32 v68, 0
	v_dual_mov_b32 v51, 0 :: v_dual_mov_b32 v50, 0
	v_dual_mov_b32 v49, 0 :: v_dual_mov_b32 v48, 0
	v_dual_mov_b32 v23, 0 :: v_dual_mov_b32 v22, 0
	v_dual_mov_b32 v21, 0 :: v_dual_mov_b32 v20, 0
	v_dual_mov_b32 v95, 0 :: v_dual_mov_b32 v94, 0
	v_dual_mov_b32 v93, 0 :: v_dual_mov_b32 v92, 0
	v_dual_mov_b32 v75, 0 :: v_dual_mov_b32 v74, 0
	v_dual_mov_b32 v73, 0 :: v_dual_mov_b32 v72, 0
	v_dual_mov_b32 v55, 0 :: v_dual_mov_b32 v54, 0
	v_dual_mov_b32 v53, 0 :: v_dual_mov_b32 v52, 0
	v_dual_mov_b32 v27, 0 :: v_dual_mov_b32 v26, 0
	v_dual_mov_b32 v25, 0 :: v_dual_mov_b32 v24, 0
	s_and_saveexec_b32 s2, vcc_lo
	s_cbranch_execz .LBB144_14
; %bb.16:                               ;   in Loop: Header=BB144_15 Depth=2
	s_mov_b32 s30, exec_lo
                                        ; implicit-def: $vgpr27
	v_cmpx_lt_u32_e32 0x7fff, v103
	s_xor_b32 s30, exec_lo, s30
	s_cbranch_execz .LBB144_18
; %bb.17:                               ;   in Loop: Header=BB144_15 Depth=2
	v_mov_b32_e32 v104, v100
	s_delay_alu instid0(VALU_DEP_1) | instskip(NEXT) | instid1(VALU_DEP_1)
	v_lshlrev_b64 v[16:17], 1, v[103:104]
	v_add_co_u32 v16, vcc_lo, s8, v16
	s_delay_alu instid0(VALU_DEP_2)
	v_add_co_ci_u32_e32 v17, vcc_lo, s9, v17, vcc_lo
	global_load_b128 v[24:27], v[16:17], off
.LBB144_18:                             ;   in Loop: Header=BB144_15 Depth=2
	s_and_not1_saveexec_b32 s30, s30
	s_cbranch_execz .LBB144_20
; %bb.19:                               ;   in Loop: Header=BB144_15 Depth=2
	s_waitcnt vmcnt(0)
	ds_load_b128 v[24:27], v124
.LBB144_20:                             ;   in Loop: Header=BB144_15 Depth=2
	s_or_b32 exec_lo, exec_lo, s30
	v_add_nc_u32_e32 v99, s1, v115
	s_mov_b32 s30, exec_lo
                                        ; implicit-def: $vgpr23
	s_delay_alu instid0(VALU_DEP_1)
	v_cmpx_lt_u32_e32 0x7fff, v99
	s_xor_b32 s30, exec_lo, s30
	s_cbranch_execz .LBB144_22
; %bb.21:                               ;   in Loop: Header=BB144_15 Depth=2
	v_lshlrev_b64 v[16:17], 1, v[99:100]
	s_delay_alu instid0(VALU_DEP_1) | instskip(NEXT) | instid1(VALU_DEP_2)
	v_add_co_u32 v16, vcc_lo, s8, v16
	v_add_co_ci_u32_e32 v17, vcc_lo, s9, v17, vcc_lo
	global_load_b128 v[20:23], v[16:17], off
.LBB144_22:                             ;   in Loop: Header=BB144_15 Depth=2
	s_and_not1_saveexec_b32 s30, s30
	s_cbranch_execz .LBB144_24
; %bb.23:                               ;   in Loop: Header=BB144_15 Depth=2
	v_add_nc_u32_e32 v16, s19, v124
	s_waitcnt vmcnt(0)
	ds_load_b128 v[20:23], v16
.LBB144_24:                             ;   in Loop: Header=BB144_15 Depth=2
	s_or_b32 exec_lo, exec_lo, s30
	v_add_nc_u32_e32 v108, s1, v117
	s_mov_b32 s30, exec_lo
                                        ; implicit-def: $vgpr19
	s_delay_alu instid0(VALU_DEP_1)
	v_cmpx_lt_u32_e32 0x7fff, v108
	s_xor_b32 s30, exec_lo, s30
	s_cbranch_execz .LBB144_26
; %bb.25:                               ;   in Loop: Header=BB144_15 Depth=2
	v_mov_b32_e32 v109, v100
	s_delay_alu instid0(VALU_DEP_1) | instskip(NEXT) | instid1(VALU_DEP_1)
	v_lshlrev_b64 v[16:17], 1, v[108:109]
	v_add_co_u32 v16, vcc_lo, s8, v16
	s_delay_alu instid0(VALU_DEP_2)
	v_add_co_ci_u32_e32 v17, vcc_lo, s9, v17, vcc_lo
	global_load_b128 v[16:19], v[16:17], off
.LBB144_26:                             ;   in Loop: Header=BB144_15 Depth=2
	s_and_not1_saveexec_b32 s30, s30
	s_cbranch_execz .LBB144_28
; %bb.27:                               ;   in Loop: Header=BB144_15 Depth=2
	s_waitcnt vmcnt(0)
	v_add_nc_u32_e32 v18, s23, v124
	ds_load_2addr_b32 v[16:17], v18 offset1:1
	ds_load_2addr_b32 v[18:19], v18 offset0:2 offset1:3
.LBB144_28:                             ;   in Loop: Header=BB144_15 Depth=2
	s_or_b32 exec_lo, exec_lo, s30
	v_add_nc_u32_e32 v106, s1, v101
	s_mov_b32 s30, exec_lo
                                        ; implicit-def: $vgpr31
	s_delay_alu instid0(VALU_DEP_1)
	v_cmpx_lt_u32_e32 0x7fff, v106
	s_xor_b32 s30, exec_lo, s30
	s_cbranch_execz .LBB144_30
; %bb.29:                               ;   in Loop: Header=BB144_15 Depth=2
	v_mov_b32_e32 v107, v100
	s_delay_alu instid0(VALU_DEP_1) | instskip(NEXT) | instid1(VALU_DEP_1)
	v_lshlrev_b64 v[28:29], 1, v[106:107]
	v_add_co_u32 v28, vcc_lo, s8, v28
	s_delay_alu instid0(VALU_DEP_2)
	v_add_co_ci_u32_e32 v29, vcc_lo, s9, v29, vcc_lo
	global_load_b128 v[28:31], v[28:29], off
.LBB144_30:                             ;   in Loop: Header=BB144_15 Depth=2
	s_and_not1_saveexec_b32 s30, s30
	s_cbranch_execz .LBB144_32
; %bb.31:                               ;   in Loop: Header=BB144_15 Depth=2
	s_waitcnt vmcnt(0)
	v_add_nc_u32_e32 v28, s6, v124
	ds_load_b128 v[28:31], v28
.LBB144_32:                             ;   in Loop: Header=BB144_15 Depth=2
	s_or_b32 exec_lo, exec_lo, s30
	v_add_nc_u32_e32 v104, s1, v118
	s_mov_b32 s30, exec_lo
                                        ; implicit-def: $vgpr35
	s_delay_alu instid0(VALU_DEP_1)
	v_cmpx_lt_u32_e32 0x7fff, v104
	s_xor_b32 s30, exec_lo, s30
	s_cbranch_execz .LBB144_34
; %bb.33:                               ;   in Loop: Header=BB144_15 Depth=2
	v_mov_b32_e32 v105, v100
	s_delay_alu instid0(VALU_DEP_1) | instskip(NEXT) | instid1(VALU_DEP_1)
	v_lshlrev_b64 v[32:33], 1, v[104:105]
	v_add_co_u32 v32, vcc_lo, s8, v32
	s_delay_alu instid0(VALU_DEP_2)
	v_add_co_ci_u32_e32 v33, vcc_lo, s9, v33, vcc_lo
	global_load_b128 v[32:35], v[32:33], off
.LBB144_34:                             ;   in Loop: Header=BB144_15 Depth=2
	s_and_not1_saveexec_b32 s30, s30
	s_cbranch_execz .LBB144_36
; %bb.35:                               ;   in Loop: Header=BB144_15 Depth=2
	s_waitcnt vmcnt(0)
	v_add_nc_u32_e32 v32, s28, v124
	ds_load_2addr_b64 v[32:35], v32 offset1:1
.LBB144_36:                             ;   in Loop: Header=BB144_15 Depth=2
	s_or_b32 exec_lo, exec_lo, s30
	v_cmp_gt_u32_e32 vcc_lo, s4, v111
	v_dual_mov_b32 v79, 0 :: v_dual_mov_b32 v78, 0
	v_dual_mov_b32 v77, 0 :: v_dual_mov_b32 v76, 0
	;; [unrolled: 1-line block ×30, first 2 shown]
	s_and_saveexec_b32 s30, vcc_lo
	s_cbranch_execz .LBB144_13
; %bb.37:                               ;   in Loop: Header=BB144_15 Depth=2
	s_mov_b32 s31, exec_lo
                                        ; implicit-def: $vgpr55
	v_cmpx_lt_u32_e32 0x7fff, v111
	s_xor_b32 s31, exec_lo, s31
	s_cbranch_execz .LBB144_39
; %bb.38:                               ;   in Loop: Header=BB144_15 Depth=2
	v_mov_b32_e32 v112, v100
	s_delay_alu instid0(VALU_DEP_1) | instskip(NEXT) | instid1(VALU_DEP_1)
	v_lshlrev_b64 v[36:37], 1, v[111:112]
	v_add_co_u32 v36, vcc_lo, s8, v36
	s_delay_alu instid0(VALU_DEP_2)
	v_add_co_ci_u32_e32 v37, vcc_lo, s9, v37, vcc_lo
	global_load_b128 v[52:55], v[36:37], off
.LBB144_39:                             ;   in Loop: Header=BB144_15 Depth=2
	s_and_not1_saveexec_b32 s31, s31
	s_cbranch_execz .LBB144_41
; %bb.40:                               ;   in Loop: Header=BB144_15 Depth=2
	s_waitcnt vmcnt(0)
	ds_load_b128 v[52:55], v124 offset:1024
.LBB144_41:                             ;   in Loop: Header=BB144_15 Depth=2
	s_or_b32 exec_lo, exec_lo, s31
	v_add_nc_u32_e32 v36, 0x200, v99
	s_mov_b32 s31, exec_lo
                                        ; implicit-def: $vgpr51
	s_delay_alu instid0(VALU_DEP_1)
	v_cmpx_lt_u32_e32 0x7fff, v36
	s_xor_b32 s31, exec_lo, s31
	s_cbranch_execz .LBB144_43
; %bb.42:                               ;   in Loop: Header=BB144_15 Depth=2
	v_mov_b32_e32 v37, v100
	s_delay_alu instid0(VALU_DEP_1) | instskip(NEXT) | instid1(VALU_DEP_1)
	v_lshlrev_b64 v[36:37], 1, v[36:37]
	v_add_co_u32 v36, vcc_lo, s8, v36
	s_delay_alu instid0(VALU_DEP_2)
	v_add_co_ci_u32_e32 v37, vcc_lo, s9, v37, vcc_lo
	global_load_b128 v[48:51], v[36:37], off
.LBB144_43:                             ;   in Loop: Header=BB144_15 Depth=2
	s_and_not1_saveexec_b32 s31, s31
	s_cbranch_execz .LBB144_45
; %bb.44:                               ;   in Loop: Header=BB144_15 Depth=2
	v_add_nc_u32_e32 v36, s19, v124
	s_waitcnt vmcnt(0)
	ds_load_b128 v[48:51], v36 offset:1024
.LBB144_45:                             ;   in Loop: Header=BB144_15 Depth=2
	s_or_b32 exec_lo, exec_lo, s31
	v_add_nc_u32_e32 v36, 0x200, v108
	s_mov_b32 s31, exec_lo
                                        ; implicit-def: $vgpr47
	s_delay_alu instid0(VALU_DEP_1)
	v_cmpx_lt_u32_e32 0x7fff, v36
	s_xor_b32 s31, exec_lo, s31
	s_cbranch_execz .LBB144_47
; %bb.46:                               ;   in Loop: Header=BB144_15 Depth=2
	v_mov_b32_e32 v37, v100
	s_delay_alu instid0(VALU_DEP_1) | instskip(NEXT) | instid1(VALU_DEP_1)
	v_lshlrev_b64 v[36:37], 1, v[36:37]
	v_add_co_u32 v36, vcc_lo, s8, v36
	s_delay_alu instid0(VALU_DEP_2)
	v_add_co_ci_u32_e32 v37, vcc_lo, s9, v37, vcc_lo
	global_load_b128 v[44:47], v[36:37], off
.LBB144_47:                             ;   in Loop: Header=BB144_15 Depth=2
	s_and_not1_saveexec_b32 s31, s31
	s_cbranch_execz .LBB144_49
; %bb.48:                               ;   in Loop: Header=BB144_15 Depth=2
	v_add_nc_u32_e32 v36, s23, v124
	s_delay_alu instid0(VALU_DEP_1)
	v_add_nc_u32_e32 v37, 0x400, v36
	v_add_nc_u32_e32 v36, 0x408, v36
	s_waitcnt vmcnt(0)
	ds_load_2addr_b32 v[44:45], v37 offset1:1
	ds_load_2addr_b32 v[46:47], v36 offset1:1
.LBB144_49:                             ;   in Loop: Header=BB144_15 Depth=2
	s_or_b32 exec_lo, exec_lo, s31
	v_add_nc_u32_e32 v36, 0x200, v106
	s_mov_b32 s31, exec_lo
                                        ; implicit-def: $vgpr43
	s_delay_alu instid0(VALU_DEP_1)
	v_cmpx_lt_u32_e32 0x7fff, v36
	s_xor_b32 s31, exec_lo, s31
	s_cbranch_execz .LBB144_51
; %bb.50:                               ;   in Loop: Header=BB144_15 Depth=2
	v_mov_b32_e32 v37, v100
	s_delay_alu instid0(VALU_DEP_1) | instskip(NEXT) | instid1(VALU_DEP_1)
	v_lshlrev_b64 v[36:37], 1, v[36:37]
	v_add_co_u32 v36, vcc_lo, s8, v36
	s_delay_alu instid0(VALU_DEP_2)
	v_add_co_ci_u32_e32 v37, vcc_lo, s9, v37, vcc_lo
	global_load_b128 v[40:43], v[36:37], off
.LBB144_51:                             ;   in Loop: Header=BB144_15 Depth=2
	s_and_not1_saveexec_b32 s31, s31
	s_cbranch_execz .LBB144_53
; %bb.52:                               ;   in Loop: Header=BB144_15 Depth=2
	v_add_nc_u32_e32 v36, s6, v124
	s_waitcnt vmcnt(0)
	ds_load_b128 v[40:43], v36 offset:1024
.LBB144_53:                             ;   in Loop: Header=BB144_15 Depth=2
	s_or_b32 exec_lo, exec_lo, s31
	v_add_nc_u32_e32 v36, 0x200, v104
	s_mov_b32 s31, exec_lo
                                        ; implicit-def: $vgpr39
	s_delay_alu instid0(VALU_DEP_1)
	v_cmpx_lt_u32_e32 0x7fff, v36
	s_xor_b32 s31, exec_lo, s31
	s_cbranch_execz .LBB144_55
; %bb.54:                               ;   in Loop: Header=BB144_15 Depth=2
	v_mov_b32_e32 v37, v100
	s_delay_alu instid0(VALU_DEP_1) | instskip(NEXT) | instid1(VALU_DEP_1)
	v_lshlrev_b64 v[36:37], 1, v[36:37]
	v_add_co_u32 v36, vcc_lo, s8, v36
	s_delay_alu instid0(VALU_DEP_2)
	v_add_co_ci_u32_e32 v37, vcc_lo, s9, v37, vcc_lo
	global_load_b128 v[36:39], v[36:37], off
.LBB144_55:                             ;   in Loop: Header=BB144_15 Depth=2
	s_and_not1_saveexec_b32 s31, s31
	s_cbranch_execz .LBB144_57
; %bb.56:                               ;   in Loop: Header=BB144_15 Depth=2
	s_waitcnt vmcnt(0)
	v_add_nc_u32_e32 v36, s28, v124
	ds_load_2addr_b64 v[36:39], v36 offset0:128 offset1:129
.LBB144_57:                             ;   in Loop: Header=BB144_15 Depth=2
	s_or_b32 exec_lo, exec_lo, s31
	v_cmp_gt_u32_e32 vcc_lo, s4, v110
	v_dual_mov_b32 v79, 0 :: v_dual_mov_b32 v78, 0
	v_dual_mov_b32 v77, 0 :: v_dual_mov_b32 v76, 0
	;; [unrolled: 1-line block ×20, first 2 shown]
	s_and_saveexec_b32 s31, vcc_lo
	s_cbranch_execz .LBB144_12
; %bb.58:                               ;   in Loop: Header=BB144_15 Depth=2
	s_mov_b32 s33, exec_lo
                                        ; implicit-def: $vgpr75
	v_cmpx_lt_u32_e32 0x7fff, v110
	s_xor_b32 s33, exec_lo, s33
	s_cbranch_execz .LBB144_60
; %bb.59:                               ;   in Loop: Header=BB144_15 Depth=2
	v_mov_b32_e32 v111, v100
	s_delay_alu instid0(VALU_DEP_1) | instskip(NEXT) | instid1(VALU_DEP_1)
	v_lshlrev_b64 v[56:57], 1, v[110:111]
	v_add_co_u32 v56, vcc_lo, s8, v56
	s_delay_alu instid0(VALU_DEP_2)
	v_add_co_ci_u32_e32 v57, vcc_lo, s9, v57, vcc_lo
	global_load_b128 v[72:75], v[56:57], off
.LBB144_60:                             ;   in Loop: Header=BB144_15 Depth=2
	s_and_not1_saveexec_b32 s33, s33
	s_cbranch_execz .LBB144_62
; %bb.61:                               ;   in Loop: Header=BB144_15 Depth=2
	s_waitcnt vmcnt(0)
	ds_load_b128 v[72:75], v124 offset:2048
.LBB144_62:                             ;   in Loop: Header=BB144_15 Depth=2
	s_or_b32 exec_lo, exec_lo, s33
	v_add_nc_u32_e32 v56, 0x400, v99
	s_mov_b32 s33, exec_lo
                                        ; implicit-def: $vgpr71
	s_delay_alu instid0(VALU_DEP_1)
	v_cmpx_lt_u32_e32 0x7fff, v56
	s_xor_b32 s33, exec_lo, s33
	s_cbranch_execz .LBB144_64
; %bb.63:                               ;   in Loop: Header=BB144_15 Depth=2
	v_mov_b32_e32 v57, v100
	s_delay_alu instid0(VALU_DEP_1) | instskip(NEXT) | instid1(VALU_DEP_1)
	v_lshlrev_b64 v[56:57], 1, v[56:57]
	v_add_co_u32 v56, vcc_lo, s8, v56
	s_delay_alu instid0(VALU_DEP_2)
	v_add_co_ci_u32_e32 v57, vcc_lo, s9, v57, vcc_lo
	global_load_b128 v[68:71], v[56:57], off
.LBB144_64:                             ;   in Loop: Header=BB144_15 Depth=2
	s_and_not1_saveexec_b32 s33, s33
	s_cbranch_execz .LBB144_66
; %bb.65:                               ;   in Loop: Header=BB144_15 Depth=2
	v_add_nc_u32_e32 v56, s19, v124
	s_waitcnt vmcnt(0)
	ds_load_b128 v[68:71], v56 offset:2048
.LBB144_66:                             ;   in Loop: Header=BB144_15 Depth=2
	s_or_b32 exec_lo, exec_lo, s33
	v_add_nc_u32_e32 v56, 0x400, v108
	s_mov_b32 s33, exec_lo
                                        ; implicit-def: $vgpr67
	s_delay_alu instid0(VALU_DEP_1)
	v_cmpx_lt_u32_e32 0x7fff, v56
	s_xor_b32 s33, exec_lo, s33
	s_cbranch_execz .LBB144_68
; %bb.67:                               ;   in Loop: Header=BB144_15 Depth=2
	v_mov_b32_e32 v57, v100
	s_delay_alu instid0(VALU_DEP_1) | instskip(NEXT) | instid1(VALU_DEP_1)
	v_lshlrev_b64 v[56:57], 1, v[56:57]
	v_add_co_u32 v56, vcc_lo, s8, v56
	s_delay_alu instid0(VALU_DEP_2)
	v_add_co_ci_u32_e32 v57, vcc_lo, s9, v57, vcc_lo
	global_load_b128 v[64:67], v[56:57], off
.LBB144_68:                             ;   in Loop: Header=BB144_15 Depth=2
	s_and_not1_saveexec_b32 s33, s33
	s_cbranch_execz .LBB144_70
; %bb.69:                               ;   in Loop: Header=BB144_15 Depth=2
	v_add_nc_u32_e32 v56, s23, v124
	s_delay_alu instid0(VALU_DEP_1)
	v_add_nc_u32_e32 v57, 0x800, v56
	v_add_nc_u32_e32 v56, 0x808, v56
	s_waitcnt vmcnt(0)
	ds_load_2addr_b32 v[64:65], v57 offset1:1
	ds_load_2addr_b32 v[66:67], v56 offset1:1
.LBB144_70:                             ;   in Loop: Header=BB144_15 Depth=2
	s_or_b32 exec_lo, exec_lo, s33
	v_add_nc_u32_e32 v56, 0x400, v106
	s_mov_b32 s33, exec_lo
                                        ; implicit-def: $vgpr63
	s_delay_alu instid0(VALU_DEP_1)
	v_cmpx_lt_u32_e32 0x7fff, v56
	s_xor_b32 s33, exec_lo, s33
	s_cbranch_execz .LBB144_72
; %bb.71:                               ;   in Loop: Header=BB144_15 Depth=2
	v_mov_b32_e32 v57, v100
	s_delay_alu instid0(VALU_DEP_1) | instskip(NEXT) | instid1(VALU_DEP_1)
	v_lshlrev_b64 v[56:57], 1, v[56:57]
	v_add_co_u32 v56, vcc_lo, s8, v56
	s_delay_alu instid0(VALU_DEP_2)
	v_add_co_ci_u32_e32 v57, vcc_lo, s9, v57, vcc_lo
	global_load_b128 v[60:63], v[56:57], off
.LBB144_72:                             ;   in Loop: Header=BB144_15 Depth=2
	s_and_not1_saveexec_b32 s33, s33
	s_cbranch_execz .LBB144_74
; %bb.73:                               ;   in Loop: Header=BB144_15 Depth=2
	v_add_nc_u32_e32 v56, s6, v124
	s_waitcnt vmcnt(0)
	ds_load_b128 v[60:63], v56 offset:2048
.LBB144_74:                             ;   in Loop: Header=BB144_15 Depth=2
	s_or_b32 exec_lo, exec_lo, s33
	v_add_nc_u32_e32 v56, 0x400, v104
	s_mov_b32 s33, exec_lo
                                        ; implicit-def: $vgpr59
	s_delay_alu instid0(VALU_DEP_1)
	v_cmpx_lt_u32_e32 0x7fff, v56
	s_xor_b32 s33, exec_lo, s33
	s_cbranch_execz .LBB144_76
; %bb.75:                               ;   in Loop: Header=BB144_15 Depth=2
	v_mov_b32_e32 v57, v100
	s_delay_alu instid0(VALU_DEP_1) | instskip(NEXT) | instid1(VALU_DEP_1)
	v_lshlrev_b64 v[56:57], 1, v[56:57]
	v_add_co_u32 v56, vcc_lo, s8, v56
	s_delay_alu instid0(VALU_DEP_2)
	v_add_co_ci_u32_e32 v57, vcc_lo, s9, v57, vcc_lo
	global_load_b128 v[56:59], v[56:57], off
.LBB144_76:                             ;   in Loop: Header=BB144_15 Depth=2
	s_and_not1_saveexec_b32 s33, s33
	s_cbranch_execz .LBB144_78
; %bb.77:                               ;   in Loop: Header=BB144_15 Depth=2
	s_waitcnt vmcnt(0)
	v_add3_u32 v56, v124, s28, 0x800
	ds_load_2addr_b64 v[56:59], v56 offset1:1
.LBB144_78:                             ;   in Loop: Header=BB144_15 Depth=2
	s_or_b32 exec_lo, exec_lo, s33
	v_cmp_gt_u32_e32 vcc_lo, s4, v102
	v_dual_mov_b32 v79, 0 :: v_dual_mov_b32 v78, 0
	v_dual_mov_b32 v77, 0 :: v_dual_mov_b32 v76, 0
	;; [unrolled: 1-line block ×10, first 2 shown]
	s_and_saveexec_b32 s33, vcc_lo
	s_cbranch_execz .LBB144_11
; %bb.79:                               ;   in Loop: Header=BB144_15 Depth=2
	s_mov_b32 s34, exec_lo
                                        ; implicit-def: $vgpr95
	v_cmpx_lt_u32_e32 0x7fff, v102
	s_xor_b32 s34, exec_lo, s34
	s_cbranch_execz .LBB144_81
; %bb.80:                               ;   in Loop: Header=BB144_15 Depth=2
	v_mov_b32_e32 v103, v100
	s_delay_alu instid0(VALU_DEP_1) | instskip(NEXT) | instid1(VALU_DEP_1)
	v_lshlrev_b64 v[76:77], 1, v[102:103]
	v_add_co_u32 v76, vcc_lo, s8, v76
	s_delay_alu instid0(VALU_DEP_2)
	v_add_co_ci_u32_e32 v77, vcc_lo, s9, v77, vcc_lo
	global_load_b128 v[92:95], v[76:77], off
.LBB144_81:                             ;   in Loop: Header=BB144_15 Depth=2
	s_and_not1_saveexec_b32 s34, s34
	s_cbranch_execz .LBB144_83
; %bb.82:                               ;   in Loop: Header=BB144_15 Depth=2
	s_waitcnt vmcnt(0)
	ds_load_b128 v[92:95], v124 offset:3072
.LBB144_83:                             ;   in Loop: Header=BB144_15 Depth=2
	s_or_b32 exec_lo, exec_lo, s34
	v_add_nc_u32_e32 v99, 0x600, v99
	s_mov_b32 s34, exec_lo
                                        ; implicit-def: $vgpr91
	s_delay_alu instid0(VALU_DEP_1)
	v_cmpx_lt_u32_e32 0x7fff, v99
	s_xor_b32 s34, exec_lo, s34
	s_cbranch_execz .LBB144_85
; %bb.84:                               ;   in Loop: Header=BB144_15 Depth=2
	v_lshlrev_b64 v[76:77], 1, v[99:100]
	s_delay_alu instid0(VALU_DEP_1) | instskip(NEXT) | instid1(VALU_DEP_2)
	v_add_co_u32 v76, vcc_lo, s8, v76
	v_add_co_ci_u32_e32 v77, vcc_lo, s9, v77, vcc_lo
	global_load_b128 v[88:91], v[76:77], off
.LBB144_85:                             ;   in Loop: Header=BB144_15 Depth=2
	s_and_not1_saveexec_b32 s34, s34
	s_cbranch_execz .LBB144_87
; %bb.86:                               ;   in Loop: Header=BB144_15 Depth=2
	v_add_nc_u32_e32 v76, s19, v124
	s_waitcnt vmcnt(0)
	ds_load_b128 v[88:91], v76 offset:3072
.LBB144_87:                             ;   in Loop: Header=BB144_15 Depth=2
	s_or_b32 exec_lo, exec_lo, s34
	v_add_nc_u32_e32 v99, 0x600, v108
	s_mov_b32 s34, exec_lo
                                        ; implicit-def: $vgpr87
	s_delay_alu instid0(VALU_DEP_1)
	v_cmpx_lt_u32_e32 0x7fff, v99
	s_xor_b32 s34, exec_lo, s34
	s_cbranch_execz .LBB144_89
; %bb.88:                               ;   in Loop: Header=BB144_15 Depth=2
	v_lshlrev_b64 v[76:77], 1, v[99:100]
	s_delay_alu instid0(VALU_DEP_1) | instskip(NEXT) | instid1(VALU_DEP_2)
	v_add_co_u32 v76, vcc_lo, s8, v76
	v_add_co_ci_u32_e32 v77, vcc_lo, s9, v77, vcc_lo
	global_load_b128 v[84:87], v[76:77], off
.LBB144_89:                             ;   in Loop: Header=BB144_15 Depth=2
	s_and_not1_saveexec_b32 s34, s34
	s_cbranch_execz .LBB144_91
; %bb.90:                               ;   in Loop: Header=BB144_15 Depth=2
	v_add_nc_u32_e32 v76, s23, v124
	s_delay_alu instid0(VALU_DEP_1)
	v_add_nc_u32_e32 v77, 0xc00, v76
	v_add_nc_u32_e32 v76, 0xc08, v76
	s_waitcnt vmcnt(0)
	ds_load_2addr_b32 v[84:85], v77 offset1:1
	ds_load_2addr_b32 v[86:87], v76 offset1:1
.LBB144_91:                             ;   in Loop: Header=BB144_15 Depth=2
	s_or_b32 exec_lo, exec_lo, s34
	v_add_nc_u32_e32 v99, 0x600, v106
	s_mov_b32 s34, exec_lo
                                        ; implicit-def: $vgpr83
	s_delay_alu instid0(VALU_DEP_1)
	v_cmpx_lt_u32_e32 0x7fff, v99
	s_xor_b32 s34, exec_lo, s34
	s_cbranch_execz .LBB144_93
; %bb.92:                               ;   in Loop: Header=BB144_15 Depth=2
	v_lshlrev_b64 v[76:77], 1, v[99:100]
	s_delay_alu instid0(VALU_DEP_1) | instskip(NEXT) | instid1(VALU_DEP_2)
	v_add_co_u32 v76, vcc_lo, s8, v76
	v_add_co_ci_u32_e32 v77, vcc_lo, s9, v77, vcc_lo
	global_load_b128 v[80:83], v[76:77], off
.LBB144_93:                             ;   in Loop: Header=BB144_15 Depth=2
	s_and_not1_saveexec_b32 s34, s34
	s_cbranch_execz .LBB144_95
; %bb.94:                               ;   in Loop: Header=BB144_15 Depth=2
	v_add_nc_u32_e32 v76, s6, v124
	s_waitcnt vmcnt(0)
	ds_load_b128 v[80:83], v76 offset:3072
.LBB144_95:                             ;   in Loop: Header=BB144_15 Depth=2
	s_or_b32 exec_lo, exec_lo, s34
	v_add_nc_u32_e32 v99, 0x600, v104
	s_mov_b32 s34, exec_lo
                                        ; implicit-def: $vgpr79
	s_delay_alu instid0(VALU_DEP_1)
	v_cmpx_lt_u32_e32 0x7fff, v99
	s_xor_b32 s34, exec_lo, s34
	s_cbranch_execz .LBB144_97
; %bb.96:                               ;   in Loop: Header=BB144_15 Depth=2
	v_lshlrev_b64 v[76:77], 1, v[99:100]
	s_delay_alu instid0(VALU_DEP_1) | instskip(NEXT) | instid1(VALU_DEP_2)
	v_add_co_u32 v76, vcc_lo, s8, v76
	v_add_co_ci_u32_e32 v77, vcc_lo, s9, v77, vcc_lo
	global_load_b128 v[76:79], v[76:77], off
.LBB144_97:                             ;   in Loop: Header=BB144_15 Depth=2
	s_and_not1_saveexec_b32 s34, s34
	s_cbranch_execz .LBB144_10
; %bb.98:                               ;   in Loop: Header=BB144_15 Depth=2
	s_waitcnt vmcnt(0)
	v_add3_u32 v76, v124, s28, 0xc00
	ds_load_2addr_b64 v[76:79], v76 offset1:1
	s_branch .LBB144_10
.LBB144_99:                             ;   in Loop: Header=BB144_8 Depth=1
	v_xor_b32_e32 v0, 16, v116
	v_cvt_i32_f32_e32 v1, v123
	v_cvt_i32_f32_e32 v3, v121
	;; [unrolled: 1-line block ×4, first 2 shown]
	v_cmp_gt_i32_e32 vcc_lo, 32, v0
	v_cvt_f32_i32_dpp v1, v1 row_shr:8 row_mask:0xf bank_mask:0xf bound_ctrl:1
	v_cvt_i32_f32_e32 v2, v122
	s_delay_alu instid0(VALU_DEP_2) | instskip(NEXT) | instid1(VALU_DEP_2)
	v_dual_cndmask_b32 v0, v116, v0 :: v_dual_add_f32 v1, v123, v1
	v_cvt_f32_i32_dpp v2, v2 row_shr:8 row_mask:0xf bank_mask:0xf bound_ctrl:1
	s_waitcnt vmcnt(0)
	s_delay_alu instid0(VALU_DEP_2) | instskip(SKIP_4) | instid1(VALU_DEP_3)
	v_lshlrev_b32_e32 v10, 2, v0
	v_cvt_f32_i32_dpp v0, v3 row_shr:8 row_mask:0xf bank_mask:0xf bound_ctrl:1
	v_cvt_f32_i32_dpp v3, v4 row_shr:8 row_mask:0xf bank_mask:0xf bound_ctrl:1
	;; [unrolled: 1-line block ×3, first 2 shown]
	v_cvt_i32_f32_e32 v5, v1
	v_dual_add_f32 v0, v121, v0 :: v_dual_add_f32 v3, v120, v3
	s_delay_alu instid0(VALU_DEP_2) | instskip(SKIP_1) | instid1(VALU_DEP_3)
	v_cvt_f32_i32_dpp v5, v5 row_shr:4 row_mask:0xf bank_mask:0xf bound_ctrl:1
	v_add_f32_e32 v2, v122, v2
	v_cvt_i32_f32_e32 v7, v0
	s_delay_alu instid0(VALU_DEP_4) | instskip(NEXT) | instid1(VALU_DEP_4)
	v_cvt_i32_f32_e32 v8, v3
	v_add_f32_e32 v1, v1, v5
	s_delay_alu instid0(VALU_DEP_4) | instskip(NEXT) | instid1(VALU_DEP_4)
	v_cvt_i32_f32_e32 v6, v2
	v_cvt_f32_i32_dpp v7, v7 row_shr:4 row_mask:0xf bank_mask:0xf bound_ctrl:1
	s_delay_alu instid0(VALU_DEP_4) | instskip(NEXT) | instid1(VALU_DEP_4)
	v_cvt_f32_i32_dpp v8, v8 row_shr:4 row_mask:0xf bank_mask:0xf bound_ctrl:1
	v_cvt_i32_f32_e32 v5, v1
	s_delay_alu instid0(VALU_DEP_4) | instskip(NEXT) | instid1(VALU_DEP_3)
	v_cvt_f32_i32_dpp v6, v6 row_shr:4 row_mask:0xf bank_mask:0xf bound_ctrl:1
	v_add_f32_e32 v3, v3, v8
	s_delay_alu instid0(VALU_DEP_3) | instskip(SKIP_1) | instid1(VALU_DEP_4)
	v_cvt_f32_i32_dpp v5, v5 row_shr:2 row_mask:0xf bank_mask:0xf bound_ctrl:1
	v_add_f32_e32 v0, v0, v7
	v_add_f32_e32 v2, v2, v6
	s_delay_alu instid0(VALU_DEP_4) | instskip(NEXT) | instid1(VALU_DEP_4)
	v_cvt_i32_f32_e32 v8, v3
	v_add_f32_e32 v1, v1, v5
	s_delay_alu instid0(VALU_DEP_4) | instskip(NEXT) | instid1(VALU_DEP_4)
	v_cvt_i32_f32_e32 v7, v0
	v_cvt_i32_f32_e32 v6, v2
	s_delay_alu instid0(VALU_DEP_4) | instskip(NEXT) | instid1(VALU_DEP_3)
	v_cvt_f32_i32_dpp v8, v8 row_shr:2 row_mask:0xf bank_mask:0xf bound_ctrl:1
	v_cvt_f32_i32_dpp v7, v7 row_shr:2 row_mask:0xf bank_mask:0xf bound_ctrl:1
	s_delay_alu instid0(VALU_DEP_3) | instskip(NEXT) | instid1(VALU_DEP_3)
	v_cvt_f32_i32_dpp v6, v6 row_shr:2 row_mask:0xf bank_mask:0xf bound_ctrl:1
	v_add_f32_e32 v5, v3, v8
	v_cvt_i32_f32_e32 v3, v1
	s_delay_alu instid0(VALU_DEP_4) | instskip(NEXT) | instid1(VALU_DEP_4)
	v_add_f32_e32 v0, v0, v7
	v_add_f32_e32 v2, v2, v6
	s_delay_alu instid0(VALU_DEP_4) | instskip(NEXT) | instid1(VALU_DEP_4)
	v_cvt_i32_f32_e32 v8, v5
	v_cvt_f32_i32_dpp v3, v3 row_shr:1 row_mask:0xf bank_mask:0xf bound_ctrl:1
	s_delay_alu instid0(VALU_DEP_4) | instskip(NEXT) | instid1(VALU_DEP_3)
	v_cvt_i32_f32_e32 v7, v0
	v_cvt_f32_i32_dpp v11, v8 row_shr:1 row_mask:0xf bank_mask:0xf bound_ctrl:1
	s_delay_alu instid0(VALU_DEP_3) | instskip(NEXT) | instid1(VALU_DEP_3)
	v_add_f32_e32 v8, v1, v3
	v_cvt_f32_i32_dpp v7, v7 row_shr:1 row_mask:0xf bank_mask:0xf bound_ctrl:1
	s_delay_alu instid0(VALU_DEP_1) | instskip(NEXT) | instid1(VALU_DEP_1)
	v_dual_add_f32 v4, v97, v4 :: v_dual_add_f32 v3, v0, v7
	v_cvt_i32_f32_e32 v9, v4
	s_delay_alu instid0(VALU_DEP_1) | instskip(NEXT) | instid1(VALU_DEP_1)
	v_cvt_f32_i32_dpp v9, v9 row_shr:4 row_mask:0xf bank_mask:0xf bound_ctrl:1
	v_add_f32_e32 v4, v4, v9
	s_delay_alu instid0(VALU_DEP_1) | instskip(NEXT) | instid1(VALU_DEP_1)
	v_cvt_i32_f32_e32 v9, v4
	v_cvt_f32_i32_dpp v9, v9 row_shr:2 row_mask:0xf bank_mask:0xf bound_ctrl:1
	s_delay_alu instid0(VALU_DEP_1) | instskip(SKIP_1) | instid1(VALU_DEP_2)
	v_add_f32_e32 v6, v4, v9
	v_cvt_i32_f32_e32 v4, v2
	v_cvt_i32_f32_e32 v9, v6
	s_delay_alu instid0(VALU_DEP_2) | instskip(NEXT) | instid1(VALU_DEP_2)
	v_cvt_f32_i32_dpp v4, v4 row_shr:1 row_mask:0xf bank_mask:0xf bound_ctrl:1
	v_cvt_f32_i32_dpp v9, v9 row_shr:1 row_mask:0xf bank_mask:0xf bound_ctrl:1
	s_delay_alu instid0(VALU_DEP_2) | instskip(SKIP_1) | instid1(VALU_DEP_3)
	v_add_f32_e32 v2, v2, v4
	v_add_f32_e32 v4, v5, v11
	;; [unrolled: 1-line block ×3, first 2 shown]
	ds_bpermute_b32 v9, v10, v8
	ds_bpermute_b32 v5, v10, v2
	;; [unrolled: 1-line block ×5, first 2 shown]
	s_and_saveexec_b32 s1, s0
	s_cbranch_execz .LBB144_7
; %bb.100:                              ;   in Loop: Header=BB144_8 Depth=1
	v_dual_mov_b32 v14, 0 :: v_dual_mov_b32 v13, 0
	v_dual_mov_b32 v12, 0 :: v_dual_mov_b32 v11, 0
	v_mov_b32_e32 v10, 0
	s_and_not1_b32 vcc_lo, exec_lo, s22
	s_cbranch_vccnz .LBB144_102
; %bb.101:                              ;   in Loop: Header=BB144_8 Depth=1
	v_mul_hi_u32 v10, v96, v119
	s_delay_alu instid0(VALU_DEP_1) | instskip(NEXT) | instid1(VALU_DEP_1)
	v_mul_lo_u32 v10, v10, s10
	v_sub_nc_u32_e32 v10, v96, v10
	s_delay_alu instid0(VALU_DEP_1) | instskip(SKIP_1) | instid1(VALU_DEP_2)
	v_subrev_nc_u32_e32 v11, s10, v10
	v_cmp_le_u32_e32 vcc_lo, s10, v10
	v_cndmask_b32_e32 v10, v10, v11, vcc_lo
	s_delay_alu instid0(VALU_DEP_1) | instskip(SKIP_1) | instid1(VALU_DEP_2)
	v_subrev_nc_u32_e32 v11, s10, v10
	v_cmp_le_u32_e32 vcc_lo, s10, v10
	v_cndmask_b32_e32 v99, v10, v11, vcc_lo
	v_mov_b32_e32 v11, v100
	v_mov_b32_e32 v13, v100
	s_delay_alu instid0(VALU_DEP_3)
	v_dual_mov_b32 v15, v100 :: v_dual_add_nc_u32 v12, s26, v99
	v_add_nc_u32_e32 v10, s25, v99
	v_lshlrev_b64 v[16:17], 1, v[99:100]
	v_add_nc_u32_e32 v14, s27, v99
	v_add_nc_u32_e32 v99, s29, v99
	v_lshlrev_b64 v[12:13], 1, v[12:13]
	v_lshlrev_b64 v[10:11], 1, v[10:11]
	v_add_co_u32 v16, vcc_lo, s12, v16
	v_add_co_ci_u32_e32 v17, vcc_lo, s13, v17, vcc_lo
	v_lshlrev_b64 v[14:15], 1, v[14:15]
	s_delay_alu instid0(VALU_DEP_4)
	v_add_co_u32 v10, vcc_lo, s12, v10
	v_add_co_ci_u32_e32 v11, vcc_lo, s13, v11, vcc_lo
	v_lshlrev_b64 v[18:19], 1, v[99:100]
	v_add_co_u32 v20, vcc_lo, s12, v12
	v_add_co_ci_u32_e32 v21, vcc_lo, s13, v13, vcc_lo
	v_add_co_u32 v22, vcc_lo, s12, v14
	v_add_co_ci_u32_e32 v23, vcc_lo, s13, v15, vcc_lo
	;; [unrolled: 2-line block ×3, first 2 shown]
	s_clause 0x4
	global_load_u16 v14, v[16:17], off
	global_load_u16 v13, v[10:11], off
	;; [unrolled: 1-line block ×5, first 2 shown]
.LBB144_102:                            ;   in Loop: Header=BB144_8 Depth=1
	v_cmp_ne_u32_e32 vcc_lo, 0, v113
	s_and_b32 exec_lo, exec_lo, vcc_lo
	s_cbranch_execz .LBB144_7
; %bb.103:                              ;   in Loop: Header=BB144_8 Depth=1
	s_waitcnt lgkmcnt(0)
	v_add_f32_e32 v8, v8, v9
	s_waitcnt vmcnt(4)
	v_cvt_f32_f16_e32 v9, v14
	v_dual_add_f32 v2, v2, v5 :: v_dual_mov_b32 v97, v100
	v_dual_add_f32 v5, v3, v6 :: v_dual_add_f32 v6, v4, v7
	v_add_nc_u32_e32 v99, s7, v96
	s_waitcnt vmcnt(3)
	v_cvt_f32_f16_e32 v4, v13
	v_add_f32_e32 v3, v8, v9
	v_add_f32_e32 v8, v0, v1
	s_waitcnt vmcnt(2)
	v_cvt_f32_f16_e32 v7, v12
	v_lshlrev_b64 v[0:1], 1, v[96:97]
	v_add_f32_e32 v4, v2, v4
	v_cvt_f16_f32_e32 v13, v3
	v_lshlrev_b64 v[2:3], 1, v[99:100]
	v_add_nc_u32_e32 v99, s7, v99
	s_waitcnt vmcnt(1)
	v_cvt_f32_f16_e32 v9, v11
	v_cvt_f16_f32_e32 v12, v4
	s_waitcnt vmcnt(0)
	v_cvt_f32_f16_e32 v10, v10
	v_add_f32_e32 v7, v5, v7
	v_lshlrev_b64 v[4:5], 1, v[99:100]
	v_add_nc_u32_e32 v99, s7, v99
	v_add_co_u32 v0, vcc_lo, s16, v0
	v_add_f32_e32 v10, v8, v10
	v_cvt_f16_f32_e32 v11, v7
	v_add_f32_e32 v9, v6, v9
	v_lshlrev_b64 v[6:7], 1, v[99:100]
	v_add_nc_u32_e32 v99, s7, v99
	v_add_co_ci_u32_e32 v1, vcc_lo, s17, v1, vcc_lo
	v_add_co_u32 v2, vcc_lo, s16, v2
	v_add_co_ci_u32_e32 v3, vcc_lo, s17, v3, vcc_lo
	v_add_co_u32 v4, vcc_lo, s16, v4
	v_cvt_f16_f32_e32 v14, v9
	v_lshlrev_b64 v[8:9], 1, v[99:100]
	v_add_co_ci_u32_e32 v5, vcc_lo, s17, v5, vcc_lo
	v_add_co_u32 v6, vcc_lo, s16, v6
	v_add_co_ci_u32_e32 v7, vcc_lo, s17, v7, vcc_lo
	s_delay_alu instid0(VALU_DEP_4)
	v_add_co_u32 v8, vcc_lo, s16, v8
	v_cvt_f16_f32_e32 v10, v10
	v_add_co_ci_u32_e32 v9, vcc_lo, s17, v9, vcc_lo
	s_clause 0x4
	global_store_b16 v[0:1], v13, off
	global_store_b16 v[2:3], v12, off
	;; [unrolled: 1-line block ×5, first 2 shown]
	s_branch .LBB144_7
.LBB144_104:
	s_nop 0
	s_sendmsg sendmsg(MSG_DEALLOC_VGPRS)
	s_endpgm
	.section	.rodata,"a",@progbits
	.p2align	6, 0x0
	.amdhsa_kernel _Z12wvSplitK_hf_I6__halfLi64ELi1ELi16ELi8ELi4ELi5EEviiiiiiPKT_S3_S3_PS1_ii
		.amdhsa_group_segment_fixed_size 65536
		.amdhsa_private_segment_fixed_size 0
		.amdhsa_kernarg_size 64
		.amdhsa_user_sgpr_count 15
		.amdhsa_user_sgpr_dispatch_ptr 0
		.amdhsa_user_sgpr_queue_ptr 0
		.amdhsa_user_sgpr_kernarg_segment_ptr 1
		.amdhsa_user_sgpr_dispatch_id 0
		.amdhsa_user_sgpr_private_segment_size 0
		.amdhsa_wavefront_size32 1
		.amdhsa_uses_dynamic_stack 0
		.amdhsa_enable_private_segment 0
		.amdhsa_system_sgpr_workgroup_id_x 1
		.amdhsa_system_sgpr_workgroup_id_y 0
		.amdhsa_system_sgpr_workgroup_id_z 0
		.amdhsa_system_sgpr_workgroup_info 0
		.amdhsa_system_vgpr_workitem_id 1
		.amdhsa_next_free_vgpr 127
		.amdhsa_next_free_sgpr 35
		.amdhsa_reserve_vcc 1
		.amdhsa_float_round_mode_32 0
		.amdhsa_float_round_mode_16_64 0
		.amdhsa_float_denorm_mode_32 3
		.amdhsa_float_denorm_mode_16_64 3
		.amdhsa_dx10_clamp 1
		.amdhsa_ieee_mode 1
		.amdhsa_fp16_overflow 0
		.amdhsa_workgroup_processor_mode 1
		.amdhsa_memory_ordered 1
		.amdhsa_forward_progress 0
		.amdhsa_shared_vgpr_count 0
		.amdhsa_exception_fp_ieee_invalid_op 0
		.amdhsa_exception_fp_denorm_src 0
		.amdhsa_exception_fp_ieee_div_zero 0
		.amdhsa_exception_fp_ieee_overflow 0
		.amdhsa_exception_fp_ieee_underflow 0
		.amdhsa_exception_fp_ieee_inexact 0
		.amdhsa_exception_int_div_zero 0
	.end_amdhsa_kernel
	.section	.text._Z12wvSplitK_hf_I6__halfLi64ELi1ELi16ELi8ELi4ELi5EEviiiiiiPKT_S3_S3_PS1_ii,"axG",@progbits,_Z12wvSplitK_hf_I6__halfLi64ELi1ELi16ELi8ELi4ELi5EEviiiiiiPKT_S3_S3_PS1_ii,comdat
.Lfunc_end144:
	.size	_Z12wvSplitK_hf_I6__halfLi64ELi1ELi16ELi8ELi4ELi5EEviiiiiiPKT_S3_S3_PS1_ii, .Lfunc_end144-_Z12wvSplitK_hf_I6__halfLi64ELi1ELi16ELi8ELi4ELi5EEviiiiiiPKT_S3_S3_PS1_ii
                                        ; -- End function
	.section	.AMDGPU.csdata,"",@progbits
; Kernel info:
; codeLenInByte = 6672
; NumSgprs: 37
; NumVgprs: 127
; ScratchSize: 0
; MemoryBound: 0
; FloatMode: 240
; IeeeMode: 1
; LDSByteSize: 65536 bytes/workgroup (compile time only)
; SGPRBlocks: 4
; VGPRBlocks: 15
; NumSGPRsForWavesPerEU: 37
; NumVGPRsForWavesPerEU: 127
; Occupancy: 10
; WaveLimiterHint : 0
; COMPUTE_PGM_RSRC2:SCRATCH_EN: 0
; COMPUTE_PGM_RSRC2:USER_SGPR: 15
; COMPUTE_PGM_RSRC2:TRAP_HANDLER: 0
; COMPUTE_PGM_RSRC2:TGID_X_EN: 1
; COMPUTE_PGM_RSRC2:TGID_Y_EN: 0
; COMPUTE_PGM_RSRC2:TGID_Z_EN: 0
; COMPUTE_PGM_RSRC2:TIDIG_COMP_CNT: 1
	.section	.text._Z16wvSplitK_hf_big_I6__halfLi64ELi1ELi16ELi8ELi4ELi5EEviiiiiiPKT_S3_S3_PS1_ii,"axG",@progbits,_Z16wvSplitK_hf_big_I6__halfLi64ELi1ELi16ELi8ELi4ELi5EEviiiiiiPKT_S3_S3_PS1_ii,comdat
	.protected	_Z16wvSplitK_hf_big_I6__halfLi64ELi1ELi16ELi8ELi4ELi5EEviiiiiiPKT_S3_S3_PS1_ii ; -- Begin function _Z16wvSplitK_hf_big_I6__halfLi64ELi1ELi16ELi8ELi4ELi5EEviiiiiiPKT_S3_S3_PS1_ii
	.globl	_Z16wvSplitK_hf_big_I6__halfLi64ELi1ELi16ELi8ELi4ELi5EEviiiiiiPKT_S3_S3_PS1_ii
	.p2align	8
	.type	_Z16wvSplitK_hf_big_I6__halfLi64ELi1ELi16ELi8ELi4ELi5EEviiiiiiPKT_S3_S3_PS1_ii,@function
_Z16wvSplitK_hf_big_I6__halfLi64ELi1ELi16ELi8ELi4ELi5EEviiiiiiPKT_S3_S3_PS1_ii: ; @_Z16wvSplitK_hf_big_I6__halfLi64ELi1ELi16ELi8ELi4ELi5EEviiiiiiPKT_S3_S3_PS1_ii
; %bb.0:
	s_load_b64 s[20:21], s[0:1], 0x38
	v_bfe_u32 v1, v0, 10, 10
	s_mov_b32 s2, exec_lo
	s_waitcnt lgkmcnt(0)
	s_delay_alu instid0(VALU_DEP_1)
	v_cmpx_gt_u32_e64 s20, v1
	s_cbranch_execz .LBB145_38
; %bb.1:
	s_load_b128 s[16:19], s[0:1], 0x0
	v_mad_u64_u32 v[93:94], null, s15, s20, v[1:2]
	v_mov_b32_e32 v100, 1
	s_delay_alu instid0(VALU_DEP_2) | instskip(SKIP_2) | instid1(VALU_DEP_2)
	v_add_nc_u32_e32 v2, 1, v93
	s_waitcnt lgkmcnt(0)
	v_cmp_gt_u32_e32 vcc_lo, s19, v93
	v_cmp_le_u32_e64 s2, s19, v2
	s_delay_alu instid0(VALU_DEP_1) | instskip(NEXT) | instid1(SALU_CYCLE_1)
	s_and_b32 s3, vcc_lo, s2
	s_and_saveexec_b32 s2, s3
; %bb.2:
	v_subrev_nc_u32_e32 v2, s19, v93
	s_add_i32 s3, s19, -1
	s_delay_alu instid0(SALU_CYCLE_1) | instskip(NEXT) | instid1(VALU_DEP_2)
	v_mov_b32_e32 v93, s3
	v_cmp_eq_u32_e32 vcc_lo, -1, v2
	v_cndmask_b32_e64 v100, 0, 1, vcc_lo
; %bb.3:
	s_or_b32 exec_lo, exec_lo, s2
	s_abs_i32 s2, s20
	s_abs_i32 s5, s19
	v_cvt_f32_u32_e32 v2, s2
	s_sub_i32 s4, 0, s2
	s_mov_b32 s14, 0
	s_delay_alu instid0(VALU_DEP_1) | instskip(SKIP_2) | instid1(VALU_DEP_1)
	v_rcp_iflag_f32_e32 v2, v2
	s_waitcnt_depctr 0xfff
	v_mul_f32_e32 v2, 0x4f7ffffe, v2
	v_cvt_u32_f32_e32 v2, v2
	s_delay_alu instid0(VALU_DEP_1) | instskip(NEXT) | instid1(VALU_DEP_1)
	v_readfirstlane_b32 s3, v2
	s_mul_i32 s4, s4, s3
	s_delay_alu instid0(SALU_CYCLE_1) | instskip(NEXT) | instid1(SALU_CYCLE_1)
	s_mul_hi_u32 s4, s3, s4
	s_add_i32 s3, s3, s4
	s_ashr_i32 s4, s19, 31
	s_mul_hi_u32 s3, s5, s3
	s_delay_alu instid0(SALU_CYCLE_1) | instskip(NEXT) | instid1(SALU_CYCLE_1)
	s_mul_i32 s3, s3, s2
	s_sub_i32 s3, s5, s3
	s_delay_alu instid0(SALU_CYCLE_1) | instskip(SKIP_2) | instid1(SALU_CYCLE_1)
	s_sub_i32 s5, s3, s2
	s_cmp_ge_u32 s3, s2
	s_cselect_b32 s3, s5, s3
	s_sub_i32 s5, s3, s2
	s_cmp_ge_u32 s3, s2
	s_cselect_b32 s2, s5, s3
	s_add_i32 s3, s20, s19
	s_xor_b32 s2, s2, s4
	s_delay_alu instid0(SALU_CYCLE_1) | instskip(NEXT) | instid1(SALU_CYCLE_1)
	s_sub_i32 s2, s2, s4
	s_sub_i32 s3, s3, s2
	s_cmp_eq_u32 s2, 0
	s_cselect_b32 s3, s19, s3
	s_delay_alu instid0(SALU_CYCLE_1)
	v_cmp_gt_u32_e32 vcc_lo, s3, v93
	s_and_b32 exec_lo, exec_lo, vcc_lo
	s_cbranch_execz .LBB145_38
; %bb.4:
	s_load_b256 s[4:11], s[0:1], 0x10
	s_min_u32 s15, s18, 0x1800
	s_cmp_lg_u32 s16, 0
	v_and_b32_e32 v0, 0x3ff, v0
	s_cselect_b32 s22, -1, 0
	s_cmp_lg_u32 s18, 0
	s_load_b64 s[12:13], s[0:1], 0x30
	s_cselect_b32 s23, -1, 0
	s_lshl_b32 s24, s20, 9
	s_add_i32 s25, s16, -8
	s_add_i32 s26, s19, -1
	v_lshlrev_b32_e32 v102, 3, v0
	v_mov_b32_e32 v96, 0
	v_mbcnt_lo_u32_b32 v101, -1, 0
	s_delay_alu instid0(VALU_DEP_3)
	v_lshl_add_u32 v97, v1, 9, v102
	s_waitcnt lgkmcnt(0)
	s_cmp_lg_u64 s[10:11], 0
	v_cvt_f32_u32_e32 v3, s4
	s_cselect_b32 s27, -1, 0
	s_abs_i32 s2, s5
	s_mul_i32 s5, s21, s20
	v_cvt_f32_u32_e32 v2, s2
	s_sub_i32 s29, 0, s2
	s_sub_i32 s28, s5, s19
	;; [unrolled: 1-line block ×3, first 2 shown]
	s_add_i32 s28, s28, 2
	v_rcp_iflag_f32_e32 v2, v2
	s_sub_i32 s30, 1, s2
	v_mad_u64_u32 v[98:99], null, s18, 3, v[97:98]
	v_lshl_add_u32 v104, s18, 1, v97
	v_lshl_add_u32 v99, s18, 2, v97
	s_mul_i32 s21, s15, 6
	s_waitcnt_depctr 0xfff
	v_dual_mul_f32 v2, 0x4f7ffffe, v2 :: v_dual_add_nc_u32 v105, s18, v97
	s_delay_alu instid0(VALU_DEP_1) | instskip(NEXT) | instid1(VALU_DEP_1)
	v_cvt_u32_f32_e32 v2, v2
	v_readfirstlane_b32 s0, v2
	v_rcp_iflag_f32_e32 v2, v3
	s_delay_alu instid0(VALU_DEP_1) | instskip(NEXT) | instid1(SALU_CYCLE_1)
	s_mul_i32 s29, s29, s0
	s_mul_hi_u32 s29, s0, s29
	s_delay_alu instid0(SALU_CYCLE_1)
	s_add_i32 s29, s0, s29
	s_cmp_lt_u32 s2, 2
	s_waitcnt_depctr 0xfff
	v_mul_f32_e32 v2, 0x4f7ffffe, v2
	s_cselect_b32 s30, s30, 1
	v_cmp_eq_u32_e64 s0, 63, v0
	s_sub_i32 s31, s30, s2
	s_cmp_ge_u32 s30, s2
	v_cvt_u32_f32_e32 v2, v2
	s_cselect_b32 s30, s31, s30
	s_lshr_b32 s31, s29, 31
	v_lshlrev_b32_e32 v0, 4, v0
	s_mul_i32 s31, s31, s2
	v_mul_lo_u32 v3, s1, v2
	s_sub_i32 s31, 2, s31
	s_delay_alu instid0(SALU_CYCLE_1)
	s_sub_i32 s33, s31, s2
	s_cmp_ge_u32 s31, s2
	v_lshl_add_u32 v103, v1, 10, v0
	s_cselect_b32 s1, s33, s31
	s_mul_hi_u32 s31, s29, 3
	s_sub_i32 s33, s1, s2
	s_cmp_ge_u32 s1, s2
	s_mul_i32 s31, s31, s2
	s_cselect_b32 s1, s33, s1
	s_sub_i32 s31, 3, s31
	v_mul_hi_u32 v0, v2, v3
	s_sub_i32 s33, s31, s2
	s_cmp_ge_u32 s31, s2
	s_cselect_b32 s31, s33, s31
	s_delay_alu instid0(SALU_CYCLE_1) | instskip(SKIP_1) | instid1(VALU_DEP_1)
	s_sub_i32 s33, s31, s2
	s_cmp_ge_u32 s31, s2
	v_add_nc_u32_e32 v106, v2, v0
	s_cselect_b32 s31, s33, s31
	s_lshr_b32 s29, s29, 30
	s_mul_i32 s31, s31, s4
	s_mul_i32 s29, s29, s2
	s_delay_alu instid0(SALU_CYCLE_1)
	s_sub_i32 s33, 4, s29
	s_mul_i32 s29, s30, s4
	s_sub_i32 s34, s33, s2
	s_cmp_ge_u32 s33, s2
	s_mul_i32 s30, s1, s4
	s_cselect_b32 s33, s34, s33
	s_delay_alu instid0(SALU_CYCLE_1)
	s_sub_i32 s1, s33, s2
	s_cmp_ge_u32 s33, s2
	s_cselect_b32 s35, s1, s33
	s_lshl_b32 s33, s15, 3
	s_lshl_b32 s20, s20, 10
	;; [unrolled: 1-line block ×3, first 2 shown]
	s_mul_i32 s35, s35, s4
	s_lshl_b32 s36, s15, 1
	s_branch .LBB145_7
.LBB145_5:                              ;   in Loop: Header=BB145_7 Depth=1
	s_or_b32 exec_lo, exec_lo, s1
.LBB145_6:                              ;   in Loop: Header=BB145_7 Depth=1
	s_delay_alu instid0(SALU_CYCLE_1) | instskip(NEXT) | instid1(VALU_DEP_1)
	s_or_b32 exec_lo, exec_lo, s2
	v_cmp_le_u32_e32 vcc_lo, s3, v0
	v_mov_b32_e32 v93, v0
	s_or_b32 s14, vcc_lo, s14
	s_delay_alu instid0(SALU_CYCLE_1)
	s_and_not1_b32 exec_lo, exec_lo, s14
	s_cbranch_execz .LBB145_38
.LBB145_7:                              ; =>This Loop Header: Depth=1
                                        ;     Child Loop BB145_14 Depth 2
                                        ;       Child Loop BB145_19 Depth 3
	v_mov_b32_e32 v110, v96
	v_mov_b32_e32 v109, v96
	;; [unrolled: 1-line block ×5, first 2 shown]
	s_and_not1_b32 vcc_lo, exec_lo, s22
	s_mov_b32 s37, 0
	s_cbranch_vccnz .LBB145_28
; %bb.8:                                ;   in Loop: Header=BB145_7 Depth=1
	v_min_u32_e32 v0, s26, v93
	v_cmp_gt_u32_e64 s1, s19, v93
	v_dual_mov_b32 v94, 0 :: v_dual_mov_b32 v107, 0
	v_dual_mov_b32 v108, 0 :: v_dual_mov_b32 v109, 0
	s_delay_alu instid0(VALU_DEP_4) | instskip(SKIP_2) | instid1(VALU_DEP_2)
	v_mul_lo_u32 v95, v0, s17
	v_mov_b32_e32 v110, 0
	s_mov_b32 s38, 0
	v_lshlrev_b64 v[0:1], 1, v[95:96]
	s_delay_alu instid0(VALU_DEP_1) | instskip(NEXT) | instid1(VALU_DEP_2)
	v_add_co_u32 v111, vcc_lo, s6, v0
	v_add_co_ci_u32_e32 v112, vcc_lo, s7, v1, vcc_lo
	s_branch .LBB145_14
.LBB145_9:                              ;   in Loop: Header=BB145_14 Depth=2
	s_or_b32 exec_lo, exec_lo, s42
.LBB145_10:                             ;   in Loop: Header=BB145_14 Depth=2
	s_delay_alu instid0(SALU_CYCLE_1)
	s_or_b32 exec_lo, exec_lo, s41
.LBB145_11:                             ;   in Loop: Header=BB145_14 Depth=2
	s_delay_alu instid0(SALU_CYCLE_1)
	s_or_b32 exec_lo, exec_lo, s40
.LBB145_12:                             ;   in Loop: Header=BB145_14 Depth=2
	s_delay_alu instid0(SALU_CYCLE_1)
	s_or_b32 exec_lo, exec_lo, s39
	s_waitcnt vmcnt(3) lgkmcnt(4)
	;;#ASMSTART
	v_dot2_f32_f16 v110, v72, v36, v110
	;;#ASMEND
	s_waitcnt lgkmcnt(3)
	;;#ASMSTART
	v_dot2_f32_f16 v109, v64, v36, v109
	;;#ASMEND
	s_waitcnt lgkmcnt(2)
	;; [unrolled: 4-line block ×4, first 2 shown]
	;;#ASMSTART
	v_dot2_f32_f16 v94, v80, v36, v94
	;;#ASMEND
	;;#ASMSTART
	v_dot2_f32_f16 v110, v73, v37, v110
	;;#ASMEND
	;;#ASMSTART
	v_dot2_f32_f16 v109, v65, v37, v109
	;;#ASMEND
	;;#ASMSTART
	v_dot2_f32_f16 v108, v69, v37, v108
	;;#ASMEND
	;;#ASMSTART
	v_dot2_f32_f16 v107, v77, v37, v107
	;;#ASMEND
	;;#ASMSTART
	v_dot2_f32_f16 v94, v81, v37, v94
	;;#ASMEND
	;;#ASMSTART
	v_dot2_f32_f16 v110, v74, v38, v110
	;;#ASMEND
	;;#ASMSTART
	v_dot2_f32_f16 v109, v66, v38, v109
	;;#ASMEND
	;;#ASMSTART
	v_dot2_f32_f16 v108, v70, v38, v108
	;;#ASMEND
	;;#ASMSTART
	v_dot2_f32_f16 v107, v78, v38, v107
	;;#ASMEND
	;;#ASMSTART
	v_dot2_f32_f16 v94, v82, v38, v94
	;;#ASMEND
	;;#ASMSTART
	v_dot2_f32_f16 v110, v75, v39, v110
	;;#ASMEND
	;;#ASMSTART
	v_dot2_f32_f16 v109, v67, v39, v109
	;;#ASMEND
	;;#ASMSTART
	v_dot2_f32_f16 v108, v71, v39, v108
	;;#ASMEND
	;;#ASMSTART
	v_dot2_f32_f16 v107, v79, v39, v107
	;;#ASMEND
	;;#ASMSTART
	v_dot2_f32_f16 v94, v83, v39, v94
	;;#ASMEND
	s_waitcnt vmcnt(2)
	;;#ASMSTART
	v_dot2_f32_f16 v110, v60, v12, v110
	;;#ASMEND
	;;#ASMSTART
	v_dot2_f32_f16 v109, v56, v12, v109
	;;#ASMEND
	;;#ASMSTART
	v_dot2_f32_f16 v108, v52, v12, v108
	;;#ASMEND
	;;#ASMSTART
	v_dot2_f32_f16 v107, v48, v12, v107
	;;#ASMEND
	;;#ASMSTART
	v_dot2_f32_f16 v94, v114, v12, v94
	;;#ASMEND
	;;#ASMSTART
	v_dot2_f32_f16 v110, v61, v13, v110
	;;#ASMEND
	;;#ASMSTART
	v_dot2_f32_f16 v109, v57, v13, v109
	;;#ASMEND
	;;#ASMSTART
	v_dot2_f32_f16 v108, v53, v13, v108
	;;#ASMEND
	;;#ASMSTART
	v_dot2_f32_f16 v107, v49, v13, v107
	;;#ASMEND
	;;#ASMSTART
	v_dot2_f32_f16 v94, v90, v13, v94
	;;#ASMEND
	;;#ASMSTART
	v_dot2_f32_f16 v110, v62, v14, v110
	;;#ASMEND
	;;#ASMSTART
	v_dot2_f32_f16 v109, v58, v14, v109
	;;#ASMEND
	;;#ASMSTART
	v_dot2_f32_f16 v108, v54, v14, v108
	;;#ASMEND
	;;#ASMSTART
	v_dot2_f32_f16 v107, v50, v14, v107
	;;#ASMEND
	;;#ASMSTART
	v_dot2_f32_f16 v94, v91, v14, v94
	;;#ASMEND
	;;#ASMSTART
	v_dot2_f32_f16 v110, v63, v15, v110
	;;#ASMEND
	;;#ASMSTART
	v_dot2_f32_f16 v109, v59, v15, v109
	;;#ASMEND
	;;#ASMSTART
	v_dot2_f32_f16 v108, v55, v15, v108
	;;#ASMEND
	;;#ASMSTART
	v_dot2_f32_f16 v107, v51, v15, v107
	;;#ASMEND
	;;#ASMSTART
	v_dot2_f32_f16 v94, v92, v15, v94
	;;#ASMEND
	s_waitcnt vmcnt(1)
	;;#ASMSTART
	v_dot2_f32_f16 v110, v44, v4, v110
	;;#ASMEND
	;;#ASMSTART
	v_dot2_f32_f16 v109, v40, v4, v109
	;;#ASMEND
	;;#ASMSTART
	v_dot2_f32_f16 v108, v32, v4, v108
	;;#ASMEND
	;;#ASMSTART
	v_dot2_f32_f16 v107, v24, v4, v107
	;;#ASMEND
	;; [unrolled: 61-line block ×3, first 2 shown]
	;;#ASMSTART
	v_dot2_f32_f16 v94, v95, v0, v94
	;;#ASMEND
	;;#ASMSTART
	v_dot2_f32_f16 v110, v29, v1, v110
	;;#ASMEND
	;;#ASMSTART
	v_dot2_f32_f16 v109, v21, v1, v109
	;;#ASMEND
	;;#ASMSTART
	v_dot2_f32_f16 v108, v17, v1, v108
	;;#ASMEND
	;;#ASMSTART
	v_dot2_f32_f16 v107, v9, v1, v107
	;;#ASMEND
	;;#ASMSTART
	v_dot2_f32_f16 v94, v84, v1, v94
	;;#ASMEND
	;;#ASMSTART
	v_dot2_f32_f16 v110, v30, v2, v110
	;;#ASMEND
	;;#ASMSTART
	v_dot2_f32_f16 v109, v22, v2, v109
	;;#ASMEND
	;;#ASMSTART
	v_dot2_f32_f16 v108, v18, v2, v108
	;;#ASMEND
	;;#ASMSTART
	v_dot2_f32_f16 v107, v10, v2, v107
	;;#ASMEND
	;;#ASMSTART
	v_dot2_f32_f16 v94, v85, v2, v94
	;;#ASMEND
	;;#ASMSTART
	v_dot2_f32_f16 v110, v31, v3, v110
	;;#ASMEND
	;;#ASMSTART
	v_dot2_f32_f16 v109, v23, v3, v109
	;;#ASMEND
	;;#ASMSTART
	v_dot2_f32_f16 v108, v19, v3, v108
	;;#ASMEND
	;;#ASMSTART
	v_dot2_f32_f16 v107, v11, v3, v107
	;;#ASMEND
	;;#ASMSTART
	v_dot2_f32_f16 v94, v86, v3, v94
	;;#ASMEND
.LBB145_13:                             ;   in Loop: Header=BB145_14 Depth=2
	s_or_b32 exec_lo, exec_lo, s2
	s_addk_i32 s38, 0x800
	s_delay_alu instid0(SALU_CYCLE_1)
	s_cmp_ge_u32 s38, s16
	s_cbranch_scc1 .LBB145_28
.LBB145_14:                             ;   Parent Loop BB145_7 Depth=1
                                        ; =>  This Loop Header: Depth=2
                                        ;       Child Loop BB145_19 Depth 3
	s_cmp_eq_u32 s38, 0
	s_cselect_b32 s39, -1, 0
	s_add_i32 s2, s37, s15
	s_delay_alu instid0(SALU_CYCLE_1) | instskip(SKIP_1) | instid1(SALU_CYCLE_1)
	s_cmp_eq_u32 s38, s2
	s_cselect_b32 s40, -1, 0
	s_or_b32 s40, s39, s40
	s_delay_alu instid0(SALU_CYCLE_1)
	s_and_not1_b32 vcc_lo, exec_lo, s40
	s_cbranch_vccz .LBB145_16
; %bb.15:                               ;   in Loop: Header=BB145_14 Depth=2
	s_and_saveexec_b32 s2, s1
	s_cbranch_execz .LBB145_13
	s_branch .LBB145_23
.LBB145_16:                             ;   in Loop: Header=BB145_14 Depth=2
	s_and_b32 s39, s39, exec_lo
	s_cselect_b32 s37, s37, s2
	s_and_not1_b32 vcc_lo, exec_lo, s23
	s_waitcnt vmcnt(0)
	s_waitcnt_vscnt null, 0x0
	s_barrier
	buffer_gl0_inv
	s_cbranch_vccnz .LBB145_22
; %bb.17:                               ;   in Loop: Header=BB145_14 Depth=2
	v_dual_mov_b32 v5, v103 :: v_dual_add_nc_u32 v0, s37, v104
	v_add_nc_u32_e32 v1, s37, v98
	v_add_nc_u32_e32 v2, s37, v99
	;; [unrolled: 1-line block ×4, first 2 shown]
	s_mov_b32 s39, 0
	s_mov_b32 s40, 0
                                        ; implicit-def: $sgpr41
	s_branch .LBB145_19
.LBB145_18:                             ;   in Loop: Header=BB145_19 Depth=3
	s_or_b32 exec_lo, exec_lo, s2
	s_delay_alu instid0(SALU_CYCLE_1) | instskip(NEXT) | instid1(SALU_CYCLE_1)
	s_and_b32 s2, exec_lo, s41
	s_or_b32 s39, s2, s39
	s_delay_alu instid0(SALU_CYCLE_1)
	s_and_not1_b32 exec_lo, exec_lo, s39
	s_cbranch_execz .LBB145_21
.LBB145_19:                             ;   Parent Loop BB145_7 Depth=1
                                        ;     Parent Loop BB145_14 Depth=2
                                        ; =>    This Inner Loop Header: Depth=3
	s_delay_alu instid0(VALU_DEP_1) | instskip(SKIP_2) | instid1(VALU_DEP_2)
	v_add_nc_u32_e32 v95, s40, v4
	v_add_nc_u32_e32 v6, s40, v97
	s_or_b32 s41, s41, exec_lo
	v_cmp_gt_u32_e32 vcc_lo, s18, v95
	s_delay_alu instid0(VALU_DEP_2) | instskip(NEXT) | instid1(VALU_DEP_1)
	v_cmp_gt_u32_e64 s2, s15, v6
	s_and_b32 s42, s2, vcc_lo
	s_delay_alu instid0(SALU_CYCLE_1)
	s_and_saveexec_b32 s2, s42
	s_cbranch_execz .LBB145_18
; %bb.20:                               ;   in Loop: Header=BB145_19 Depth=3
	v_lshlrev_b64 v[6:7], 1, v[95:96]
	v_add_nc_u32_e32 v95, s40, v3
	v_add_nc_u32_e32 v26, s36, v5
	v_add_nc_u32_e32 v27, s34, v5
	s_delay_alu instid0(VALU_DEP_3) | instskip(SKIP_3) | instid1(VALU_DEP_3)
	v_lshlrev_b64 v[8:9], 1, v[95:96]
	v_add_nc_u32_e32 v95, s40, v0
	v_add_co_u32 v6, vcc_lo, s8, v6
	v_add_co_ci_u32_e32 v7, vcc_lo, s9, v7, vcc_lo
	v_lshlrev_b64 v[10:11], 1, v[95:96]
	v_add_nc_u32_e32 v95, s40, v1
	v_add_co_u32 v12, vcc_lo, s8, v8
	v_add_co_ci_u32_e32 v13, vcc_lo, s9, v9, vcc_lo
	s_delay_alu instid0(VALU_DEP_3) | instskip(SKIP_3) | instid1(VALU_DEP_3)
	v_lshlrev_b64 v[18:19], 1, v[95:96]
	v_add_nc_u32_e32 v95, s40, v2
	v_add_co_u32 v14, vcc_lo, s8, v10
	v_add_co_ci_u32_e32 v15, vcc_lo, s9, v11, vcc_lo
	v_lshlrev_b64 v[20:21], 1, v[95:96]
	v_add_co_u32 v18, vcc_lo, s8, v18
	v_add_co_ci_u32_e32 v19, vcc_lo, s9, v19, vcc_lo
	s_clause 0x2
	global_load_b128 v[6:9], v[6:7], off
	global_load_b128 v[10:13], v[12:13], off
	;; [unrolled: 1-line block ×3, first 2 shown]
	v_add_co_u32 v22, vcc_lo, s8, v20
	v_add_co_ci_u32_e32 v23, vcc_lo, s9, v21, vcc_lo
	s_clause 0x1
	global_load_b128 v[18:21], v[18:19], off
	global_load_b128 v[22:25], v[22:23], off
	s_add_i32 s40, s40, s24
	s_waitcnt vmcnt(4)
	ds_store_b128 v5, v[6:9]
	s_waitcnt vmcnt(3)
	ds_store_2addr_b64 v26, v[10:11], v[12:13] offset1:1
	s_waitcnt vmcnt(2)
	ds_store_2addr_b32 v27, v14, v15 offset1:1
	ds_store_2addr_b32 v27, v16, v17 offset0:2 offset1:3
	s_cmp_ge_u32 s40, s15
	v_add_nc_u32_e32 v6, s21, v5
	s_cselect_b32 s42, -1, 0
	v_add_nc_u32_e32 v7, s33, v5
	v_add_nc_u32_e32 v5, s20, v5
	s_and_not1_b32 s41, s41, exec_lo
	s_and_b32 s42, s42, exec_lo
	s_waitcnt vmcnt(1)
	ds_store_2addr_b64 v6, v[18:19], v[20:21] offset1:1
	s_or_b32 s41, s41, s42
	s_waitcnt vmcnt(0)
	ds_store_2addr_b64 v7, v[22:23], v[24:25] offset1:1
	s_branch .LBB145_18
.LBB145_21:                             ;   in Loop: Header=BB145_14 Depth=2
	s_or_b32 exec_lo, exec_lo, s39
.LBB145_22:                             ;   in Loop: Header=BB145_14 Depth=2
	s_waitcnt lgkmcnt(0)
	s_barrier
	buffer_gl0_inv
	s_and_saveexec_b32 s2, s1
	s_cbranch_execz .LBB145_13
.LBB145_23:                             ;   in Loop: Header=BB145_14 Depth=2
	v_dual_mov_b32 v73, 0 :: v_dual_add_nc_u32 v118, s38, v102
	v_dual_mov_b32 v60, 0 :: v_dual_mov_b32 v61, 0
	v_dual_mov_b32 v62, 0 :: v_dual_mov_b32 v63, 0
	s_delay_alu instid0(VALU_DEP_3) | instskip(SKIP_2) | instid1(VALU_DEP_3)
	v_min_u32_e32 v95, s25, v118
	v_dual_mov_b32 v72, 0 :: v_dual_add_nc_u32 v117, 0x200, v118
	v_dual_mov_b32 v75, 0 :: v_dual_add_nc_u32 v116, 0x400, v118
	v_lshlrev_b64 v[0:1], 1, v[95:96]
	s_delay_alu instid0(VALU_DEP_3) | instskip(SKIP_2) | instid1(VALU_DEP_3)
	v_min_u32_e32 v95, s25, v117
	v_dual_mov_b32 v74, 0 :: v_dual_add_nc_u32 v115, 0x600, v118
	v_dual_mov_b32 v44, 0 :: v_dual_mov_b32 v45, 0
	v_lshlrev_b64 v[2:3], 1, v[95:96]
	v_min_u32_e32 v95, s25, v116
	v_add_co_u32 v0, vcc_lo, v111, v0
	v_add_co_ci_u32_e32 v1, vcc_lo, v112, v1, vcc_lo
	s_delay_alu instid0(VALU_DEP_3) | instskip(SKIP_3) | instid1(VALU_DEP_3)
	v_lshlrev_b64 v[4:5], 1, v[95:96]
	v_min_u32_e32 v95, s25, v115
	v_add_co_u32 v2, vcc_lo, v111, v2
	v_add_co_ci_u32_e32 v3, vcc_lo, v112, v3, vcc_lo
	v_lshlrev_b64 v[6:7], 1, v[95:96]
	v_add_co_u32 v4, vcc_lo, v111, v4
	v_add_co_ci_u32_e32 v5, vcc_lo, v112, v5, vcc_lo
	v_dual_mov_b32 v46, 0 :: v_dual_mov_b32 v47, 0
	s_delay_alu instid0(VALU_DEP_4)
	v_add_co_u32 v8, vcc_lo, v111, v6
	v_add_co_ci_u32_e32 v9, vcc_lo, v112, v7, vcc_lo
	s_clause 0x3
	global_load_b128 v[36:39], v[0:1], off slc dlc
	global_load_b128 v[12:15], v[2:3], off slc dlc
	global_load_b128 v[4:7], v[4:5], off slc dlc
	global_load_b128 v[0:3], v[8:9], off slc dlc
	v_cmp_gt_u32_e32 vcc_lo, s16, v118
	v_dual_mov_b32 v28, 0 :: v_dual_mov_b32 v29, 0
	v_dual_mov_b32 v30, 0 :: v_dual_mov_b32 v31, 0
	;; [unrolled: 1-line block ×25, first 2 shown]
	s_waitcnt vmcnt(4)
	v_dual_mov_b32 v10, 0 :: v_dual_mov_b32 v11, 0
	v_dual_mov_b32 v80, 0 :: v_dual_mov_b32 v81, 0
	;; [unrolled: 1-line block ×9, first 2 shown]
	s_and_saveexec_b32 s39, vcc_lo
	s_cbranch_execz .LBB145_12
; %bb.24:                               ;   in Loop: Header=BB145_14 Depth=2
	v_subrev_nc_u32_e32 v8, s37, v118
	v_cmp_gt_u32_e32 vcc_lo, s16, v117
	v_dual_mov_b32 v86, 0 :: v_dual_mov_b32 v85, 0
	v_dual_mov_b32 v84, 0 :: v_dual_mov_b32 v95, 0
	s_delay_alu instid0(VALU_DEP_4) | instskip(SKIP_1) | instid1(VALU_DEP_2)
	v_dual_mov_b32 v89, 0 :: v_dual_lshlrev_b32 v118, 1, v8
	v_dual_mov_b32 v88, 0 :: v_dual_mov_b32 v87, 0
	v_dual_mov_b32 v92, 0 :: v_dual_add_nc_u32 v119, s36, v118
	v_mov_b32_e32 v91, 0
	v_dual_mov_b32 v113, 0 :: v_dual_mov_b32 v90, 0
	v_dual_mov_b32 v114, 0 :: v_dual_mov_b32 v11, 0
	s_delay_alu instid0(VALU_DEP_4) | instskip(SKIP_2) | instid1(VALU_DEP_3)
	v_add_nc_u32_e32 v120, s36, v119
	v_dual_mov_b32 v10, 0 :: v_dual_mov_b32 v9, 0
	v_dual_mov_b32 v8, 0 :: v_dual_mov_b32 v27, 0
	v_dual_mov_b32 v26, 0 :: v_dual_add_nc_u32 v121, s36, v120
	v_dual_mov_b32 v25, 0 :: v_dual_mov_b32 v24, 0
	v_dual_mov_b32 v50, 0 :: v_dual_mov_b32 v51, 0
	s_delay_alu instid0(VALU_DEP_3)
	v_dual_mov_b32 v48, 0 :: v_dual_add_nc_u32 v117, s36, v121
	ds_load_b128 v[72:75], v118
	ds_load_b128 v[64:67], v119
	;; [unrolled: 1-line block ×5, first 2 shown]
	v_dual_mov_b32 v49, 0 :: v_dual_mov_b32 v18, 0
	v_dual_mov_b32 v19, 0 :: v_dual_mov_b32 v16, 0
	v_dual_mov_b32 v17, 0 :: v_dual_mov_b32 v34, 0
	v_dual_mov_b32 v35, 0 :: v_dual_mov_b32 v32, 0
	v_dual_mov_b32 v33, 0 :: v_dual_mov_b32 v54, 0
	v_dual_mov_b32 v55, 0 :: v_dual_mov_b32 v52, 0
	v_dual_mov_b32 v53, 0 :: v_dual_mov_b32 v22, 0
	v_dual_mov_b32 v23, 0 :: v_dual_mov_b32 v20, 0
	v_dual_mov_b32 v21, 0 :: v_dual_mov_b32 v42, 0
	v_dual_mov_b32 v43, 0 :: v_dual_mov_b32 v40, 0
	v_dual_mov_b32 v41, 0 :: v_dual_mov_b32 v58, 0
	v_dual_mov_b32 v59, 0 :: v_dual_mov_b32 v56, 0
	v_dual_mov_b32 v57, 0 :: v_dual_mov_b32 v30, 0
	v_dual_mov_b32 v31, 0 :: v_dual_mov_b32 v28, 0
	v_dual_mov_b32 v29, 0 :: v_dual_mov_b32 v46, 0
	v_dual_mov_b32 v47, 0 :: v_dual_mov_b32 v44, 0
	v_dual_mov_b32 v45, 0 :: v_dual_mov_b32 v62, 0
	v_dual_mov_b32 v63, 0 :: v_dual_mov_b32 v60, 0
	v_mov_b32_e32 v61, 0
	s_and_saveexec_b32 s40, vcc_lo
	s_cbranch_execz .LBB145_11
; %bb.25:                               ;   in Loop: Header=BB145_14 Depth=2
	ds_load_b128 v[60:63], v118 offset:1024
	ds_load_b128 v[56:59], v119 offset:1024
	;; [unrolled: 1-line block ×4, first 2 shown]
	ds_load_b32 v114, v117 offset:1024
	ds_load_b96 v[90:92], v117 offset:1028
	v_cmp_gt_u32_e32 vcc_lo, s16, v116
	v_dual_mov_b32 v86, 0 :: v_dual_mov_b32 v85, 0
	v_dual_mov_b32 v84, 0 :: v_dual_mov_b32 v95, 0
	;; [unrolled: 1-line block ×19, first 2 shown]
	v_mov_b32_e32 v47, 0
	v_mov_b32_e32 v45, 0
	s_and_saveexec_b32 s41, vcc_lo
	s_cbranch_execz .LBB145_10
; %bb.26:                               ;   in Loop: Header=BB145_14 Depth=2
	ds_load_b128 v[44:47], v118 offset:2048
	ds_load_b128 v[40:43], v119 offset:2048
	;; [unrolled: 1-line block ×4, first 2 shown]
	ds_load_b32 v113, v117 offset:2048
	ds_load_b96 v[87:89], v117 offset:2052
	v_cmp_gt_u32_e32 vcc_lo, s16, v115
	v_dual_mov_b32 v86, 0 :: v_dual_mov_b32 v85, 0
	v_dual_mov_b32 v84, 0 :: v_dual_mov_b32 v95, 0
	;; [unrolled: 1-line block ×10, first 2 shown]
	s_and_saveexec_b32 s42, vcc_lo
	s_cbranch_execz .LBB145_9
; %bb.27:                               ;   in Loop: Header=BB145_14 Depth=2
	ds_load_b128 v[28:31], v118 offset:3072
	ds_load_b128 v[20:23], v119 offset:3072
	;; [unrolled: 1-line block ×4, first 2 shown]
	ds_load_b32 v95, v117 offset:3072
	ds_load_b96 v[84:86], v117 offset:3076
	s_branch .LBB145_9
.LBB145_28:                             ;   in Loop: Header=BB145_7 Depth=1
	s_mov_b32 s1, exec_lo
                                        ; implicit-def: $vgpr0
	v_cmpx_le_u32_e64 s19, v93
	s_xor_b32 s1, exec_lo, s1
; %bb.29:                               ;   in Loop: Header=BB145_7 Depth=1
	v_add_nc_u32_e32 v0, s5, v93
                                        ; implicit-def: $vgpr93
                                        ; implicit-def: $vgpr110
                                        ; implicit-def: $vgpr109
                                        ; implicit-def: $vgpr108
                                        ; implicit-def: $vgpr107
                                        ; implicit-def: $vgpr94
; %bb.30:                               ;   in Loop: Header=BB145_7 Depth=1
	s_and_not1_saveexec_b32 s2, s1
	s_cbranch_execz .LBB145_6
; %bb.31:                               ;   in Loop: Header=BB145_7 Depth=1
	v_xor_b32_e32 v0, 16, v101
	v_cvt_i32_f32_e32 v1, v110
	v_cvt_i32_f32_e32 v3, v108
	;; [unrolled: 1-line block ×4, first 2 shown]
	v_cmp_gt_i32_e32 vcc_lo, 32, v0
	v_cvt_f32_i32_dpp v1, v1 row_shr:8 row_mask:0xf bank_mask:0xf bound_ctrl:1
	v_cvt_i32_f32_e32 v2, v109
	s_delay_alu instid0(VALU_DEP_2) | instskip(NEXT) | instid1(VALU_DEP_2)
	v_dual_cndmask_b32 v0, v101, v0 :: v_dual_add_f32 v1, v110, v1
	v_cvt_f32_i32_dpp v2, v2 row_shr:8 row_mask:0xf bank_mask:0xf bound_ctrl:1
	s_waitcnt vmcnt(0)
	s_delay_alu instid0(VALU_DEP_2) | instskip(SKIP_4) | instid1(VALU_DEP_3)
	v_lshlrev_b32_e32 v10, 2, v0
	v_cvt_f32_i32_dpp v0, v3 row_shr:8 row_mask:0xf bank_mask:0xf bound_ctrl:1
	v_cvt_f32_i32_dpp v3, v4 row_shr:8 row_mask:0xf bank_mask:0xf bound_ctrl:1
	v_cvt_f32_i32_dpp v4, v5 row_shr:8 row_mask:0xf bank_mask:0xf bound_ctrl:1
	v_cvt_i32_f32_e32 v5, v1
	v_add_f32_e32 v3, v107, v3
	s_delay_alu instid0(VALU_DEP_2) | instskip(SKIP_1) | instid1(VALU_DEP_3)
	v_cvt_f32_i32_dpp v5, v5 row_shr:4 row_mask:0xf bank_mask:0xf bound_ctrl:1
	v_add_f32_e32 v0, v108, v0
	v_cvt_i32_f32_e32 v8, v3
	s_delay_alu instid0(VALU_DEP_3) | instskip(NEXT) | instid1(VALU_DEP_3)
	v_add_f32_e32 v1, v1, v5
	v_cvt_i32_f32_e32 v7, v0
	s_delay_alu instid0(VALU_DEP_3) | instskip(SKIP_1) | instid1(VALU_DEP_4)
	v_cvt_f32_i32_dpp v8, v8 row_shr:4 row_mask:0xf bank_mask:0xf bound_ctrl:1
	v_add_f32_e32 v2, v109, v2
	v_cvt_i32_f32_e32 v5, v1
	s_delay_alu instid0(VALU_DEP_4) | instskip(NEXT) | instid1(VALU_DEP_4)
	v_cvt_f32_i32_dpp v7, v7 row_shr:4 row_mask:0xf bank_mask:0xf bound_ctrl:1
	v_add_f32_e32 v3, v3, v8
	s_delay_alu instid0(VALU_DEP_4) | instskip(NEXT) | instid1(VALU_DEP_4)
	v_cvt_i32_f32_e32 v6, v2
	v_cvt_f32_i32_dpp v5, v5 row_shr:2 row_mask:0xf bank_mask:0xf bound_ctrl:1
	v_add_f32_e32 v4, v94, v4
	v_add_f32_e32 v0, v0, v7
	v_cvt_i32_f32_e32 v8, v3
	v_cvt_f32_i32_dpp v6, v6 row_shr:4 row_mask:0xf bank_mask:0xf bound_ctrl:1
	v_add_f32_e32 v1, v1, v5
	v_cvt_i32_f32_e32 v9, v4
	v_cvt_i32_f32_e32 v7, v0
	v_cvt_f32_i32_dpp v8, v8 row_shr:2 row_mask:0xf bank_mask:0xf bound_ctrl:1
	v_add_f32_e32 v2, v2, v6
	s_delay_alu instid0(VALU_DEP_4) | instskip(NEXT) | instid1(VALU_DEP_4)
	v_cvt_f32_i32_dpp v9, v9 row_shr:4 row_mask:0xf bank_mask:0xf bound_ctrl:1
	v_cvt_f32_i32_dpp v7, v7 row_shr:2 row_mask:0xf bank_mask:0xf bound_ctrl:1
	s_delay_alu instid0(VALU_DEP_4) | instskip(NEXT) | instid1(VALU_DEP_4)
	v_add_f32_e32 v5, v3, v8
	v_cvt_i32_f32_e32 v6, v2
	v_cvt_i32_f32_e32 v3, v1
	v_add_f32_e32 v4, v4, v9
	v_add_f32_e32 v0, v0, v7
	v_cvt_i32_f32_e32 v8, v5
	v_cvt_f32_i32_dpp v6, v6 row_shr:2 row_mask:0xf bank_mask:0xf bound_ctrl:1
	v_cvt_f32_i32_dpp v3, v3 row_shr:1 row_mask:0xf bank_mask:0xf bound_ctrl:1
	v_cvt_i32_f32_e32 v9, v4
	v_cvt_i32_f32_e32 v7, v0
	v_cvt_f32_i32_dpp v11, v8 row_shr:1 row_mask:0xf bank_mask:0xf bound_ctrl:1
	s_delay_alu instid0(VALU_DEP_4) | instskip(NEXT) | instid1(VALU_DEP_4)
	v_add_f32_e32 v8, v1, v3
	v_cvt_f32_i32_dpp v9, v9 row_shr:2 row_mask:0xf bank_mask:0xf bound_ctrl:1
	s_delay_alu instid0(VALU_DEP_4) | instskip(SKIP_1) | instid1(VALU_DEP_3)
	v_cvt_f32_i32_dpp v7, v7 row_shr:1 row_mask:0xf bank_mask:0xf bound_ctrl:1
	v_add_f32_e32 v2, v2, v6
	v_add_f32_e32 v6, v4, v9
	s_delay_alu instid0(VALU_DEP_3) | instskip(NEXT) | instid1(VALU_DEP_3)
	v_add_f32_e32 v3, v0, v7
	v_cvt_i32_f32_e32 v4, v2
	s_delay_alu instid0(VALU_DEP_3) | instskip(NEXT) | instid1(VALU_DEP_2)
	v_cvt_i32_f32_e32 v9, v6
	v_cvt_f32_i32_dpp v4, v4 row_shr:1 row_mask:0xf bank_mask:0xf bound_ctrl:1
	s_delay_alu instid0(VALU_DEP_2) | instskip(NEXT) | instid1(VALU_DEP_2)
	v_cvt_f32_i32_dpp v9, v9 row_shr:1 row_mask:0xf bank_mask:0xf bound_ctrl:1
	v_add_f32_e32 v2, v2, v4
	v_add_f32_e32 v4, v5, v11
	s_delay_alu instid0(VALU_DEP_3)
	v_add_f32_e32 v0, v6, v9
	ds_bpermute_b32 v9, v10, v8
	ds_bpermute_b32 v5, v10, v2
	;; [unrolled: 1-line block ×5, first 2 shown]
	s_and_saveexec_b32 s1, s0
	s_cbranch_execz .LBB145_36
; %bb.32:                               ;   in Loop: Header=BB145_7 Depth=1
	v_dual_mov_b32 v14, 0 :: v_dual_mov_b32 v13, 0
	v_dual_mov_b32 v12, 0 :: v_dual_mov_b32 v11, 0
	v_mov_b32_e32 v10, 0
	s_and_not1_b32 vcc_lo, exec_lo, s27
	s_cbranch_vccnz .LBB145_34
; %bb.33:                               ;   in Loop: Header=BB145_7 Depth=1
	v_mul_hi_u32 v10, v93, v106
	s_delay_alu instid0(VALU_DEP_1) | instskip(NEXT) | instid1(VALU_DEP_1)
	v_mul_lo_u32 v10, v10, s4
	v_sub_nc_u32_e32 v10, v93, v10
	s_delay_alu instid0(VALU_DEP_1) | instskip(SKIP_1) | instid1(VALU_DEP_2)
	v_subrev_nc_u32_e32 v11, s4, v10
	v_cmp_le_u32_e32 vcc_lo, s4, v10
	v_cndmask_b32_e32 v10, v10, v11, vcc_lo
	s_delay_alu instid0(VALU_DEP_1) | instskip(SKIP_1) | instid1(VALU_DEP_2)
	v_subrev_nc_u32_e32 v11, s4, v10
	v_cmp_le_u32_e32 vcc_lo, s4, v10
	v_cndmask_b32_e32 v95, v10, v11, vcc_lo
	v_mov_b32_e32 v11, v96
	v_mov_b32_e32 v13, v96
	s_delay_alu instid0(VALU_DEP_3)
	v_dual_mov_b32 v15, v96 :: v_dual_add_nc_u32 v12, s30, v95
	v_add_nc_u32_e32 v10, s29, v95
	v_lshlrev_b64 v[16:17], 1, v[95:96]
	v_add_nc_u32_e32 v14, s31, v95
	v_add_nc_u32_e32 v95, s35, v95
	v_lshlrev_b64 v[12:13], 1, v[12:13]
	v_lshlrev_b64 v[10:11], 1, v[10:11]
	v_add_co_u32 v16, vcc_lo, s10, v16
	v_add_co_ci_u32_e32 v17, vcc_lo, s11, v17, vcc_lo
	v_lshlrev_b64 v[14:15], 1, v[14:15]
	s_delay_alu instid0(VALU_DEP_4)
	v_add_co_u32 v10, vcc_lo, s10, v10
	v_add_co_ci_u32_e32 v11, vcc_lo, s11, v11, vcc_lo
	v_lshlrev_b64 v[18:19], 1, v[95:96]
	v_add_co_u32 v20, vcc_lo, s10, v12
	v_add_co_ci_u32_e32 v21, vcc_lo, s11, v13, vcc_lo
	v_add_co_u32 v22, vcc_lo, s10, v14
	v_add_co_ci_u32_e32 v23, vcc_lo, s11, v15, vcc_lo
	;; [unrolled: 2-line block ×3, first 2 shown]
	s_clause 0x4
	global_load_u16 v14, v[16:17], off
	global_load_u16 v13, v[10:11], off
	;; [unrolled: 1-line block ×5, first 2 shown]
.LBB145_34:                             ;   in Loop: Header=BB145_7 Depth=1
	v_cmp_ne_u32_e32 vcc_lo, 0, v100
	s_and_b32 exec_lo, exec_lo, vcc_lo
	s_cbranch_execz .LBB145_36
; %bb.35:                               ;   in Loop: Header=BB145_7 Depth=1
	s_waitcnt lgkmcnt(4)
	v_add_f32_e32 v8, v8, v9
	s_waitcnt vmcnt(4)
	v_cvt_f32_f16_e32 v9, v14
	v_dual_mov_b32 v94, v96 :: v_dual_add_nc_u32 v95, s19, v93
	s_waitcnt lgkmcnt(2)
	v_dual_add_f32 v2, v2, v5 :: v_dual_add_f32 v5, v3, v6
	s_waitcnt lgkmcnt(1)
	v_add_f32_e32 v6, v4, v7
	s_waitcnt vmcnt(3)
	v_cvt_f32_f16_e32 v4, v13
	v_add_f32_e32 v3, v8, v9
	s_waitcnt vmcnt(2)
	v_cvt_f32_f16_e32 v7, v12
	s_waitcnt lgkmcnt(0)
	v_add_f32_e32 v8, v0, v1
	v_lshlrev_b64 v[0:1], 1, v[93:94]
	v_add_f32_e32 v4, v2, v4
	v_cvt_f16_f32_e32 v13, v3
	v_add_f32_e32 v7, v5, v7
	v_lshlrev_b64 v[2:3], 1, v[95:96]
	v_add_nc_u32_e32 v95, s19, v95
	v_cvt_f16_f32_e32 v12, v4
	s_waitcnt vmcnt(1)
	v_cvt_f32_f16_e32 v9, v11
	s_waitcnt vmcnt(0)
	v_cvt_f32_f16_e32 v10, v10
	v_add_co_u32 v0, vcc_lo, s12, v0
	v_lshlrev_b64 v[4:5], 1, v[95:96]
	s_delay_alu instid0(VALU_DEP_3) | instskip(SKIP_3) | instid1(VALU_DEP_4)
	v_dual_add_f32 v10, v8, v10 :: v_dual_add_nc_u32 v95, s19, v95
	v_cvt_f16_f32_e32 v11, v7
	v_add_f32_e32 v9, v6, v9
	v_add_co_ci_u32_e32 v1, vcc_lo, s13, v1, vcc_lo
	v_lshlrev_b64 v[6:7], 1, v[95:96]
	v_add_nc_u32_e32 v95, s19, v95
	v_add_co_u32 v2, vcc_lo, s12, v2
	v_add_co_ci_u32_e32 v3, vcc_lo, s13, v3, vcc_lo
	v_add_co_u32 v4, vcc_lo, s12, v4
	v_cvt_f16_f32_e32 v14, v9
	v_lshlrev_b64 v[8:9], 1, v[95:96]
	v_add_co_ci_u32_e32 v5, vcc_lo, s13, v5, vcc_lo
	v_add_co_u32 v6, vcc_lo, s12, v6
	v_add_co_ci_u32_e32 v7, vcc_lo, s13, v7, vcc_lo
	s_delay_alu instid0(VALU_DEP_4)
	v_add_co_u32 v8, vcc_lo, s12, v8
	v_cvt_f16_f32_e32 v10, v10
	v_add_co_ci_u32_e32 v9, vcc_lo, s13, v9, vcc_lo
	s_clause 0x4
	global_store_b16 v[0:1], v13, off
	global_store_b16 v[2:3], v12, off
	;; [unrolled: 1-line block ×5, first 2 shown]
.LBB145_36:                             ;   in Loop: Header=BB145_7 Depth=1
	s_or_b32 exec_lo, exec_lo, s1
	v_add_nc_u32_e32 v0, s5, v93
	s_waitcnt lgkmcnt(0)
	s_delay_alu instid0(VALU_DEP_1) | instskip(SKIP_1) | instid1(VALU_DEP_2)
	v_add_nc_u32_e32 v1, 1, v0
	v_cmp_gt_u32_e32 vcc_lo, s19, v0
	v_cmp_le_u32_e64 s1, s19, v1
	s_delay_alu instid0(VALU_DEP_1) | instskip(NEXT) | instid1(SALU_CYCLE_1)
	s_and_b32 s37, vcc_lo, s1
	s_and_saveexec_b32 s1, s37
	s_cbranch_execz .LBB145_5
; %bb.37:                               ;   in Loop: Header=BB145_7 Depth=1
	v_add_nc_u32_e32 v0, s28, v93
	s_delay_alu instid0(VALU_DEP_1)
	v_cmp_eq_u32_e32 vcc_lo, 1, v0
	v_mov_b32_e32 v0, s26
	v_cndmask_b32_e32 v100, 0, v100, vcc_lo
	s_branch .LBB145_5
.LBB145_38:
	s_nop 0
	s_sendmsg sendmsg(MSG_DEALLOC_VGPRS)
	s_endpgm
	.section	.rodata,"a",@progbits
	.p2align	6, 0x0
	.amdhsa_kernel _Z16wvSplitK_hf_big_I6__halfLi64ELi1ELi16ELi8ELi4ELi5EEviiiiiiPKT_S3_S3_PS1_ii
		.amdhsa_group_segment_fixed_size 65536
		.amdhsa_private_segment_fixed_size 0
		.amdhsa_kernarg_size 64
		.amdhsa_user_sgpr_count 15
		.amdhsa_user_sgpr_dispatch_ptr 0
		.amdhsa_user_sgpr_queue_ptr 0
		.amdhsa_user_sgpr_kernarg_segment_ptr 1
		.amdhsa_user_sgpr_dispatch_id 0
		.amdhsa_user_sgpr_private_segment_size 0
		.amdhsa_wavefront_size32 1
		.amdhsa_uses_dynamic_stack 0
		.amdhsa_enable_private_segment 0
		.amdhsa_system_sgpr_workgroup_id_x 1
		.amdhsa_system_sgpr_workgroup_id_y 0
		.amdhsa_system_sgpr_workgroup_id_z 0
		.amdhsa_system_sgpr_workgroup_info 0
		.amdhsa_system_vgpr_workitem_id 1
		.amdhsa_next_free_vgpr 122
		.amdhsa_next_free_sgpr 43
		.amdhsa_reserve_vcc 1
		.amdhsa_float_round_mode_32 0
		.amdhsa_float_round_mode_16_64 0
		.amdhsa_float_denorm_mode_32 3
		.amdhsa_float_denorm_mode_16_64 3
		.amdhsa_dx10_clamp 1
		.amdhsa_ieee_mode 1
		.amdhsa_fp16_overflow 0
		.amdhsa_workgroup_processor_mode 1
		.amdhsa_memory_ordered 1
		.amdhsa_forward_progress 0
		.amdhsa_shared_vgpr_count 0
		.amdhsa_exception_fp_ieee_invalid_op 0
		.amdhsa_exception_fp_denorm_src 0
		.amdhsa_exception_fp_ieee_div_zero 0
		.amdhsa_exception_fp_ieee_overflow 0
		.amdhsa_exception_fp_ieee_underflow 0
		.amdhsa_exception_fp_ieee_inexact 0
		.amdhsa_exception_int_div_zero 0
	.end_amdhsa_kernel
	.section	.text._Z16wvSplitK_hf_big_I6__halfLi64ELi1ELi16ELi8ELi4ELi5EEviiiiiiPKT_S3_S3_PS1_ii,"axG",@progbits,_Z16wvSplitK_hf_big_I6__halfLi64ELi1ELi16ELi8ELi4ELi5EEviiiiiiPKT_S3_S3_PS1_ii,comdat
.Lfunc_end145:
	.size	_Z16wvSplitK_hf_big_I6__halfLi64ELi1ELi16ELi8ELi4ELi5EEviiiiiiPKT_S3_S3_PS1_ii, .Lfunc_end145-_Z16wvSplitK_hf_big_I6__halfLi64ELi1ELi16ELi8ELi4ELi5EEviiiiiiPKT_S3_S3_PS1_ii
                                        ; -- End function
	.section	.AMDGPU.csdata,"",@progbits
; Kernel info:
; codeLenInByte = 5460
; NumSgprs: 45
; NumVgprs: 122
; ScratchSize: 0
; MemoryBound: 0
; FloatMode: 240
; IeeeMode: 1
; LDSByteSize: 65536 bytes/workgroup (compile time only)
; SGPRBlocks: 5
; VGPRBlocks: 15
; NumSGPRsForWavesPerEU: 45
; NumVGPRsForWavesPerEU: 122
; Occupancy: 10
; WaveLimiterHint : 0
; COMPUTE_PGM_RSRC2:SCRATCH_EN: 0
; COMPUTE_PGM_RSRC2:USER_SGPR: 15
; COMPUTE_PGM_RSRC2:TRAP_HANDLER: 0
; COMPUTE_PGM_RSRC2:TGID_X_EN: 1
; COMPUTE_PGM_RSRC2:TGID_Y_EN: 0
; COMPUTE_PGM_RSRC2:TGID_Z_EN: 0
; COMPUTE_PGM_RSRC2:TIDIG_COMP_CNT: 1
	.section	.text._Z16wvSplitK_hf_sml_I6__halfLi64ELi2ELi16ELi8ELi2ELi5EEviiiiiiPKT_S3_S3_PS1_ii,"axG",@progbits,_Z16wvSplitK_hf_sml_I6__halfLi64ELi2ELi16ELi8ELi2ELi5EEviiiiiiPKT_S3_S3_PS1_ii,comdat
	.protected	_Z16wvSplitK_hf_sml_I6__halfLi64ELi2ELi16ELi8ELi2ELi5EEviiiiiiPKT_S3_S3_PS1_ii ; -- Begin function _Z16wvSplitK_hf_sml_I6__halfLi64ELi2ELi16ELi8ELi2ELi5EEviiiiiiPKT_S3_S3_PS1_ii
	.globl	_Z16wvSplitK_hf_sml_I6__halfLi64ELi2ELi16ELi8ELi2ELi5EEviiiiiiPKT_S3_S3_PS1_ii
	.p2align	8
	.type	_Z16wvSplitK_hf_sml_I6__halfLi64ELi2ELi16ELi8ELi2ELi5EEviiiiiiPKT_S3_S3_PS1_ii,@function
_Z16wvSplitK_hf_sml_I6__halfLi64ELi2ELi16ELi8ELi2ELi5EEviiiiiiPKT_S3_S3_PS1_ii: ; @_Z16wvSplitK_hf_sml_I6__halfLi64ELi2ELi16ELi8ELi2ELi5EEviiiiiiPKT_S3_S3_PS1_ii
; %bb.0:
	s_clause 0x2
	s_load_b128 s[4:7], s[0:1], 0x0
	s_load_b64 s[8:9], s[0:1], 0x10
	s_load_b64 s[10:11], s[0:1], 0x28
	v_and_b32_e32 v2, 0x3ff, v0
	v_bfe_u32 v3, v0, 10, 10
	s_mov_b32 s12, exec_lo
	s_delay_alu instid0(VALU_DEP_2) | instskip(NEXT) | instid1(VALU_DEP_1)
	v_lshlrev_b32_e32 v63, 3, v2
	v_lshl_add_u32 v4, v3, 9, v63
	s_waitcnt lgkmcnt(0)
	s_mul_i32 s2, s6, 5
	s_delay_alu instid0(SALU_CYCLE_1)
	s_min_u32 s3, s2, 0x8000
	s_delay_alu instid0(VALU_DEP_1) | instid1(SALU_CYCLE_1)
	v_cmpx_gt_u32_e64 s3, v4
	s_cbranch_execz .LBB146_3
; %bb.1:
	s_load_b64 s[16:17], s[0:1], 0x20
	v_lshlrev_b32_e32 v5, 10, v3
	v_lshlrev_b32_e32 v6, 4, v2
	s_mov_b32 s13, 0
	s_delay_alu instid0(VALU_DEP_1) | instskip(NEXT) | instid1(VALU_DEP_1)
	v_add_co_u32 v0, s2, v5, v6
	v_add_co_ci_u32_e64 v1, null, 0, 0, s2
	v_add_nc_u32_e32 v5, v5, v6
	s_waitcnt lgkmcnt(0)
	s_delay_alu instid0(VALU_DEP_3) | instskip(NEXT) | instid1(VALU_DEP_3)
	v_add_co_u32 v0, vcc_lo, s16, v0
	v_add_co_ci_u32_e32 v1, vcc_lo, s17, v1, vcc_lo
	.p2align	6
.LBB146_2:                              ; =>This Inner Loop Header: Depth=1
	global_load_b128 v[6:9], v[0:1], off
	v_add_nc_u32_e32 v4, 0x2000, v4
	v_add_co_u32 v0, vcc_lo, 0x4000, v0
	v_add_co_ci_u32_e32 v1, vcc_lo, 0, v1, vcc_lo
	s_delay_alu instid0(VALU_DEP_3) | instskip(NEXT) | instid1(VALU_DEP_1)
	v_cmp_le_u32_e64 s2, s3, v4
	s_or_b32 s13, s2, s13
	s_waitcnt vmcnt(0)
	ds_store_b128 v5, v[6:9]
	v_add_nc_u32_e32 v5, 0x4000, v5
	s_and_not1_b32 exec_lo, exec_lo, s13
	s_cbranch_execnz .LBB146_2
.LBB146_3:
	s_or_b32 exec_lo, exec_lo, s12
	s_load_b64 s[2:3], s[0:1], 0x38
	s_waitcnt lgkmcnt(0)
	s_barrier
	buffer_gl0_inv
	s_mov_b32 s12, exec_lo
	v_cmpx_gt_u32_e64 s2, v3
	s_cbranch_execz .LBB146_20
; %bb.4:
	s_mul_i32 s15, s15, s2
	s_delay_alu instid0(SALU_CYCLE_1) | instskip(NEXT) | instid1(VALU_DEP_1)
	v_add_lshl_u32 v48, s15, v3, 1
	v_cmp_gt_u32_e32 vcc_lo, s7, v48
	s_and_b32 exec_lo, exec_lo, vcc_lo
	s_cbranch_execz .LBB146_20
; %bb.5:
	s_cmp_lg_u32 s4, 0
	s_mul_i32 s2, s2, s3
	s_cselect_b32 s14, -1, 0
	s_add_i32 s15, s4, -8
	s_add_i32 s16, s7, -1
	s_cmp_lg_u64 s[10:11], 0
	v_cvt_f32_u32_e32 v1, s8
	s_cselect_b32 s17, -1, 0
	s_abs_i32 s21, s9
	s_lshl_b32 s9, s2, 1
	v_cvt_f32_u32_e32 v0, s21
	s_sub_i32 s2, 0, s21
	s_sub_i32 s18, 0, s8
	;; [unrolled: 1-line block ×3, first 2 shown]
	v_mov_b32_e32 v50, 0
	v_rcp_iflag_f32_e32 v0, v0
	v_lshlrev_b32_e32 v64, 4, v2
	v_mbcnt_lo_u32_b32 v65, -1, 0
	s_waitcnt_depctr 0xfff
	v_mul_f32_e32 v0, 0x4f7ffffe, v0
	s_delay_alu instid0(VALU_DEP_1) | instskip(NEXT) | instid1(VALU_DEP_1)
	v_cvt_u32_f32_e32 v0, v0
	v_readfirstlane_b32 s3, v0
	v_rcp_iflag_f32_e32 v0, v1
	s_delay_alu instid0(VALU_DEP_1) | instskip(NEXT) | instid1(SALU_CYCLE_1)
	s_mul_i32 s2, s2, s3
	s_mul_hi_u32 s2, s3, s2
	s_delay_alu instid0(SALU_CYCLE_1)
	s_add_i32 s19, s3, s2
	s_cmp_lt_u32 s21, 2
	s_waitcnt_depctr 0xfff
	v_mul_f32_e32 v0, 0x4f7ffffe, v0
	s_cselect_b32 s20, s12, 1
	s_clause 0x1
	s_load_b64 s[2:3], s[0:1], 0x18
	s_load_b64 s[12:13], s[0:1], 0x30
	s_sub_i32 s0, s20, s21
	s_cmp_ge_u32 s20, s21
	v_cvt_u32_f32_e32 v0, v0
	s_cselect_b32 s20, s0, s20
	s_lshr_b32 s0, s19, 31
	s_mov_b32 s1, 0
	s_mul_i32 s0, s0, s21
	v_mul_lo_u32 v1, s18, v0
	s_sub_i32 s22, 2, s0
	v_cmp_eq_u32_e64 s0, 63, v2
	s_sub_i32 s23, s22, s21
	s_cmp_ge_u32 s22, s21
	s_cselect_b32 s18, s23, s22
	s_mul_hi_u32 s22, s19, 3
	s_sub_i32 s23, s18, s21
	s_cmp_ge_u32 s18, s21
	s_mul_i32 s22, s22, s21
	s_cselect_b32 s23, s23, s18
	s_sub_i32 s18, 3, s22
	v_mul_hi_u32 v1, v0, v1
	s_sub_i32 s22, s18, s21
	s_cmp_ge_u32 s18, s21
	s_cselect_b32 s22, s22, s18
	s_mul_i32 s18, s6, 6
	s_sub_i32 s24, s22, s21
	s_cmp_ge_u32 s22, s21
	s_delay_alu instid0(VALU_DEP_1) | instskip(SKIP_2) | instid1(SALU_CYCLE_1)
	v_add_nc_u32_e32 v66, v0, v1
	s_cselect_b32 s22, s24, s22
	s_lshr_b32 s19, s19, 30
	s_mul_i32 s19, s19, s21
	s_delay_alu instid0(SALU_CYCLE_1)
	s_sub_i32 s24, 4, s19
	s_mul_i32 s19, s20, s8
	s_sub_i32 s25, s24, s21
	s_cmp_ge_u32 s24, s21
	s_mul_i32 s20, s23, s8
	s_cselect_b32 s24, s25, s24
	s_delay_alu instid0(SALU_CYCLE_1)
	s_sub_i32 s23, s24, s21
	s_cmp_ge_u32 s24, s21
	s_mul_i32 s21, s22, s8
	s_cselect_b32 s24, s23, s24
	s_lshl_b32 s22, s6, 3
	s_lshl_b32 s23, s6, 2
	s_mul_i32 s24, s24, s8
	s_lshl_b32 s6, s6, 1
	s_branch .LBB146_8
.LBB146_6:                              ;   in Loop: Header=BB146_8 Depth=1
	s_waitcnt lgkmcnt(0)
	v_dual_add_f32 v4, v4, v7 :: v_dual_add_f32 v5, v5, v8
	s_waitcnt vmcnt(9)
	v_cvt_f32_f16_e32 v7, v29
	s_waitcnt vmcnt(8)
	v_cvt_f32_f16_e32 v8, v28
	v_dual_add_f32 v6, v6, v9 :: v_dual_add_f32 v9, v0, v2
	v_add_f32_e32 v28, v1, v3
	s_delay_alu instid0(VALU_DEP_3)
	v_dual_add_f32 v16, v16, v19 :: v_dual_add_f32 v3, v5, v8
	v_add_f32_e32 v2, v4, v7
	v_lshlrev_b64 v[0:1], 1, v[48:49]
	v_add_nc_u32_e32 v49, s7, v48
	s_waitcnt vmcnt(7)
	v_cvt_f32_f16_e32 v4, v27
	v_cvt_f16_f32_e32 v3, v3
	v_cvt_f16_f32_e32 v2, v2
	v_add_f32_e32 v11, v11, v13
	v_add_co_u32 v0, vcc_lo, s12, v0
	v_add_co_ci_u32_e32 v1, vcc_lo, s13, v1, vcc_lo
	s_delay_alu instid0(VALU_DEP_4)
	v_pack_b32_f16 v5, v2, v3
	v_add_f32_e32 v4, v6, v4
	v_lshlrev_b64 v[2:3], 1, v[49:50]
	s_waitcnt vmcnt(4)
	v_cvt_f32_f16_e32 v6, v24
	v_add_f32_e32 v7, v14, v17
	global_store_b32 v[0:1], v5, off
	v_cvt_f16_f32_e32 v13, v4
	v_cvt_f32_f16_e32 v4, v26
	v_cvt_f32_f16_e32 v5, v25
	v_add_f32_e32 v12, v10, v12
	v_add_co_u32 v0, vcc_lo, s12, v2
	v_add_nc_u32_e32 v2, 1, v49
	v_dual_add_f32 v4, v9, v4 :: v_dual_add_nc_u32 v49, s7, v49
	v_add_f32_e32 v8, v28, v5
	s_waitcnt vmcnt(3)
	v_cvt_f32_f16_e32 v9, v23
	v_add_f32_e32 v6, v16, v6
	v_add_f32_e32 v14, v15, v18
	v_add_co_ci_u32_e32 v1, vcc_lo, s13, v3, vcc_lo
	v_mov_b32_e32 v3, v50
	v_cvt_f16_f32_e32 v8, v8
	v_add_f32_e32 v9, v7, v9
	v_cvt_f16_f32_e32 v10, v6
	v_cvt_f16_f32_e32 v15, v4
	v_lshlrev_b64 v[4:5], 1, v[49:50]
	v_add_nc_u32_e32 v49, s7, v49
	v_cvt_f16_f32_e32 v17, v9
	v_pack_b32_f16 v16, v8, v10
	s_waitcnt vmcnt(2)
	v_cvt_f32_f16_e32 v10, v22
	v_mov_b32_e32 v9, v50
	v_lshlrev_b64 v[2:3], 1, v[2:3]
	v_add_nc_u32_e32 v8, 1, v49
	s_waitcnt vmcnt(0)
	v_cvt_f32_f16_e32 v18, v20
	v_add_f32_e32 v10, v14, v10
	v_cvt_f32_f16_e32 v14, v21
	v_lshlrev_b64 v[6:7], 1, v[49:50]
	v_add_nc_u32_e32 v49, s7, v49
	v_add_co_u32 v2, vcc_lo, s12, v2
	v_add_co_ci_u32_e32 v3, vcc_lo, s13, v3, vcc_lo
	v_add_co_u32 v4, vcc_lo, s12, v4
	v_lshlrev_b64 v[8:9], 1, v[8:9]
	v_add_f32_e32 v14, v11, v14
	v_add_f32_e32 v12, v12, v18
	v_add_co_ci_u32_e32 v5, vcc_lo, s13, v5, vcc_lo
	v_add_co_u32 v6, vcc_lo, s12, v6
	v_cvt_f16_f32_e32 v19, v10
	v_lshlrev_b64 v[10:11], 1, v[49:50]
	v_add_co_ci_u32_e32 v7, vcc_lo, s13, v7, vcc_lo
	v_add_co_u32 v8, vcc_lo, s12, v8
	v_cvt_f16_f32_e32 v14, v14
	v_cvt_f16_f32_e32 v12, v12
	v_add_co_ci_u32_e32 v9, vcc_lo, s13, v9, vcc_lo
	v_add_co_u32 v10, vcc_lo, s12, v10
	v_add_co_ci_u32_e32 v11, vcc_lo, s13, v11, vcc_lo
	s_delay_alu instid0(VALU_DEP_4)
	v_pack_b32_f16 v12, v14, v12
	s_clause 0x5
	global_store_b16 v[0:1], v13, off
	global_store_b16 v[2:3], v15, off
	global_store_b32 v[4:5], v16, off
	global_store_b16 v[6:7], v17, off
	global_store_b16 v[8:9], v19, off
	global_store_b32 v[10:11], v12, off
.LBB146_7:                              ;   in Loop: Header=BB146_8 Depth=1
	s_or_b32 exec_lo, exec_lo, s25
	v_add_nc_u32_e32 v48, s9, v48
	s_delay_alu instid0(VALU_DEP_1) | instskip(SKIP_1) | instid1(SALU_CYCLE_1)
	v_cmp_le_u32_e32 vcc_lo, s7, v48
	s_or_b32 s1, vcc_lo, s1
	s_and_not1_b32 exec_lo, exec_lo, s1
	s_cbranch_execz .LBB146_20
.LBB146_8:                              ; =>This Loop Header: Depth=1
                                        ;     Child Loop BB146_12 Depth 2
	v_mov_b32_e32 v76, v50
	v_mov_b32_e32 v75, v50
	;; [unrolled: 1-line block ×10, first 2 shown]
	s_and_not1_b32 vcc_lo, exec_lo, s14
	s_cbranch_vccnz .LBB146_15
; %bb.9:                                ;   in Loop: Header=BB146_8 Depth=1
	v_or_b32_e32 v0, 1, v48
	s_waitcnt lgkmcnt(0)
	v_min_u32_e32 v2, s16, v48
	v_dual_mov_b32 v1, v50 :: v_dual_mov_b32 v72, 0
	v_dual_mov_b32 v77, v64 :: v_dual_mov_b32 v70, 0
	v_min_u32_e32 v0, s16, v0
	s_delay_alu instid0(VALU_DEP_4) | instskip(SKIP_2) | instid1(VALU_DEP_4)
	v_mul_lo_u32 v49, v2, s5
	v_dual_mov_b32 v69, 0 :: v_dual_mov_b32 v68, 0
	v_dual_mov_b32 v71, 0 :: v_dual_mov_b32 v74, 0
	v_mul_lo_u32 v0, v0, s5
	v_dual_mov_b32 v67, 0 :: v_dual_mov_b32 v76, 0
	v_lshlrev_b64 v[51:52], 1, v[49:50]
	v_mov_b32_e32 v73, 0
	v_mov_b32_e32 v75, 0
	s_mov_b32 s25, 0
	v_lshlrev_b64 v[53:54], 1, v[0:1]
	s_branch .LBB146_12
.LBB146_10:                             ;   in Loop: Header=BB146_12 Depth=2
	s_or_b32 exec_lo, exec_lo, s27
.LBB146_11:                             ;   in Loop: Header=BB146_12 Depth=2
	s_delay_alu instid0(SALU_CYCLE_1)
	s_or_b32 exec_lo, exec_lo, s26
	s_waitcnt vmcnt(3) lgkmcnt(1)
	;;#ASMSTART
	v_dot2_f32_f16 v76, v44, v24, v76
	;;#ASMEND
	s_waitcnt vmcnt(2)
	;;#ASMSTART
	v_dot2_f32_f16 v75, v44, v16, v75
	;;#ASMEND
	;;#ASMSTART
	v_dot2_f32_f16 v74, v40, v24, v74
	;;#ASMEND
	;; [unrolled: 3-line block ×7, first 2 shown]
	s_waitcnt lgkmcnt(0)
	;;#ASMSTART
	v_dot2_f32_f16 v68, v32, v24, v68
	;;#ASMEND
	;;#ASMSTART
	v_dot2_f32_f16 v67, v32, v16, v67
	;;#ASMEND
	;;#ASMSTART
	v_dot2_f32_f16 v76, v45, v25, v76
	;;#ASMEND
	;;#ASMSTART
	v_dot2_f32_f16 v75, v45, v17, v75
	;;#ASMEND
	;;#ASMSTART
	v_dot2_f32_f16 v74, v41, v25, v74
	;;#ASMEND
	;;#ASMSTART
	v_dot2_f32_f16 v73, v41, v17, v73
	;;#ASMEND
	;;#ASMSTART
	v_dot2_f32_f16 v72, v62, v25, v72
	;;#ASMEND
	;;#ASMSTART
	v_dot2_f32_f16 v69, v62, v17, v69
	;;#ASMEND
	;;#ASMSTART
	v_dot2_f32_f16 v71, v37, v25, v71
	;;#ASMEND
	;;#ASMSTART
	v_dot2_f32_f16 v70, v37, v17, v70
	;;#ASMEND
	;;#ASMSTART
	v_dot2_f32_f16 v68, v33, v25, v68
	;;#ASMEND
	;;#ASMSTART
	v_dot2_f32_f16 v67, v33, v17, v67
	;;#ASMEND
	;;#ASMSTART
	v_dot2_f32_f16 v76, v46, v26, v76
	;;#ASMEND
	;;#ASMSTART
	v_dot2_f32_f16 v75, v46, v18, v75
	;;#ASMEND
	;;#ASMSTART
	v_dot2_f32_f16 v74, v42, v26, v74
	;;#ASMEND
	;;#ASMSTART
	v_dot2_f32_f16 v73, v42, v18, v73
	;;#ASMEND
	;;#ASMSTART
	v_dot2_f32_f16 v72, v59, v26, v72
	;;#ASMEND
	;;#ASMSTART
	v_dot2_f32_f16 v69, v59, v18, v69
	;;#ASMEND
	;;#ASMSTART
	v_dot2_f32_f16 v71, v38, v26, v71
	;;#ASMEND
	;;#ASMSTART
	v_dot2_f32_f16 v70, v38, v18, v70
	;;#ASMEND
	;;#ASMSTART
	v_dot2_f32_f16 v68, v34, v26, v68
	;;#ASMEND
	;;#ASMSTART
	v_dot2_f32_f16 v67, v34, v18, v67
	;;#ASMEND
	v_add_nc_u32_e32 v77, 0x800, v77
	;;#ASMSTART
	v_dot2_f32_f16 v76, v47, v27, v76
	;;#ASMEND
	;;#ASMSTART
	v_dot2_f32_f16 v75, v47, v19, v75
	;;#ASMEND
	;; [unrolled: 3-line block ×10, first 2 shown]
	s_addk_i32 s25, 0x400
	s_waitcnt vmcnt(1)
	;;#ASMSTART
	v_dot2_f32_f16 v76, v28, v4, v76
	;;#ASMEND
	s_waitcnt vmcnt(0)
	;;#ASMSTART
	v_dot2_f32_f16 v75, v28, v0, v75
	;;#ASMEND
	;;#ASMSTART
	v_dot2_f32_f16 v74, v20, v4, v74
	;;#ASMEND
	;;#ASMSTART
	v_dot2_f32_f16 v73, v20, v0, v73
	;;#ASMEND
	;;#ASMSTART
	v_dot2_f32_f16 v72, v57, v4, v72
	;;#ASMEND
	;;#ASMSTART
	v_dot2_f32_f16 v69, v57, v0, v69
	;;#ASMEND
	;;#ASMSTART
	v_dot2_f32_f16 v71, v12, v4, v71
	;;#ASMEND
	;;#ASMSTART
	v_dot2_f32_f16 v70, v12, v0, v70
	;;#ASMEND
	;;#ASMSTART
	v_dot2_f32_f16 v68, v8, v4, v68
	;;#ASMEND
	;;#ASMSTART
	v_dot2_f32_f16 v67, v8, v0, v67
	;;#ASMEND
	;;#ASMSTART
	v_dot2_f32_f16 v76, v29, v5, v76
	;;#ASMEND
	;;#ASMSTART
	v_dot2_f32_f16 v75, v29, v1, v75
	;;#ASMEND
	;;#ASMSTART
	v_dot2_f32_f16 v74, v21, v5, v74
	;;#ASMEND
	;;#ASMSTART
	v_dot2_f32_f16 v73, v21, v1, v73
	;;#ASMEND
	;;#ASMSTART
	v_dot2_f32_f16 v72, v58, v5, v72
	;;#ASMEND
	;;#ASMSTART
	v_dot2_f32_f16 v69, v58, v1, v69
	;;#ASMEND
	;;#ASMSTART
	v_dot2_f32_f16 v71, v13, v5, v71
	;;#ASMEND
	;;#ASMSTART
	v_dot2_f32_f16 v70, v13, v1, v70
	;;#ASMEND
	;;#ASMSTART
	v_dot2_f32_f16 v68, v9, v5, v68
	;;#ASMEND
	;;#ASMSTART
	v_dot2_f32_f16 v67, v9, v1, v67
	;;#ASMEND
	s_cmp_ge_u32 s25, s4
	;;#ASMSTART
	v_dot2_f32_f16 v76, v30, v6, v76
	;;#ASMEND
	;;#ASMSTART
	v_dot2_f32_f16 v75, v30, v2, v75
	;;#ASMEND
	;; [unrolled: 3-line block ×20, first 2 shown]
	s_cbranch_scc1 .LBB146_15
.LBB146_12:                             ;   Parent Loop BB146_8 Depth=1
                                        ; =>  This Inner Loop Header: Depth=2
	v_dual_mov_b32 v45, 0 :: v_dual_add_nc_u32 v10, s25, v63
	v_dual_mov_b32 v44, 0 :: v_dual_mov_b32 v29, 0
	v_dual_mov_b32 v46, 0 :: v_dual_mov_b32 v31, 0
	s_delay_alu instid0(VALU_DEP_3) | instskip(SKIP_2) | instid1(VALU_DEP_3)
	v_min_u32_e32 v49, s15, v10
	v_dual_mov_b32 v47, 0 :: v_dual_add_nc_u32 v78, 0x200, v10
	v_dual_mov_b32 v28, 0 :: v_dual_mov_b32 v41, 0
	v_lshlrev_b64 v[0:1], 1, v[49:50]
	s_delay_alu instid0(VALU_DEP_3) | instskip(SKIP_3) | instid1(VALU_DEP_4)
	v_min_u32_e32 v49, s15, v78
	v_dual_mov_b32 v30, 0 :: v_dual_mov_b32 v43, 0
	v_dual_mov_b32 v40, 0 :: v_dual_mov_b32 v21, 0
	s_waitcnt lgkmcnt(0)
	v_add_co_u32 v4, vcc_lo, s2, v0
	v_add_co_ci_u32_e32 v5, vcc_lo, s3, v1, vcc_lo
	v_lshlrev_b64 v[0:1], 1, v[49:50]
	s_delay_alu instid0(VALU_DEP_3) | instskip(NEXT) | instid1(VALU_DEP_3)
	v_add_co_u32 v2, vcc_lo, v4, v51
	v_add_co_ci_u32_e32 v3, vcc_lo, v5, v52, vcc_lo
	v_dual_mov_b32 v42, 0 :: v_dual_mov_b32 v23, 0
	s_delay_alu instid0(VALU_DEP_4) | instskip(SKIP_3) | instid1(VALU_DEP_4)
	v_add_co_u32 v6, vcc_lo, s2, v0
	v_add_co_ci_u32_e32 v7, vcc_lo, s3, v1, vcc_lo
	v_add_co_u32 v0, vcc_lo, v4, v53
	v_add_co_ci_u32_e32 v1, vcc_lo, v5, v54, vcc_lo
	v_add_co_u32 v4, vcc_lo, v6, v51
	s_delay_alu instid0(VALU_DEP_4)
	v_add_co_ci_u32_e32 v5, vcc_lo, v7, v52, vcc_lo
	v_add_co_u32 v8, vcc_lo, v6, v53
	v_add_co_ci_u32_e32 v9, vcc_lo, v7, v54, vcc_lo
	s_clause 0x3
	global_load_b128 v[24:27], v[2:3], off slc dlc
	global_load_b128 v[16:19], v[0:1], off slc dlc
	;; [unrolled: 1-line block ×4, first 2 shown]
	v_cmp_gt_u32_e32 vcc_lo, s4, v10
	v_dual_mov_b32 v20, 0 :: v_dual_mov_b32 v61, 0
	v_dual_mov_b32 v22, 0 :: v_dual_mov_b32 v59, 0
	;; [unrolled: 1-line block ×12, first 2 shown]
	v_mov_b32_e32 v8, 0
	v_mov_b32_e32 v10, 0
	s_and_saveexec_b32 s26, vcc_lo
	s_cbranch_execz .LBB146_11
; %bb.13:                               ;   in Loop: Header=BB146_12 Depth=2
	v_dual_mov_b32 v10, 0 :: v_dual_add_nc_u32 v79, s6, v77
	v_dual_mov_b32 v8, 0 :: v_dual_add_nc_u32 v81, s23, v77
	;; [unrolled: 1-line block ×4, first 2 shown]
	ds_load_b128 v[40:43], v79
	ds_load_2addr_b32 v[61:62], v81 offset1:1
	ds_load_2addr_b32 v[59:60], v81 offset0:2 offset1:3
	ds_load_b128 v[36:39], v80
	ds_load_b128 v[44:47], v77
	ds_load_2addr_b64 v[32:35], v49 offset1:1
	v_cmp_gt_u32_e32 vcc_lo, s4, v78
	v_dual_mov_b32 v9, 0 :: v_dual_mov_b32 v12, 0
	v_dual_mov_b32 v15, 0 :: v_dual_mov_b32 v56, 0
	v_dual_mov_b32 v13, 0 :: v_dual_mov_b32 v58, 0
	v_dual_mov_b32 v55, 0 :: v_dual_mov_b32 v22, 0
	v_dual_mov_b32 v57, 0 :: v_dual_mov_b32 v20, 0
	v_dual_mov_b32 v23, 0 :: v_dual_mov_b32 v30, 0
	v_dual_mov_b32 v21, 0 :: v_dual_mov_b32 v28, 0
	v_mov_b32_e32 v31, 0
	v_mov_b32_e32 v29, 0
	s_and_saveexec_b32 s27, vcc_lo
	s_cbranch_execz .LBB146_10
; %bb.14:                               ;   in Loop: Header=BB146_12 Depth=2
	v_add_nc_u32_e32 v8, 0x408, v81
	v_add_nc_u32_e32 v9, 0x400, v81
	ds_load_b128 v[20:23], v79 offset:1024
	ds_load_b128 v[12:15], v80 offset:1024
	;; [unrolled: 1-line block ×3, first 2 shown]
	ds_load_2addr_b32 v[55:56], v8 offset1:1
	ds_load_2addr_b32 v[57:58], v9 offset1:1
	ds_load_2addr_b64 v[8:11], v49 offset0:128 offset1:129
	s_branch .LBB146_10
.LBB146_15:                             ;   in Loop: Header=BB146_8 Depth=1
	; sched_barrier mask(0x00000000)
	v_xor_b32_e32 v0, 16, v65
	v_cvt_i32_f32_e32 v1, v76
	s_waitcnt lgkmcnt(0)
	v_cvt_i32_f32_e32 v2, v75
	v_cvt_i32_f32_e32 v3, v74
	;; [unrolled: 1-line block ×3, first 2 shown]
	v_cmp_gt_i32_e32 vcc_lo, 32, v0
	v_cvt_f32_i32_dpp v1, v1 row_shr:8 row_mask:0xf bank_mask:0xf bound_ctrl:1
	v_cvt_i32_f32_e32 v5, v72
	v_cvt_f32_i32_dpp v2, v2 row_shr:8 row_mask:0xf bank_mask:0xf bound_ctrl:1
	v_cvt_i32_f32_e32 v11, v71
	s_delay_alu instid0(VALU_DEP_4) | instskip(SKIP_2) | instid1(VALU_DEP_4)
	v_dual_cndmask_b32 v0, v65, v0 :: v_dual_add_f32 v1, v76, v1
	v_cvt_i32_f32_e32 v13, v70
	v_cvt_i32_f32_e32 v15, v67
	v_cvt_f32_i32_dpp v11, v11 row_shr:8 row_mask:0xf bank_mask:0xf bound_ctrl:1
	s_delay_alu instid0(VALU_DEP_4)
	v_lshlrev_b32_e32 v12, 2, v0
	v_cvt_f32_i32_dpp v0, v3 row_shr:8 row_mask:0xf bank_mask:0xf bound_ctrl:1
	v_cvt_f32_i32_dpp v3, v4 row_shr:8 row_mask:0xf bank_mask:0xf bound_ctrl:1
	;; [unrolled: 1-line block ×3, first 2 shown]
	v_cvt_i32_f32_e32 v5, v1
	v_cvt_f32_i32_dpp v13, v13 row_shr:8 row_mask:0xf bank_mask:0xf bound_ctrl:1
	v_cvt_f32_i32_dpp v15, v15 row_shr:8 row_mask:0xf bank_mask:0xf bound_ctrl:1
	v_add_f32_e32 v3, v73, v3
	v_cvt_i32_f32_e32 v10, v69
	v_cvt_f32_i32_dpp v5, v5 row_shr:4 row_mask:0xf bank_mask:0xf bound_ctrl:1
	v_add_f32_e32 v2, v75, v2
	v_cvt_i32_f32_e32 v14, v68
	v_cvt_i32_f32_e32 v8, v3
	v_cvt_f32_i32_dpp v10, v10 row_shr:8 row_mask:0xf bank_mask:0xf bound_ctrl:1
	v_add_f32_e32 v1, v1, v5
	v_cvt_i32_f32_e32 v6, v2
	v_cvt_f32_i32_dpp v14, v14 row_shr:8 row_mask:0xf bank_mask:0xf bound_ctrl:1
	v_cvt_f32_i32_dpp v8, v8 row_shr:4 row_mask:0xf bank_mask:0xf bound_ctrl:1
	v_add_f32_e32 v11, v71, v11
	v_cvt_i32_f32_e32 v5, v1
	v_cvt_f32_i32_dpp v6, v6 row_shr:4 row_mask:0xf bank_mask:0xf bound_ctrl:1
	v_add_f32_e32 v13, v70, v13
	v_add_f32_e32 v3, v3, v8
	v_cvt_i32_f32_e32 v17, v11
	v_cvt_f32_i32_dpp v5, v5 row_shr:2 row_mask:0xf bank_mask:0xf bound_ctrl:1
	v_add_f32_e32 v2, v2, v6
	;; [unrolled: 4-line block ×3, first 2 shown]
	v_cvt_i32_f32_e32 v6, v2
	v_cvt_i32_f32_e32 v7, v0
	v_cvt_f32_i32_dpp v8, v8 row_shr:2 row_mask:0xf bank_mask:0xf bound_ctrl:1
	v_dual_add_f32 v10, v69, v10 :: v_dual_add_f32 v11, v11, v17
	s_delay_alu instid0(VALU_DEP_4) | instskip(NEXT) | instid1(VALU_DEP_4)
	v_cvt_f32_i32_dpp v6, v6 row_shr:2 row_mask:0xf bank_mask:0xf bound_ctrl:1
	v_cvt_f32_i32_dpp v7, v7 row_shr:4 row_mask:0xf bank_mask:0xf bound_ctrl:1
	s_delay_alu instid0(VALU_DEP_4) | instskip(NEXT) | instid1(VALU_DEP_4)
	v_add_f32_e32 v3, v3, v8
	v_cvt_i32_f32_e32 v16, v10
	v_cvt_i32_f32_e32 v17, v11
	v_add_f32_e32 v2, v2, v6
	v_add_f32_e32 v0, v0, v7
	v_cvt_i32_f32_e32 v8, v3
	v_cvt_f32_i32_dpp v16, v16 row_shr:4 row_mask:0xf bank_mask:0xf bound_ctrl:1
	v_cvt_f32_i32_dpp v17, v17 row_shr:2 row_mask:0xf bank_mask:0xf bound_ctrl:1
	v_cvt_i32_f32_e32 v5, v2
	v_cvt_i32_f32_e32 v7, v0
	v_cvt_f32_i32_dpp v8, v8 row_shr:1 row_mask:0xf bank_mask:0xf bound_ctrl:1
	s_delay_alu instid0(VALU_DEP_4) | instskip(NEXT) | instid1(VALU_DEP_4)
	v_dual_add_f32 v10, v10, v16 :: v_dual_add_f32 v11, v11, v17
	v_cvt_f32_i32_dpp v5, v5 row_shr:1 row_mask:0xf bank_mask:0xf bound_ctrl:1
	v_add_f32_e32 v4, v72, v4
	v_cvt_f32_i32_dpp v7, v7 row_shr:2 row_mask:0xf bank_mask:0xf bound_ctrl:1
	v_cvt_i32_f32_e32 v18, v13
	v_cvt_i32_f32_e32 v16, v10
	v_add_f32_e32 v5, v2, v5
	v_cvt_i32_f32_e32 v9, v4
	v_add_f32_e32 v0, v0, v7
	v_cvt_f32_i32_dpp v18, v18 row_shr:4 row_mask:0xf bank_mask:0xf bound_ctrl:1
	v_cvt_f32_i32_dpp v16, v16 row_shr:2 row_mask:0xf bank_mask:0xf bound_ctrl:1
	v_add_f32_e32 v15, v67, v15
	v_cvt_f32_i32_dpp v9, v9 row_shr:4 row_mask:0xf bank_mask:0xf bound_ctrl:1
	s_delay_alu instid0(VALU_DEP_4) | instskip(NEXT) | instid1(VALU_DEP_3)
	v_add_f32_e32 v13, v13, v18
	v_cvt_i32_f32_e32 v20, v15
	s_delay_alu instid0(VALU_DEP_3) | instskip(NEXT) | instid1(VALU_DEP_3)
	v_add_f32_e32 v4, v4, v9
	v_cvt_i32_f32_e32 v18, v13
	s_delay_alu instid0(VALU_DEP_3) | instskip(NEXT) | instid1(VALU_DEP_3)
	v_cvt_f32_i32_dpp v20, v20 row_shr:4 row_mask:0xf bank_mask:0xf bound_ctrl:1
	v_cvt_i32_f32_e32 v9, v4
	v_add_f32_e32 v14, v68, v14
	s_delay_alu instid0(VALU_DEP_4) | instskip(NEXT) | instid1(VALU_DEP_4)
	v_cvt_f32_i32_dpp v18, v18 row_shr:2 row_mask:0xf bank_mask:0xf bound_ctrl:1
	v_add_f32_e32 v15, v15, v20
	s_delay_alu instid0(VALU_DEP_4) | instskip(NEXT) | instid1(VALU_DEP_4)
	v_cvt_f32_i32_dpp v9, v9 row_shr:2 row_mask:0xf bank_mask:0xf bound_ctrl:1
	v_cvt_i32_f32_e32 v19, v14
	s_delay_alu instid0(VALU_DEP_4) | instskip(NEXT) | instid1(VALU_DEP_4)
	v_dual_add_f32 v13, v13, v18 :: v_dual_add_f32 v10, v10, v16
	v_cvt_i32_f32_e32 v20, v15
	s_delay_alu instid0(VALU_DEP_4)
	v_add_f32_e32 v7, v4, v9
	v_cvt_i32_f32_e32 v4, v1
	v_cvt_f32_i32_dpp v19, v19 row_shr:4 row_mask:0xf bank_mask:0xf bound_ctrl:1
	v_cvt_i32_f32_e32 v16, v13
	v_cvt_f32_i32_dpp v20, v20 row_shr:2 row_mask:0xf bank_mask:0xf bound_ctrl:1
	v_cvt_i32_f32_e32 v9, v7
	v_cvt_f32_i32_dpp v4, v4 row_shr:1 row_mask:0xf bank_mask:0xf bound_ctrl:1
	v_add_f32_e32 v14, v14, v19
	v_cvt_f32_i32_dpp v21, v16 row_shr:1 row_mask:0xf bank_mask:0xf bound_ctrl:1
	v_add_f32_e32 v18, v15, v20
	v_cvt_f32_i32_dpp v9, v9 row_shr:1 row_mask:0xf bank_mask:0xf bound_ctrl:1
	v_add_f32_e32 v4, v1, v4
	v_cvt_i32_f32_e32 v19, v14
	v_cvt_i32_f32_e32 v15, v11
	;; [unrolled: 1-line block ×3, first 2 shown]
	v_add_f32_e32 v1, v7, v9
	v_cvt_i32_f32_e32 v6, v0
	v_cvt_f32_i32_dpp v19, v19 row_shr:2 row_mask:0xf bank_mask:0xf bound_ctrl:1
	v_cvt_f32_i32_dpp v15, v15 row_shr:1 row_mask:0xf bank_mask:0xf bound_ctrl:1
	ds_bpermute_b32 v7, v12, v4
	v_cvt_f32_i32_dpp v20, v20 row_shr:1 row_mask:0xf bank_mask:0xf bound_ctrl:1
	v_cvt_f32_i32_dpp v6, v6 row_shr:1 row_mask:0xf bank_mask:0xf bound_ctrl:1
	v_add_f32_e32 v17, v14, v19
	v_cvt_i32_f32_e32 v14, v10
	s_delay_alu instid0(VALU_DEP_3) | instskip(SKIP_1) | instid1(VALU_DEP_4)
	v_add_f32_e32 v6, v0, v6
	v_add_f32_e32 v0, v3, v8
	v_cvt_i32_f32_e32 v19, v17
	s_delay_alu instid0(VALU_DEP_4)
	v_cvt_f32_i32_dpp v14, v14 row_shr:1 row_mask:0xf bank_mask:0xf bound_ctrl:1
	ds_bpermute_b32 v8, v12, v5
	ds_bpermute_b32 v9, v12, v6
	;; [unrolled: 1-line block ×3, first 2 shown]
	v_cvt_f32_i32_dpp v19, v19 row_shr:1 row_mask:0xf bank_mask:0xf bound_ctrl:1
	v_add_f32_e32 v16, v10, v14
	v_dual_add_f32 v14, v11, v15 :: v_dual_add_f32 v15, v13, v21
	ds_bpermute_b32 v3, v12, v1
	v_dual_add_f32 v11, v17, v19 :: v_dual_add_f32 v10, v18, v20
	ds_bpermute_b32 v19, v12, v16
	ds_bpermute_b32 v17, v12, v14
	;; [unrolled: 1-line block ×5, first 2 shown]
	s_and_saveexec_b32 s25, s0
	s_cbranch_execz .LBB146_7
; %bb.16:                               ;   in Loop: Header=BB146_8 Depth=1
	s_and_b32 vcc_lo, exec_lo, s17
	s_cbranch_vccz .LBB146_18
; %bb.17:                               ;   in Loop: Header=BB146_8 Depth=1
	v_or_b32_e32 v20, 1, v48
	v_mul_hi_u32 v21, v48, v66
	s_delay_alu instid0(VALU_DEP_2) | instskip(NEXT) | instid1(VALU_DEP_2)
	v_mul_hi_u32 v22, v20, v66
	v_mul_lo_u32 v21, v21, s8
	s_delay_alu instid0(VALU_DEP_2) | instskip(NEXT) | instid1(VALU_DEP_2)
	v_mul_lo_u32 v22, v22, s8
	v_sub_nc_u32_e32 v21, v48, v21
	s_delay_alu instid0(VALU_DEP_2) | instskip(NEXT) | instid1(VALU_DEP_2)
	v_sub_nc_u32_e32 v20, v20, v22
	v_subrev_nc_u32_e32 v22, s8, v21
	v_cmp_le_u32_e32 vcc_lo, s8, v21
	s_delay_alu instid0(VALU_DEP_3) | instskip(NEXT) | instid1(VALU_DEP_3)
	v_subrev_nc_u32_e32 v23, s8, v20
	v_dual_cndmask_b32 v22, v21, v22 :: v_dual_mov_b32 v21, v50
	v_cmp_le_u32_e32 vcc_lo, s8, v20
	s_delay_alu instid0(VALU_DEP_2) | instskip(NEXT) | instid1(VALU_DEP_4)
	v_subrev_nc_u32_e32 v25, s8, v22
	v_dual_cndmask_b32 v20, v20, v23 :: v_dual_mov_b32 v23, v50
	v_cmp_le_u32_e32 vcc_lo, s8, v22
	s_delay_alu instid0(VALU_DEP_2) | instskip(NEXT) | instid1(VALU_DEP_4)
	v_subrev_nc_u32_e32 v28, s8, v20
	v_cndmask_b32_e32 v49, v22, v25, vcc_lo
	v_cmp_le_u32_e32 vcc_lo, s8, v20
	s_delay_alu instid0(VALU_DEP_3) | instskip(NEXT) | instid1(VALU_DEP_3)
	v_dual_mov_b32 v29, v50 :: v_dual_cndmask_b32 v20, v20, v28
	v_add_nc_u32_e32 v28, s21, v49
	v_lshlrev_b64 v[30:31], 1, v[49:50]
	v_dual_mov_b32 v27, v50 :: v_dual_add_nc_u32 v22, s19, v49
	s_delay_alu instid0(VALU_DEP_4) | instskip(SKIP_2) | instid1(VALU_DEP_4)
	v_lshlrev_b64 v[32:33], 1, v[20:21]
	v_dual_mov_b32 v24, v50 :: v_dual_add_nc_u32 v25, s20, v49
	v_mov_b32_e32 v26, v50
	v_lshlrev_b64 v[21:22], 1, v[22:23]
	v_add_nc_u32_e32 v23, s19, v20
	v_add_co_u32 v30, vcc_lo, s10, v30
	v_add_co_ci_u32_e32 v31, vcc_lo, s11, v31, vcc_lo
	v_lshlrev_b64 v[34:35], 1, v[25:26]
	v_add_co_u32 v32, vcc_lo, s10, v32
	v_add_nc_u32_e32 v26, s20, v20
	v_add_co_ci_u32_e32 v33, vcc_lo, s11, v33, vcc_lo
	v_lshlrev_b64 v[23:24], 1, v[23:24]
	v_add_co_u32 v21, vcc_lo, s10, v21
	v_add_co_ci_u32_e32 v22, vcc_lo, s11, v22, vcc_lo
	v_lshlrev_b64 v[36:37], 1, v[26:27]
	v_add_co_u32 v34, vcc_lo, s10, v34
	v_dual_mov_b32 v26, v50 :: v_dual_add_nc_u32 v25, s21, v20
	v_add_co_ci_u32_e32 v35, vcc_lo, s11, v35, vcc_lo
	v_lshlrev_b64 v[28:29], 1, v[28:29]
	v_add_co_u32 v23, vcc_lo, s10, v23
	v_add_nc_u32_e32 v49, s24, v49
	v_add_co_ci_u32_e32 v24, vcc_lo, s11, v24, vcc_lo
	v_add_co_u32 v36, vcc_lo, s10, v36
	v_lshlrev_b64 v[25:26], 1, v[25:26]
	v_add_co_ci_u32_e32 v37, vcc_lo, s11, v37, vcc_lo
	v_add_co_u32 v38, vcc_lo, s10, v28
	v_lshlrev_b64 v[27:28], 1, v[49:50]
	v_add_nc_u32_e32 v49, s24, v20
	v_add_co_ci_u32_e32 v39, vcc_lo, s11, v29, vcc_lo
	v_add_co_u32 v40, vcc_lo, s10, v25
	v_add_co_ci_u32_e32 v41, vcc_lo, s11, v26, vcc_lo
	s_delay_alu instid0(VALU_DEP_4) | instskip(SKIP_3) | instid1(VALU_DEP_4)
	v_lshlrev_b64 v[25:26], 1, v[49:50]
	v_add_co_u32 v42, vcc_lo, s10, v27
	v_add_co_ci_u32_e32 v43, vcc_lo, s11, v28, vcc_lo
	v_mov_b32_e32 v49, v50
	v_add_co_u32 v44, vcc_lo, s10, v25
	v_add_co_ci_u32_e32 v45, vcc_lo, s11, v26, vcc_lo
	s_clause 0x9
	global_load_u16 v29, v[30:31], off
	global_load_u16 v28, v[32:33], off
	;; [unrolled: 1-line block ×10, first 2 shown]
	s_cbranch_execnz .LBB146_6
	s_branch .LBB146_19
.LBB146_18:                             ;   in Loop: Header=BB146_8 Depth=1
                                        ; implicit-def: $vgpr20
                                        ; implicit-def: $vgpr21
                                        ; implicit-def: $vgpr22
                                        ; implicit-def: $vgpr23
                                        ; implicit-def: $vgpr24
                                        ; implicit-def: $vgpr25
                                        ; implicit-def: $vgpr26
                                        ; implicit-def: $vgpr27
                                        ; implicit-def: $vgpr28
                                        ; implicit-def: $vgpr29
.LBB146_19:                             ;   in Loop: Header=BB146_8 Depth=1
	s_waitcnt vmcnt(8)
	v_dual_mov_b32 v49, v50 :: v_dual_mov_b32 v28, 0
	s_waitcnt vmcnt(6)
	v_dual_mov_b32 v29, 0 :: v_dual_mov_b32 v26, 0
	;; [unrolled: 2-line block ×5, first 2 shown]
	v_mov_b32_e32 v21, 0
	s_branch .LBB146_6
.LBB146_20:
	s_nop 0
	s_sendmsg sendmsg(MSG_DEALLOC_VGPRS)
	s_endpgm
	.section	.rodata,"a",@progbits
	.p2align	6, 0x0
	.amdhsa_kernel _Z16wvSplitK_hf_sml_I6__halfLi64ELi2ELi16ELi8ELi2ELi5EEviiiiiiPKT_S3_S3_PS1_ii
		.amdhsa_group_segment_fixed_size 65536
		.amdhsa_private_segment_fixed_size 0
		.amdhsa_kernarg_size 64
		.amdhsa_user_sgpr_count 15
		.amdhsa_user_sgpr_dispatch_ptr 0
		.amdhsa_user_sgpr_queue_ptr 0
		.amdhsa_user_sgpr_kernarg_segment_ptr 1
		.amdhsa_user_sgpr_dispatch_id 0
		.amdhsa_user_sgpr_private_segment_size 0
		.amdhsa_wavefront_size32 1
		.amdhsa_uses_dynamic_stack 0
		.amdhsa_enable_private_segment 0
		.amdhsa_system_sgpr_workgroup_id_x 1
		.amdhsa_system_sgpr_workgroup_id_y 0
		.amdhsa_system_sgpr_workgroup_id_z 0
		.amdhsa_system_sgpr_workgroup_info 0
		.amdhsa_system_vgpr_workitem_id 1
		.amdhsa_next_free_vgpr 82
		.amdhsa_next_free_sgpr 28
		.amdhsa_reserve_vcc 1
		.amdhsa_float_round_mode_32 0
		.amdhsa_float_round_mode_16_64 0
		.amdhsa_float_denorm_mode_32 3
		.amdhsa_float_denorm_mode_16_64 3
		.amdhsa_dx10_clamp 1
		.amdhsa_ieee_mode 1
		.amdhsa_fp16_overflow 0
		.amdhsa_workgroup_processor_mode 1
		.amdhsa_memory_ordered 1
		.amdhsa_forward_progress 0
		.amdhsa_shared_vgpr_count 0
		.amdhsa_exception_fp_ieee_invalid_op 0
		.amdhsa_exception_fp_denorm_src 0
		.amdhsa_exception_fp_ieee_div_zero 0
		.amdhsa_exception_fp_ieee_overflow 0
		.amdhsa_exception_fp_ieee_underflow 0
		.amdhsa_exception_fp_ieee_inexact 0
		.amdhsa_exception_int_div_zero 0
	.end_amdhsa_kernel
	.section	.text._Z16wvSplitK_hf_sml_I6__halfLi64ELi2ELi16ELi8ELi2ELi5EEviiiiiiPKT_S3_S3_PS1_ii,"axG",@progbits,_Z16wvSplitK_hf_sml_I6__halfLi64ELi2ELi16ELi8ELi2ELi5EEviiiiiiPKT_S3_S3_PS1_ii,comdat
.Lfunc_end146:
	.size	_Z16wvSplitK_hf_sml_I6__halfLi64ELi2ELi16ELi8ELi2ELi5EEviiiiiiPKT_S3_S3_PS1_ii, .Lfunc_end146-_Z16wvSplitK_hf_sml_I6__halfLi64ELi2ELi16ELi8ELi2ELi5EEviiiiiiPKT_S3_S3_PS1_ii
                                        ; -- End function
	.section	.AMDGPU.csdata,"",@progbits
; Kernel info:
; codeLenInByte = 4916
; NumSgprs: 30
; NumVgprs: 82
; ScratchSize: 0
; MemoryBound: 0
; FloatMode: 240
; IeeeMode: 1
; LDSByteSize: 65536 bytes/workgroup (compile time only)
; SGPRBlocks: 3
; VGPRBlocks: 10
; NumSGPRsForWavesPerEU: 30
; NumVGPRsForWavesPerEU: 82
; Occupancy: 16
; WaveLimiterHint : 0
; COMPUTE_PGM_RSRC2:SCRATCH_EN: 0
; COMPUTE_PGM_RSRC2:USER_SGPR: 15
; COMPUTE_PGM_RSRC2:TRAP_HANDLER: 0
; COMPUTE_PGM_RSRC2:TGID_X_EN: 1
; COMPUTE_PGM_RSRC2:TGID_Y_EN: 0
; COMPUTE_PGM_RSRC2:TGID_Z_EN: 0
; COMPUTE_PGM_RSRC2:TIDIG_COMP_CNT: 1
	.section	.text._Z12wvSplitK_hf_I6__halfLi64ELi2ELi16ELi8ELi2ELi5EEviiiiiiPKT_S3_S3_PS1_ii,"axG",@progbits,_Z12wvSplitK_hf_I6__halfLi64ELi2ELi16ELi8ELi2ELi5EEviiiiiiPKT_S3_S3_PS1_ii,comdat
	.protected	_Z12wvSplitK_hf_I6__halfLi64ELi2ELi16ELi8ELi2ELi5EEviiiiiiPKT_S3_S3_PS1_ii ; -- Begin function _Z12wvSplitK_hf_I6__halfLi64ELi2ELi16ELi8ELi2ELi5EEviiiiiiPKT_S3_S3_PS1_ii
	.globl	_Z12wvSplitK_hf_I6__halfLi64ELi2ELi16ELi8ELi2ELi5EEviiiiiiPKT_S3_S3_PS1_ii
	.p2align	8
	.type	_Z12wvSplitK_hf_I6__halfLi64ELi2ELi16ELi8ELi2ELi5EEviiiiiiPKT_S3_S3_PS1_ii,@function
_Z12wvSplitK_hf_I6__halfLi64ELi2ELi16ELi8ELi2ELi5EEviiiiiiPKT_S3_S3_PS1_ii: ; @_Z12wvSplitK_hf_I6__halfLi64ELi2ELi16ELi8ELi2ELi5EEviiiiiiPKT_S3_S3_PS1_ii
; %bb.0:
	s_clause 0x1
	s_load_b64 s[16:17], s[0:1], 0x38
	s_load_b128 s[4:7], s[0:1], 0x0
	v_bfe_u32 v3, v0, 10, 10
	s_clause 0x1
	s_load_b64 s[8:9], s[0:1], 0x20
	s_load_b64 s[10:11], s[0:1], 0x10
	s_mov_b32 s12, 1
	s_delay_alu instid0(SALU_CYCLE_1) | instskip(NEXT) | instid1(SALU_CYCLE_1)
	s_mov_b32 s13, s12
	v_dual_mov_b32 v57, s13 :: v_dual_mov_b32 v56, s12
	s_waitcnt lgkmcnt(0)
	s_mul_i32 s15, s15, s16
	s_delay_alu instid0(SALU_CYCLE_1) | instskip(NEXT) | instid1(VALU_DEP_1)
	v_add_lshl_u32 v58, s15, v3, 1
	v_add_nc_u32_e32 v1, 2, v58
	v_cmp_gt_u32_e32 vcc_lo, s7, v58
	s_delay_alu instid0(VALU_DEP_2) | instskip(NEXT) | instid1(VALU_DEP_1)
	v_cmp_le_u32_e64 s2, s7, v1
	s_and_b32 s2, vcc_lo, s2
	s_delay_alu instid0(SALU_CYCLE_1)
	s_and_saveexec_b32 s14, s2
	s_cbranch_execz .LBB147_6
; %bb.1:
	v_dual_mov_b32 v57, s13 :: v_dual_mov_b32 v56, s12
	s_add_i32 s15, s7, -2
	s_mov_b32 s18, exec_lo
	v_cmpx_ne_u32_e64 s15, v58
	s_cbranch_execz .LBB147_5
; %bb.2:
	v_subrev_nc_u32_e32 v1, s15, v58
	s_mov_b32 s2, 1
	s_mov_b32 s19, 0
	s_mov_b64 s[12:13], 0
	s_mov_b32 s3, s2
	v_cmp_lt_u32_e32 vcc_lo, 1, v1
	v_cndmask_b32_e32 v1, 1, v1, vcc_lo
.LBB147_3:                              ; =>This Inner Loop Header: Depth=1
	s_cmp_lg_u32 s12, 1
	s_cselect_b32 s3, s3, 0
	s_cmp_lg_u32 s12, 0
	s_cselect_b32 s2, s2, 0
	s_add_u32 s12, s12, 1
	v_dual_mov_b32 v57, s3 :: v_dual_mov_b32 v56, s2
	v_cmp_eq_u32_e32 vcc_lo, s12, v1
	s_addc_u32 s13, s13, 0
	s_or_b32 s19, vcc_lo, s19
	s_delay_alu instid0(SALU_CYCLE_1)
	s_and_not1_b32 exec_lo, exec_lo, s19
	s_cbranch_execnz .LBB147_3
; %bb.4:
	s_or_b32 exec_lo, exec_lo, s19
	v_mov_b32_e32 v58, s15
.LBB147_5:
	s_or_b32 exec_lo, exec_lo, s18
.LBB147_6:
	s_delay_alu instid0(SALU_CYCLE_1)
	s_or_b32 exec_lo, exec_lo, s14
	s_load_b64 s[12:13], s[0:1], 0x28
	v_and_b32_e32 v2, 0x3ff, v0
	s_mul_i32 s2, s6, 5
	s_mov_b32 s14, exec_lo
	s_min_u32 s3, s2, 0x8000
	s_delay_alu instid0(VALU_DEP_1) | instskip(NEXT) | instid1(VALU_DEP_1)
	v_lshlrev_b32_e32 v60, 3, v2
	v_lshl_add_u32 v4, v3, 9, v60
	s_delay_alu instid0(VALU_DEP_1)
	v_cmpx_gt_u32_e64 s3, v4
	s_cbranch_execz .LBB147_9
; %bb.7:
	v_lshlrev_b32_e32 v5, 10, v3
	v_lshlrev_b32_e32 v6, 4, v2
	s_mov_b32 s15, 0
	s_delay_alu instid0(VALU_DEP_1) | instskip(NEXT) | instid1(VALU_DEP_1)
	v_add_co_u32 v0, s2, v5, v6
	v_add_co_ci_u32_e64 v1, null, 0, 0, s2
	v_add_nc_u32_e32 v5, v5, v6
	s_delay_alu instid0(VALU_DEP_3) | instskip(NEXT) | instid1(VALU_DEP_3)
	v_add_co_u32 v0, vcc_lo, s8, v0
	v_add_co_ci_u32_e32 v1, vcc_lo, s9, v1, vcc_lo
	.p2align	6
.LBB147_8:                              ; =>This Inner Loop Header: Depth=1
	global_load_b128 v[6:9], v[0:1], off
	v_add_nc_u32_e32 v4, 0x2000, v4
	v_add_co_u32 v0, vcc_lo, 0x4000, v0
	v_add_co_ci_u32_e32 v1, vcc_lo, 0, v1, vcc_lo
	s_delay_alu instid0(VALU_DEP_3) | instskip(NEXT) | instid1(VALU_DEP_1)
	v_cmp_le_u32_e64 s2, s3, v4
	s_or_b32 s15, s2, s15
	s_waitcnt vmcnt(0)
	ds_store_b128 v5, v[6:9]
	v_add_nc_u32_e32 v5, 0x4000, v5
	s_and_not1_b32 exec_lo, exec_lo, s15
	s_cbranch_execnz .LBB147_8
.LBB147_9:
	s_or_b32 exec_lo, exec_lo, s14
	v_cmp_gt_u32_e32 vcc_lo, s16, v3
	v_cmp_gt_u32_e64 s2, s7, v58
	s_waitcnt lgkmcnt(0)
	s_barrier
	buffer_gl0_inv
	s_and_b32 s2, vcc_lo, s2
	s_delay_alu instid0(SALU_CYCLE_1)
	s_and_saveexec_b32 s3, s2
	s_cbranch_execz .LBB147_88
; %bb.10:
	s_cmp_lg_u32 s4, 0
	v_cvt_f32_u32_e32 v1, s10
	s_cselect_b32 s3, -1, 0
	s_add_i32 s20, s4, -8
	s_add_i32 s21, s7, -1
	s_cmp_lg_u64 s[12:13], 0
	v_mad_u64_u32 v[63:64], null, s6, 3, v[60:61]
	s_cselect_b32 s22, -1, 0
	s_abs_i32 s2, s11
	s_mul_i32 s11, s16, s17
	v_cvt_f32_u32_e32 v0, s2
	s_sub_i32 s15, 0, s2
	s_lshl_b32 s11, s11, 1
	s_add_i32 s23, s7, -2
	s_lshl_b32 s24, s6, 1
	v_rcp_iflag_f32_e32 v0, v0
	s_sub_i32 s18, 0, s10
	s_sub_i32 s16, 1, s2
	v_dual_mov_b32 v62, 0 :: v_dual_add_nc_u32 v79, s24, v60
	v_add_nc_u32_e32 v78, s6, v60
	v_lshlrev_b32_e32 v77, 4, v2
	v_mbcnt_lo_u32_b32 v82, -1, 0
	s_mov_b32 s25, 0
	s_mul_i32 s31, s6, 6
	s_waitcnt_depctr 0xfff
	v_mul_f32_e32 v0, 0x4f7ffffe, v0
	s_delay_alu instid0(VALU_DEP_1) | instskip(NEXT) | instid1(VALU_DEP_1)
	v_cvt_u32_f32_e32 v0, v0
	v_readfirstlane_b32 s14, v0
	v_rcp_iflag_f32_e32 v0, v1
	s_delay_alu instid0(VALU_DEP_1) | instskip(NEXT) | instid1(SALU_CYCLE_1)
	s_mul_i32 s15, s15, s14
	s_mul_hi_u32 s15, s14, s15
	s_delay_alu instid0(SALU_CYCLE_1)
	s_add_i32 s19, s14, s15
	s_cmp_lt_u32 s2, 2
	s_waitcnt_depctr 0xfff
	v_mul_f32_e32 v0, 0x4f7ffffe, v0
	s_cselect_b32 s26, s16, 1
	s_clause 0x1
	s_load_b64 s[14:15], s[0:1], 0x18
	s_load_b64 s[16:17], s[0:1], 0x30
	s_sub_i32 s0, s26, s2
	s_cmp_ge_u32 s26, s2
	v_cvt_u32_f32_e32 v0, v0
	s_cselect_b32 s26, s0, s26
	s_lshr_b32 s1, s19, 31
	v_cmp_eq_u32_e64 s0, 63, v2
	s_mul_i32 s1, s1, s2
	v_mul_lo_u32 v1, s18, v0
	s_sub_i32 s1, 2, s1
	s_mul_i32 s26, s26, s10
	s_sub_i32 s27, s1, s2
	s_cmp_ge_u32 s1, s2
	s_cselect_b32 s1, s27, s1
	s_mul_hi_u32 s27, s19, 3
	s_sub_i32 s28, s1, s2
	s_cmp_ge_u32 s1, s2
	s_mul_i32 s27, s27, s2
	s_cselect_b32 s1, s28, s1
	s_sub_i32 s27, 3, s27
	v_mul_hi_u32 v1, v0, v1
	s_sub_i32 s18, s27, s2
	s_cmp_ge_u32 s27, s2
	s_cselect_b32 s18, s18, s27
	s_delay_alu instid0(SALU_CYCLE_1) | instskip(SKIP_1) | instid1(VALU_DEP_1)
	s_sub_i32 s27, s18, s2
	s_cmp_ge_u32 s18, s2
	v_add_nc_u32_e32 v80, v0, v1
	s_cselect_b32 s29, s27, s18
	s_lshr_b32 s18, s19, 30
	s_mul_i32 s27, s1, s10
	s_mul_i32 s18, s18, s2
	;; [unrolled: 1-line block ×3, first 2 shown]
	s_sub_i32 s18, 4, s18
	s_delay_alu instid0(SALU_CYCLE_1) | instskip(SKIP_2) | instid1(SALU_CYCLE_1)
	s_sub_i32 s19, s18, s2
	s_cmp_ge_u32 s18, s2
	s_cselect_b32 s18, s19, s18
	s_sub_i32 s19, s18, s2
	s_cmp_ge_u32 s18, s2
	s_cselect_b32 s30, s19, s18
	s_lshl_b32 s28, s6, 2
	s_mul_i32 s30, s30, s10
	v_add_nc_u32_e32 v81, s28, v60
	s_lshl_b32 s6, s6, 3
	s_branch .LBB147_13
.LBB147_11:                             ;   in Loop: Header=BB147_13 Depth=1
	s_or_b32 exec_lo, exec_lo, s34
	v_mov_b32_e32 v58, s23
.LBB147_12:                             ;   in Loop: Header=BB147_13 Depth=1
	s_or_b32 exec_lo, exec_lo, s33
	s_delay_alu instid0(VALU_DEP_1) | instskip(SKIP_1) | instid1(SALU_CYCLE_1)
	v_cmp_le_u32_e32 vcc_lo, s7, v58
	s_or_b32 s25, vcc_lo, s25
	s_and_not1_b32 exec_lo, exec_lo, s25
	s_cbranch_execz .LBB147_88
.LBB147_13:                             ; =>This Loop Header: Depth=1
                                        ;     Child Loop BB147_18 Depth 2
                                        ;     Child Loop BB147_77 Depth 2
	v_dual_mov_b32 v91, v62 :: v_dual_add_nc_u32 v64, 1, v58
	v_mov_b32_e32 v90, v62
	v_mov_b32_e32 v89, v62
	;; [unrolled: 1-line block ×9, first 2 shown]
	s_and_not1_b32 vcc_lo, exec_lo, s3
	s_cbranch_vccnz .LBB147_60
; %bb.14:                               ;   in Loop: Header=BB147_13 Depth=1
	v_min_u32_e32 v0, s21, v58
	s_waitcnt lgkmcnt(0)
	v_min_u32_e32 v2, s21, v64
	v_dual_mov_b32 v1, v62 :: v_dual_mov_b32 v92, v77
	v_dual_mov_b32 v87, 0 :: v_dual_mov_b32 v86, 0
	v_mul_lo_u32 v61, v0, s5
	s_delay_alu instid0(VALU_DEP_4)
	v_mul_lo_u32 v0, v2, s5
	v_dual_mov_b32 v85, 0 :: v_dual_mov_b32 v84, 0
	v_dual_mov_b32 v83, 0 :: v_dual_mov_b32 v88, 0
	;; [unrolled: 1-line block ×3, first 2 shown]
	v_lshlrev_b64 v[65:66], 1, v[61:62]
	v_lshlrev_b64 v[67:68], 1, v[0:1]
	v_mov_b32_e32 v89, 0
	v_mov_b32_e32 v91, 0
	s_mov_b32 s1, 0
	s_branch .LBB147_18
.LBB147_15:                             ;   in Loop: Header=BB147_18 Depth=2
	s_or_b32 exec_lo, exec_lo, s19
.LBB147_16:                             ;   in Loop: Header=BB147_18 Depth=2
	s_delay_alu instid0(SALU_CYCLE_1)
	s_or_b32 exec_lo, exec_lo, s18
.LBB147_17:                             ;   in Loop: Header=BB147_18 Depth=2
	s_delay_alu instid0(SALU_CYCLE_1)
	s_or_b32 exec_lo, exec_lo, s2
	s_waitcnt vmcnt(0) lgkmcnt(0)
	;;#ASMSTART
	v_dot2_f32_f16 v91, v24, v12, v91
	;;#ASMEND
	;;#ASMSTART
	v_dot2_f32_f16 v90, v24, v8, v90
	;;#ASMEND
	;; [unrolled: 3-line block ×30, first 2 shown]
	v_add_nc_u32_e32 v92, 0x800, v92
	;;#ASMSTART
	v_dot2_f32_f16 v91, v27, v15, v91
	;;#ASMEND
	;;#ASMSTART
	v_dot2_f32_f16 v90, v27, v11, v90
	;;#ASMEND
	;;#ASMSTART
	v_dot2_f32_f16 v89, v19, v15, v89
	;;#ASMEND
	;;#ASMSTART
	v_dot2_f32_f16 v88, v19, v11, v88
	;;#ASMEND
	;;#ASMSTART
	v_dot2_f32_f16 v87, v23, v15, v87
	;;#ASMEND
	;;#ASMSTART
	v_dot2_f32_f16 v86, v23, v11, v86
	;;#ASMEND
	;;#ASMSTART
	v_dot2_f32_f16 v85, v31, v15, v85
	;;#ASMEND
	;;#ASMSTART
	v_dot2_f32_f16 v84, v31, v11, v84
	;;#ASMEND
	;;#ASMSTART
	v_dot2_f32_f16 v83, v35, v15, v83
	;;#ASMEND
	;;#ASMSTART
	v_dot2_f32_f16 v59, v35, v11, v59
	;;#ASMEND
	s_addk_i32 s1, 0x400
	;;#ASMSTART
	v_dot2_f32_f16 v91, v52, v4, v91
	;;#ASMEND
	;;#ASMSTART
	v_dot2_f32_f16 v90, v52, v0, v90
	;;#ASMEND
	;;#ASMSTART
	v_dot2_f32_f16 v89, v36, v4, v89
	;;#ASMEND
	;;#ASMSTART
	v_dot2_f32_f16 v88, v36, v0, v88
	;;#ASMEND
	;;#ASMSTART
	v_dot2_f32_f16 v87, v44, v4, v87
	;;#ASMEND
	;;#ASMSTART
	v_dot2_f32_f16 v86, v44, v0, v86
	;;#ASMEND
	;;#ASMSTART
	v_dot2_f32_f16 v85, v48, v4, v85
	;;#ASMEND
	;;#ASMSTART
	v_dot2_f32_f16 v84, v48, v0, v84
	;;#ASMEND
	;;#ASMSTART
	v_dot2_f32_f16 v83, v40, v4, v83
	;;#ASMEND
	;;#ASMSTART
	v_dot2_f32_f16 v59, v40, v0, v59
	;;#ASMEND
	;;#ASMSTART
	v_dot2_f32_f16 v91, v53, v5, v91
	;;#ASMEND
	;;#ASMSTART
	v_dot2_f32_f16 v90, v53, v1, v90
	;;#ASMEND
	;;#ASMSTART
	v_dot2_f32_f16 v89, v37, v5, v89
	;;#ASMEND
	;;#ASMSTART
	v_dot2_f32_f16 v88, v37, v1, v88
	;;#ASMEND
	;;#ASMSTART
	v_dot2_f32_f16 v87, v45, v5, v87
	;;#ASMEND
	;;#ASMSTART
	v_dot2_f32_f16 v86, v45, v1, v86
	;;#ASMEND
	;;#ASMSTART
	v_dot2_f32_f16 v85, v49, v5, v85
	;;#ASMEND
	;;#ASMSTART
	v_dot2_f32_f16 v84, v49, v1, v84
	;;#ASMEND
	;;#ASMSTART
	v_dot2_f32_f16 v83, v41, v5, v83
	;;#ASMEND
	;;#ASMSTART
	v_dot2_f32_f16 v59, v41, v1, v59
	;;#ASMEND
	s_cmp_ge_u32 s1, s4
	;;#ASMSTART
	v_dot2_f32_f16 v91, v54, v6, v91
	;;#ASMEND
	;;#ASMSTART
	v_dot2_f32_f16 v90, v54, v2, v90
	;;#ASMEND
	;; [unrolled: 3-line block ×20, first 2 shown]
	s_cbranch_scc1 .LBB147_60
.LBB147_18:                             ;   Parent Loop BB147_13 Depth=1
                                        ; =>  This Inner Loop Header: Depth=2
	v_dual_mov_b32 v43, 0 :: v_dual_add_nc_u32 v70, s1, v60
	v_dual_mov_b32 v41, 0 :: v_dual_mov_b32 v40, 0
	v_dual_mov_b32 v35, 0 :: v_dual_mov_b32 v34, 0
	s_delay_alu instid0(VALU_DEP_3) | instskip(SKIP_2) | instid1(VALU_DEP_3)
	v_min_u32_e32 v61, s20, v70
	v_dual_mov_b32 v42, 0 :: v_dual_add_nc_u32 v69, 0x200, v70
	v_dual_mov_b32 v33, 0 :: v_dual_mov_b32 v32, 0
	v_lshlrev_b64 v[0:1], 1, v[61:62]
	s_delay_alu instid0(VALU_DEP_3) | instskip(SKIP_3) | instid1(VALU_DEP_4)
	v_min_u32_e32 v61, s20, v69
	v_dual_mov_b32 v51, 0 :: v_dual_mov_b32 v50, 0
	v_dual_mov_b32 v49, 0 :: v_dual_mov_b32 v48, 0
	s_waitcnt lgkmcnt(0)
	v_add_co_u32 v4, vcc_lo, s14, v0
	v_add_co_ci_u32_e32 v5, vcc_lo, s15, v1, vcc_lo
	v_lshlrev_b64 v[0:1], 1, v[61:62]
	s_delay_alu instid0(VALU_DEP_3) | instskip(NEXT) | instid1(VALU_DEP_3)
	v_add_co_u32 v2, vcc_lo, v4, v65
	v_add_co_ci_u32_e32 v3, vcc_lo, v5, v66, vcc_lo
	v_dual_mov_b32 v31, 0 :: v_dual_mov_b32 v30, 0
	s_delay_alu instid0(VALU_DEP_4) | instskip(SKIP_3) | instid1(VALU_DEP_4)
	v_add_co_u32 v6, vcc_lo, s14, v0
	v_add_co_ci_u32_e32 v7, vcc_lo, s15, v1, vcc_lo
	v_add_co_u32 v0, vcc_lo, v4, v67
	v_add_co_ci_u32_e32 v1, vcc_lo, v5, v68, vcc_lo
	v_add_co_u32 v4, vcc_lo, v6, v65
	s_delay_alu instid0(VALU_DEP_4)
	v_add_co_ci_u32_e32 v5, vcc_lo, v7, v66, vcc_lo
	v_add_co_u32 v16, vcc_lo, v6, v67
	v_add_co_ci_u32_e32 v17, vcc_lo, v7, v68, vcc_lo
	s_clause 0x3
	global_load_b128 v[12:15], v[2:3], off slc dlc
	global_load_b128 v[8:11], v[0:1], off slc dlc
	global_load_b128 v[4:7], v[4:5], off slc dlc
	global_load_b128 v[0:3], v[16:17], off slc dlc
	v_cmp_gt_u32_e32 vcc_lo, s4, v70
	s_waitcnt vmcnt(12)
	v_dual_mov_b32 v29, 0 :: v_dual_mov_b32 v28, 0
	v_dual_mov_b32 v47, 0 :: v_dual_mov_b32 v46, 0
	;; [unrolled: 1-line block ×3, first 2 shown]
	s_waitcnt vmcnt(6)
	v_dual_mov_b32 v23, 0 :: v_dual_mov_b32 v22, 0
	s_waitcnt vmcnt(4)
	v_dual_mov_b32 v21, 0 :: v_dual_mov_b32 v20, 0
	v_dual_mov_b32 v39, 0 :: v_dual_mov_b32 v38, 0
	;; [unrolled: 1-line block ×9, first 2 shown]
	s_and_saveexec_b32 s2, vcc_lo
	s_cbranch_execz .LBB147_17
; %bb.19:                               ;   in Loop: Header=BB147_18 Depth=2
	s_mov_b32 s18, exec_lo
                                        ; implicit-def: $vgpr27
	v_cmpx_lt_u32_e32 0x7fff, v70
	s_xor_b32 s18, exec_lo, s18
	s_cbranch_execz .LBB147_21
; %bb.20:                               ;   in Loop: Header=BB147_18 Depth=2
	v_mov_b32_e32 v71, v62
	s_delay_alu instid0(VALU_DEP_1) | instskip(NEXT) | instid1(VALU_DEP_1)
	v_lshlrev_b64 v[16:17], 1, v[70:71]
	v_add_co_u32 v16, vcc_lo, s8, v16
	s_delay_alu instid0(VALU_DEP_2)
	v_add_co_ci_u32_e32 v17, vcc_lo, s9, v17, vcc_lo
	global_load_b128 v[24:27], v[16:17], off
.LBB147_21:                             ;   in Loop: Header=BB147_18 Depth=2
	s_and_not1_saveexec_b32 s18, s18
	s_cbranch_execz .LBB147_23
; %bb.22:                               ;   in Loop: Header=BB147_18 Depth=2
	s_waitcnt vmcnt(0)
	ds_load_b128 v[24:27], v92
.LBB147_23:                             ;   in Loop: Header=BB147_18 Depth=2
	s_or_b32 exec_lo, exec_lo, s18
	v_add_nc_u32_e32 v61, s1, v78
	s_mov_b32 s18, exec_lo
                                        ; implicit-def: $vgpr19
	s_delay_alu instid0(VALU_DEP_1)
	v_cmpx_lt_u32_e32 0x7fff, v61
	s_xor_b32 s18, exec_lo, s18
	s_cbranch_execz .LBB147_25
; %bb.24:                               ;   in Loop: Header=BB147_18 Depth=2
	v_lshlrev_b64 v[16:17], 1, v[61:62]
	s_delay_alu instid0(VALU_DEP_1) | instskip(NEXT) | instid1(VALU_DEP_2)
	v_add_co_u32 v16, vcc_lo, s8, v16
	v_add_co_ci_u32_e32 v17, vcc_lo, s9, v17, vcc_lo
	global_load_b128 v[16:19], v[16:17], off
.LBB147_25:                             ;   in Loop: Header=BB147_18 Depth=2
	s_and_not1_saveexec_b32 s18, s18
	s_cbranch_execz .LBB147_27
; %bb.26:                               ;   in Loop: Header=BB147_18 Depth=2
	s_waitcnt vmcnt(0)
	v_add_nc_u32_e32 v16, s24, v92
	ds_load_b128 v[16:19], v16
.LBB147_27:                             ;   in Loop: Header=BB147_18 Depth=2
	s_or_b32 exec_lo, exec_lo, s18
	v_add_nc_u32_e32 v75, s1, v79
	s_mov_b32 s18, exec_lo
                                        ; implicit-def: $vgpr23
	s_delay_alu instid0(VALU_DEP_1)
	v_cmpx_lt_u32_e32 0x7fff, v75
	s_xor_b32 s18, exec_lo, s18
	s_cbranch_execz .LBB147_29
; %bb.28:                               ;   in Loop: Header=BB147_18 Depth=2
	v_mov_b32_e32 v76, v62
	s_delay_alu instid0(VALU_DEP_1) | instskip(NEXT) | instid1(VALU_DEP_1)
	v_lshlrev_b64 v[20:21], 1, v[75:76]
	v_add_co_u32 v20, vcc_lo, s8, v20
	s_delay_alu instid0(VALU_DEP_2)
	v_add_co_ci_u32_e32 v21, vcc_lo, s9, v21, vcc_lo
	global_load_b128 v[20:23], v[20:21], off
.LBB147_29:                             ;   in Loop: Header=BB147_18 Depth=2
	s_and_not1_saveexec_b32 s18, s18
	s_cbranch_execz .LBB147_31
; %bb.30:                               ;   in Loop: Header=BB147_18 Depth=2
	s_waitcnt vmcnt(0)
	v_add_nc_u32_e32 v22, s28, v92
	ds_load_2addr_b32 v[20:21], v22 offset1:1
	ds_load_2addr_b32 v[22:23], v22 offset0:2 offset1:3
.LBB147_31:                             ;   in Loop: Header=BB147_18 Depth=2
	s_or_b32 exec_lo, exec_lo, s18
	v_add_nc_u32_e32 v73, s1, v63
	s_mov_b32 s18, exec_lo
                                        ; implicit-def: $vgpr31
	s_delay_alu instid0(VALU_DEP_1)
	v_cmpx_lt_u32_e32 0x7fff, v73
	s_xor_b32 s18, exec_lo, s18
	s_cbranch_execz .LBB147_33
; %bb.32:                               ;   in Loop: Header=BB147_18 Depth=2
	v_mov_b32_e32 v74, v62
	s_delay_alu instid0(VALU_DEP_1) | instskip(NEXT) | instid1(VALU_DEP_1)
	v_lshlrev_b64 v[28:29], 1, v[73:74]
	v_add_co_u32 v28, vcc_lo, s8, v28
	s_delay_alu instid0(VALU_DEP_2)
	v_add_co_ci_u32_e32 v29, vcc_lo, s9, v29, vcc_lo
	global_load_b128 v[28:31], v[28:29], off
.LBB147_33:                             ;   in Loop: Header=BB147_18 Depth=2
	s_and_not1_saveexec_b32 s18, s18
	s_cbranch_execz .LBB147_35
; %bb.34:                               ;   in Loop: Header=BB147_18 Depth=2
	s_waitcnt vmcnt(0)
	v_add_nc_u32_e32 v28, s31, v92
	ds_load_b128 v[28:31], v28
.LBB147_35:                             ;   in Loop: Header=BB147_18 Depth=2
	s_or_b32 exec_lo, exec_lo, s18
	v_add_nc_u32_e32 v71, s1, v81
	s_mov_b32 s18, exec_lo
                                        ; implicit-def: $vgpr35
	s_delay_alu instid0(VALU_DEP_1)
	v_cmpx_lt_u32_e32 0x7fff, v71
	s_xor_b32 s18, exec_lo, s18
	s_cbranch_execz .LBB147_37
; %bb.36:                               ;   in Loop: Header=BB147_18 Depth=2
	v_mov_b32_e32 v72, v62
	s_delay_alu instid0(VALU_DEP_1) | instskip(NEXT) | instid1(VALU_DEP_1)
	v_lshlrev_b64 v[32:33], 1, v[71:72]
	v_add_co_u32 v32, vcc_lo, s8, v32
	s_delay_alu instid0(VALU_DEP_2)
	v_add_co_ci_u32_e32 v33, vcc_lo, s9, v33, vcc_lo
	global_load_b128 v[32:35], v[32:33], off
.LBB147_37:                             ;   in Loop: Header=BB147_18 Depth=2
	s_and_not1_saveexec_b32 s18, s18
	s_cbranch_execz .LBB147_39
; %bb.38:                               ;   in Loop: Header=BB147_18 Depth=2
	s_waitcnt vmcnt(0)
	v_add_nc_u32_e32 v32, s6, v92
	ds_load_2addr_b64 v[32:35], v32 offset1:1
.LBB147_39:                             ;   in Loop: Header=BB147_18 Depth=2
	s_or_b32 exec_lo, exec_lo, s18
	v_cmp_gt_u32_e32 vcc_lo, s4, v69
	v_dual_mov_b32 v43, 0 :: v_dual_mov_b32 v42, 0
	v_dual_mov_b32 v41, 0 :: v_dual_mov_b32 v40, 0
	;; [unrolled: 1-line block ×10, first 2 shown]
	s_and_saveexec_b32 s18, vcc_lo
	s_cbranch_execz .LBB147_16
; %bb.40:                               ;   in Loop: Header=BB147_18 Depth=2
	s_mov_b32 s19, exec_lo
                                        ; implicit-def: $vgpr55
	v_cmpx_lt_u32_e32 0x7fff, v69
	s_xor_b32 s19, exec_lo, s19
	s_cbranch_execz .LBB147_42
; %bb.41:                               ;   in Loop: Header=BB147_18 Depth=2
	v_mov_b32_e32 v70, v62
	s_delay_alu instid0(VALU_DEP_1) | instskip(NEXT) | instid1(VALU_DEP_1)
	v_lshlrev_b64 v[36:37], 1, v[69:70]
	v_add_co_u32 v36, vcc_lo, s8, v36
	s_delay_alu instid0(VALU_DEP_2)
	v_add_co_ci_u32_e32 v37, vcc_lo, s9, v37, vcc_lo
	global_load_b128 v[52:55], v[36:37], off
.LBB147_42:                             ;   in Loop: Header=BB147_18 Depth=2
	s_and_not1_saveexec_b32 s19, s19
	s_cbranch_execz .LBB147_44
; %bb.43:                               ;   in Loop: Header=BB147_18 Depth=2
	s_waitcnt vmcnt(0)
	ds_load_b128 v[52:55], v92 offset:1024
.LBB147_44:                             ;   in Loop: Header=BB147_18 Depth=2
	s_or_b32 exec_lo, exec_lo, s19
	v_add_nc_u32_e32 v61, 0x200, v61
	s_mov_b32 s19, exec_lo
                                        ; implicit-def: $vgpr39
	s_delay_alu instid0(VALU_DEP_1)
	v_cmpx_lt_u32_e32 0x7fff, v61
	s_xor_b32 s19, exec_lo, s19
	s_cbranch_execz .LBB147_46
; %bb.45:                               ;   in Loop: Header=BB147_18 Depth=2
	v_lshlrev_b64 v[36:37], 1, v[61:62]
	s_delay_alu instid0(VALU_DEP_1) | instskip(NEXT) | instid1(VALU_DEP_2)
	v_add_co_u32 v36, vcc_lo, s8, v36
	v_add_co_ci_u32_e32 v37, vcc_lo, s9, v37, vcc_lo
	global_load_b128 v[36:39], v[36:37], off
.LBB147_46:                             ;   in Loop: Header=BB147_18 Depth=2
	s_and_not1_saveexec_b32 s19, s19
	s_cbranch_execz .LBB147_48
; %bb.47:                               ;   in Loop: Header=BB147_18 Depth=2
	s_waitcnt vmcnt(0)
	v_add_nc_u32_e32 v36, s24, v92
	ds_load_b128 v[36:39], v36 offset:1024
.LBB147_48:                             ;   in Loop: Header=BB147_18 Depth=2
	s_or_b32 exec_lo, exec_lo, s19
	v_add_nc_u32_e32 v61, 0x200, v75
	s_mov_b32 s19, exec_lo
                                        ; implicit-def: $vgpr47
	s_delay_alu instid0(VALU_DEP_1)
	v_cmpx_lt_u32_e32 0x7fff, v61
	s_xor_b32 s19, exec_lo, s19
	s_cbranch_execz .LBB147_50
; %bb.49:                               ;   in Loop: Header=BB147_18 Depth=2
	v_lshlrev_b64 v[40:41], 1, v[61:62]
	s_delay_alu instid0(VALU_DEP_1) | instskip(NEXT) | instid1(VALU_DEP_2)
	v_add_co_u32 v40, vcc_lo, s8, v40
	v_add_co_ci_u32_e32 v41, vcc_lo, s9, v41, vcc_lo
	global_load_b128 v[44:47], v[40:41], off
.LBB147_50:                             ;   in Loop: Header=BB147_18 Depth=2
	s_and_not1_saveexec_b32 s19, s19
	s_cbranch_execz .LBB147_52
; %bb.51:                               ;   in Loop: Header=BB147_18 Depth=2
	v_add_nc_u32_e32 v40, s28, v92
	s_delay_alu instid0(VALU_DEP_1)
	v_add_nc_u32_e32 v41, 0x400, v40
	v_add_nc_u32_e32 v40, 0x408, v40
	s_waitcnt vmcnt(0)
	ds_load_2addr_b32 v[44:45], v41 offset1:1
	ds_load_2addr_b32 v[46:47], v40 offset1:1
.LBB147_52:                             ;   in Loop: Header=BB147_18 Depth=2
	s_or_b32 exec_lo, exec_lo, s19
	v_add_nc_u32_e32 v61, 0x200, v73
	s_mov_b32 s19, exec_lo
                                        ; implicit-def: $vgpr51
	s_delay_alu instid0(VALU_DEP_1)
	v_cmpx_lt_u32_e32 0x7fff, v61
	s_xor_b32 s19, exec_lo, s19
	s_cbranch_execz .LBB147_54
; %bb.53:                               ;   in Loop: Header=BB147_18 Depth=2
	v_lshlrev_b64 v[40:41], 1, v[61:62]
	s_delay_alu instid0(VALU_DEP_1) | instskip(NEXT) | instid1(VALU_DEP_2)
	v_add_co_u32 v40, vcc_lo, s8, v40
	v_add_co_ci_u32_e32 v41, vcc_lo, s9, v41, vcc_lo
	global_load_b128 v[48:51], v[40:41], off
.LBB147_54:                             ;   in Loop: Header=BB147_18 Depth=2
	s_and_not1_saveexec_b32 s19, s19
	s_cbranch_execz .LBB147_56
; %bb.55:                               ;   in Loop: Header=BB147_18 Depth=2
	v_add_nc_u32_e32 v40, s31, v92
	s_waitcnt vmcnt(0)
	ds_load_b128 v[48:51], v40 offset:1024
.LBB147_56:                             ;   in Loop: Header=BB147_18 Depth=2
	s_or_b32 exec_lo, exec_lo, s19
	v_add_nc_u32_e32 v61, 0x200, v71
	s_mov_b32 s19, exec_lo
                                        ; implicit-def: $vgpr43
	s_delay_alu instid0(VALU_DEP_1)
	v_cmpx_lt_u32_e32 0x7fff, v61
	s_xor_b32 s19, exec_lo, s19
	s_cbranch_execz .LBB147_58
; %bb.57:                               ;   in Loop: Header=BB147_18 Depth=2
	v_lshlrev_b64 v[40:41], 1, v[61:62]
	s_delay_alu instid0(VALU_DEP_1) | instskip(NEXT) | instid1(VALU_DEP_2)
	v_add_co_u32 v40, vcc_lo, s8, v40
	v_add_co_ci_u32_e32 v41, vcc_lo, s9, v41, vcc_lo
	global_load_b128 v[40:43], v[40:41], off
.LBB147_58:                             ;   in Loop: Header=BB147_18 Depth=2
	s_and_not1_saveexec_b32 s19, s19
	s_cbranch_execz .LBB147_15
; %bb.59:                               ;   in Loop: Header=BB147_18 Depth=2
	s_waitcnt vmcnt(0)
	v_add_nc_u32_e32 v40, s6, v92
	ds_load_2addr_b64 v[40:43], v40 offset0:128 offset1:129
	s_branch .LBB147_15
.LBB147_60:                             ;   in Loop: Header=BB147_13 Depth=1
	v_xor_b32_e32 v0, 16, v82
	v_cvt_i32_f32_e32 v1, v91
	s_waitcnt lgkmcnt(0)
	v_cvt_i32_f32_e32 v2, v90
	v_cvt_i32_f32_e32 v3, v89
	;; [unrolled: 1-line block ×3, first 2 shown]
	v_cmp_gt_i32_e32 vcc_lo, 32, v0
	v_cvt_f32_i32_dpp v1, v1 row_shr:8 row_mask:0xf bank_mask:0xf bound_ctrl:1
	v_cvt_i32_f32_e32 v5, v87
	v_cvt_f32_i32_dpp v2, v2 row_shr:8 row_mask:0xf bank_mask:0xf bound_ctrl:1
	s_delay_alu instid0(VALU_DEP_3) | instskip(SKIP_1) | instid1(VALU_DEP_1)
	v_dual_cndmask_b32 v0, v82, v0 :: v_dual_add_f32 v1, v91, v1
	s_waitcnt vmcnt(0)
	v_lshlrev_b32_e32 v20, 2, v0
	v_cvt_f32_i32_dpp v0, v3 row_shr:8 row_mask:0xf bank_mask:0xf bound_ctrl:1
	v_cvt_f32_i32_dpp v3, v4 row_shr:8 row_mask:0xf bank_mask:0xf bound_ctrl:1
	v_cvt_f32_i32_dpp v4, v5 row_shr:8 row_mask:0xf bank_mask:0xf bound_ctrl:1
	v_cvt_i32_f32_e32 v5, v1
	s_delay_alu instid0(VALU_DEP_3) | instskip(NEXT) | instid1(VALU_DEP_2)
	v_add_f32_e32 v3, v88, v3
	v_cvt_f32_i32_dpp v5, v5 row_shr:4 row_mask:0xf bank_mask:0xf bound_ctrl:1
	v_add_f32_e32 v2, v90, v2
	s_delay_alu instid0(VALU_DEP_3) | instskip(NEXT) | instid1(VALU_DEP_3)
	v_cvt_i32_f32_e32 v8, v3
	v_add_f32_e32 v1, v1, v5
	s_delay_alu instid0(VALU_DEP_3) | instskip(NEXT) | instid1(VALU_DEP_3)
	v_cvt_i32_f32_e32 v6, v2
	v_cvt_f32_i32_dpp v8, v8 row_shr:4 row_mask:0xf bank_mask:0xf bound_ctrl:1
	s_delay_alu instid0(VALU_DEP_3) | instskip(NEXT) | instid1(VALU_DEP_3)
	v_cvt_i32_f32_e32 v5, v1
	v_cvt_f32_i32_dpp v6, v6 row_shr:4 row_mask:0xf bank_mask:0xf bound_ctrl:1
	s_delay_alu instid0(VALU_DEP_3) | instskip(NEXT) | instid1(VALU_DEP_3)
	v_add_f32_e32 v3, v3, v8
	v_cvt_f32_i32_dpp v5, v5 row_shr:2 row_mask:0xf bank_mask:0xf bound_ctrl:1
	v_add_f32_e32 v4, v87, v4
	s_delay_alu instid0(VALU_DEP_4) | instskip(NEXT) | instid1(VALU_DEP_4)
	v_add_f32_e32 v2, v2, v6
	v_cvt_i32_f32_e32 v8, v3
	s_delay_alu instid0(VALU_DEP_4) | instskip(NEXT) | instid1(VALU_DEP_4)
	v_add_f32_e32 v1, v1, v5
	v_cvt_i32_f32_e32 v9, v4
	s_delay_alu instid0(VALU_DEP_4) | instskip(NEXT) | instid1(VALU_DEP_4)
	v_cvt_i32_f32_e32 v6, v2
	v_cvt_f32_i32_dpp v8, v8 row_shr:2 row_mask:0xf bank_mask:0xf bound_ctrl:1
	s_delay_alu instid0(VALU_DEP_4) | instskip(NEXT) | instid1(VALU_DEP_4)
	v_cvt_i32_f32_e32 v5, v1
	v_cvt_f32_i32_dpp v9, v9 row_shr:4 row_mask:0xf bank_mask:0xf bound_ctrl:1
	s_delay_alu instid0(VALU_DEP_4) | instskip(NEXT) | instid1(VALU_DEP_4)
	v_cvt_f32_i32_dpp v6, v6 row_shr:2 row_mask:0xf bank_mask:0xf bound_ctrl:1
	v_add_f32_e32 v3, v3, v8
	s_delay_alu instid0(VALU_DEP_4) | instskip(NEXT) | instid1(VALU_DEP_4)
	v_cvt_f32_i32_dpp v5, v5 row_shr:1 row_mask:0xf bank_mask:0xf bound_ctrl:1
	v_add_f32_e32 v4, v4, v9
	s_delay_alu instid0(VALU_DEP_3) | instskip(NEXT) | instid1(VALU_DEP_3)
	v_cvt_i32_f32_e32 v8, v3
	v_add_f32_e32 v16, v1, v5
	v_cvt_i32_f32_e32 v1, v86
	s_delay_alu instid0(VALU_DEP_4) | instskip(NEXT) | instid1(VALU_DEP_4)
	v_cvt_i32_f32_e32 v9, v4
	v_cvt_f32_i32_dpp v10, v8 row_shr:1 row_mask:0xf bank_mask:0xf bound_ctrl:1
	v_add_f32_e32 v0, v89, v0
	s_delay_alu instid0(VALU_DEP_4) | instskip(NEXT) | instid1(VALU_DEP_4)
	v_cvt_f32_i32_dpp v1, v1 row_shr:8 row_mask:0xf bank_mask:0xf bound_ctrl:1
	v_cvt_f32_i32_dpp v9, v9 row_shr:2 row_mask:0xf bank_mask:0xf bound_ctrl:1
	s_delay_alu instid0(VALU_DEP_4) | instskip(NEXT) | instid1(VALU_DEP_4)
	v_add_f32_e32 v5, v3, v10
	v_cvt_i32_f32_e32 v7, v0
	v_cvt_i32_f32_e32 v3, v85
	v_add_f32_e32 v1, v86, v1
	s_delay_alu instid0(VALU_DEP_3) | instskip(NEXT) | instid1(VALU_DEP_3)
	v_cvt_f32_i32_dpp v7, v7 row_shr:4 row_mask:0xf bank_mask:0xf bound_ctrl:1
	v_cvt_f32_i32_dpp v3, v3 row_shr:8 row_mask:0xf bank_mask:0xf bound_ctrl:1
	v_add_f32_e32 v2, v2, v6
	s_delay_alu instid0(VALU_DEP_4) | instskip(NEXT) | instid1(VALU_DEP_4)
	v_cvt_i32_f32_e32 v11, v1
	v_add_f32_e32 v0, v0, v7
	s_delay_alu instid0(VALU_DEP_4) | instskip(NEXT) | instid1(VALU_DEP_4)
	v_add_f32_e32 v3, v85, v3
	v_cvt_i32_f32_e32 v6, v2
	s_delay_alu instid0(VALU_DEP_4)
	v_cvt_f32_i32_dpp v11, v11 row_shr:4 row_mask:0xf bank_mask:0xf bound_ctrl:1
	v_add_f32_e32 v4, v4, v9
	v_cvt_i32_f32_e32 v7, v0
	v_cvt_i32_f32_e32 v13, v3
	v_cvt_f32_i32_dpp v6, v6 row_shr:1 row_mask:0xf bank_mask:0xf bound_ctrl:1
	v_add_f32_e32 v1, v1, v11
	v_cvt_i32_f32_e32 v9, v4
	v_cvt_f32_i32_dpp v7, v7 row_shr:2 row_mask:0xf bank_mask:0xf bound_ctrl:1
	v_cvt_f32_i32_dpp v13, v13 row_shr:4 row_mask:0xf bank_mask:0xf bound_ctrl:1
	v_add_f32_e32 v12, v2, v6
	v_cvt_i32_f32_e32 v6, v83
	v_cvt_f32_i32_dpp v9, v9 row_shr:1 row_mask:0xf bank_mask:0xf bound_ctrl:1
	s_delay_alu instid0(VALU_DEP_4) | instskip(SKIP_1) | instid1(VALU_DEP_4)
	v_dual_add_f32 v0, v0, v7 :: v_dual_add_f32 v3, v3, v13
	v_cvt_i32_f32_e32 v11, v1
	v_cvt_f32_i32_dpp v6, v6 row_shr:8 row_mask:0xf bank_mask:0xf bound_ctrl:1
	ds_bpermute_b32 v14, v20, v12
	v_cvt_i32_f32_e32 v7, v0
	v_cvt_i32_f32_e32 v13, v3
	v_cvt_f32_i32_dpp v11, v11 row_shr:2 row_mask:0xf bank_mask:0xf bound_ctrl:1
	s_delay_alu instid0(VALU_DEP_3) | instskip(NEXT) | instid1(VALU_DEP_3)
	v_cvt_f32_i32_dpp v7, v7 row_shr:1 row_mask:0xf bank_mask:0xf bound_ctrl:1
	v_cvt_f32_i32_dpp v13, v13 row_shr:2 row_mask:0xf bank_mask:0xf bound_ctrl:1
	s_delay_alu instid0(VALU_DEP_3) | instskip(NEXT) | instid1(VALU_DEP_2)
	v_add_f32_e32 v1, v1, v11
	v_dual_add_f32 v8, v0, v7 :: v_dual_add_f32 v3, v3, v13
	v_add_f32_e32 v0, v4, v9
	v_cvt_i32_f32_e32 v9, v59
	v_cvt_i32_f32_e32 v4, v84
	ds_bpermute_b32 v10, v20, v8
	v_cvt_i32_f32_e32 v13, v3
	ds_bpermute_b32 v7, v20, v5
	v_cvt_f32_i32_dpp v9, v9 row_shr:8 row_mask:0xf bank_mask:0xf bound_ctrl:1
	v_cvt_f32_i32_dpp v4, v4 row_shr:8 row_mask:0xf bank_mask:0xf bound_ctrl:1
	;; [unrolled: 1-line block ×3, first 2 shown]
	s_delay_alu instid0(VALU_DEP_2) | instskip(NEXT) | instid1(VALU_DEP_2)
	v_dual_add_f32 v9, v59, v9 :: v_dual_add_f32 v4, v84, v4
	v_add_f32_e32 v13, v3, v13
	s_delay_alu instid0(VALU_DEP_2) | instskip(NEXT) | instid1(VALU_DEP_3)
	v_cvt_i32_f32_e32 v19, v9
	v_cvt_i32_f32_e32 v15, v4
	s_delay_alu instid0(VALU_DEP_2) | instskip(NEXT) | instid1(VALU_DEP_2)
	v_cvt_f32_i32_dpp v19, v19 row_shr:4 row_mask:0xf bank_mask:0xf bound_ctrl:1
	v_cvt_f32_i32_dpp v15, v15 row_shr:4 row_mask:0xf bank_mask:0xf bound_ctrl:1
	s_delay_alu instid0(VALU_DEP_2) | instskip(SKIP_2) | instid1(VALU_DEP_1)
	v_add_f32_e32 v9, v9, v19
	ds_bpermute_b32 v2, v20, v0
	v_cvt_i32_f32_e32 v19, v9
	v_cvt_f32_i32_dpp v19, v19 row_shr:2 row_mask:0xf bank_mask:0xf bound_ctrl:1
	s_delay_alu instid0(VALU_DEP_1) | instskip(NEXT) | instid1(VALU_DEP_1)
	v_dual_add_f32 v6, v83, v6 :: v_dual_add_f32 v11, v9, v19
	v_cvt_i32_f32_e32 v17, v6
	v_cvt_i32_f32_e32 v9, v1
	s_delay_alu instid0(VALU_DEP_3) | instskip(NEXT) | instid1(VALU_DEP_3)
	v_cvt_i32_f32_e32 v19, v11
	v_cvt_f32_i32_dpp v17, v17 row_shr:4 row_mask:0xf bank_mask:0xf bound_ctrl:1
	s_delay_alu instid0(VALU_DEP_3) | instskip(SKIP_1) | instid1(VALU_DEP_4)
	v_cvt_f32_i32_dpp v9, v9 row_shr:1 row_mask:0xf bank_mask:0xf bound_ctrl:1
	v_add_f32_e32 v4, v4, v15
	v_cvt_f32_i32_dpp v19, v19 row_shr:1 row_mask:0xf bank_mask:0xf bound_ctrl:1
	s_delay_alu instid0(VALU_DEP_4) | instskip(NEXT) | instid1(VALU_DEP_1)
	v_add_f32_e32 v6, v6, v17
	v_cvt_i32_f32_e32 v17, v6
	s_delay_alu instid0(VALU_DEP_1) | instskip(NEXT) | instid1(VALU_DEP_1)
	v_cvt_f32_i32_dpp v17, v17 row_shr:2 row_mask:0xf bank_mask:0xf bound_ctrl:1
	v_add_f32_e32 v6, v6, v17
	s_delay_alu instid0(VALU_DEP_1) | instskip(NEXT) | instid1(VALU_DEP_1)
	v_cvt_i32_f32_e32 v17, v6
	v_cvt_f32_i32_dpp v21, v17 row_shr:1 row_mask:0xf bank_mask:0xf bound_ctrl:1
	v_add_f32_e32 v17, v1, v9
	v_add_f32_e32 v1, v11, v19
	v_cvt_i32_f32_e32 v15, v4
	ds_bpermute_b32 v19, v20, v17
	ds_bpermute_b32 v3, v20, v1
	v_cvt_f32_i32_dpp v15, v15 row_shr:2 row_mask:0xf bank_mask:0xf bound_ctrl:1
	s_delay_alu instid0(VALU_DEP_1) | instskip(NEXT) | instid1(VALU_DEP_1)
	v_add_f32_e32 v4, v4, v15
	v_cvt_i32_f32_e32 v15, v4
	s_delay_alu instid0(VALU_DEP_1) | instskip(NEXT) | instid1(VALU_DEP_1)
	v_cvt_f32_i32_dpp v15, v15 row_shr:1 row_mask:0xf bank_mask:0xf bound_ctrl:1
	v_dual_add_f32 v9, v4, v15 :: v_dual_add_f32 v4, v6, v21
	ds_bpermute_b32 v18, v20, v16
	ds_bpermute_b32 v15, v20, v13
	;; [unrolled: 1-line block ×4, first 2 shown]
	s_and_saveexec_b32 s18, s0
	s_cbranch_execz .LBB147_74
; %bb.61:                               ;   in Loop: Header=BB147_13 Depth=1
	v_dual_mov_b32 v29, 0 :: v_dual_mov_b32 v28, 0
	v_dual_mov_b32 v27, 0 :: v_dual_mov_b32 v26, 0
	;; [unrolled: 1-line block ×5, first 2 shown]
	s_and_not1_b32 vcc_lo, exec_lo, s22
	s_cbranch_vccnz .LBB147_63
; %bb.62:                               ;   in Loop: Header=BB147_13 Depth=1
	v_mul_hi_u32 v20, v58, v80
	v_mul_hi_u32 v21, v64, v80
	s_delay_alu instid0(VALU_DEP_2) | instskip(NEXT) | instid1(VALU_DEP_2)
	v_mul_lo_u32 v20, v20, s10
	v_mul_lo_u32 v21, v21, s10
	s_delay_alu instid0(VALU_DEP_2) | instskip(NEXT) | instid1(VALU_DEP_2)
	v_sub_nc_u32_e32 v20, v58, v20
	v_sub_nc_u32_e32 v21, v64, v21
	s_delay_alu instid0(VALU_DEP_2) | instskip(SKIP_1) | instid1(VALU_DEP_3)
	v_subrev_nc_u32_e32 v22, s10, v20
	v_cmp_le_u32_e32 vcc_lo, s10, v20
	v_subrev_nc_u32_e32 v23, s10, v21
	s_delay_alu instid0(VALU_DEP_3) | instskip(SKIP_1) | instid1(VALU_DEP_3)
	v_cndmask_b32_e32 v20, v20, v22, vcc_lo
	v_cmp_le_u32_e32 vcc_lo, s10, v21
	v_cndmask_b32_e32 v23, v21, v23, vcc_lo
	s_delay_alu instid0(VALU_DEP_3) | instskip(SKIP_2) | instid1(VALU_DEP_4)
	v_subrev_nc_u32_e32 v25, s10, v20
	v_cmp_le_u32_e32 vcc_lo, s10, v20
	v_mov_b32_e32 v22, v62
	v_subrev_nc_u32_e32 v26, s10, v23
	s_delay_alu instid0(VALU_DEP_4) | instskip(SKIP_3) | instid1(VALU_DEP_4)
	v_cndmask_b32_e32 v61, v20, v25, vcc_lo
	v_cmp_le_u32_e32 vcc_lo, s10, v23
	v_mov_b32_e32 v21, v62
	v_mov_b32_e32 v24, v62
	v_dual_mov_b32 v28, v62 :: v_dual_add_nc_u32 v25, s27, v61
	v_cndmask_b32_e32 v20, v23, v26, vcc_lo
	v_lshlrev_b64 v[31:32], 1, v[61:62]
	v_mov_b32_e32 v26, v62
	v_dual_mov_b32 v30, v62 :: v_dual_add_nc_u32 v29, s29, v61
	s_delay_alu instid0(VALU_DEP_4)
	v_add_nc_u32_e32 v27, s27, v20
	v_lshlrev_b64 v[33:34], 1, v[20:21]
	v_add_nc_u32_e32 v21, s26, v61
	v_add_nc_u32_e32 v23, s26, v20
	v_add_co_u32 v31, vcc_lo, s12, v31
	v_add_co_ci_u32_e32 v32, vcc_lo, s13, v32, vcc_lo
	s_delay_alu instid0(VALU_DEP_4) | instskip(NEXT) | instid1(VALU_DEP_4)
	v_lshlrev_b64 v[21:22], 1, v[21:22]
	v_lshlrev_b64 v[23:24], 1, v[23:24]
	v_add_co_u32 v33, vcc_lo, s12, v33
	v_add_co_ci_u32_e32 v34, vcc_lo, s13, v34, vcc_lo
	v_lshlrev_b64 v[25:26], 1, v[25:26]
	v_add_co_u32 v21, vcc_lo, s12, v21
	v_add_co_ci_u32_e32 v22, vcc_lo, s13, v22, vcc_lo
	v_add_co_u32 v23, vcc_lo, s12, v23
	v_lshlrev_b64 v[27:28], 1, v[27:28]
	v_add_co_ci_u32_e32 v24, vcc_lo, s13, v24, vcc_lo
	v_add_co_u32 v35, vcc_lo, s12, v25
	v_add_co_ci_u32_e32 v36, vcc_lo, s13, v26, vcc_lo
	v_lshlrev_b64 v[25:26], 1, v[29:30]
	v_add_nc_u32_e32 v29, s29, v20
	v_add_co_u32 v37, vcc_lo, s12, v27
	v_add_nc_u32_e32 v61, s30, v61
	v_add_co_ci_u32_e32 v38, vcc_lo, s13, v28, vcc_lo
	s_delay_alu instid0(VALU_DEP_4)
	v_lshlrev_b64 v[27:28], 1, v[29:30]
	v_add_co_u32 v39, vcc_lo, s12, v25
	v_add_co_ci_u32_e32 v40, vcc_lo, s13, v26, vcc_lo
	v_lshlrev_b64 v[25:26], 1, v[61:62]
	v_add_nc_u32_e32 v61, s30, v20
	v_add_co_u32 v41, vcc_lo, s12, v27
	v_add_co_ci_u32_e32 v42, vcc_lo, s13, v28, vcc_lo
	s_delay_alu instid0(VALU_DEP_3) | instskip(SKIP_2) | instid1(VALU_DEP_3)
	v_lshlrev_b64 v[27:28], 1, v[61:62]
	v_add_co_u32 v43, vcc_lo, s12, v25
	v_add_co_ci_u32_e32 v44, vcc_lo, s13, v26, vcc_lo
	v_add_co_u32 v45, vcc_lo, s12, v27
	s_delay_alu instid0(VALU_DEP_4)
	v_add_co_ci_u32_e32 v46, vcc_lo, s13, v28, vcc_lo
	s_clause 0x9
	global_load_u16 v29, v[31:32], off
	global_load_u16 v28, v[33:34], off
	;; [unrolled: 1-line block ×10, first 2 shown]
.LBB147_63:                             ;   in Loop: Header=BB147_13 Depth=1
	v_cmp_ne_u32_e32 vcc_lo, 0, v56
	s_and_saveexec_b32 s2, vcc_lo
	s_cbranch_execnz .LBB147_79
; %bb.64:                               ;   in Loop: Header=BB147_13 Depth=1
	s_or_b32 exec_lo, exec_lo, s2
	v_cmp_ne_u32_e64 s1, 0, v57
	s_delay_alu instid0(VALU_DEP_1)
	s_and_saveexec_b32 s19, s1
	s_cbranch_execnz .LBB147_80
.LBB147_65:                             ;   in Loop: Header=BB147_13 Depth=1
	s_or_b32 exec_lo, exec_lo, s19
	v_add_nc_u32_e32 v61, s7, v58
	s_and_saveexec_b32 s19, vcc_lo
	s_cbranch_execnz .LBB147_81
.LBB147_66:                             ;   in Loop: Header=BB147_13 Depth=1
	s_or_b32 exec_lo, exec_lo, s19
	s_and_saveexec_b32 s19, s1
	s_cbranch_execnz .LBB147_82
.LBB147_67:                             ;   in Loop: Header=BB147_13 Depth=1
	s_or_b32 exec_lo, exec_lo, s19
	v_add_nc_u32_e32 v61, s7, v61
	s_and_saveexec_b32 s19, vcc_lo
	s_cbranch_execnz .LBB147_83
.LBB147_68:                             ;   in Loop: Header=BB147_13 Depth=1
	s_or_b32 exec_lo, exec_lo, s19
	s_and_saveexec_b32 s19, s1
	s_cbranch_execnz .LBB147_84
.LBB147_69:                             ;   in Loop: Header=BB147_13 Depth=1
	s_or_b32 exec_lo, exec_lo, s19
	v_add_nc_u32_e32 v61, s7, v61
	s_and_saveexec_b32 s19, vcc_lo
	s_cbranch_execnz .LBB147_85
.LBB147_70:                             ;   in Loop: Header=BB147_13 Depth=1
	s_or_b32 exec_lo, exec_lo, s19
	s_and_saveexec_b32 s19, s1
	s_cbranch_execnz .LBB147_86
.LBB147_71:                             ;   in Loop: Header=BB147_13 Depth=1
	s_or_b32 exec_lo, exec_lo, s19
	v_add_nc_u32_e32 v61, s7, v61
	s_and_saveexec_b32 s2, vcc_lo
	s_cbranch_execnz .LBB147_87
.LBB147_72:                             ;   in Loop: Header=BB147_13 Depth=1
	s_or_b32 exec_lo, exec_lo, s2
	s_delay_alu instid0(SALU_CYCLE_1)
	s_and_b32 exec_lo, exec_lo, s1
	s_cbranch_execz .LBB147_74
.LBB147_73:                             ;   in Loop: Header=BB147_13 Depth=1
	s_waitcnt lgkmcnt(0)
	v_dual_add_f32 v0, v1, v3 :: v_dual_add_nc_u32 v61, 1, v61
	s_waitcnt vmcnt(0)
	v_cvt_f32_f16_e32 v1, v20
	s_delay_alu instid0(VALU_DEP_1) | instskip(NEXT) | instid1(VALU_DEP_3)
	v_add_f32_e32 v2, v0, v1
	v_lshlrev_b64 v[0:1], 1, v[61:62]
	s_delay_alu instid0(VALU_DEP_2) | instskip(NEXT) | instid1(VALU_DEP_2)
	v_cvt_f16_f32_e32 v2, v2
	v_add_co_u32 v0, vcc_lo, s16, v0
	s_delay_alu instid0(VALU_DEP_3)
	v_add_co_ci_u32_e32 v1, vcc_lo, s17, v1, vcc_lo
	global_store_b16 v[0:1], v2, off
.LBB147_74:                             ;   in Loop: Header=BB147_13 Depth=1
	s_or_b32 exec_lo, exec_lo, s18
	v_add_nc_u32_e32 v58, s11, v58
	s_delay_alu instid0(VALU_DEP_1) | instskip(SKIP_1) | instid1(VALU_DEP_2)
	v_add_nc_u32_e32 v0, 2, v58
	v_cmp_gt_u32_e32 vcc_lo, s7, v58
	v_cmp_le_u32_e64 s1, s7, v0
	s_delay_alu instid0(VALU_DEP_1) | instskip(NEXT) | instid1(SALU_CYCLE_1)
	s_and_b32 s1, vcc_lo, s1
	s_and_saveexec_b32 s33, s1
	s_cbranch_execz .LBB147_12
; %bb.75:                               ;   in Loop: Header=BB147_13 Depth=1
	s_mov_b32 s34, exec_lo
	v_cmpx_ne_u32_e64 s23, v58
	s_cbranch_execz .LBB147_11
; %bb.76:                               ;   in Loop: Header=BB147_13 Depth=1
	v_subrev_nc_u32_e32 v0, s23, v58
	s_mov_b32 s35, 0
	s_mov_b64 s[18:19], 0
	s_delay_alu instid0(VALU_DEP_1)
	v_cmp_lt_u32_e32 vcc_lo, 1, v0
	v_cndmask_b32_e32 v0, 1, v0, vcc_lo
.LBB147_77:                             ;   Parent Loop BB147_13 Depth=1
                                        ; =>  This Inner Loop Header: Depth=2
	s_cmp_lg_u32 s18, 1
	s_cselect_b32 vcc_lo, -1, 0
	s_cmp_lg_u32 s18, 0
	v_cndmask_b32_e32 v57, 0, v57, vcc_lo
	s_cselect_b32 s1, -1, 0
	s_add_u32 s18, s18, 1
	v_cndmask_b32_e64 v56, 0, v56, s1
	v_cmp_eq_u32_e64 s2, s18, v0
	s_addc_u32 s19, s19, 0
	s_delay_alu instid0(VALU_DEP_1) | instskip(NEXT) | instid1(SALU_CYCLE_1)
	s_or_b32 s35, s2, s35
	s_and_not1_b32 exec_lo, exec_lo, s35
	s_cbranch_execnz .LBB147_77
; %bb.78:                               ;   in Loop: Header=BB147_13 Depth=1
	s_or_b32 exec_lo, exec_lo, s35
	s_branch .LBB147_11
.LBB147_79:                             ;   in Loop: Header=BB147_13 Depth=1
	s_waitcnt lgkmcnt(0)
	v_dual_add_f32 v16, v16, v18 :: v_dual_mov_b32 v59, v62
	s_waitcnt vmcnt(9)
	v_cvt_f32_f16_e32 v18, v29
	s_delay_alu instid0(VALU_DEP_2) | instskip(NEXT) | instid1(VALU_DEP_2)
	v_lshlrev_b64 v[29:30], 1, v[58:59]
	v_add_f32_e32 v16, v16, v18
	s_delay_alu instid0(VALU_DEP_1) | instskip(NEXT) | instid1(VALU_DEP_3)
	v_cvt_f16_f32_e32 v16, v16
	v_add_co_u32 v29, s1, s16, v29
	s_delay_alu instid0(VALU_DEP_1) | instskip(SKIP_3) | instid1(VALU_DEP_1)
	v_add_co_ci_u32_e64 v30, s1, s17, v30, s1
	global_store_b16 v[29:30], v16, off
	s_or_b32 exec_lo, exec_lo, s2
	v_cmp_ne_u32_e64 s1, 0, v57
	s_and_saveexec_b32 s19, s1
	s_cbranch_execz .LBB147_65
.LBB147_80:                             ;   in Loop: Header=BB147_13 Depth=1
	s_waitcnt lgkmcnt(0)
	v_dual_add_f32 v12, v12, v14 :: v_dual_mov_b32 v65, v62
	s_waitcnt vmcnt(8)
	v_cvt_f32_f16_e32 v14, v28
	s_delay_alu instid0(VALU_DEP_2) | instskip(NEXT) | instid1(VALU_DEP_2)
	v_lshlrev_b64 v[28:29], 1, v[64:65]
	v_add_f32_e32 v12, v12, v14
	s_delay_alu instid0(VALU_DEP_1) | instskip(NEXT) | instid1(VALU_DEP_3)
	v_cvt_f16_f32_e32 v12, v12
	v_add_co_u32 v28, s2, s16, v28
	s_delay_alu instid0(VALU_DEP_1)
	v_add_co_ci_u32_e64 v29, s2, s17, v29, s2
	global_store_b16 v[28:29], v12, off
	s_or_b32 exec_lo, exec_lo, s19
	v_add_nc_u32_e32 v61, s7, v58
	s_and_saveexec_b32 s19, vcc_lo
	s_cbranch_execz .LBB147_66
.LBB147_81:                             ;   in Loop: Header=BB147_13 Depth=1
	s_waitcnt lgkmcnt(0)
	v_add_f32_e32 v8, v8, v10
	s_waitcnt vmcnt(7)
	v_cvt_f32_f16_e32 v10, v27
	v_lshlrev_b64 v[27:28], 1, v[61:62]
	s_delay_alu instid0(VALU_DEP_2) | instskip(NEXT) | instid1(VALU_DEP_2)
	v_add_f32_e32 v8, v8, v10
	v_add_co_u32 v27, s2, s16, v27
	s_delay_alu instid0(VALU_DEP_1) | instskip(NEXT) | instid1(VALU_DEP_3)
	v_add_co_ci_u32_e64 v28, s2, s17, v28, s2
	v_cvt_f16_f32_e32 v8, v8
	global_store_b16 v[27:28], v8, off
	s_or_b32 exec_lo, exec_lo, s19
	s_and_saveexec_b32 s19, s1
	s_cbranch_execz .LBB147_67
.LBB147_82:                             ;   in Loop: Header=BB147_13 Depth=1
	s_waitcnt lgkmcnt(0)
	v_dual_add_f32 v5, v5, v7 :: v_dual_mov_b32 v8, v62
	v_add_nc_u32_e32 v7, 1, v61
	s_waitcnt vmcnt(6)
	v_cvt_f32_f16_e32 v10, v26
	s_delay_alu instid0(VALU_DEP_2) | instskip(NEXT) | instid1(VALU_DEP_2)
	v_lshlrev_b64 v[7:8], 1, v[7:8]
	v_add_f32_e32 v5, v5, v10
	s_delay_alu instid0(VALU_DEP_1) | instskip(NEXT) | instid1(VALU_DEP_3)
	v_cvt_f16_f32_e32 v5, v5
	v_add_co_u32 v7, s2, s16, v7
	s_delay_alu instid0(VALU_DEP_1)
	v_add_co_ci_u32_e64 v8, s2, s17, v8, s2
	global_store_b16 v[7:8], v5, off
	s_or_b32 exec_lo, exec_lo, s19
	v_add_nc_u32_e32 v61, s7, v61
	s_and_saveexec_b32 s19, vcc_lo
	s_cbranch_execz .LBB147_68
.LBB147_83:                             ;   in Loop: Header=BB147_13 Depth=1
	s_waitcnt lgkmcnt(0)
	v_add_f32_e32 v0, v0, v2
	s_waitcnt vmcnt(5)
	v_cvt_f32_f16_e32 v2, v25
	v_lshlrev_b64 v[7:8], 1, v[61:62]
	s_delay_alu instid0(VALU_DEP_2) | instskip(NEXT) | instid1(VALU_DEP_2)
	v_add_f32_e32 v0, v0, v2
	v_add_co_u32 v7, s2, s16, v7
	s_delay_alu instid0(VALU_DEP_1) | instskip(NEXT) | instid1(VALU_DEP_3)
	v_add_co_ci_u32_e64 v8, s2, s17, v8, s2
	v_cvt_f16_f32_e32 v0, v0
	global_store_b16 v[7:8], v0, off
	s_or_b32 exec_lo, exec_lo, s19
	s_and_saveexec_b32 s19, s1
	s_cbranch_execz .LBB147_69
.LBB147_84:                             ;   in Loop: Header=BB147_13 Depth=1
	s_waitcnt lgkmcnt(0)
	v_dual_add_f32 v0, v17, v19 :: v_dual_add_nc_u32 v7, 1, v61
	v_mov_b32_e32 v8, v62
	s_waitcnt vmcnt(4)
	v_cvt_f32_f16_e32 v2, v24
	s_delay_alu instid0(VALU_DEP_2) | instskip(NEXT) | instid1(VALU_DEP_2)
	v_lshlrev_b64 v[7:8], 1, v[7:8]
	v_add_f32_e32 v0, v0, v2
	s_delay_alu instid0(VALU_DEP_1) | instskip(NEXT) | instid1(VALU_DEP_3)
	v_cvt_f16_f32_e32 v0, v0
	v_add_co_u32 v7, s2, s16, v7
	s_delay_alu instid0(VALU_DEP_1)
	v_add_co_ci_u32_e64 v8, s2, s17, v8, s2
	global_store_b16 v[7:8], v0, off
	s_or_b32 exec_lo, exec_lo, s19
	v_add_nc_u32_e32 v61, s7, v61
	s_and_saveexec_b32 s19, vcc_lo
	s_cbranch_execz .LBB147_70
.LBB147_85:                             ;   in Loop: Header=BB147_13 Depth=1
	s_waitcnt lgkmcnt(0)
	v_add_f32_e32 v0, v13, v15
	s_waitcnt vmcnt(3)
	v_cvt_f32_f16_e32 v2, v23
	v_lshlrev_b64 v[7:8], 1, v[61:62]
	s_delay_alu instid0(VALU_DEP_2) | instskip(NEXT) | instid1(VALU_DEP_2)
	v_add_f32_e32 v0, v0, v2
	v_add_co_u32 v7, s2, s16, v7
	s_delay_alu instid0(VALU_DEP_1) | instskip(NEXT) | instid1(VALU_DEP_3)
	v_add_co_ci_u32_e64 v8, s2, s17, v8, s2
	v_cvt_f16_f32_e32 v0, v0
	global_store_b16 v[7:8], v0, off
	s_or_b32 exec_lo, exec_lo, s19
	s_and_saveexec_b32 s19, s1
	s_cbranch_execz .LBB147_71
.LBB147_86:                             ;   in Loop: Header=BB147_13 Depth=1
	s_waitcnt lgkmcnt(0)
	v_dual_add_f32 v0, v9, v11 :: v_dual_add_nc_u32 v7, 1, v61
	v_mov_b32_e32 v8, v62
	s_waitcnt vmcnt(2)
	v_cvt_f32_f16_e32 v2, v22
	s_delay_alu instid0(VALU_DEP_2) | instskip(NEXT) | instid1(VALU_DEP_2)
	v_lshlrev_b64 v[7:8], 1, v[7:8]
	v_add_f32_e32 v0, v0, v2
	s_delay_alu instid0(VALU_DEP_1) | instskip(NEXT) | instid1(VALU_DEP_3)
	v_cvt_f16_f32_e32 v0, v0
	v_add_co_u32 v7, s2, s16, v7
	s_delay_alu instid0(VALU_DEP_1)
	v_add_co_ci_u32_e64 v8, s2, s17, v8, s2
	global_store_b16 v[7:8], v0, off
	s_or_b32 exec_lo, exec_lo, s19
	v_add_nc_u32_e32 v61, s7, v61
	s_and_saveexec_b32 s2, vcc_lo
	s_cbranch_execz .LBB147_72
.LBB147_87:                             ;   in Loop: Header=BB147_13 Depth=1
	s_waitcnt lgkmcnt(0)
	v_add_f32_e32 v0, v4, v6
	s_waitcnt vmcnt(1)
	v_cvt_f32_f16_e32 v2, v21
	v_lshlrev_b64 v[4:5], 1, v[61:62]
	s_delay_alu instid0(VALU_DEP_2) | instskip(NEXT) | instid1(VALU_DEP_2)
	v_add_f32_e32 v0, v0, v2
	v_add_co_u32 v4, vcc_lo, s16, v4
	s_delay_alu instid0(VALU_DEP_3) | instskip(NEXT) | instid1(VALU_DEP_3)
	v_add_co_ci_u32_e32 v5, vcc_lo, s17, v5, vcc_lo
	v_cvt_f16_f32_e32 v0, v0
	global_store_b16 v[4:5], v0, off
	s_or_b32 exec_lo, exec_lo, s2
	s_delay_alu instid0(SALU_CYCLE_1)
	s_and_b32 exec_lo, exec_lo, s1
	s_cbranch_execnz .LBB147_73
	s_branch .LBB147_74
.LBB147_88:
	s_nop 0
	s_sendmsg sendmsg(MSG_DEALLOC_VGPRS)
	s_endpgm
	.section	.rodata,"a",@progbits
	.p2align	6, 0x0
	.amdhsa_kernel _Z12wvSplitK_hf_I6__halfLi64ELi2ELi16ELi8ELi2ELi5EEviiiiiiPKT_S3_S3_PS1_ii
		.amdhsa_group_segment_fixed_size 65536
		.amdhsa_private_segment_fixed_size 0
		.amdhsa_kernarg_size 64
		.amdhsa_user_sgpr_count 15
		.amdhsa_user_sgpr_dispatch_ptr 0
		.amdhsa_user_sgpr_queue_ptr 0
		.amdhsa_user_sgpr_kernarg_segment_ptr 1
		.amdhsa_user_sgpr_dispatch_id 0
		.amdhsa_user_sgpr_private_segment_size 0
		.amdhsa_wavefront_size32 1
		.amdhsa_uses_dynamic_stack 0
		.amdhsa_enable_private_segment 0
		.amdhsa_system_sgpr_workgroup_id_x 1
		.amdhsa_system_sgpr_workgroup_id_y 0
		.amdhsa_system_sgpr_workgroup_id_z 0
		.amdhsa_system_sgpr_workgroup_info 0
		.amdhsa_system_vgpr_workitem_id 1
		.amdhsa_next_free_vgpr 93
		.amdhsa_next_free_sgpr 36
		.amdhsa_reserve_vcc 1
		.amdhsa_float_round_mode_32 0
		.amdhsa_float_round_mode_16_64 0
		.amdhsa_float_denorm_mode_32 3
		.amdhsa_float_denorm_mode_16_64 3
		.amdhsa_dx10_clamp 1
		.amdhsa_ieee_mode 1
		.amdhsa_fp16_overflow 0
		.amdhsa_workgroup_processor_mode 1
		.amdhsa_memory_ordered 1
		.amdhsa_forward_progress 0
		.amdhsa_shared_vgpr_count 0
		.amdhsa_exception_fp_ieee_invalid_op 0
		.amdhsa_exception_fp_denorm_src 0
		.amdhsa_exception_fp_ieee_div_zero 0
		.amdhsa_exception_fp_ieee_overflow 0
		.amdhsa_exception_fp_ieee_underflow 0
		.amdhsa_exception_fp_ieee_inexact 0
		.amdhsa_exception_int_div_zero 0
	.end_amdhsa_kernel
	.section	.text._Z12wvSplitK_hf_I6__halfLi64ELi2ELi16ELi8ELi2ELi5EEviiiiiiPKT_S3_S3_PS1_ii,"axG",@progbits,_Z12wvSplitK_hf_I6__halfLi64ELi2ELi16ELi8ELi2ELi5EEviiiiiiPKT_S3_S3_PS1_ii,comdat
.Lfunc_end147:
	.size	_Z12wvSplitK_hf_I6__halfLi64ELi2ELi16ELi8ELi2ELi5EEviiiiiiPKT_S3_S3_PS1_ii, .Lfunc_end147-_Z12wvSplitK_hf_I6__halfLi64ELi2ELi16ELi8ELi2ELi5EEviiiiiiPKT_S3_S3_PS1_ii
                                        ; -- End function
	.section	.AMDGPU.csdata,"",@progbits
; Kernel info:
; codeLenInByte = 6664
; NumSgprs: 38
; NumVgprs: 93
; ScratchSize: 0
; MemoryBound: 0
; FloatMode: 240
; IeeeMode: 1
; LDSByteSize: 65536 bytes/workgroup (compile time only)
; SGPRBlocks: 4
; VGPRBlocks: 11
; NumSGPRsForWavesPerEU: 38
; NumVGPRsForWavesPerEU: 93
; Occupancy: 16
; WaveLimiterHint : 0
; COMPUTE_PGM_RSRC2:SCRATCH_EN: 0
; COMPUTE_PGM_RSRC2:USER_SGPR: 15
; COMPUTE_PGM_RSRC2:TRAP_HANDLER: 0
; COMPUTE_PGM_RSRC2:TGID_X_EN: 1
; COMPUTE_PGM_RSRC2:TGID_Y_EN: 0
; COMPUTE_PGM_RSRC2:TGID_Z_EN: 0
; COMPUTE_PGM_RSRC2:TIDIG_COMP_CNT: 1
	.section	.text._Z16wvSplitK_hf_big_I6__halfLi64ELi2ELi16ELi8ELi2ELi5EEviiiiiiPKT_S3_S3_PS1_ii,"axG",@progbits,_Z16wvSplitK_hf_big_I6__halfLi64ELi2ELi16ELi8ELi2ELi5EEviiiiiiPKT_S3_S3_PS1_ii,comdat
	.protected	_Z16wvSplitK_hf_big_I6__halfLi64ELi2ELi16ELi8ELi2ELi5EEviiiiiiPKT_S3_S3_PS1_ii ; -- Begin function _Z16wvSplitK_hf_big_I6__halfLi64ELi2ELi16ELi8ELi2ELi5EEviiiiiiPKT_S3_S3_PS1_ii
	.globl	_Z16wvSplitK_hf_big_I6__halfLi64ELi2ELi16ELi8ELi2ELi5EEviiiiiiPKT_S3_S3_PS1_ii
	.p2align	8
	.type	_Z16wvSplitK_hf_big_I6__halfLi64ELi2ELi16ELi8ELi2ELi5EEviiiiiiPKT_S3_S3_PS1_ii,@function
_Z16wvSplitK_hf_big_I6__halfLi64ELi2ELi16ELi8ELi2ELi5EEviiiiiiPKT_S3_S3_PS1_ii: ; @_Z16wvSplitK_hf_big_I6__halfLi64ELi2ELi16ELi8ELi2ELi5EEviiiiiiPKT_S3_S3_PS1_ii
; %bb.0:
	s_load_b64 s[20:21], s[0:1], 0x38
	v_bfe_u32 v1, v0, 10, 10
	s_mov_b32 s2, exec_lo
	s_waitcnt lgkmcnt(0)
	s_delay_alu instid0(VALU_DEP_1)
	v_cmpx_gt_u32_e64 s20, v1
	s_cbranch_execz .LBB148_60
; %bb.1:
	s_load_b128 s[16:19], s[0:1], 0x0
	s_mul_i32 s15, s15, s20
	s_mov_b32 s4, 1
	v_add_lshl_u32 v57, s15, v1, 1
	s_mov_b32 s5, s4
	s_delay_alu instid0(SALU_CYCLE_1) | instskip(NEXT) | instid1(VALU_DEP_2)
	v_dual_mov_b32 v56, s5 :: v_dual_mov_b32 v55, s4
	v_add_nc_u32_e32 v2, 2, v57
	s_waitcnt lgkmcnt(0)
	v_cmp_gt_u32_e32 vcc_lo, s19, v57
	s_delay_alu instid0(VALU_DEP_2) | instskip(NEXT) | instid1(VALU_DEP_1)
	v_cmp_le_u32_e64 s2, s19, v2
	s_and_b32 s2, vcc_lo, s2
	s_delay_alu instid0(SALU_CYCLE_1)
	s_and_saveexec_b32 s6, s2
	s_cbranch_execz .LBB148_7
; %bb.2:
	v_dual_mov_b32 v56, s5 :: v_dual_mov_b32 v55, s4
	s_add_i32 s7, s19, -2
	s_mov_b32 s8, exec_lo
	v_cmpx_ne_u32_e64 s7, v57
	s_cbranch_execz .LBB148_6
; %bb.3:
	v_subrev_nc_u32_e32 v2, s7, v57
	s_mov_b32 s2, 1
	s_mov_b32 s9, 0
	s_mov_b64 s[4:5], 0
	s_mov_b32 s3, s2
	v_cmp_lt_u32_e32 vcc_lo, 1, v2
	v_cndmask_b32_e32 v2, 1, v2, vcc_lo
.LBB148_4:                              ; =>This Inner Loop Header: Depth=1
	s_cmp_lg_u32 s4, 1
	s_cselect_b32 s3, s3, 0
	s_cmp_lg_u32 s4, 0
	s_cselect_b32 s2, s2, 0
	s_add_u32 s4, s4, 1
	v_dual_mov_b32 v56, s3 :: v_dual_mov_b32 v55, s2
	v_cmp_eq_u32_e32 vcc_lo, s4, v2
	s_addc_u32 s5, s5, 0
	s_or_b32 s9, vcc_lo, s9
	s_delay_alu instid0(SALU_CYCLE_1)
	s_and_not1_b32 exec_lo, exec_lo, s9
	s_cbranch_execnz .LBB148_4
; %bb.5:
	s_or_b32 exec_lo, exec_lo, s9
	v_mov_b32_e32 v57, s7
.LBB148_6:
	s_or_b32 exec_lo, exec_lo, s8
.LBB148_7:
	s_delay_alu instid0(SALU_CYCLE_1)
	s_or_b32 exec_lo, exec_lo, s6
	s_lshl_b32 s2, s20, 1
	s_abs_i32 s6, s19
	s_abs_i32 s3, s2
	s_mov_b32 s22, 0
	v_cvt_f32_u32_e32 v2, s3
	s_sub_i32 s5, 0, s3
	s_delay_alu instid0(VALU_DEP_1) | instskip(SKIP_2) | instid1(VALU_DEP_1)
	v_rcp_iflag_f32_e32 v2, v2
	s_waitcnt_depctr 0xfff
	v_mul_f32_e32 v2, 0x4f7ffffe, v2
	v_cvt_u32_f32_e32 v2, v2
	s_delay_alu instid0(VALU_DEP_1) | instskip(NEXT) | instid1(VALU_DEP_1)
	v_readfirstlane_b32 s4, v2
	s_mul_i32 s5, s5, s4
	s_delay_alu instid0(SALU_CYCLE_1) | instskip(NEXT) | instid1(SALU_CYCLE_1)
	s_mul_hi_u32 s5, s4, s5
	s_add_i32 s4, s4, s5
	s_ashr_i32 s5, s19, 31
	s_mul_hi_u32 s4, s6, s4
	s_delay_alu instid0(SALU_CYCLE_1) | instskip(NEXT) | instid1(SALU_CYCLE_1)
	s_mul_i32 s4, s4, s3
	s_sub_i32 s4, s6, s4
	s_delay_alu instid0(SALU_CYCLE_1) | instskip(SKIP_2) | instid1(SALU_CYCLE_1)
	s_sub_i32 s6, s4, s3
	s_cmp_ge_u32 s4, s3
	s_cselect_b32 s4, s6, s4
	s_sub_i32 s6, s4, s3
	s_cmp_ge_u32 s4, s3
	s_cselect_b32 s3, s6, s4
	s_add_i32 s2, s2, s19
	s_xor_b32 s3, s3, s5
	s_delay_alu instid0(SALU_CYCLE_1) | instskip(NEXT) | instid1(SALU_CYCLE_1)
	s_sub_i32 s3, s3, s5
	s_sub_i32 s2, s2, s3
	s_cmp_eq_u32 s3, 0
	s_cselect_b32 s3, s19, s2
	s_delay_alu instid0(SALU_CYCLE_1)
	v_cmp_gt_u32_e32 vcc_lo, s3, v57
	s_and_b32 exec_lo, exec_lo, vcc_lo
	s_cbranch_execz .LBB148_60
; %bb.8:
	s_load_b256 s[4:11], s[0:1], 0x10
	s_min_u32 s23, s18, 0x1800
	s_cmp_lg_u32 s16, 0
	s_mul_i32 s2, s21, s20
	s_cselect_b32 s24, -1, 0
	s_cmp_lg_u32 s18, 0
	s_load_b64 s[12:13], s[0:1], 0x30
	s_cselect_b32 s21, -1, 0
	s_lshl_b32 s25, s20, 9
	s_add_i32 s26, s16, -8
	s_add_i32 s27, s19, -1
	s_lshl_b32 s28, s2, 1
	v_and_b32_e32 v0, 0x3ff, v0
	v_mbcnt_lo_u32_b32 v66, -1, 0
	v_mov_b32_e32 v59, 0
	s_waitcnt lgkmcnt(0)
	s_cmp_lg_u64 s[10:11], 0
	s_cselect_b32 s29, -1, 0
	s_abs_i32 s2, s5
	s_add_i32 s30, s19, -2
	v_cvt_f32_u32_e32 v2, s2
	s_sub_i32 s1, 0, s2
	s_sub_i32 s14, 0, s4
	;; [unrolled: 1-line block ×3, first 2 shown]
	s_mul_i32 s5, s23, 6
	v_rcp_iflag_f32_e32 v2, v2
	s_waitcnt_depctr 0xfff
	v_mul_f32_e32 v2, 0x4f7ffffe, v2
	s_delay_alu instid0(VALU_DEP_1) | instskip(NEXT) | instid1(VALU_DEP_1)
	v_cvt_u32_f32_e32 v2, v2
	v_readfirstlane_b32 s0, v2
	v_cvt_f32_u32_e32 v2, s4
	s_delay_alu instid0(VALU_DEP_2) | instskip(NEXT) | instid1(VALU_DEP_1)
	s_mul_i32 s1, s1, s0
	v_rcp_iflag_f32_e32 v2, v2
	s_mul_hi_u32 s1, s0, s1
	v_lshlrev_b32_e32 v67, 3, v0
	s_add_i32 s1, s0, s1
	s_cmp_lt_u32 s2, 2
	v_cmp_eq_u32_e64 s0, 63, v0
	s_cselect_b32 s15, s15, 1
	v_lshlrev_b32_e32 v0, 4, v0
	s_sub_i32 s31, s15, s2
	s_cmp_ge_u32 s15, s2
	s_waitcnt_depctr 0xfff
	v_mul_f32_e32 v2, 0x4f7ffffe, v2
	s_cselect_b32 s31, s31, s15
	s_lshr_b32 s15, s1, 31
	v_lshl_add_u32 v60, v1, 9, v67
	s_mul_i32 s15, s15, s2
	v_cvt_u32_f32_e32 v2, v2
	s_sub_i32 s15, 2, s15
	v_lshl_add_u32 v68, v1, 10, v0
	s_sub_i32 s33, s15, s2
	s_cmp_ge_u32 s15, s2
	v_mul_lo_u32 v3, s14, v2
	s_cselect_b32 s14, s33, s15
	s_mul_hi_u32 s15, s1, 3
	s_sub_i32 s33, s14, s2
	s_cmp_ge_u32 s14, s2
	s_mul_i32 s15, s15, s2
	s_cselect_b32 s33, s33, s14
	s_sub_i32 s14, 3, s15
	v_mul_hi_u32 v0, v2, v3
	s_sub_i32 s15, s14, s2
	s_cmp_ge_u32 s14, s2
	v_mad_u64_u32 v[61:62], null, s18, 3, v[60:61]
	s_cselect_b32 s14, s15, s14
	v_lshl_add_u32 v69, s18, 1, v60
	s_sub_i32 s15, s14, s2
	s_cmp_ge_u32 s14, s2
	v_lshl_add_u32 v70, s18, 2, v60
	s_cselect_b32 s34, s15, s14
	s_lshr_b32 s1, s1, 30
	v_add_nc_u32_e32 v71, s18, v60
	s_mul_i32 s1, s1, s2
	v_add_nc_u32_e32 v72, v2, v0
	s_sub_i32 s1, 4, s1
	s_mul_i32 s31, s31, s4
	s_sub_i32 s14, s1, s2
	s_cmp_ge_u32 s1, s2
	s_mul_i32 s33, s33, s4
	s_cselect_b32 s1, s14, s1
	s_mul_i32 s34, s34, s4
	s_sub_i32 s14, s1, s2
	s_cmp_ge_u32 s1, s2
	s_cselect_b32 s39, s14, s1
	s_add_u32 s35, s12, 2
	s_addc_u32 s36, s13, 0
	s_lshl_b32 s37, s23, 3
	s_lshl_b32 s20, s20, 10
	;; [unrolled: 1-line block ×3, first 2 shown]
	s_mul_i32 s39, s39, s4
	s_lshl_b32 s40, s23, 1
	s_branch .LBB148_12
.LBB148_9:                              ;   in Loop: Header=BB148_12 Depth=1
	s_or_b32 exec_lo, exec_lo, s43
	v_mov_b32_e32 v57, s30
.LBB148_10:                             ;   in Loop: Header=BB148_12 Depth=1
	s_or_b32 exec_lo, exec_lo, s42
.LBB148_11:                             ;   in Loop: Header=BB148_12 Depth=1
	s_delay_alu instid0(SALU_CYCLE_1) | instskip(NEXT) | instid1(VALU_DEP_1)
	s_or_b32 exec_lo, exec_lo, s41
	v_cmp_le_u32_e32 vcc_lo, s3, v57
	s_or_b32 s22, vcc_lo, s22
	s_delay_alu instid0(SALU_CYCLE_1)
	s_and_not1_b32 exec_lo, exec_lo, s22
	s_cbranch_execz .LBB148_60
.LBB148_12:                             ; =>This Loop Header: Depth=1
                                        ;     Child Loop BB148_17 Depth 2
                                        ;       Child Loop BB148_22 Depth 3
                                        ;     Child Loop BB148_49 Depth 2
	v_mov_b32_e32 v82, v59
	v_mov_b32_e32 v81, v59
	v_mov_b32_e32 v80, v59
	v_mov_b32_e32 v79, v59
	v_mov_b32_e32 v73, v59
	v_mov_b32_e32 v74, v59
	v_mov_b32_e32 v75, v59
	v_mov_b32_e32 v77, v59
	v_mov_b32_e32 v76, v59
	v_mov_b32_e32 v78, v59
	s_and_not1_b32 vcc_lo, exec_lo, s24
	s_mov_b32 s14, 0
	s_cbranch_vccnz .LBB148_29
; %bb.13:                               ;   in Loop: Header=BB148_12 Depth=1
	v_dual_mov_b32 v1, v59 :: v_dual_add_nc_u32 v0, 1, v57
	s_waitcnt lgkmcnt(6)
	v_min_u32_e32 v2, s27, v57
	v_cmp_gt_u32_e64 s1, s19, v57
	v_dual_mov_b32 v78, 0 :: v_dual_mov_b32 v77, 0
	v_min_u32_e32 v0, s27, v0
	s_delay_alu instid0(VALU_DEP_4) | instskip(SKIP_2) | instid1(VALU_DEP_4)
	v_mul_lo_u32 v58, v2, s17
	v_dual_mov_b32 v76, 0 :: v_dual_mov_b32 v75, 0
	v_dual_mov_b32 v74, 0 :: v_dual_mov_b32 v73, 0
	v_mul_lo_u32 v0, v0, s17
	v_dual_mov_b32 v79, 0 :: v_dual_mov_b32 v80, 0
	v_lshlrev_b64 v[62:63], 1, v[58:59]
	v_dual_mov_b32 v81, 0 :: v_dual_mov_b32 v82, 0
	s_mov_b32 s15, 0
	s_delay_alu instid0(VALU_DEP_4)
	v_lshlrev_b64 v[64:65], 1, v[0:1]
	s_branch .LBB148_17
.LBB148_14:                             ;   in Loop: Header=BB148_17 Depth=2
	s_or_b32 exec_lo, exec_lo, s42
.LBB148_15:                             ;   in Loop: Header=BB148_17 Depth=2
	s_delay_alu instid0(SALU_CYCLE_1)
	s_or_b32 exec_lo, exec_lo, s41
	s_waitcnt vmcnt(3) lgkmcnt(4)
	;;#ASMSTART
	v_dot2_f32_f16 v82, v48, v24, v82
	;;#ASMEND
	s_waitcnt vmcnt(2)
	;;#ASMSTART
	v_dot2_f32_f16 v81, v48, v20, v81
	;;#ASMEND
	s_waitcnt lgkmcnt(3)
	;;#ASMSTART
	v_dot2_f32_f16 v80, v44, v24, v80
	;;#ASMEND
	;;#ASMSTART
	v_dot2_f32_f16 v79, v44, v20, v79
	;;#ASMEND
	s_waitcnt lgkmcnt(2)
	;;#ASMSTART
	v_dot2_f32_f16 v78, v40, v24, v78
	;;#ASMEND
	;; [unrolled: 7-line block ×4, first 2 shown]
	;;#ASMSTART
	v_dot2_f32_f16 v73, v32, v20, v73
	;;#ASMEND
	;;#ASMSTART
	v_dot2_f32_f16 v82, v49, v25, v82
	;;#ASMEND
	;; [unrolled: 3-line block ×31, first 2 shown]
	s_waitcnt vmcnt(1)
	;;#ASMSTART
	v_dot2_f32_f16 v82, v28, v4, v82
	;;#ASMEND
	s_waitcnt vmcnt(0)
	;;#ASMSTART
	v_dot2_f32_f16 v81, v28, v0, v81
	;;#ASMEND
	;;#ASMSTART
	v_dot2_f32_f16 v80, v16, v4, v80
	;;#ASMEND
	;; [unrolled: 3-line block ×39, first 2 shown]
.LBB148_16:                             ;   in Loop: Header=BB148_17 Depth=2
	s_or_b32 exec_lo, exec_lo, s2
	s_addk_i32 s15, 0x400
	s_delay_alu instid0(SALU_CYCLE_1)
	s_cmp_ge_u32 s15, s16
	s_cbranch_scc1 .LBB148_29
.LBB148_17:                             ;   Parent Loop BB148_12 Depth=1
                                        ; =>  This Loop Header: Depth=2
                                        ;       Child Loop BB148_22 Depth 3
	s_cmp_eq_u32 s15, 0
	s_cselect_b32 s41, -1, 0
	s_add_i32 s2, s14, s23
	s_delay_alu instid0(SALU_CYCLE_1) | instskip(SKIP_1) | instid1(SALU_CYCLE_1)
	s_cmp_eq_u32 s15, s2
	s_cselect_b32 s42, -1, 0
	s_or_b32 s42, s41, s42
	s_delay_alu instid0(SALU_CYCLE_1)
	s_and_not1_b32 vcc_lo, exec_lo, s42
	s_cbranch_vccz .LBB148_19
; %bb.18:                               ;   in Loop: Header=BB148_17 Depth=2
	s_and_saveexec_b32 s2, s1
	s_cbranch_execz .LBB148_16
	s_branch .LBB148_26
.LBB148_19:                             ;   in Loop: Header=BB148_17 Depth=2
	s_and_b32 s41, s41, exec_lo
	s_cselect_b32 s14, s14, s2
	s_and_not1_b32 vcc_lo, exec_lo, s21
	s_waitcnt vmcnt(0) lgkmcnt(0)
	s_waitcnt_vscnt null, 0x0
	s_barrier
	buffer_gl0_inv
	s_cbranch_vccnz .LBB148_25
; %bb.20:                               ;   in Loop: Header=BB148_17 Depth=2
	v_dual_mov_b32 v5, v68 :: v_dual_add_nc_u32 v0, s14, v69
	v_add_nc_u32_e32 v1, s14, v61
	v_add_nc_u32_e32 v2, s14, v70
	;; [unrolled: 1-line block ×4, first 2 shown]
	s_mov_b32 s41, 0
	s_mov_b32 s42, 0
                                        ; implicit-def: $sgpr43
	s_branch .LBB148_22
.LBB148_21:                             ;   in Loop: Header=BB148_22 Depth=3
	s_or_b32 exec_lo, exec_lo, s2
	s_delay_alu instid0(SALU_CYCLE_1) | instskip(NEXT) | instid1(SALU_CYCLE_1)
	s_and_b32 s2, exec_lo, s43
	s_or_b32 s41, s2, s41
	s_delay_alu instid0(SALU_CYCLE_1)
	s_and_not1_b32 exec_lo, exec_lo, s41
	s_cbranch_execz .LBB148_24
.LBB148_22:                             ;   Parent Loop BB148_12 Depth=1
                                        ;     Parent Loop BB148_17 Depth=2
                                        ; =>    This Inner Loop Header: Depth=3
	s_delay_alu instid0(VALU_DEP_1) | instskip(SKIP_2) | instid1(VALU_DEP_2)
	v_add_nc_u32_e32 v58, s42, v4
	v_add_nc_u32_e32 v6, s42, v60
	s_or_b32 s43, s43, exec_lo
	v_cmp_gt_u32_e32 vcc_lo, s18, v58
	s_delay_alu instid0(VALU_DEP_2) | instskip(NEXT) | instid1(VALU_DEP_1)
	v_cmp_gt_u32_e64 s2, s23, v6
	s_and_b32 s44, s2, vcc_lo
	s_delay_alu instid0(SALU_CYCLE_1)
	s_and_saveexec_b32 s2, s44
	s_cbranch_execz .LBB148_21
; %bb.23:                               ;   in Loop: Header=BB148_22 Depth=3
	v_lshlrev_b64 v[6:7], 1, v[58:59]
	v_add_nc_u32_e32 v58, s42, v3
	v_add_nc_u32_e32 v26, s40, v5
	;; [unrolled: 1-line block ×3, first 2 shown]
	s_delay_alu instid0(VALU_DEP_3) | instskip(SKIP_3) | instid1(VALU_DEP_3)
	v_lshlrev_b64 v[8:9], 1, v[58:59]
	v_add_nc_u32_e32 v58, s42, v0
	v_add_co_u32 v6, vcc_lo, s8, v6
	v_add_co_ci_u32_e32 v7, vcc_lo, s9, v7, vcc_lo
	v_lshlrev_b64 v[10:11], 1, v[58:59]
	v_add_nc_u32_e32 v58, s42, v1
	v_add_co_u32 v12, vcc_lo, s8, v8
	v_add_co_ci_u32_e32 v13, vcc_lo, s9, v9, vcc_lo
	s_delay_alu instid0(VALU_DEP_3) | instskip(SKIP_3) | instid1(VALU_DEP_3)
	v_lshlrev_b64 v[18:19], 1, v[58:59]
	v_add_nc_u32_e32 v58, s42, v2
	v_add_co_u32 v14, vcc_lo, s8, v10
	v_add_co_ci_u32_e32 v15, vcc_lo, s9, v11, vcc_lo
	v_lshlrev_b64 v[20:21], 1, v[58:59]
	v_add_co_u32 v18, vcc_lo, s8, v18
	v_add_co_ci_u32_e32 v19, vcc_lo, s9, v19, vcc_lo
	s_clause 0x2
	global_load_b128 v[6:9], v[6:7], off
	global_load_b128 v[10:13], v[12:13], off
	;; [unrolled: 1-line block ×3, first 2 shown]
	v_add_co_u32 v22, vcc_lo, s8, v20
	v_add_co_ci_u32_e32 v23, vcc_lo, s9, v21, vcc_lo
	s_clause 0x1
	global_load_b128 v[18:21], v[18:19], off
	global_load_b128 v[22:25], v[22:23], off
	s_add_i32 s42, s42, s25
	s_waitcnt vmcnt(4)
	ds_store_b128 v5, v[6:9]
	s_waitcnt vmcnt(3)
	ds_store_2addr_b64 v26, v[10:11], v[12:13] offset1:1
	s_waitcnt vmcnt(2)
	ds_store_2addr_b32 v27, v14, v15 offset1:1
	ds_store_2addr_b32 v27, v16, v17 offset0:2 offset1:3
	s_cmp_ge_u32 s42, s23
	v_add_nc_u32_e32 v6, s5, v5
	s_cselect_b32 s44, -1, 0
	v_add_nc_u32_e32 v7, s37, v5
	v_add_nc_u32_e32 v5, s20, v5
	s_and_not1_b32 s43, s43, exec_lo
	s_and_b32 s44, s44, exec_lo
	s_waitcnt vmcnt(1)
	ds_store_2addr_b64 v6, v[18:19], v[20:21] offset1:1
	s_or_b32 s43, s43, s44
	s_waitcnt vmcnt(0)
	ds_store_2addr_b64 v7, v[22:23], v[24:25] offset1:1
	s_branch .LBB148_21
.LBB148_24:                             ;   in Loop: Header=BB148_17 Depth=2
	s_or_b32 exec_lo, exec_lo, s41
.LBB148_25:                             ;   in Loop: Header=BB148_17 Depth=2
	s_waitcnt lgkmcnt(0)
	s_barrier
	buffer_gl0_inv
	s_and_saveexec_b32 s2, s1
	s_cbranch_execz .LBB148_16
.LBB148_26:                             ;   in Loop: Header=BB148_17 Depth=2
	v_dual_mov_b32 v48, 0 :: v_dual_add_nc_u32 v83, s15, v67
	v_dual_mov_b32 v50, 0 :: v_dual_mov_b32 v51, 0
	s_waitcnt vmcnt(8)
	v_dual_mov_b32 v28, 0 :: v_dual_mov_b32 v29, 0
	s_delay_alu instid0(VALU_DEP_3) | instskip(SKIP_2) | instid1(VALU_DEP_3)
	v_min_u32_e32 v58, s26, v83
	v_dual_mov_b32 v49, 0 :: v_dual_add_nc_u32 v84, 0x200, v83
	v_dual_mov_b32 v30, 0 :: v_dual_mov_b32 v31, 0
	v_lshlrev_b64 v[0:1], 1, v[58:59]
	s_delay_alu instid0(VALU_DEP_3) | instskip(SKIP_2) | instid1(VALU_DEP_4)
	v_min_u32_e32 v58, s26, v84
	v_dual_mov_b32 v44, 0 :: v_dual_mov_b32 v45, 0
	v_dual_mov_b32 v46, 0 :: v_dual_mov_b32 v47, 0
	v_add_co_u32 v4, vcc_lo, s6, v0
	v_add_co_ci_u32_e32 v5, vcc_lo, s7, v1, vcc_lo
	v_lshlrev_b64 v[0:1], 1, v[58:59]
	s_delay_alu instid0(VALU_DEP_3) | instskip(SKIP_1) | instid1(VALU_DEP_3)
	v_add_co_u32 v2, vcc_lo, v4, v62
	s_waitcnt lgkmcnt(4)
	v_add_co_ci_u32_e32 v3, vcc_lo, v5, v63, vcc_lo
	v_dual_mov_b32 v16, 0 :: v_dual_mov_b32 v17, 0
	s_waitcnt lgkmcnt(0)
	v_add_co_u32 v6, vcc_lo, s6, v0
	v_add_co_ci_u32_e32 v7, vcc_lo, s7, v1, vcc_lo
	v_add_co_u32 v0, vcc_lo, v4, v64
	v_add_co_ci_u32_e32 v1, vcc_lo, v5, v65, vcc_lo
	s_delay_alu instid0(VALU_DEP_4) | instskip(NEXT) | instid1(VALU_DEP_4)
	v_add_co_u32 v4, vcc_lo, v6, v62
	v_add_co_ci_u32_e32 v5, vcc_lo, v7, v63, vcc_lo
	v_add_co_u32 v8, vcc_lo, v6, v64
	v_add_co_ci_u32_e32 v9, vcc_lo, v7, v65, vcc_lo
	s_clause 0x3
	global_load_b128 v[24:27], v[2:3], off slc dlc
	global_load_b128 v[20:23], v[0:1], off slc dlc
	;; [unrolled: 1-line block ×4, first 2 shown]
	v_cmp_gt_u32_e32 vcc_lo, s16, v83
	v_dual_mov_b32 v18, 0 :: v_dual_mov_b32 v19, 0
	v_dual_mov_b32 v40, 0 :: v_dual_mov_b32 v41, 0
	;; [unrolled: 1-line block ×12, first 2 shown]
	v_mov_b32_e32 v52, 0
	v_mov_b32_e32 v54, 0
	s_and_saveexec_b32 s41, vcc_lo
	s_cbranch_execz .LBB148_15
; %bb.27:                               ;   in Loop: Header=BB148_17 Depth=2
	v_subrev_nc_u32_e32 v8, s14, v83
	v_cmp_gt_u32_e32 vcc_lo, s16, v84
	v_dual_mov_b32 v10, 0 :: v_dual_mov_b32 v9, 0
	v_dual_mov_b32 v14, 0 :: v_dual_mov_b32 v13, 0
	s_delay_alu instid0(VALU_DEP_4) | instskip(SKIP_1) | instid1(VALU_DEP_2)
	v_dual_mov_b32 v54, 0 :: v_dual_lshlrev_b32 v87, 1, v8
	v_dual_mov_b32 v8, 0 :: v_dual_mov_b32 v15, 0
	v_dual_mov_b32 v53, 0 :: v_dual_add_nc_u32 v86, s40, v87
	v_dual_mov_b32 v12, 0 :: v_dual_mov_b32 v19, 0
	v_dual_mov_b32 v18, 0 :: v_dual_mov_b32 v17, 0
	s_delay_alu instid0(VALU_DEP_3) | instskip(SKIP_1) | instid1(VALU_DEP_2)
	v_dual_mov_b32 v52, 0 :: v_dual_add_nc_u32 v83, s40, v86
	v_dual_mov_b32 v16, 0 :: v_dual_mov_b32 v31, 0
	v_dual_mov_b32 v11, 0 :: v_dual_add_nc_u32 v84, s40, v83
	v_mov_b32_e32 v58, 0
	v_dual_mov_b32 v30, 0 :: v_dual_mov_b32 v29, 0
	s_delay_alu instid0(VALU_DEP_3)
	v_dual_mov_b32 v28, 0 :: v_dual_add_nc_u32 v85, s40, v84
	ds_load_b128 v[48:51], v87
	ds_load_b128 v[44:47], v86
	;; [unrolled: 1-line block ×5, first 2 shown]
	s_and_saveexec_b32 s42, vcc_lo
	s_cbranch_execz .LBB148_14
; %bb.28:                               ;   in Loop: Header=BB148_17 Depth=2
	ds_load_b128 v[28:31], v87 offset:1024
	ds_load_b128 v[16:19], v86 offset:1024
	;; [unrolled: 1-line block ×4, first 2 shown]
	ds_load_b32 v58, v85 offset:1024
	ds_load_b96 v[52:54], v85 offset:1028
	s_branch .LBB148_14
.LBB148_29:                             ;   in Loop: Header=BB148_12 Depth=1
	s_mov_b32 s1, exec_lo
	v_cmpx_le_u32_e64 s19, v57
	s_xor_b32 s1, exec_lo, s1
; %bb.30:                               ;   in Loop: Header=BB148_12 Depth=1
	v_add_nc_u32_e32 v57, s28, v57
                                        ; implicit-def: $vgpr82
                                        ; implicit-def: $vgpr81
                                        ; implicit-def: $vgpr80
                                        ; implicit-def: $vgpr79
                                        ; implicit-def: $vgpr73
                                        ; implicit-def: $vgpr74
                                        ; implicit-def: $vgpr75
                                        ; implicit-def: $vgpr77
                                        ; implicit-def: $vgpr76
                                        ; implicit-def: $vgpr78
; %bb.31:                               ;   in Loop: Header=BB148_12 Depth=1
	s_and_not1_saveexec_b32 s41, s1
	s_cbranch_execz .LBB148_11
; %bb.32:                               ;   in Loop: Header=BB148_12 Depth=1
	v_xor_b32_e32 v0, 16, v66
	v_cvt_i32_f32_e32 v1, v82
	s_waitcnt lgkmcnt(4)
	v_cvt_i32_f32_e32 v3, v80
	v_cvt_i32_f32_e32 v4, v79
	;; [unrolled: 1-line block ×3, first 2 shown]
	v_cmp_gt_i32_e32 vcc_lo, 32, v0
	v_cvt_f32_i32_dpp v1, v1 row_shr:8 row_mask:0xf bank_mask:0xf bound_ctrl:1
	v_cvt_i32_f32_e32 v2, v81
	v_cndmask_b32_e32 v0, v66, v0, vcc_lo
	s_delay_alu instid0(VALU_DEP_3) | instskip(NEXT) | instid1(VALU_DEP_3)
	v_add_f32_e32 v1, v82, v1
	v_cvt_f32_i32_dpp v2, v2 row_shr:8 row_mask:0xf bank_mask:0xf bound_ctrl:1
	s_waitcnt vmcnt(0)
	s_delay_alu instid0(VALU_DEP_3) | instskip(SKIP_4) | instid1(VALU_DEP_3)
	v_lshlrev_b32_e32 v20, 2, v0
	v_cvt_f32_i32_dpp v0, v3 row_shr:8 row_mask:0xf bank_mask:0xf bound_ctrl:1
	v_cvt_f32_i32_dpp v3, v4 row_shr:8 row_mask:0xf bank_mask:0xf bound_ctrl:1
	;; [unrolled: 1-line block ×3, first 2 shown]
	v_cvt_i32_f32_e32 v5, v1
	v_add_f32_e32 v3, v79, v3
	s_delay_alu instid0(VALU_DEP_2) | instskip(SKIP_1) | instid1(VALU_DEP_3)
	v_cvt_f32_i32_dpp v5, v5 row_shr:4 row_mask:0xf bank_mask:0xf bound_ctrl:1
	v_add_f32_e32 v0, v80, v0
	v_cvt_i32_f32_e32 v8, v3
	s_delay_alu instid0(VALU_DEP_3) | instskip(NEXT) | instid1(VALU_DEP_3)
	v_add_f32_e32 v1, v1, v5
	v_cvt_i32_f32_e32 v7, v0
	s_delay_alu instid0(VALU_DEP_3) | instskip(SKIP_1) | instid1(VALU_DEP_4)
	v_cvt_f32_i32_dpp v8, v8 row_shr:4 row_mask:0xf bank_mask:0xf bound_ctrl:1
	v_add_f32_e32 v2, v81, v2
	v_cvt_i32_f32_e32 v5, v1
	s_delay_alu instid0(VALU_DEP_4) | instskip(NEXT) | instid1(VALU_DEP_4)
	v_cvt_f32_i32_dpp v7, v7 row_shr:4 row_mask:0xf bank_mask:0xf bound_ctrl:1
	v_add_f32_e32 v3, v3, v8
	s_waitcnt lgkmcnt(0)
	v_cvt_i32_f32_e32 v6, v2
	v_cvt_f32_i32_dpp v5, v5 row_shr:2 row_mask:0xf bank_mask:0xf bound_ctrl:1
	v_add_f32_e32 v4, v78, v4
	v_cvt_i32_f32_e32 v8, v3
	s_delay_alu instid0(VALU_DEP_4) | instskip(NEXT) | instid1(VALU_DEP_4)
	v_cvt_f32_i32_dpp v6, v6 row_shr:4 row_mask:0xf bank_mask:0xf bound_ctrl:1
	v_add_f32_e32 v1, v1, v5
	s_delay_alu instid0(VALU_DEP_4) | instskip(NEXT) | instid1(VALU_DEP_4)
	v_cvt_i32_f32_e32 v9, v4
	v_cvt_f32_i32_dpp v8, v8 row_shr:2 row_mask:0xf bank_mask:0xf bound_ctrl:1
	s_delay_alu instid0(VALU_DEP_4) | instskip(NEXT) | instid1(VALU_DEP_4)
	v_add_f32_e32 v2, v2, v6
	v_cvt_i32_f32_e32 v5, v1
	s_delay_alu instid0(VALU_DEP_4) | instskip(NEXT) | instid1(VALU_DEP_4)
	v_cvt_f32_i32_dpp v9, v9 row_shr:4 row_mask:0xf bank_mask:0xf bound_ctrl:1
	v_add_f32_e32 v3, v3, v8
	s_delay_alu instid0(VALU_DEP_4) | instskip(NEXT) | instid1(VALU_DEP_4)
	v_cvt_i32_f32_e32 v6, v2
	v_cvt_f32_i32_dpp v5, v5 row_shr:1 row_mask:0xf bank_mask:0xf bound_ctrl:1
	s_delay_alu instid0(VALU_DEP_3) | instskip(NEXT) | instid1(VALU_DEP_3)
	v_cvt_i32_f32_e32 v8, v3
	v_cvt_f32_i32_dpp v6, v6 row_shr:2 row_mask:0xf bank_mask:0xf bound_ctrl:1
	s_delay_alu instid0(VALU_DEP_3) | instskip(SKIP_1) | instid1(VALU_DEP_4)
	v_add_f32_e32 v16, v1, v5
	v_cvt_i32_f32_e32 v1, v76
	v_cvt_f32_i32_dpp v10, v8 row_shr:1 row_mask:0xf bank_mask:0xf bound_ctrl:1
	v_add_f32_e32 v0, v0, v7
	s_delay_alu instid0(VALU_DEP_3) | instskip(SKIP_1) | instid1(VALU_DEP_4)
	v_cvt_f32_i32_dpp v1, v1 row_shr:8 row_mask:0xf bank_mask:0xf bound_ctrl:1
	v_add_f32_e32 v2, v2, v6
	v_add_f32_e32 v5, v3, v10
	v_cvt_i32_f32_e32 v3, v77
	v_cvt_i32_f32_e32 v7, v0
	v_add_f32_e32 v1, v76, v1
	v_cvt_i32_f32_e32 v6, v2
	s_delay_alu instid0(VALU_DEP_4)
	v_cvt_f32_i32_dpp v3, v3 row_shr:8 row_mask:0xf bank_mask:0xf bound_ctrl:1
	v_add_f32_e32 v4, v4, v9
	v_cvt_f32_i32_dpp v7, v7 row_shr:2 row_mask:0xf bank_mask:0xf bound_ctrl:1
	v_cvt_i32_f32_e32 v11, v1
	v_cvt_f32_i32_dpp v6, v6 row_shr:1 row_mask:0xf bank_mask:0xf bound_ctrl:1
	v_add_f32_e32 v3, v77, v3
	v_cvt_i32_f32_e32 v9, v4
	v_add_f32_e32 v0, v0, v7
	v_cvt_f32_i32_dpp v11, v11 row_shr:4 row_mask:0xf bank_mask:0xf bound_ctrl:1
	s_delay_alu instid0(VALU_DEP_4) | instskip(NEXT) | instid1(VALU_DEP_4)
	v_cvt_i32_f32_e32 v13, v3
	v_cvt_f32_i32_dpp v9, v9 row_shr:2 row_mask:0xf bank_mask:0xf bound_ctrl:1
	s_delay_alu instid0(VALU_DEP_4) | instskip(NEXT) | instid1(VALU_DEP_4)
	v_cvt_i32_f32_e32 v7, v0
	v_add_f32_e32 v1, v1, v11
	s_delay_alu instid0(VALU_DEP_4) | instskip(NEXT) | instid1(VALU_DEP_4)
	v_cvt_f32_i32_dpp v13, v13 row_shr:4 row_mask:0xf bank_mask:0xf bound_ctrl:1
	v_add_f32_e32 v4, v4, v9
	v_add_f32_e32 v12, v2, v6
	v_cvt_f32_i32_dpp v7, v7 row_shr:1 row_mask:0xf bank_mask:0xf bound_ctrl:1
	v_cvt_i32_f32_e32 v6, v74
	v_add_f32_e32 v3, v3, v13
	v_cvt_i32_f32_e32 v9, v4
	v_cvt_i32_f32_e32 v11, v1
	ds_bpermute_b32 v14, v20, v12
	v_cvt_f32_i32_dpp v6, v6 row_shr:8 row_mask:0xf bank_mask:0xf bound_ctrl:1
	v_cvt_i32_f32_e32 v13, v3
	v_cvt_f32_i32_dpp v9, v9 row_shr:1 row_mask:0xf bank_mask:0xf bound_ctrl:1
	v_cvt_f32_i32_dpp v11, v11 row_shr:2 row_mask:0xf bank_mask:0xf bound_ctrl:1
	s_delay_alu instid0(VALU_DEP_3) | instskip(SKIP_1) | instid1(VALU_DEP_4)
	v_cvt_f32_i32_dpp v13, v13 row_shr:2 row_mask:0xf bank_mask:0xf bound_ctrl:1
	v_add_f32_e32 v8, v0, v7
	v_add_f32_e32 v0, v4, v9
	v_cvt_i32_f32_e32 v9, v73
	v_cvt_i32_f32_e32 v4, v75
	v_add_f32_e32 v3, v3, v13
	ds_bpermute_b32 v10, v20, v8
	v_add_f32_e32 v1, v1, v11
	v_cvt_f32_i32_dpp v9, v9 row_shr:8 row_mask:0xf bank_mask:0xf bound_ctrl:1
	v_cvt_f32_i32_dpp v4, v4 row_shr:8 row_mask:0xf bank_mask:0xf bound_ctrl:1
	v_cvt_i32_f32_e32 v13, v3
	ds_bpermute_b32 v7, v20, v5
	v_dual_add_f32 v9, v73, v9 :: v_dual_add_f32 v4, v75, v4
	v_cvt_f32_i32_dpp v13, v13 row_shr:1 row_mask:0xf bank_mask:0xf bound_ctrl:1
	s_delay_alu instid0(VALU_DEP_2) | instskip(NEXT) | instid1(VALU_DEP_3)
	v_cvt_i32_f32_e32 v19, v9
	v_cvt_i32_f32_e32 v15, v4
	s_delay_alu instid0(VALU_DEP_3) | instskip(NEXT) | instid1(VALU_DEP_3)
	v_add_f32_e32 v13, v3, v13
	v_cvt_f32_i32_dpp v19, v19 row_shr:4 row_mask:0xf bank_mask:0xf bound_ctrl:1
	s_delay_alu instid0(VALU_DEP_3) | instskip(NEXT) | instid1(VALU_DEP_2)
	v_cvt_f32_i32_dpp v15, v15 row_shr:4 row_mask:0xf bank_mask:0xf bound_ctrl:1
	v_add_f32_e32 v9, v9, v19
	ds_bpermute_b32 v2, v20, v0
	v_cvt_i32_f32_e32 v19, v9
	s_delay_alu instid0(VALU_DEP_1) | instskip(NEXT) | instid1(VALU_DEP_1)
	v_cvt_f32_i32_dpp v19, v19 row_shr:2 row_mask:0xf bank_mask:0xf bound_ctrl:1
	v_dual_add_f32 v6, v74, v6 :: v_dual_add_f32 v11, v9, v19
	s_delay_alu instid0(VALU_DEP_1) | instskip(SKIP_1) | instid1(VALU_DEP_3)
	v_cvt_i32_f32_e32 v17, v6
	v_cvt_i32_f32_e32 v9, v1
	;; [unrolled: 1-line block ×3, first 2 shown]
	s_delay_alu instid0(VALU_DEP_3) | instskip(NEXT) | instid1(VALU_DEP_3)
	v_cvt_f32_i32_dpp v17, v17 row_shr:4 row_mask:0xf bank_mask:0xf bound_ctrl:1
	v_cvt_f32_i32_dpp v9, v9 row_shr:1 row_mask:0xf bank_mask:0xf bound_ctrl:1
	v_add_f32_e32 v4, v4, v15
	s_delay_alu instid0(VALU_DEP_4) | instskip(NEXT) | instid1(VALU_DEP_4)
	v_cvt_f32_i32_dpp v19, v19 row_shr:1 row_mask:0xf bank_mask:0xf bound_ctrl:1
	v_add_f32_e32 v6, v6, v17
	s_delay_alu instid0(VALU_DEP_1) | instskip(NEXT) | instid1(VALU_DEP_1)
	v_cvt_i32_f32_e32 v17, v6
	v_cvt_f32_i32_dpp v17, v17 row_shr:2 row_mask:0xf bank_mask:0xf bound_ctrl:1
	s_delay_alu instid0(VALU_DEP_1) | instskip(NEXT) | instid1(VALU_DEP_1)
	v_add_f32_e32 v6, v6, v17
	v_cvt_i32_f32_e32 v17, v6
	s_delay_alu instid0(VALU_DEP_1)
	v_cvt_f32_i32_dpp v21, v17 row_shr:1 row_mask:0xf bank_mask:0xf bound_ctrl:1
	v_add_f32_e32 v17, v1, v9
	v_add_f32_e32 v1, v11, v19
	v_cvt_i32_f32_e32 v15, v4
	ds_bpermute_b32 v19, v20, v17
	ds_bpermute_b32 v3, v20, v1
	v_cvt_f32_i32_dpp v15, v15 row_shr:2 row_mask:0xf bank_mask:0xf bound_ctrl:1
	s_delay_alu instid0(VALU_DEP_1) | instskip(NEXT) | instid1(VALU_DEP_1)
	v_add_f32_e32 v4, v4, v15
	v_cvt_i32_f32_e32 v15, v4
	s_delay_alu instid0(VALU_DEP_1) | instskip(NEXT) | instid1(VALU_DEP_1)
	v_cvt_f32_i32_dpp v15, v15 row_shr:1 row_mask:0xf bank_mask:0xf bound_ctrl:1
	v_dual_add_f32 v9, v4, v15 :: v_dual_add_f32 v4, v6, v21
	ds_bpermute_b32 v18, v20, v16
	ds_bpermute_b32 v15, v20, v13
	;; [unrolled: 1-line block ×4, first 2 shown]
	s_and_saveexec_b32 s14, s0
	s_cbranch_execz .LBB148_46
; %bb.33:                               ;   in Loop: Header=BB148_12 Depth=1
	v_dual_mov_b32 v29, 0 :: v_dual_mov_b32 v28, 0
	v_dual_mov_b32 v27, 0 :: v_dual_mov_b32 v26, 0
	;; [unrolled: 1-line block ×5, first 2 shown]
	s_and_not1_b32 vcc_lo, exec_lo, s29
	s_cbranch_vccnz .LBB148_35
; %bb.34:                               ;   in Loop: Header=BB148_12 Depth=1
	v_add_nc_u32_e32 v20, 1, v57
	v_mul_hi_u32 v21, v57, v72
	v_mov_b32_e32 v27, v59
	v_mov_b32_e32 v29, v59
	s_delay_alu instid0(VALU_DEP_4) | instskip(NEXT) | instid1(VALU_DEP_4)
	v_mul_hi_u32 v22, v20, v72
	v_mul_lo_u32 v21, v21, s4
	s_delay_alu instid0(VALU_DEP_2) | instskip(NEXT) | instid1(VALU_DEP_2)
	v_mul_lo_u32 v22, v22, s4
	v_sub_nc_u32_e32 v21, v57, v21
	s_delay_alu instid0(VALU_DEP_2) | instskip(NEXT) | instid1(VALU_DEP_2)
	v_sub_nc_u32_e32 v20, v20, v22
	v_subrev_nc_u32_e32 v22, s4, v21
	v_cmp_le_u32_e32 vcc_lo, s4, v21
	s_delay_alu instid0(VALU_DEP_3) | instskip(NEXT) | instid1(VALU_DEP_3)
	v_subrev_nc_u32_e32 v23, s4, v20
	v_cndmask_b32_e32 v22, v21, v22, vcc_lo
	v_cmp_le_u32_e32 vcc_lo, s4, v20
	s_delay_alu instid0(VALU_DEP_3) | instskip(SKIP_1) | instid1(VALU_DEP_4)
	v_dual_mov_b32 v21, v59 :: v_dual_cndmask_b32 v20, v20, v23
	v_mov_b32_e32 v23, v59
	v_subrev_nc_u32_e32 v25, s4, v22
	v_cmp_le_u32_e32 vcc_lo, s4, v22
	s_delay_alu instid0(VALU_DEP_4) | instskip(NEXT) | instid1(VALU_DEP_3)
	v_subrev_nc_u32_e32 v28, s4, v20
	v_cndmask_b32_e32 v58, v22, v25, vcc_lo
	v_cmp_le_u32_e32 vcc_lo, s4, v20
	s_delay_alu instid0(VALU_DEP_2) | instskip(NEXT) | instid1(VALU_DEP_4)
	v_dual_mov_b32 v24, v59 :: v_dual_add_nc_u32 v25, s33, v58
	v_cndmask_b32_e32 v20, v20, v28, vcc_lo
	v_lshlrev_b64 v[30:31], 1, v[58:59]
	v_add_nc_u32_e32 v22, s31, v58
	v_mov_b32_e32 v26, v59
	v_add_nc_u32_e32 v28, s34, v58
	v_lshlrev_b64 v[32:33], 1, v[20:21]
	v_add_nc_u32_e32 v58, s39, v58
	v_lshlrev_b64 v[21:22], 1, v[22:23]
	v_add_nc_u32_e32 v23, s31, v20
	v_add_co_u32 v30, vcc_lo, s10, v30
	v_add_co_ci_u32_e32 v31, vcc_lo, s11, v31, vcc_lo
	v_lshlrev_b64 v[34:35], 1, v[25:26]
	v_add_co_u32 v32, vcc_lo, s10, v32
	v_add_nc_u32_e32 v26, s33, v20
	v_add_co_ci_u32_e32 v33, vcc_lo, s11, v33, vcc_lo
	v_lshlrev_b64 v[23:24], 1, v[23:24]
	v_add_co_u32 v21, vcc_lo, s10, v21
	v_add_co_ci_u32_e32 v22, vcc_lo, s11, v22, vcc_lo
	v_lshlrev_b64 v[36:37], 1, v[26:27]
	v_add_co_u32 v34, vcc_lo, s10, v34
	v_dual_mov_b32 v26, v59 :: v_dual_add_nc_u32 v25, s34, v20
	v_add_co_ci_u32_e32 v35, vcc_lo, s11, v35, vcc_lo
	v_lshlrev_b64 v[28:29], 1, v[28:29]
	v_add_co_u32 v23, vcc_lo, s10, v23
	v_add_co_ci_u32_e32 v24, vcc_lo, s11, v24, vcc_lo
	v_add_co_u32 v36, vcc_lo, s10, v36
	v_lshlrev_b64 v[25:26], 1, v[25:26]
	v_add_co_ci_u32_e32 v37, vcc_lo, s11, v37, vcc_lo
	v_add_co_u32 v38, vcc_lo, s10, v28
	v_lshlrev_b64 v[27:28], 1, v[58:59]
	v_add_nc_u32_e32 v58, s39, v20
	v_add_co_ci_u32_e32 v39, vcc_lo, s11, v29, vcc_lo
	v_add_co_u32 v40, vcc_lo, s10, v25
	v_add_co_ci_u32_e32 v41, vcc_lo, s11, v26, vcc_lo
	s_delay_alu instid0(VALU_DEP_4) | instskip(SKIP_2) | instid1(VALU_DEP_3)
	v_lshlrev_b64 v[25:26], 1, v[58:59]
	v_add_co_u32 v42, vcc_lo, s10, v27
	v_add_co_ci_u32_e32 v43, vcc_lo, s11, v28, vcc_lo
	v_add_co_u32 v44, vcc_lo, s10, v25
	s_delay_alu instid0(VALU_DEP_4)
	v_add_co_ci_u32_e32 v45, vcc_lo, s11, v26, vcc_lo
	s_clause 0x9
	global_load_u16 v29, v[30:31], off
	global_load_u16 v28, v[32:33], off
	;; [unrolled: 1-line block ×10, first 2 shown]
.LBB148_35:                             ;   in Loop: Header=BB148_12 Depth=1
	v_cmp_ne_u32_e32 vcc_lo, 0, v55
	s_and_saveexec_b32 s2, vcc_lo
	s_cbranch_execnz .LBB148_51
; %bb.36:                               ;   in Loop: Header=BB148_12 Depth=1
	s_or_b32 exec_lo, exec_lo, s2
	v_cmp_ne_u32_e64 s1, 0, v56
	s_delay_alu instid0(VALU_DEP_1)
	s_and_saveexec_b32 s15, s1
	s_cbranch_execnz .LBB148_52
.LBB148_37:                             ;   in Loop: Header=BB148_12 Depth=1
	s_or_b32 exec_lo, exec_lo, s15
	v_add_nc_u32_e32 v58, s19, v57
	s_and_saveexec_b32 s15, vcc_lo
	s_cbranch_execnz .LBB148_53
.LBB148_38:                             ;   in Loop: Header=BB148_12 Depth=1
	s_or_b32 exec_lo, exec_lo, s15
	s_and_saveexec_b32 s15, s1
	s_cbranch_execnz .LBB148_54
.LBB148_39:                             ;   in Loop: Header=BB148_12 Depth=1
	s_or_b32 exec_lo, exec_lo, s15
	v_add_nc_u32_e32 v58, s19, v58
	s_and_saveexec_b32 s15, vcc_lo
	s_cbranch_execnz .LBB148_55
.LBB148_40:                             ;   in Loop: Header=BB148_12 Depth=1
	s_or_b32 exec_lo, exec_lo, s15
	s_and_saveexec_b32 s15, s1
	s_cbranch_execnz .LBB148_56
.LBB148_41:                             ;   in Loop: Header=BB148_12 Depth=1
	s_or_b32 exec_lo, exec_lo, s15
	v_add_nc_u32_e32 v58, s19, v58
	s_and_saveexec_b32 s15, vcc_lo
	s_cbranch_execnz .LBB148_57
.LBB148_42:                             ;   in Loop: Header=BB148_12 Depth=1
	s_or_b32 exec_lo, exec_lo, s15
	s_and_saveexec_b32 s15, s1
	s_cbranch_execnz .LBB148_58
.LBB148_43:                             ;   in Loop: Header=BB148_12 Depth=1
	s_or_b32 exec_lo, exec_lo, s15
	v_add_nc_u32_e32 v58, s19, v58
	s_and_saveexec_b32 s2, vcc_lo
	s_cbranch_execnz .LBB148_59
.LBB148_44:                             ;   in Loop: Header=BB148_12 Depth=1
	s_or_b32 exec_lo, exec_lo, s2
	s_delay_alu instid0(SALU_CYCLE_1)
	s_and_b32 exec_lo, exec_lo, s1
	s_cbranch_execz .LBB148_46
.LBB148_45:                             ;   in Loop: Header=BB148_12 Depth=1
	s_waitcnt lgkmcnt(4)
	v_add_f32_e32 v0, v1, v3
	s_waitcnt vmcnt(0)
	v_cvt_f32_f16_e32 v1, v20
	v_add_nc_u32_e32 v58, 1, v58
	s_delay_alu instid0(VALU_DEP_2) | instskip(NEXT) | instid1(VALU_DEP_2)
	v_add_f32_e32 v2, v0, v1
	v_lshlrev_b64 v[0:1], 1, v[58:59]
	s_delay_alu instid0(VALU_DEP_2) | instskip(NEXT) | instid1(VALU_DEP_2)
	v_cvt_f16_f32_e32 v2, v2
	v_add_co_u32 v0, vcc_lo, s12, v0
	s_delay_alu instid0(VALU_DEP_3)
	v_add_co_ci_u32_e32 v1, vcc_lo, s13, v1, vcc_lo
	global_store_b16 v[0:1], v2, off
.LBB148_46:                             ;   in Loop: Header=BB148_12 Depth=1
	s_or_b32 exec_lo, exec_lo, s14
	v_add_nc_u32_e32 v57, s28, v57
	s_delay_alu instid0(VALU_DEP_1) | instskip(SKIP_1) | instid1(VALU_DEP_2)
	v_add_nc_u32_e32 v0, 2, v57
	v_cmp_gt_u32_e32 vcc_lo, s19, v57
	v_cmp_le_u32_e64 s1, s19, v0
	s_delay_alu instid0(VALU_DEP_1) | instskip(NEXT) | instid1(SALU_CYCLE_1)
	s_and_b32 s1, vcc_lo, s1
	s_and_saveexec_b32 s42, s1
	s_cbranch_execz .LBB148_10
; %bb.47:                               ;   in Loop: Header=BB148_12 Depth=1
	s_mov_b32 s43, exec_lo
	v_cmpx_ne_u32_e64 s30, v57
	s_cbranch_execz .LBB148_9
; %bb.48:                               ;   in Loop: Header=BB148_12 Depth=1
	v_subrev_nc_u32_e32 v0, s30, v57
	s_mov_b32 s44, 0
	s_mov_b64 s[14:15], 0
	s_delay_alu instid0(VALU_DEP_1)
	v_cmp_lt_u32_e32 vcc_lo, 1, v0
	v_cndmask_b32_e32 v0, 1, v0, vcc_lo
.LBB148_49:                             ;   Parent Loop BB148_12 Depth=1
                                        ; =>  This Inner Loop Header: Depth=2
	s_cmp_lg_u32 s14, 1
	s_cselect_b32 vcc_lo, -1, 0
	s_cmp_lg_u32 s14, 0
	v_cndmask_b32_e32 v56, 0, v56, vcc_lo
	s_cselect_b32 s1, -1, 0
	s_add_u32 s14, s14, 1
	v_cndmask_b32_e64 v55, 0, v55, s1
	v_cmp_eq_u32_e64 s2, s14, v0
	s_addc_u32 s15, s15, 0
	s_delay_alu instid0(VALU_DEP_1) | instskip(NEXT) | instid1(SALU_CYCLE_1)
	s_or_b32 s44, s2, s44
	s_and_not1_b32 exec_lo, exec_lo, s44
	s_cbranch_execnz .LBB148_49
; %bb.50:                               ;   in Loop: Header=BB148_12 Depth=1
	s_or_b32 exec_lo, exec_lo, s44
	s_branch .LBB148_9
.LBB148_51:                             ;   in Loop: Header=BB148_12 Depth=1
	v_mov_b32_e32 v58, v59
	s_waitcnt lgkmcnt(3)
	v_add_f32_e32 v16, v16, v18
	s_waitcnt vmcnt(9)
	v_cvt_f32_f16_e32 v18, v29
	v_lshlrev_b64 v[29:30], 1, v[57:58]
	s_delay_alu instid0(VALU_DEP_2) | instskip(NEXT) | instid1(VALU_DEP_2)
	v_add_f32_e32 v16, v16, v18
	v_add_co_u32 v29, s1, s12, v29
	s_delay_alu instid0(VALU_DEP_2) | instskip(NEXT) | instid1(VALU_DEP_4)
	v_cvt_f16_f32_e32 v16, v16
	v_add_co_ci_u32_e64 v30, s1, s13, v30, s1
	global_store_b16 v[29:30], v16, off
	s_or_b32 exec_lo, exec_lo, s2
	v_cmp_ne_u32_e64 s1, 0, v56
	s_delay_alu instid0(VALU_DEP_1)
	s_and_saveexec_b32 s15, s1
	s_cbranch_execz .LBB148_37
.LBB148_52:                             ;   in Loop: Header=BB148_12 Depth=1
	v_mov_b32_e32 v58, v59
	s_waitcnt lgkmcnt(9)
	v_add_f32_e32 v12, v12, v14
	s_waitcnt vmcnt(8)
	v_cvt_f32_f16_e32 v14, v28
	v_lshlrev_b64 v[28:29], 1, v[57:58]
	s_delay_alu instid0(VALU_DEP_2) | instskip(NEXT) | instid1(VALU_DEP_2)
	v_add_f32_e32 v12, v12, v14
	v_add_co_u32 v28, s2, s35, v28
	s_delay_alu instid0(VALU_DEP_2) | instskip(NEXT) | instid1(VALU_DEP_4)
	v_cvt_f16_f32_e32 v12, v12
	v_add_co_ci_u32_e64 v29, s2, s36, v29, s2
	global_store_b16 v[28:29], v12, off
	s_or_b32 exec_lo, exec_lo, s15
	v_add_nc_u32_e32 v58, s19, v57
	s_and_saveexec_b32 s15, vcc_lo
	s_cbranch_execz .LBB148_38
.LBB148_53:                             ;   in Loop: Header=BB148_12 Depth=1
	s_waitcnt lgkmcnt(8)
	v_add_f32_e32 v8, v8, v10
	s_waitcnt vmcnt(7)
	v_cvt_f32_f16_e32 v10, v27
	v_lshlrev_b64 v[27:28], 1, v[58:59]
	s_delay_alu instid0(VALU_DEP_2) | instskip(NEXT) | instid1(VALU_DEP_2)
	v_add_f32_e32 v8, v8, v10
	v_add_co_u32 v27, s2, s12, v27
	s_delay_alu instid0(VALU_DEP_1) | instskip(NEXT) | instid1(VALU_DEP_3)
	v_add_co_ci_u32_e64 v28, s2, s13, v28, s2
	v_cvt_f16_f32_e32 v8, v8
	global_store_b16 v[27:28], v8, off
	s_or_b32 exec_lo, exec_lo, s15
	s_and_saveexec_b32 s15, s1
	s_cbranch_execz .LBB148_39
.LBB148_54:                             ;   in Loop: Header=BB148_12 Depth=1
	s_waitcnt lgkmcnt(7)
	v_dual_add_f32 v5, v5, v7 :: v_dual_mov_b32 v8, v59
	v_add_nc_u32_e32 v7, 1, v58
	s_waitcnt vmcnt(6)
	v_cvt_f32_f16_e32 v10, v26
	s_delay_alu instid0(VALU_DEP_2) | instskip(NEXT) | instid1(VALU_DEP_2)
	v_lshlrev_b64 v[7:8], 1, v[7:8]
	v_add_f32_e32 v5, v5, v10
	s_delay_alu instid0(VALU_DEP_1) | instskip(NEXT) | instid1(VALU_DEP_3)
	v_cvt_f16_f32_e32 v5, v5
	v_add_co_u32 v7, s2, s12, v7
	s_delay_alu instid0(VALU_DEP_1)
	v_add_co_ci_u32_e64 v8, s2, s13, v8, s2
	global_store_b16 v[7:8], v5, off
	s_or_b32 exec_lo, exec_lo, s15
	v_add_nc_u32_e32 v58, s19, v58
	s_and_saveexec_b32 s15, vcc_lo
	s_cbranch_execz .LBB148_40
.LBB148_55:                             ;   in Loop: Header=BB148_12 Depth=1
	s_waitcnt lgkmcnt(6)
	v_add_f32_e32 v0, v0, v2
	s_waitcnt vmcnt(5)
	v_cvt_f32_f16_e32 v2, v25
	v_lshlrev_b64 v[7:8], 1, v[58:59]
	s_delay_alu instid0(VALU_DEP_2) | instskip(NEXT) | instid1(VALU_DEP_2)
	v_add_f32_e32 v0, v0, v2
	v_add_co_u32 v7, s2, s12, v7
	s_delay_alu instid0(VALU_DEP_1) | instskip(NEXT) | instid1(VALU_DEP_3)
	v_add_co_ci_u32_e64 v8, s2, s13, v8, s2
	v_cvt_f16_f32_e32 v0, v0
	global_store_b16 v[7:8], v0, off
	s_or_b32 exec_lo, exec_lo, s15
	s_and_saveexec_b32 s15, s1
	s_cbranch_execz .LBB148_41
.LBB148_56:                             ;   in Loop: Header=BB148_12 Depth=1
	s_waitcnt lgkmcnt(5)
	v_dual_add_f32 v0, v17, v19 :: v_dual_add_nc_u32 v7, 1, v58
	v_mov_b32_e32 v8, v59
	s_waitcnt vmcnt(4)
	v_cvt_f32_f16_e32 v2, v24
	s_delay_alu instid0(VALU_DEP_2) | instskip(NEXT) | instid1(VALU_DEP_2)
	v_lshlrev_b64 v[7:8], 1, v[7:8]
	v_add_f32_e32 v0, v0, v2
	s_delay_alu instid0(VALU_DEP_1) | instskip(NEXT) | instid1(VALU_DEP_3)
	v_cvt_f16_f32_e32 v0, v0
	v_add_co_u32 v7, s2, s12, v7
	s_delay_alu instid0(VALU_DEP_1)
	v_add_co_ci_u32_e64 v8, s2, s13, v8, s2
	global_store_b16 v[7:8], v0, off
	s_or_b32 exec_lo, exec_lo, s15
	v_add_nc_u32_e32 v58, s19, v58
	s_and_saveexec_b32 s15, vcc_lo
	s_cbranch_execz .LBB148_42
.LBB148_57:                             ;   in Loop: Header=BB148_12 Depth=1
	s_waitcnt lgkmcnt(2)
	v_add_f32_e32 v0, v13, v15
	s_waitcnt vmcnt(3)
	v_cvt_f32_f16_e32 v2, v23
	v_lshlrev_b64 v[7:8], 1, v[58:59]
	s_delay_alu instid0(VALU_DEP_2) | instskip(NEXT) | instid1(VALU_DEP_2)
	v_add_f32_e32 v0, v0, v2
	v_add_co_u32 v7, s2, s12, v7
	s_delay_alu instid0(VALU_DEP_1) | instskip(NEXT) | instid1(VALU_DEP_3)
	v_add_co_ci_u32_e64 v8, s2, s13, v8, s2
	v_cvt_f16_f32_e32 v0, v0
	global_store_b16 v[7:8], v0, off
	s_or_b32 exec_lo, exec_lo, s15
	s_and_saveexec_b32 s15, s1
	s_cbranch_execz .LBB148_43
.LBB148_58:                             ;   in Loop: Header=BB148_12 Depth=1
	s_waitcnt lgkmcnt(1)
	v_dual_add_f32 v0, v9, v11 :: v_dual_add_nc_u32 v7, 1, v58
	v_mov_b32_e32 v8, v59
	s_waitcnt vmcnt(2)
	v_cvt_f32_f16_e32 v2, v22
	s_delay_alu instid0(VALU_DEP_2) | instskip(NEXT) | instid1(VALU_DEP_2)
	v_lshlrev_b64 v[7:8], 1, v[7:8]
	v_add_f32_e32 v0, v0, v2
	s_delay_alu instid0(VALU_DEP_1) | instskip(NEXT) | instid1(VALU_DEP_3)
	v_cvt_f16_f32_e32 v0, v0
	v_add_co_u32 v7, s2, s12, v7
	s_delay_alu instid0(VALU_DEP_1)
	v_add_co_ci_u32_e64 v8, s2, s13, v8, s2
	global_store_b16 v[7:8], v0, off
	s_or_b32 exec_lo, exec_lo, s15
	v_add_nc_u32_e32 v58, s19, v58
	s_and_saveexec_b32 s2, vcc_lo
	s_cbranch_execz .LBB148_44
.LBB148_59:                             ;   in Loop: Header=BB148_12 Depth=1
	s_waitcnt lgkmcnt(0)
	v_add_f32_e32 v0, v4, v6
	s_waitcnt vmcnt(1)
	v_cvt_f32_f16_e32 v2, v21
	v_lshlrev_b64 v[4:5], 1, v[58:59]
	s_delay_alu instid0(VALU_DEP_2) | instskip(NEXT) | instid1(VALU_DEP_2)
	v_add_f32_e32 v0, v0, v2
	v_add_co_u32 v4, vcc_lo, s12, v4
	s_delay_alu instid0(VALU_DEP_3) | instskip(NEXT) | instid1(VALU_DEP_3)
	v_add_co_ci_u32_e32 v5, vcc_lo, s13, v5, vcc_lo
	v_cvt_f16_f32_e32 v0, v0
	global_store_b16 v[4:5], v0, off
	s_or_b32 exec_lo, exec_lo, s2
	s_delay_alu instid0(SALU_CYCLE_1)
	s_and_b32 exec_lo, exec_lo, s1
	s_cbranch_execnz .LBB148_45
	s_branch .LBB148_46
.LBB148_60:
	s_nop 0
	s_sendmsg sendmsg(MSG_DEALLOC_VGPRS)
	s_endpgm
	.section	.rodata,"a",@progbits
	.p2align	6, 0x0
	.amdhsa_kernel _Z16wvSplitK_hf_big_I6__halfLi64ELi2ELi16ELi8ELi2ELi5EEviiiiiiPKT_S3_S3_PS1_ii
		.amdhsa_group_segment_fixed_size 65536
		.amdhsa_private_segment_fixed_size 0
		.amdhsa_kernarg_size 64
		.amdhsa_user_sgpr_count 15
		.amdhsa_user_sgpr_dispatch_ptr 0
		.amdhsa_user_sgpr_queue_ptr 0
		.amdhsa_user_sgpr_kernarg_segment_ptr 1
		.amdhsa_user_sgpr_dispatch_id 0
		.amdhsa_user_sgpr_private_segment_size 0
		.amdhsa_wavefront_size32 1
		.amdhsa_uses_dynamic_stack 0
		.amdhsa_enable_private_segment 0
		.amdhsa_system_sgpr_workgroup_id_x 1
		.amdhsa_system_sgpr_workgroup_id_y 0
		.amdhsa_system_sgpr_workgroup_id_z 0
		.amdhsa_system_sgpr_workgroup_info 0
		.amdhsa_system_vgpr_workitem_id 1
		.amdhsa_next_free_vgpr 88
		.amdhsa_next_free_sgpr 45
		.amdhsa_reserve_vcc 1
		.amdhsa_float_round_mode_32 0
		.amdhsa_float_round_mode_16_64 0
		.amdhsa_float_denorm_mode_32 3
		.amdhsa_float_denorm_mode_16_64 3
		.amdhsa_dx10_clamp 1
		.amdhsa_ieee_mode 1
		.amdhsa_fp16_overflow 0
		.amdhsa_workgroup_processor_mode 1
		.amdhsa_memory_ordered 1
		.amdhsa_forward_progress 0
		.amdhsa_shared_vgpr_count 0
		.amdhsa_exception_fp_ieee_invalid_op 0
		.amdhsa_exception_fp_denorm_src 0
		.amdhsa_exception_fp_ieee_div_zero 0
		.amdhsa_exception_fp_ieee_overflow 0
		.amdhsa_exception_fp_ieee_underflow 0
		.amdhsa_exception_fp_ieee_inexact 0
		.amdhsa_exception_int_div_zero 0
	.end_amdhsa_kernel
	.section	.text._Z16wvSplitK_hf_big_I6__halfLi64ELi2ELi16ELi8ELi2ELi5EEviiiiiiPKT_S3_S3_PS1_ii,"axG",@progbits,_Z16wvSplitK_hf_big_I6__halfLi64ELi2ELi16ELi8ELi2ELi5EEviiiiiiPKT_S3_S3_PS1_ii,comdat
.Lfunc_end148:
	.size	_Z16wvSplitK_hf_big_I6__halfLi64ELi2ELi16ELi8ELi2ELi5EEviiiiiiPKT_S3_S3_PS1_ii, .Lfunc_end148-_Z16wvSplitK_hf_big_I6__halfLi64ELi2ELi16ELi8ELi2ELi5EEviiiiiiPKT_S3_S3_PS1_ii
                                        ; -- End function
	.section	.AMDGPU.csdata,"",@progbits
; Kernel info:
; codeLenInByte = 6376
; NumSgprs: 47
; NumVgprs: 88
; ScratchSize: 0
; MemoryBound: 0
; FloatMode: 240
; IeeeMode: 1
; LDSByteSize: 65536 bytes/workgroup (compile time only)
; SGPRBlocks: 5
; VGPRBlocks: 10
; NumSGPRsForWavesPerEU: 47
; NumVGPRsForWavesPerEU: 88
; Occupancy: 16
; WaveLimiterHint : 0
; COMPUTE_PGM_RSRC2:SCRATCH_EN: 0
; COMPUTE_PGM_RSRC2:USER_SGPR: 15
; COMPUTE_PGM_RSRC2:TRAP_HANDLER: 0
; COMPUTE_PGM_RSRC2:TGID_X_EN: 1
; COMPUTE_PGM_RSRC2:TGID_Y_EN: 0
; COMPUTE_PGM_RSRC2:TGID_Z_EN: 0
; COMPUTE_PGM_RSRC2:TIDIG_COMP_CNT: 1
	.section	.text._Z16wvSplitK_hf_sml_I6__halfLi64ELi3ELi16ELi8ELi2ELi5EEviiiiiiPKT_S3_S3_PS1_ii,"axG",@progbits,_Z16wvSplitK_hf_sml_I6__halfLi64ELi3ELi16ELi8ELi2ELi5EEviiiiiiPKT_S3_S3_PS1_ii,comdat
	.protected	_Z16wvSplitK_hf_sml_I6__halfLi64ELi3ELi16ELi8ELi2ELi5EEviiiiiiPKT_S3_S3_PS1_ii ; -- Begin function _Z16wvSplitK_hf_sml_I6__halfLi64ELi3ELi16ELi8ELi2ELi5EEviiiiiiPKT_S3_S3_PS1_ii
	.globl	_Z16wvSplitK_hf_sml_I6__halfLi64ELi3ELi16ELi8ELi2ELi5EEviiiiiiPKT_S3_S3_PS1_ii
	.p2align	8
	.type	_Z16wvSplitK_hf_sml_I6__halfLi64ELi3ELi16ELi8ELi2ELi5EEviiiiiiPKT_S3_S3_PS1_ii,@function
_Z16wvSplitK_hf_sml_I6__halfLi64ELi3ELi16ELi8ELi2ELi5EEviiiiiiPKT_S3_S3_PS1_ii: ; @_Z16wvSplitK_hf_sml_I6__halfLi64ELi3ELi16ELi8ELi2ELi5EEviiiiiiPKT_S3_S3_PS1_ii
; %bb.0:
	s_clause 0x2
	s_load_b128 s[4:7], s[0:1], 0x0
	s_load_b64 s[8:9], s[0:1], 0x10
	s_load_b64 s[10:11], s[0:1], 0x28
	v_and_b32_e32 v3, 0x3ff, v0
	v_bfe_u32 v0, v0, 10, 10
	s_mov_b32 s12, exec_lo
	s_delay_alu instid0(VALU_DEP_2) | instskip(NEXT) | instid1(VALU_DEP_1)
	v_lshlrev_b32_e32 v76, 3, v3
	v_lshl_add_u32 v4, v0, 9, v76
	s_waitcnt lgkmcnt(0)
	s_mul_i32 s2, s6, 5
	s_delay_alu instid0(SALU_CYCLE_1)
	s_min_u32 s3, s2, 0x8000
	s_delay_alu instid0(VALU_DEP_1) | instid1(SALU_CYCLE_1)
	v_cmpx_gt_u32_e64 s3, v4
	s_cbranch_execz .LBB149_3
; %bb.1:
	s_load_b64 s[16:17], s[0:1], 0x20
	v_lshlrev_b32_e32 v5, 10, v0
	v_lshlrev_b32_e32 v6, 4, v3
	s_mov_b32 s13, 0
	s_delay_alu instid0(VALU_DEP_1) | instskip(NEXT) | instid1(VALU_DEP_1)
	v_add_co_u32 v1, s2, v5, v6
	v_add_co_ci_u32_e64 v2, null, 0, 0, s2
	v_add_nc_u32_e32 v5, v5, v6
	s_waitcnt lgkmcnt(0)
	s_delay_alu instid0(VALU_DEP_3) | instskip(NEXT) | instid1(VALU_DEP_3)
	v_add_co_u32 v1, vcc_lo, s16, v1
	v_add_co_ci_u32_e32 v2, vcc_lo, s17, v2, vcc_lo
	.p2align	6
.LBB149_2:                              ; =>This Inner Loop Header: Depth=1
	global_load_b128 v[6:9], v[1:2], off
	v_add_nc_u32_e32 v4, 0x2000, v4
	v_add_co_u32 v1, vcc_lo, 0x4000, v1
	v_add_co_ci_u32_e32 v2, vcc_lo, 0, v2, vcc_lo
	s_delay_alu instid0(VALU_DEP_3) | instskip(NEXT) | instid1(VALU_DEP_1)
	v_cmp_le_u32_e64 s2, s3, v4
	s_or_b32 s13, s2, s13
	s_waitcnt vmcnt(0)
	ds_store_b128 v5, v[6:9]
	v_add_nc_u32_e32 v5, 0x4000, v5
	s_and_not1_b32 exec_lo, exec_lo, s13
	s_cbranch_execnz .LBB149_2
.LBB149_3:
	s_or_b32 exec_lo, exec_lo, s12
	s_load_b64 s[16:17], s[0:1], 0x38
	s_waitcnt lgkmcnt(0)
	s_barrier
	buffer_gl0_inv
	s_mov_b32 s2, exec_lo
	v_cmpx_gt_u32_e64 s16, v0
	s_cbranch_execz .LBB149_20
; %bb.4:
	v_mad_u64_u32 v[1:2], null, s15, s16, v[0:1]
	s_delay_alu instid0(VALU_DEP_1) | instskip(NEXT) | instid1(VALU_DEP_1)
	v_lshl_add_u32 v56, v1, 1, v1
	v_cmp_gt_u32_e32 vcc_lo, s7, v56
	s_and_b32 exec_lo, exec_lo, vcc_lo
	s_cbranch_execz .LBB149_20
; %bb.5:
	s_cmp_lg_u32 s4, 0
	v_cvt_f32_u32_e32 v1, s8
	s_cselect_b32 s14, -1, 0
	s_add_i32 s15, s4, -8
	s_add_i32 s18, s7, -1
	s_cmp_lg_u64 s[10:11], 0
	s_clause 0x1
	s_load_b64 s[2:3], s[0:1], 0x18
	s_load_b64 s[12:13], s[0:1], 0x30
	s_cselect_b32 s19, -1, 0
	s_abs_i32 s21, s9
	s_sub_i32 s20, 0, s8
	v_cvt_f32_u32_e32 v0, s21
	s_sub_i32 s0, 0, s21
	s_sub_i32 s1, 1, s21
	s_mul_i32 s16, s16, s17
	v_mbcnt_lo_u32_b32 v78, -1, 0
	v_rcp_iflag_f32_e32 v0, v0
	s_mul_i32 s16, s16, 3
	s_waitcnt_depctr 0xfff
	v_dual_mul_f32 v0, 0x4f7ffffe, v0 :: v_dual_lshlrev_b32 v77, 4, v3
	s_delay_alu instid0(VALU_DEP_1) | instskip(NEXT) | instid1(VALU_DEP_1)
	v_cvt_u32_f32_e32 v0, v0
	v_readfirstlane_b32 s9, v0
	v_rcp_iflag_f32_e32 v0, v1
	s_delay_alu instid0(VALU_DEP_1) | instskip(NEXT) | instid1(SALU_CYCLE_1)
	s_mul_i32 s0, s0, s9
	s_mul_hi_u32 s0, s9, s0
	s_delay_alu instid0(SALU_CYCLE_1)
	s_add_i32 s22, s9, s0
	s_cmp_lt_u32 s21, 2
	s_waitcnt_depctr 0xfff
	v_mul_f32_e32 v0, 0x4f7ffffe, v0
	s_cselect_b32 s0, s1, 1
	s_mov_b32 s1, 0
	s_sub_i32 s9, s0, s21
	s_cmp_ge_u32 s0, s21
	v_cvt_u32_f32_e32 v0, v0
	s_cselect_b32 s17, s9, s0
	s_lshr_b32 s9, s22, 31
	v_cmp_eq_u32_e64 s0, 63, v3
	s_mul_i32 s9, s9, s21
	v_mul_lo_u32 v1, s20, v0
	s_sub_i32 s9, 2, s9
	s_mul_hi_u32 s20, s22, 3
	s_sub_i32 s23, s9, s21
	s_cmp_ge_u32 s9, s21
	s_mul_i32 s20, s20, s21
	s_cselect_b32 s9, s23, s9
	s_mul_i32 s17, s17, s8
	s_sub_i32 s23, s9, s21
	s_cmp_ge_u32 s9, s21
	v_mul_hi_u32 v1, v0, v1
	s_cselect_b32 s23, s23, s9
	s_sub_i32 s20, 3, s20
	v_mov_b32_e32 v58, 0
	s_sub_i32 s24, s20, s21
	s_cmp_ge_u32 s20, s21
	s_mul_i32 s9, s6, 6
	s_cselect_b32 s20, s24, s20
	v_add_nc_u32_e32 v79, v0, v1
	s_sub_i32 s24, s20, s21
	s_cmp_ge_u32 s20, s21
	s_cselect_b32 s24, s24, s20
	s_lshr_b32 s20, s22, 30
	s_delay_alu instid0(SALU_CYCLE_1) | instskip(NEXT) | instid1(SALU_CYCLE_1)
	s_mul_i32 s20, s20, s21
	s_sub_i32 s20, 4, s20
	s_delay_alu instid0(SALU_CYCLE_1)
	s_sub_i32 s22, s20, s21
	s_cmp_ge_u32 s20, s21
	s_cselect_b32 s22, s22, s20
	s_mul_i32 s20, s23, s8
	s_sub_i32 s23, s22, s21
	s_cmp_ge_u32 s22, s21
	s_mul_i32 s21, s24, s8
	s_cselect_b32 s24, s23, s22
	s_lshl_b32 s22, s6, 3
	s_lshl_b32 s23, s6, 2
	s_mul_i32 s24, s24, s8
	s_lshl_b32 s6, s6, 1
	s_branch .LBB149_8
.LBB149_6:                              ;   in Loop: Header=BB149_8 Depth=1
	s_waitcnt lgkmcnt(0)
	v_dual_add_f32 v0, v0, v5 :: v_dual_add_f32 v5, v1, v6
	s_waitcnt vmcnt(14)
	v_cvt_f32_f16_e32 v1, v44
	v_dual_add_f32 v6, v2, v7 :: v_dual_add_f32 v7, v3, v8
	s_waitcnt vmcnt(13)
	v_cvt_f32_f16_e32 v3, v43
	v_add_f32_e32 v8, v14, v17
	v_add_f32_e32 v2, v0, v1
	v_lshlrev_b64 v[0:1], 1, v[56:57]
	v_add_nc_u32_e32 v57, s7, v56
	v_dual_add_f32 v5, v5, v3 :: v_dual_add_f32 v4, v4, v9
	v_add_f32_e32 v9, v15, v18
	v_cvt_f16_f32_e32 v17, v2
	v_lshlrev_b64 v[2:3], 1, v[61:62]
	v_add_co_u32 v0, vcc_lo, s12, v0
	v_add_co_ci_u32_e32 v1, vcc_lo, s13, v1, vcc_lo
	v_cvt_f16_f32_e32 v5, v5
	s_delay_alu instid0(VALU_DEP_4)
	v_add_co_u32 v2, vcc_lo, s12, v2
	s_waitcnt vmcnt(12)
	v_cvt_f32_f16_e32 v18, v42
	v_add_co_ci_u32_e32 v3, vcc_lo, s13, v3, vcc_lo
	global_store_b16 v[0:1], v17, off
	v_lshlrev_b64 v[0:1], 1, v[59:60]
	v_add_f32_e32 v6, v6, v18
	global_store_b16 v[2:3], v5, off
	s_waitcnt vmcnt(11)
	v_cvt_f32_f16_e32 v2, v41
	v_dual_add_f32 v14, v16, v19 :: v_dual_add_f32 v11, v11, v13
	v_add_co_u32 v0, vcc_lo, s12, v0
	v_cvt_f16_f32_e32 v5, v6
	v_add_co_ci_u32_e32 v1, vcc_lo, s13, v1, vcc_lo
	v_add_f32_e32 v6, v7, v2
	s_waitcnt vmcnt(10)
	v_cvt_f32_f16_e32 v7, v40
	v_dual_add_f32 v18, v20, v21 :: v_dual_mov_b32 v3, v58
	global_store_b16 v[0:1], v5, off
	v_mov_b32_e32 v5, v58
	v_cvt_f16_f32_e32 v17, v6
	v_add_f32_e32 v6, v4, v7
	s_waitcnt vmcnt(9)
	v_cvt_f32_f16_e32 v7, v38
	v_lshlrev_b64 v[0:1], 1, v[57:58]
	s_waitcnt vmcnt(7)
	v_cvt_f32_f16_e32 v20, v34
	v_add_nc_u32_e32 v4, 2, v57
	v_cvt_f16_f32_e32 v19, v6
	v_add_f32_e32 v6, v8, v7
	v_add_f32_e32 v16, v22, v24
	v_add_co_u32 v0, vcc_lo, s12, v0
	v_lshlrev_b64 v[4:5], 1, v[4:5]
	s_delay_alu instid0(VALU_DEP_4) | instskip(SKIP_4) | instid1(VALU_DEP_4)
	v_cvt_f16_f32_e32 v8, v6
	v_cvt_f32_f16_e32 v6, v36
	v_add_nc_u32_e32 v2, 1, v57
	v_add_co_ci_u32_e32 v1, vcc_lo, s13, v1, vcc_lo
	v_add_nc_u32_e32 v57, s7, v57
	v_add_f32_e32 v9, v9, v6
	s_delay_alu instid0(VALU_DEP_4)
	v_lshlrev_b64 v[2:3], 1, v[2:3]
	v_mov_b32_e32 v7, v58
	v_dual_add_f32 v10, v10, v12 :: v_dual_add_f32 v13, v27, v29
	v_add_nc_u32_e32 v6, 1, v57
	v_dual_add_f32 v12, v26, v28 :: v_dual_add_f32 v15, v23, v25
	v_add_co_u32 v2, vcc_lo, s12, v2
	v_add_co_ci_u32_e32 v3, vcc_lo, s13, v3, vcc_lo
	v_add_co_u32 v4, vcc_lo, s12, v4
	v_add_co_ci_u32_e32 v5, vcc_lo, s13, v5, vcc_lo
	s_clause 0x2
	global_store_b16 v[0:1], v17, off
	global_store_b16 v[2:3], v19, off
	;; [unrolled: 1-line block ×3, first 2 shown]
	v_lshlrev_b64 v[0:1], 1, v[57:58]
	v_dual_mov_b32 v5, v58 :: v_dual_add_nc_u32 v4, 2, v57
	v_lshlrev_b64 v[2:3], 1, v[6:7]
	v_cvt_f16_f32_e32 v8, v9
	v_add_f32_e32 v9, v14, v20
	s_waitcnt vmcnt(6)
	v_cvt_f32_f16_e32 v6, v39
	v_add_co_u32 v0, vcc_lo, s12, v0
	v_lshlrev_b64 v[4:5], 1, v[4:5]
	v_add_co_ci_u32_e32 v1, vcc_lo, s13, v1, vcc_lo
	v_cvt_f16_f32_e32 v7, v9
	v_add_co_u32 v2, vcc_lo, s12, v2
	s_waitcnt vmcnt(5)
	v_cvt_f32_f16_e32 v9, v37
	v_add_f32_e32 v6, v10, v6
	v_add_co_ci_u32_e32 v3, vcc_lo, s13, v3, vcc_lo
	v_add_co_u32 v4, vcc_lo, s12, v4
	s_delay_alu instid0(VALU_DEP_4)
	v_add_f32_e32 v9, v11, v9
	s_waitcnt vmcnt(4)
	v_cvt_f32_f16_e32 v10, v35
	v_cvt_f16_f32_e32 v6, v6
	v_add_co_ci_u32_e32 v5, vcc_lo, s13, v5, vcc_lo
	v_add_nc_u32_e32 v57, s7, v57
	s_clause 0x2
	global_store_b16 v[0:1], v8, off
	global_store_b16 v[2:3], v7, off
	;; [unrolled: 1-line block ×3, first 2 shown]
	v_add_f32_e32 v4, v12, v10
	s_waitcnt vmcnt(3)
	v_cvt_f32_f16_e32 v5, v33
	v_dual_mov_b32 v3, v58 :: v_dual_add_nc_u32 v2, 1, v57
	s_waitcnt vmcnt(2)
	v_cvt_f32_f16_e32 v7, v32
	v_lshlrev_b64 v[0:1], 1, v[57:58]
	v_cvt_f16_f32_e32 v12, v4
	v_add_nc_u32_e32 v4, 2, v57
	s_waitcnt vmcnt(0)
	v_cvt_f32_f16_e32 v11, v30
	v_dual_add_f32 v6, v13, v5 :: v_dual_mov_b32 v5, v58
	v_dual_add_f32 v8, v15, v7 :: v_dual_add_nc_u32 v57, s7, v57
	v_mov_b32_e32 v7, v58
	v_lshlrev_b64 v[2:3], 1, v[2:3]
	v_cvt_f32_f16_e32 v10, v31
	v_add_co_u32 v0, vcc_lo, s12, v0
	v_lshlrev_b64 v[4:5], 1, v[4:5]
	v_add_f32_e32 v17, v18, v11
	v_cvt_f16_f32_e32 v13, v6
	v_add_nc_u32_e32 v6, 1, v57
	v_add_co_ci_u32_e32 v1, vcc_lo, s13, v1, vcc_lo
	v_cvt_f16_f32_e32 v14, v9
	v_add_co_u32 v2, vcc_lo, s12, v2
	v_cvt_f16_f32_e32 v15, v8
	v_lshlrev_b64 v[8:9], 1, v[57:58]
	v_dual_add_f32 v10, v16, v10 :: v_dual_add_nc_u32 v57, 2, v57
	v_add_co_ci_u32_e32 v3, vcc_lo, s13, v3, vcc_lo
	v_add_co_u32 v4, vcc_lo, s12, v4
	v_lshlrev_b64 v[6:7], 1, v[6:7]
	v_add_co_ci_u32_e32 v5, vcc_lo, s13, v5, vcc_lo
	v_add_co_u32 v8, vcc_lo, s12, v8
	v_cvt_f16_f32_e32 v16, v10
	v_lshlrev_b64 v[10:11], 1, v[57:58]
	v_add_co_ci_u32_e32 v9, vcc_lo, s13, v9, vcc_lo
	v_add_co_u32 v6, vcc_lo, s12, v6
	v_add_co_ci_u32_e32 v7, vcc_lo, s13, v7, vcc_lo
	s_delay_alu instid0(VALU_DEP_4)
	v_add_co_u32 v10, vcc_lo, s12, v10
	v_cvt_f16_f32_e32 v17, v17
	v_add_co_ci_u32_e32 v11, vcc_lo, s13, v11, vcc_lo
	s_clause 0x5
	global_store_b16 v[0:1], v14, off
	global_store_b16 v[2:3], v12, off
	;; [unrolled: 1-line block ×6, first 2 shown]
.LBB149_7:                              ;   in Loop: Header=BB149_8 Depth=1
	s_or_b32 exec_lo, exec_lo, s25
	v_add_nc_u32_e32 v56, s16, v56
	s_delay_alu instid0(VALU_DEP_1) | instskip(SKIP_1) | instid1(SALU_CYCLE_1)
	v_cmp_le_u32_e32 vcc_lo, s7, v56
	s_or_b32 s1, vcc_lo, s1
	s_and_not1_b32 exec_lo, exec_lo, s1
	s_cbranch_execz .LBB149_20
.LBB149_8:                              ; =>This Loop Header: Depth=1
                                        ;     Child Loop BB149_12 Depth 2
	v_dual_mov_b32 v92, v58 :: v_dual_add_nc_u32 v61, 1, v56
	v_dual_mov_b32 v90, v58 :: v_dual_add_nc_u32 v59, 2, v56
	v_mov_b32_e32 v93, v58
	v_mov_b32_e32 v91, v58
	;; [unrolled: 1-line block ×13, first 2 shown]
	s_and_not1_b32 vcc_lo, exec_lo, s14
	s_cbranch_vccnz .LBB149_15
; %bb.9:                                ;   in Loop: Header=BB149_8 Depth=1
	v_min_u32_e32 v0, s18, v56
	v_min_u32_e32 v1, s18, v61
	v_min_u32_e32 v2, s18, v59
	v_dual_mov_b32 v3, v58 :: v_dual_mov_b32 v94, v77
	s_delay_alu instid0(VALU_DEP_4) | instskip(NEXT) | instid1(VALU_DEP_4)
	v_mul_lo_u32 v57, v0, s5
	v_mul_lo_u32 v0, v1, s5
	s_delay_alu instid0(VALU_DEP_4) | instskip(SKIP_4) | instid1(VALU_DEP_4)
	v_mul_lo_u32 v2, v2, s5
	v_dual_mov_b32 v1, v58 :: v_dual_mov_b32 v84, 0
	v_dual_mov_b32 v85, 0 :: v_dual_mov_b32 v86, 0
	;; [unrolled: 1-line block ×3, first 2 shown]
	v_lshlrev_b64 v[62:63], 1, v[57:58]
	v_lshlrev_b64 v[64:65], 1, v[0:1]
	;; [unrolled: 1-line block ×3, first 2 shown]
	v_dual_mov_b32 v83, 0 :: v_dual_mov_b32 v80, 0
	v_dual_mov_b32 v81, 0 :: v_dual_mov_b32 v60, 0
	;; [unrolled: 1-line block ×5, first 2 shown]
	s_mov_b32 s25, 0
	s_branch .LBB149_12
.LBB149_10:                             ;   in Loop: Header=BB149_12 Depth=2
	s_or_b32 exec_lo, exec_lo, s27
.LBB149_11:                             ;   in Loop: Header=BB149_12 Depth=2
	s_delay_alu instid0(SALU_CYCLE_1)
	s_or_b32 exec_lo, exec_lo, s26
	s_waitcnt vmcnt(5) lgkmcnt(1)
	;;#ASMSTART
	v_dot2_f32_f16 v93, v52, v32, v93
	;;#ASMEND
	s_waitcnt vmcnt(4)
	;;#ASMSTART
	v_dot2_f32_f16 v92, v52, v28, v92
	;;#ASMEND
	s_waitcnt vmcnt(3)
	;;#ASMSTART
	v_dot2_f32_f16 v91, v52, v24, v91
	;;#ASMEND
	;;#ASMSTART
	v_dot2_f32_f16 v90, v48, v32, v90
	;;#ASMEND
	;; [unrolled: 3-line block ×10, first 2 shown]
	s_waitcnt lgkmcnt(0)
	;;#ASMSTART
	v_dot2_f32_f16 v81, v40, v32, v81
	;;#ASMEND
	;;#ASMSTART
	v_dot2_f32_f16 v80, v40, v28, v80
	;;#ASMEND
	;; [unrolled: 3-line block ×33, first 2 shown]
	v_add_nc_u32_e32 v94, 0x800, v94
	;;#ASMSTART
	v_dot2_f32_f16 v93, v55, v35, v93
	;;#ASMEND
	;;#ASMSTART
	v_dot2_f32_f16 v92, v55, v31, v92
	;;#ASMEND
	;; [unrolled: 3-line block ×15, first 2 shown]
	s_addk_i32 s25, 0x400
	s_waitcnt vmcnt(2)
	;;#ASMSTART
	v_dot2_f32_f16 v93, v36, v8, v93
	;;#ASMEND
	s_waitcnt vmcnt(1)
	;;#ASMSTART
	v_dot2_f32_f16 v92, v36, v4, v92
	;;#ASMEND
	;; [unrolled: 4-line block ×3, first 2 shown]
	;;#ASMSTART
	v_dot2_f32_f16 v90, v20, v8, v90
	;;#ASMEND
	;;#ASMSTART
	v_dot2_f32_f16 v89, v20, v4, v89
	;;#ASMEND
	;; [unrolled: 3-line block ×27, first 2 shown]
	s_cmp_ge_u32 s25, s4
	;;#ASMSTART
	v_dot2_f32_f16 v93, v38, v10, v93
	;;#ASMEND
	;;#ASMSTART
	v_dot2_f32_f16 v92, v38, v6, v92
	;;#ASMEND
	;;#ASMSTART
	v_dot2_f32_f16 v91, v38, v2, v91
	;;#ASMEND
	;;#ASMSTART
	v_dot2_f32_f16 v90, v22, v10, v90
	;;#ASMEND
	;;#ASMSTART
	v_dot2_f32_f16 v89, v22, v6, v89
	;;#ASMEND
	;;#ASMSTART
	v_dot2_f32_f16 v88, v22, v2, v88
	;;#ASMEND
	;;#ASMSTART
	v_dot2_f32_f16 v84, v68, v10, v84
	;;#ASMEND
	;;#ASMSTART
	v_dot2_f32_f16 v85, v68, v6, v85
	;;#ASMEND
	;;#ASMSTART
	v_dot2_f32_f16 v87, v68, v2, v87
	;;#ASMEND
	;;#ASMSTART
	v_dot2_f32_f16 v86, v18, v10, v86
	;;#ASMEND
	;;#ASMSTART
	v_dot2_f32_f16 v83, v18, v6, v83
	;;#ASMEND
	;;#ASMSTART
	v_dot2_f32_f16 v82, v18, v2, v82
	;;#ASMEND
	;;#ASMSTART
	v_dot2_f32_f16 v81, v14, v10, v81
	;;#ASMEND
	;;#ASMSTART
	v_dot2_f32_f16 v80, v14, v6, v80
	;;#ASMEND
	;;#ASMSTART
	v_dot2_f32_f16 v60, v14, v2, v60
	;;#ASMEND
	;;#ASMSTART
	v_dot2_f32_f16 v93, v39, v11, v93
	;;#ASMEND
	;;#ASMSTART
	v_dot2_f32_f16 v92, v39, v7, v92
	;;#ASMEND
	;;#ASMSTART
	v_dot2_f32_f16 v91, v39, v3, v91
	;;#ASMEND
	;;#ASMSTART
	v_dot2_f32_f16 v90, v23, v11, v90
	;;#ASMEND
	;;#ASMSTART
	v_dot2_f32_f16 v89, v23, v7, v89
	;;#ASMEND
	;;#ASMSTART
	v_dot2_f32_f16 v88, v23, v3, v88
	;;#ASMEND
	;;#ASMSTART
	v_dot2_f32_f16 v84, v69, v11, v84
	;;#ASMEND
	;;#ASMSTART
	v_dot2_f32_f16 v85, v69, v7, v85
	;;#ASMEND
	;;#ASMSTART
	v_dot2_f32_f16 v87, v69, v3, v87
	;;#ASMEND
	;;#ASMSTART
	v_dot2_f32_f16 v86, v19, v11, v86
	;;#ASMEND
	;;#ASMSTART
	v_dot2_f32_f16 v83, v19, v7, v83
	;;#ASMEND
	;;#ASMSTART
	v_dot2_f32_f16 v82, v19, v3, v82
	;;#ASMEND
	;;#ASMSTART
	v_dot2_f32_f16 v81, v15, v11, v81
	;;#ASMEND
	;;#ASMSTART
	v_dot2_f32_f16 v80, v15, v7, v80
	;;#ASMEND
	;;#ASMSTART
	v_dot2_f32_f16 v60, v15, v3, v60
	;;#ASMEND
	s_cbranch_scc1 .LBB149_15
.LBB149_12:                             ;   Parent Loop BB149_8 Depth=1
                                        ; =>  This Inner Loop Header: Depth=2
	v_dual_mov_b32 v53, 0 :: v_dual_add_nc_u32 v16, s25, v76
	v_dual_mov_b32 v54, 0 :: v_dual_mov_b32 v55, 0
	v_dual_mov_b32 v36, 0 :: v_dual_mov_b32 v37, 0
	s_delay_alu instid0(VALU_DEP_3) | instskip(SKIP_2) | instid1(VALU_DEP_3)
	v_min_u32_e32 v57, s15, v16
	v_dual_mov_b32 v52, 0 :: v_dual_add_nc_u32 v95, 0x200, v16
	v_dual_mov_b32 v38, 0 :: v_dual_mov_b32 v39, 0
	v_lshlrev_b64 v[0:1], 1, v[57:58]
	s_delay_alu instid0(VALU_DEP_3) | instskip(SKIP_3) | instid1(VALU_DEP_4)
	v_min_u32_e32 v57, s15, v95
	v_dual_mov_b32 v48, 0 :: v_dual_mov_b32 v49, 0
	v_dual_mov_b32 v50, 0 :: v_dual_mov_b32 v51, 0
	s_waitcnt lgkmcnt(0)
	v_add_co_u32 v6, vcc_lo, s2, v0
	v_add_co_ci_u32_e32 v7, vcc_lo, s3, v1, vcc_lo
	v_lshlrev_b64 v[0:1], 1, v[57:58]
	s_delay_alu instid0(VALU_DEP_3) | instskip(NEXT) | instid1(VALU_DEP_3)
	v_add_co_u32 v2, vcc_lo, v6, v62
	v_add_co_ci_u32_e32 v3, vcc_lo, v7, v63, vcc_lo
	v_add_co_u32 v4, vcc_lo, v6, v64
	v_add_co_ci_u32_e32 v5, vcc_lo, v7, v65, vcc_lo
	;; [unrolled: 2-line block ×4, first 2 shown]
	s_delay_alu instid0(VALU_DEP_4) | instskip(NEXT) | instid1(VALU_DEP_4)
	v_add_co_u32 v6, vcc_lo, v8, v62
	v_add_co_ci_u32_e32 v7, vcc_lo, v9, v63, vcc_lo
	v_add_co_u32 v12, vcc_lo, v8, v64
	v_add_co_ci_u32_e32 v13, vcc_lo, v9, v65, vcc_lo
	;; [unrolled: 2-line block ×3, first 2 shown]
	s_clause 0x5
	global_load_b128 v[32:35], v[2:3], off slc dlc
	global_load_b128 v[28:31], v[4:5], off slc dlc
	;; [unrolled: 1-line block ×6, first 2 shown]
	v_cmp_gt_u32_e32 vcc_lo, s4, v16
	v_dual_mov_b32 v20, 0 :: v_dual_mov_b32 v21, 0
	v_dual_mov_b32 v22, 0 :: v_dual_mov_b32 v23, 0
	;; [unrolled: 1-line block ×14, first 2 shown]
	s_and_saveexec_b32 s26, vcc_lo
	s_cbranch_execz .LBB149_11
; %bb.13:                               ;   in Loop: Header=BB149_12 Depth=2
	v_dual_mov_b32 v15, 0 :: v_dual_add_nc_u32 v96, s6, v94
	v_dual_mov_b32 v13, 0 :: v_dual_add_nc_u32 v98, s23, v94
	;; [unrolled: 1-line block ×4, first 2 shown]
	ds_load_b128 v[48:51], v96
	ds_load_2addr_b32 v[74:75], v98 offset1:1
	ds_load_2addr_b32 v[72:73], v98 offset0:2 offset1:3
	ds_load_b128 v[44:47], v97
	ds_load_b128 v[52:55], v94
	ds_load_2addr_b64 v[40:43], v57 offset1:1
	v_cmp_gt_u32_e32 vcc_lo, s4, v95
	v_dual_mov_b32 v19, 0 :: v_dual_mov_b32 v18, 0
	v_dual_mov_b32 v17, 0 :: v_dual_mov_b32 v16, 0
	;; [unrolled: 1-line block ×8, first 2 shown]
	s_and_saveexec_b32 s27, vcc_lo
	s_cbranch_execz .LBB149_10
; %bb.14:                               ;   in Loop: Header=BB149_12 Depth=2
	v_add_nc_u32_e32 v12, 0x408, v98
	v_add_nc_u32_e32 v13, 0x400, v98
	ds_load_b128 v[20:23], v96 offset:1024
	ds_load_b128 v[16:19], v97 offset:1024
	;; [unrolled: 1-line block ×3, first 2 shown]
	ds_load_2addr_b32 v[68:69], v12 offset1:1
	ds_load_2addr_b32 v[70:71], v13 offset1:1
	ds_load_2addr_b64 v[12:15], v57 offset0:128 offset1:129
	s_branch .LBB149_10
.LBB149_15:                             ;   in Loop: Header=BB149_8 Depth=1
	; sched_barrier mask(0x00000000)
	v_xor_b32_e32 v0, 16, v78
	v_cvt_i32_f32_e32 v1, v93
	v_cvt_i32_f32_e32 v2, v92
	;; [unrolled: 1-line block ×4, first 2 shown]
	v_cmp_gt_i32_e32 vcc_lo, 32, v0
	v_cvt_f32_i32_dpp v1, v1 row_shr:8 row_mask:0xf bank_mask:0xf bound_ctrl:1
	v_cvt_f32_i32_dpp v2, v2 row_shr:8 row_mask:0xf bank_mask:0xf bound_ctrl:1
	s_waitcnt lgkmcnt(0)
	v_cvt_i32_f32_e32 v5, v89
	v_cvt_i32_f32_e32 v11, v84
	v_dual_cndmask_b32 v0, v78, v0 :: v_dual_add_f32 v1, v93, v1
	v_cvt_i32_f32_e32 v14, v86
	v_cvt_i32_f32_e32 v10, v88
	s_delay_alu instid0(VALU_DEP_4) | instskip(NEXT) | instid1(VALU_DEP_4)
	v_cvt_f32_i32_dpp v11, v11 row_shr:8 row_mask:0xf bank_mask:0xf bound_ctrl:1
	v_dual_add_f32 v2, v92, v2 :: v_dual_lshlrev_b32 v21, 2, v0
	v_cvt_f32_i32_dpp v0, v3 row_shr:8 row_mask:0xf bank_mask:0xf bound_ctrl:1
	v_cvt_f32_i32_dpp v3, v4 row_shr:8 row_mask:0xf bank_mask:0xf bound_ctrl:1
	;; [unrolled: 1-line block ×3, first 2 shown]
	v_cvt_i32_f32_e32 v5, v1
	v_cvt_i32_f32_e32 v6, v2
	s_delay_alu instid0(VALU_DEP_4) | instskip(SKIP_1) | instid1(VALU_DEP_4)
	v_dual_add_f32 v0, v91, v0 :: v_dual_add_f32 v3, v90, v3
	v_cvt_f32_i32_dpp v14, v14 row_shr:8 row_mask:0xf bank_mask:0xf bound_ctrl:1
	v_cvt_f32_i32_dpp v5, v5 row_shr:4 row_mask:0xf bank_mask:0xf bound_ctrl:1
	s_delay_alu instid0(VALU_DEP_4) | instskip(NEXT) | instid1(VALU_DEP_4)
	v_cvt_f32_i32_dpp v6, v6 row_shr:4 row_mask:0xf bank_mask:0xf bound_ctrl:1
	v_cvt_i32_f32_e32 v7, v0
	v_cvt_i32_f32_e32 v8, v3
	;; [unrolled: 1-line block ×3, first 2 shown]
	s_delay_alu instid0(VALU_DEP_4) | instskip(NEXT) | instid1(VALU_DEP_4)
	v_dual_add_f32 v1, v1, v5 :: v_dual_add_f32 v2, v2, v6
	v_cvt_f32_i32_dpp v7, v7 row_shr:4 row_mask:0xf bank_mask:0xf bound_ctrl:1
	s_delay_alu instid0(VALU_DEP_4) | instskip(SKIP_1) | instid1(VALU_DEP_4)
	v_cvt_f32_i32_dpp v8, v8 row_shr:4 row_mask:0xf bank_mask:0xf bound_ctrl:1
	v_cvt_f32_i32_dpp v10, v10 row_shr:8 row_mask:0xf bank_mask:0xf bound_ctrl:1
	v_cvt_i32_f32_e32 v5, v1
	v_cvt_i32_f32_e32 v6, v2
	s_delay_alu instid0(VALU_DEP_4) | instskip(SKIP_1) | instid1(VALU_DEP_4)
	v_dual_add_f32 v0, v0, v7 :: v_dual_add_f32 v3, v3, v8
	v_cvt_f32_i32_dpp v13, v13 row_shr:8 row_mask:0xf bank_mask:0xf bound_ctrl:1
	v_cvt_f32_i32_dpp v5, v5 row_shr:2 row_mask:0xf bank_mask:0xf bound_ctrl:1
	s_delay_alu instid0(VALU_DEP_4) | instskip(NEXT) | instid1(VALU_DEP_4)
	v_cvt_f32_i32_dpp v6, v6 row_shr:2 row_mask:0xf bank_mask:0xf bound_ctrl:1
	v_cvt_i32_f32_e32 v7, v0
	v_cvt_i32_f32_e32 v8, v3
	;; [unrolled: 1-line block ×3, first 2 shown]
	s_delay_alu instid0(VALU_DEP_4) | instskip(NEXT) | instid1(VALU_DEP_4)
	v_dual_add_f32 v1, v1, v5 :: v_dual_add_f32 v2, v2, v6
	v_cvt_f32_i32_dpp v7, v7 row_shr:2 row_mask:0xf bank_mask:0xf bound_ctrl:1
	v_add_f32_e32 v4, v89, v4
	v_cvt_f32_i32_dpp v8, v8 row_shr:2 row_mask:0xf bank_mask:0xf bound_ctrl:1
	v_cvt_i32_f32_e32 v12, v85
	v_cvt_i32_f32_e32 v6, v2
	v_add_f32_e32 v5, v0, v7
	v_cvt_i32_f32_e32 v9, v4
	v_cvt_i32_f32_e32 v0, v1
	v_dual_add_f32 v10, v88, v10 :: v_dual_add_f32 v13, v87, v13
	v_cvt_f32_i32_dpp v6, v6 row_shr:1 row_mask:0xf bank_mask:0xf bound_ctrl:1
	s_delay_alu instid0(VALU_DEP_4) | instskip(NEXT) | instid1(VALU_DEP_4)
	v_cvt_f32_i32_dpp v9, v9 row_shr:4 row_mask:0xf bank_mask:0xf bound_ctrl:1
	v_cvt_f32_i32_dpp v0, v0 row_shr:1 row_mask:0xf bank_mask:0xf bound_ctrl:1
	v_add_f32_e32 v3, v3, v8
	v_add_f32_e32 v11, v84, v11
	v_cvt_f32_i32_dpp v25, v25 row_shr:8 row_mask:0xf bank_mask:0xf bound_ctrl:1
	v_add_f32_e32 v4, v4, v9
	v_add_f32_e32 v0, v1, v0
	v_cvt_f32_i32_dpp v12, v12 row_shr:8 row_mask:0xf bank_mask:0xf bound_ctrl:1
	v_cvt_i32_f32_e32 v16, v11
	v_cvt_i32_f32_e32 v15, v10
	;; [unrolled: 1-line block ×5, first 2 shown]
	v_cvt_f32_i32_dpp v16, v16 row_shr:4 row_mask:0xf bank_mask:0xf bound_ctrl:1
	v_cvt_f32_i32_dpp v15, v15 row_shr:4 row_mask:0xf bank_mask:0xf bound_ctrl:1
	;; [unrolled: 1-line block ×4, first 2 shown]
	v_add_f32_e32 v1, v2, v6
	v_cvt_i32_f32_e32 v23, v81
	v_add_f32_e32 v10, v10, v15
	s_delay_alu instid0(VALU_DEP_4) | instskip(SKIP_1) | instid1(VALU_DEP_4)
	v_dual_add_f32 v4, v4, v9 :: v_dual_add_f32 v13, v13, v18
	v_cvt_f32_i32_dpp v20, v20 row_shr:8 row_mask:0xf bank_mask:0xf bound_ctrl:1
	v_cvt_f32_i32_dpp v23, v23 row_shr:8 row_mask:0xf bank_mask:0xf bound_ctrl:1
	s_delay_alu instid0(VALU_DEP_4) | instskip(NEXT) | instid1(VALU_DEP_4)
	v_cvt_i32_f32_e32 v15, v10
	v_cvt_i32_f32_e32 v9, v4
	;; [unrolled: 1-line block ×3, first 2 shown]
	s_delay_alu instid0(VALU_DEP_4) | instskip(NEXT) | instid1(VALU_DEP_4)
	v_dual_add_f32 v20, v83, v20 :: v_dual_add_f32 v23, v81, v23
	v_cvt_f32_i32_dpp v15, v15 row_shr:2 row_mask:0xf bank_mask:0xf bound_ctrl:1
	s_delay_alu instid0(VALU_DEP_4) | instskip(NEXT) | instid1(VALU_DEP_4)
	v_cvt_f32_i32_dpp v9, v9 row_shr:1 row_mask:0xf bank_mask:0xf bound_ctrl:1
	v_cvt_f32_i32_dpp v18, v18 row_shr:2 row_mask:0xf bank_mask:0xf bound_ctrl:1
	v_add_f32_e32 v11, v11, v16
	v_cvt_i32_f32_e32 v28, v23
	v_cvt_i32_f32_e32 v22, v82
	v_add_f32_e32 v4, v4, v9
	v_cvt_i32_f32_e32 v24, v80
	v_cvt_i32_f32_e32 v16, v11
	v_cvt_f32_i32_dpp v28, v28 row_shr:4 row_mask:0xf bank_mask:0xf bound_ctrl:1
	v_add_f32_e32 v10, v10, v15
	v_cvt_f32_i32_dpp v22, v22 row_shr:8 row_mask:0xf bank_mask:0xf bound_ctrl:1
	v_cvt_f32_i32_dpp v24, v24 row_shr:8 row_mask:0xf bank_mask:0xf bound_ctrl:1
	;; [unrolled: 1-line block ×3, first 2 shown]
	v_dual_add_f32 v23, v23, v28 :: v_dual_add_f32 v14, v86, v14
	v_cvt_i32_f32_e32 v26, v20
	v_cvt_i32_f32_e32 v7, v5
	s_delay_alu instid0(VALU_DEP_4) | instskip(NEXT) | instid1(VALU_DEP_4)
	v_add_f32_e32 v11, v11, v16
	v_cvt_i32_f32_e32 v28, v23
	v_cvt_i32_f32_e32 v19, v14
	v_cvt_f32_i32_dpp v26, v26 row_shr:4 row_mask:0xf bank_mask:0xf bound_ctrl:1
	v_cvt_i32_f32_e32 v8, v3
	v_cvt_i32_f32_e32 v15, v11
	v_cvt_f32_i32_dpp v28, v28 row_shr:2 row_mask:0xf bank_mask:0xf bound_ctrl:1
	v_cvt_f32_i32_dpp v19, v19 row_shr:4 row_mask:0xf bank_mask:0xf bound_ctrl:1
	;; [unrolled: 1-line block ×4, first 2 shown]
	v_add_f32_e32 v25, v60, v25
	v_cvt_f32_i32_dpp v15, v15 row_shr:1 row_mask:0xf bank_mask:0xf bound_ctrl:1
	v_add_f32_e32 v14, v14, v19
	s_delay_alu instid0(VALU_DEP_4) | instskip(NEXT) | instid1(VALU_DEP_4)
	v_dual_add_f32 v2, v5, v7 :: v_dual_add_f32 v3, v3, v8
	v_cvt_i32_f32_e32 v30, v25
	ds_bpermute_b32 v5, v21, v0
	v_cvt_i32_f32_e32 v19, v14
	ds_bpermute_b32 v6, v21, v1
	ds_bpermute_b32 v7, v21, v2
	v_cvt_f32_i32_dpp v30, v30 row_shr:4 row_mask:0xf bank_mask:0xf bound_ctrl:1
	ds_bpermute_b32 v8, v21, v3
	v_cvt_f32_i32_dpp v19, v19 row_shr:2 row_mask:0xf bank_mask:0xf bound_ctrl:1
	v_add_f32_e32 v12, v85, v12
	ds_bpermute_b32 v9, v21, v4
	v_add_f32_e32 v13, v13, v18
	v_add_f32_e32 v15, v11, v15
	;; [unrolled: 1-line block ×3, first 2 shown]
	v_cvt_i32_f32_e32 v17, v12
	v_add_f32_e32 v25, v25, v30
	v_cvt_i32_f32_e32 v18, v13
	s_delay_alu instid0(VALU_DEP_4) | instskip(NEXT) | instid1(VALU_DEP_4)
	v_cvt_i32_f32_e32 v28, v23
	v_cvt_f32_i32_dpp v17, v17 row_shr:4 row_mask:0xf bank_mask:0xf bound_ctrl:1
	s_delay_alu instid0(VALU_DEP_4) | instskip(NEXT) | instid1(VALU_DEP_4)
	v_cvt_i32_f32_e32 v30, v25
	v_cvt_f32_i32_dpp v18, v18 row_shr:1 row_mask:0xf bank_mask:0xf bound_ctrl:1
	s_delay_alu instid0(VALU_DEP_4) | instskip(NEXT) | instid1(VALU_DEP_4)
	v_cvt_f32_i32_dpp v28, v28 row_shr:1 row_mask:0xf bank_mask:0xf bound_ctrl:1
	v_add_f32_e32 v12, v12, v17
	v_add_f32_e32 v22, v82, v22
	v_cvt_f32_i32_dpp v30, v30 row_shr:2 row_mask:0xf bank_mask:0xf bound_ctrl:1
	v_add_f32_e32 v24, v80, v24
	v_add_f32_e32 v23, v23, v28
	v_cvt_i32_f32_e32 v17, v12
	v_cvt_i32_f32_e32 v27, v22
	v_add_f32_e32 v25, v25, v30
	v_cvt_i32_f32_e32 v29, v24
	s_delay_alu instid0(VALU_DEP_4) | instskip(NEXT) | instid1(VALU_DEP_4)
	v_cvt_f32_i32_dpp v17, v17 row_shr:2 row_mask:0xf bank_mask:0xf bound_ctrl:1
	v_cvt_f32_i32_dpp v27, v27 row_shr:4 row_mask:0xf bank_mask:0xf bound_ctrl:1
	s_delay_alu instid0(VALU_DEP_4) | instskip(NEXT) | instid1(VALU_DEP_4)
	v_cvt_i32_f32_e32 v30, v25
	v_cvt_f32_i32_dpp v29, v29 row_shr:4 row_mask:0xf bank_mask:0xf bound_ctrl:1
	s_delay_alu instid0(VALU_DEP_4) | instskip(SKIP_2) | instid1(VALU_DEP_4)
	v_dual_add_f32 v12, v12, v17 :: v_dual_add_f32 v17, v14, v19
	v_cvt_i32_f32_e32 v14, v10
	v_add_f32_e32 v22, v22, v27
	v_add_f32_e32 v24, v24, v29
	s_delay_alu instid0(VALU_DEP_4)
	v_cvt_i32_f32_e32 v16, v12
	v_cvt_i32_f32_e32 v19, v17
	v_cvt_f32_i32_dpp v14, v14 row_shr:1 row_mask:0xf bank_mask:0xf bound_ctrl:1
	v_cvt_i32_f32_e32 v27, v22
	v_cvt_f32_i32_dpp v30, v30 row_shr:1 row_mask:0xf bank_mask:0xf bound_ctrl:1
	v_cvt_f32_i32_dpp v16, v16 row_shr:1 row_mask:0xf bank_mask:0xf bound_ctrl:1
	;; [unrolled: 1-line block ×3, first 2 shown]
	v_add_f32_e32 v14, v10, v14
	v_add_f32_e32 v10, v13, v18
	ds_bpermute_b32 v18, v21, v15
	v_dual_add_f32 v16, v12, v16 :: v_dual_add_f32 v11, v17, v19
	ds_bpermute_b32 v17, v21, v14
	ds_bpermute_b32 v12, v21, v10
	v_cvt_f32_i32_dpp v27, v27 row_shr:2 row_mask:0xf bank_mask:0xf bound_ctrl:1
	v_cvt_i32_f32_e32 v29, v24
	ds_bpermute_b32 v19, v21, v16
	ds_bpermute_b32 v13, v21, v11
	v_add_f32_e32 v22, v22, v27
	v_cvt_f32_i32_dpp v29, v29 row_shr:2 row_mask:0xf bank_mask:0xf bound_ctrl:1
	s_delay_alu instid0(VALU_DEP_2) | instskip(NEXT) | instid1(VALU_DEP_2)
	v_cvt_i32_f32_e32 v27, v22
	v_add_f32_e32 v24, v24, v29
	s_delay_alu instid0(VALU_DEP_2) | instskip(SKIP_1) | instid1(VALU_DEP_3)
	v_cvt_f32_i32_dpp v27, v27 row_shr:1 row_mask:0xf bank_mask:0xf bound_ctrl:1
	v_add_f32_e32 v20, v20, v26
	v_cvt_i32_f32_e32 v29, v24
	s_delay_alu instid0(VALU_DEP_3) | instskip(NEXT) | instid1(VALU_DEP_3)
	v_add_f32_e32 v27, v22, v27
	v_cvt_i32_f32_e32 v26, v20
	s_delay_alu instid0(VALU_DEP_3) | instskip(NEXT) | instid1(VALU_DEP_2)
	v_cvt_f32_i32_dpp v29, v29 row_shr:1 row_mask:0xf bank_mask:0xf bound_ctrl:1
	v_cvt_f32_i32_dpp v26, v26 row_shr:2 row_mask:0xf bank_mask:0xf bound_ctrl:1
	s_delay_alu instid0(VALU_DEP_2) | instskip(SKIP_4) | instid1(VALU_DEP_1)
	v_add_f32_e32 v22, v24, v29
	ds_bpermute_b32 v29, v21, v27
	v_add_f32_e32 v20, v20, v26
	ds_bpermute_b32 v24, v21, v22
	v_cvt_i32_f32_e32 v26, v20
	v_cvt_f32_i32_dpp v26, v26 row_shr:1 row_mask:0xf bank_mask:0xf bound_ctrl:1
	s_delay_alu instid0(VALU_DEP_1)
	v_add_f32_e32 v26, v20, v26
	v_add_f32_e32 v20, v25, v30
	ds_bpermute_b32 v25, v21, v23
	ds_bpermute_b32 v28, v21, v26
	;; [unrolled: 1-line block ×3, first 2 shown]
	s_and_saveexec_b32 s25, s0
	s_cbranch_execz .LBB149_7
; %bb.16:                               ;   in Loop: Header=BB149_8 Depth=1
	s_and_b32 vcc_lo, exec_lo, s19
	s_cbranch_vccz .LBB149_18
; %bb.17:                               ;   in Loop: Header=BB149_8 Depth=1
	v_mul_hi_u32 v30, v56, v79
	v_mul_hi_u32 v31, v61, v79
	;; [unrolled: 1-line block ×3, first 2 shown]
	v_mov_b32_e32 v63, v58
	v_mov_b32_e32 v60, v58
	v_mul_lo_u32 v30, v30, s8
	v_mul_lo_u32 v31, v31, s8
	;; [unrolled: 1-line block ×3, first 2 shown]
	s_delay_alu instid0(VALU_DEP_3) | instskip(NEXT) | instid1(VALU_DEP_3)
	v_sub_nc_u32_e32 v30, v56, v30
	v_sub_nc_u32_e32 v33, v61, v31
	s_delay_alu instid0(VALU_DEP_3) | instskip(NEXT) | instid1(VALU_DEP_3)
	v_sub_nc_u32_e32 v32, v59, v32
	v_subrev_nc_u32_e32 v34, s8, v30
	v_cmp_le_u32_e32 vcc_lo, s8, v30
	s_delay_alu instid0(VALU_DEP_4) | instskip(NEXT) | instid1(VALU_DEP_4)
	v_subrev_nc_u32_e32 v35, s8, v33
	v_subrev_nc_u32_e32 v36, s8, v32
	s_delay_alu instid0(VALU_DEP_4) | instskip(SKIP_1) | instid1(VALU_DEP_4)
	v_cndmask_b32_e32 v30, v30, v34, vcc_lo
	v_cmp_le_u32_e32 vcc_lo, s8, v33
	v_dual_mov_b32 v31, v58 :: v_dual_cndmask_b32 v34, v33, v35
	v_cmp_le_u32_e32 vcc_lo, s8, v32
	v_mov_b32_e32 v33, v58
	s_delay_alu instid0(VALU_DEP_3) | instskip(SKIP_3) | instid1(VALU_DEP_3)
	v_subrev_nc_u32_e32 v37, s8, v34
	v_cndmask_b32_e32 v32, v32, v36, vcc_lo
	v_subrev_nc_u32_e32 v36, s8, v30
	v_cmp_le_u32_e32 vcc_lo, s8, v30
	v_subrev_nc_u32_e32 v38, s8, v32
	s_delay_alu instid0(VALU_DEP_3)
	v_cndmask_b32_e32 v57, v30, v36, vcc_lo
	v_cmp_le_u32_e32 vcc_lo, s8, v34
	v_cndmask_b32_e32 v30, v34, v37, vcc_lo
	v_cmp_le_u32_e32 vcc_lo, s8, v32
	v_mov_b32_e32 v35, v58
	v_mov_b32_e32 v48, v58
	;; [unrolled: 1-line block ×3, first 2 shown]
	v_add_nc_u32_e32 v36, s17, v30
	v_cndmask_b32_e32 v32, v32, v38, vcc_lo
	v_lshlrev_b64 v[38:39], 1, v[57:58]
	v_lshlrev_b64 v[40:41], 1, v[30:31]
	v_dual_mov_b32 v37, v58 :: v_dual_add_nc_u32 v34, s17, v57
	s_delay_alu instid0(VALU_DEP_4)
	v_lshlrev_b64 v[42:43], 1, v[32:33]
	v_add_nc_u32_e32 v47, s20, v57
	v_add_co_u32 v38, vcc_lo, s10, v38
	v_add_co_ci_u32_e32 v39, vcc_lo, s11, v39, vcc_lo
	v_add_co_u32 v40, vcc_lo, s10, v40
	v_add_co_ci_u32_e32 v41, vcc_lo, s11, v41, vcc_lo
	v_add_co_u32 v45, vcc_lo, s10, v42
	v_lshlrev_b64 v[33:34], 1, v[34:35]
	v_add_co_ci_u32_e32 v46, vcc_lo, s11, v43, vcc_lo
	v_dual_mov_b32 v43, v58 :: v_dual_add_nc_u32 v42, s17, v32
	v_lshlrev_b64 v[35:36], 1, v[36:37]
	s_delay_alu instid0(VALU_DEP_4) | instskip(SKIP_1) | instid1(VALU_DEP_4)
	v_add_co_u32 v33, vcc_lo, s10, v33
	v_add_co_ci_u32_e32 v34, vcc_lo, s11, v34, vcc_lo
	v_lshlrev_b64 v[42:43], 1, v[42:43]
	s_delay_alu instid0(VALU_DEP_4)
	v_add_co_u32 v35, vcc_lo, s10, v35
	v_add_nc_u32_e32 v49, s20, v30
	v_add_co_ci_u32_e32 v36, vcc_lo, s11, v36, vcc_lo
	v_lshlrev_b64 v[47:48], 1, v[47:48]
	v_add_co_u32 v51, vcc_lo, s10, v42
	v_add_co_ci_u32_e32 v52, vcc_lo, s11, v43, vcc_lo
	v_lshlrev_b64 v[42:43], 1, v[49:50]
	s_delay_alu instid0(VALU_DEP_4) | instskip(SKIP_2) | instid1(VALU_DEP_4)
	v_add_co_u32 v47, vcc_lo, s10, v47
	v_add_nc_u32_e32 v49, s20, v32
	v_add_co_ci_u32_e32 v48, vcc_lo, s11, v48, vcc_lo
	v_add_co_u32 v53, vcc_lo, s10, v42
	v_add_nc_u32_e32 v62, s21, v57
	v_add_co_ci_u32_e32 v54, vcc_lo, s11, v43, vcc_lo
	s_clause 0x7
	global_load_u16 v44, v[38:39], off
	global_load_u16 v43, v[40:41], off
	global_load_u16 v42, v[45:46], off
	global_load_u16 v41, v[33:34], off
	global_load_u16 v40, v[35:36], off
	global_load_u16 v38, v[51:52], off
	global_load_u16 v36, v[47:48], off
	global_load_u16 v34, v[53:54], off
	v_add_nc_u32_e32 v47, s21, v30
	v_lshlrev_b64 v[49:50], 1, v[49:50]
	v_dual_mov_b32 v48, v58 :: v_dual_add_nc_u32 v51, s21, v32
	v_lshlrev_b64 v[45:46], 1, v[62:63]
	v_dual_mov_b32 v52, v58 :: v_dual_add_nc_u32 v57, s24, v57
	s_delay_alu instid0(VALU_DEP_4) | instskip(NEXT) | instid1(VALU_DEP_4)
	v_add_co_u32 v49, vcc_lo, s10, v49
	v_lshlrev_b64 v[47:48], 1, v[47:48]
	v_add_co_ci_u32_e32 v50, vcc_lo, s11, v50, vcc_lo
	v_add_co_u32 v45, vcc_lo, s10, v45
	v_lshlrev_b64 v[51:52], 1, v[51:52]
	v_add_co_ci_u32_e32 v46, vcc_lo, s11, v46, vcc_lo
	v_add_co_u32 v47, vcc_lo, s10, v47
	v_lshlrev_b64 v[53:54], 1, v[57:58]
	v_add_nc_u32_e32 v57, s24, v30
	v_add_co_ci_u32_e32 v48, vcc_lo, s11, v48, vcc_lo
	v_add_co_u32 v30, vcc_lo, s10, v51
	v_add_co_ci_u32_e32 v31, vcc_lo, s11, v52, vcc_lo
	s_delay_alu instid0(VALU_DEP_4) | instskip(SKIP_3) | instid1(VALU_DEP_3)
	v_lshlrev_b64 v[51:52], 1, v[57:58]
	v_add_nc_u32_e32 v57, s24, v32
	v_add_co_u32 v53, vcc_lo, s10, v53
	v_add_co_ci_u32_e32 v54, vcc_lo, s11, v54, vcc_lo
	v_lshlrev_b64 v[32:33], 1, v[57:58]
	v_add_co_u32 v51, vcc_lo, s10, v51
	v_add_co_ci_u32_e32 v52, vcc_lo, s11, v52, vcc_lo
	v_mov_b32_e32 v57, v58
	s_delay_alu instid0(VALU_DEP_4)
	v_add_co_u32 v62, vcc_lo, s10, v32
	v_add_co_ci_u32_e32 v63, vcc_lo, s11, v33, vcc_lo
	s_clause 0x6
	global_load_u16 v39, v[49:50], off
	global_load_u16 v37, v[45:46], off
	;; [unrolled: 1-line block ×7, first 2 shown]
	v_mov_b32_e32 v62, v58
	s_cbranch_execnz .LBB149_6
	s_branch .LBB149_19
.LBB149_18:                             ;   in Loop: Header=BB149_8 Depth=1
                                        ; implicit-def: $vgpr30
                                        ; implicit-def: $vgpr31
                                        ; implicit-def: $vgpr32
                                        ; implicit-def: $vgpr33
                                        ; implicit-def: $vgpr35
                                        ; implicit-def: $vgpr37
                                        ; implicit-def: $vgpr39
                                        ; implicit-def: $vgpr34
                                        ; implicit-def: $vgpr36
                                        ; implicit-def: $vgpr38
                                        ; implicit-def: $vgpr40
                                        ; implicit-def: $vgpr41
                                        ; implicit-def: $vgpr42
                                        ; implicit-def: $vgpr43
                                        ; implicit-def: $vgpr44
.LBB149_19:                             ;   in Loop: Header=BB149_8 Depth=1
	s_waitcnt vmcnt(14)
	v_dual_mov_b32 v57, v58 :: v_dual_mov_b32 v44, 0
	s_waitcnt vmcnt(13)
	v_dual_mov_b32 v62, v58 :: v_dual_mov_b32 v43, 0
	;; [unrolled: 2-line block ×8, first 2 shown]
	v_mov_b32_e32 v32, 0
	s_waitcnt vmcnt(0)
	v_mov_b32_e32 v30, 0
	s_branch .LBB149_6
.LBB149_20:
	s_nop 0
	s_sendmsg sendmsg(MSG_DEALLOC_VGPRS)
	s_endpgm
	.section	.rodata,"a",@progbits
	.p2align	6, 0x0
	.amdhsa_kernel _Z16wvSplitK_hf_sml_I6__halfLi64ELi3ELi16ELi8ELi2ELi5EEviiiiiiPKT_S3_S3_PS1_ii
		.amdhsa_group_segment_fixed_size 65536
		.amdhsa_private_segment_fixed_size 0
		.amdhsa_kernarg_size 64
		.amdhsa_user_sgpr_count 15
		.amdhsa_user_sgpr_dispatch_ptr 0
		.amdhsa_user_sgpr_queue_ptr 0
		.amdhsa_user_sgpr_kernarg_segment_ptr 1
		.amdhsa_user_sgpr_dispatch_id 0
		.amdhsa_user_sgpr_private_segment_size 0
		.amdhsa_wavefront_size32 1
		.amdhsa_uses_dynamic_stack 0
		.amdhsa_enable_private_segment 0
		.amdhsa_system_sgpr_workgroup_id_x 1
		.amdhsa_system_sgpr_workgroup_id_y 0
		.amdhsa_system_sgpr_workgroup_id_z 0
		.amdhsa_system_sgpr_workgroup_info 0
		.amdhsa_system_vgpr_workitem_id 1
		.amdhsa_next_free_vgpr 99
		.amdhsa_next_free_sgpr 28
		.amdhsa_reserve_vcc 1
		.amdhsa_float_round_mode_32 0
		.amdhsa_float_round_mode_16_64 0
		.amdhsa_float_denorm_mode_32 3
		.amdhsa_float_denorm_mode_16_64 3
		.amdhsa_dx10_clamp 1
		.amdhsa_ieee_mode 1
		.amdhsa_fp16_overflow 0
		.amdhsa_workgroup_processor_mode 1
		.amdhsa_memory_ordered 1
		.amdhsa_forward_progress 0
		.amdhsa_shared_vgpr_count 0
		.amdhsa_exception_fp_ieee_invalid_op 0
		.amdhsa_exception_fp_denorm_src 0
		.amdhsa_exception_fp_ieee_div_zero 0
		.amdhsa_exception_fp_ieee_overflow 0
		.amdhsa_exception_fp_ieee_underflow 0
		.amdhsa_exception_fp_ieee_inexact 0
		.amdhsa_exception_int_div_zero 0
	.end_amdhsa_kernel
	.section	.text._Z16wvSplitK_hf_sml_I6__halfLi64ELi3ELi16ELi8ELi2ELi5EEviiiiiiPKT_S3_S3_PS1_ii,"axG",@progbits,_Z16wvSplitK_hf_sml_I6__halfLi64ELi3ELi16ELi8ELi2ELi5EEviiiiiiPKT_S3_S3_PS1_ii,comdat
.Lfunc_end149:
	.size	_Z16wvSplitK_hf_sml_I6__halfLi64ELi3ELi16ELi8ELi2ELi5EEviiiiiiPKT_S3_S3_PS1_ii, .Lfunc_end149-_Z16wvSplitK_hf_sml_I6__halfLi64ELi3ELi16ELi8ELi2ELi5EEviiiiiiPKT_S3_S3_PS1_ii
                                        ; -- End function
	.section	.AMDGPU.csdata,"",@progbits
; Kernel info:
; codeLenInByte = 6888
; NumSgprs: 30
; NumVgprs: 99
; ScratchSize: 0
; MemoryBound: 0
; FloatMode: 240
; IeeeMode: 1
; LDSByteSize: 65536 bytes/workgroup (compile time only)
; SGPRBlocks: 3
; VGPRBlocks: 12
; NumSGPRsForWavesPerEU: 30
; NumVGPRsForWavesPerEU: 99
; Occupancy: 12
; WaveLimiterHint : 0
; COMPUTE_PGM_RSRC2:SCRATCH_EN: 0
; COMPUTE_PGM_RSRC2:USER_SGPR: 15
; COMPUTE_PGM_RSRC2:TRAP_HANDLER: 0
; COMPUTE_PGM_RSRC2:TGID_X_EN: 1
; COMPUTE_PGM_RSRC2:TGID_Y_EN: 0
; COMPUTE_PGM_RSRC2:TGID_Z_EN: 0
; COMPUTE_PGM_RSRC2:TIDIG_COMP_CNT: 1
	.section	.text._Z12wvSplitK_hf_I6__halfLi64ELi3ELi16ELi8ELi2ELi5EEviiiiiiPKT_S3_S3_PS1_ii,"axG",@progbits,_Z12wvSplitK_hf_I6__halfLi64ELi3ELi16ELi8ELi2ELi5EEviiiiiiPKT_S3_S3_PS1_ii,comdat
	.protected	_Z12wvSplitK_hf_I6__halfLi64ELi3ELi16ELi8ELi2ELi5EEviiiiiiPKT_S3_S3_PS1_ii ; -- Begin function _Z12wvSplitK_hf_I6__halfLi64ELi3ELi16ELi8ELi2ELi5EEviiiiiiPKT_S3_S3_PS1_ii
	.globl	_Z12wvSplitK_hf_I6__halfLi64ELi3ELi16ELi8ELi2ELi5EEviiiiiiPKT_S3_S3_PS1_ii
	.p2align	8
	.type	_Z12wvSplitK_hf_I6__halfLi64ELi3ELi16ELi8ELi2ELi5EEviiiiiiPKT_S3_S3_PS1_ii,@function
_Z12wvSplitK_hf_I6__halfLi64ELi3ELi16ELi8ELi2ELi5EEviiiiiiPKT_S3_S3_PS1_ii: ; @_Z12wvSplitK_hf_I6__halfLi64ELi3ELi16ELi8ELi2ELi5EEviiiiiiPKT_S3_S3_PS1_ii
; %bb.0:
	s_clause 0x1
	s_load_b64 s[18:19], s[0:1], 0x38
	s_load_b128 s[4:7], s[0:1], 0x0
	v_bfe_u32 v1, v0, 10, 10
	s_mov_b32 s8, 1
	s_delay_alu instid0(SALU_CYCLE_1) | instskip(SKIP_1) | instid1(SALU_CYCLE_1)
	s_mov_b32 s9, s8
	s_mov_b32 s10, s8
	v_mov_b32_e32 v66, s10
	v_dual_mov_b32 v64, s8 :: v_dual_mov_b32 v65, s9
	s_waitcnt lgkmcnt(0)
	v_mad_u64_u32 v[2:3], null, s15, s18, v[1:2]
	s_clause 0x1
	s_load_b64 s[12:13], s[0:1], 0x20
	s_load_b64 s[14:15], s[0:1], 0x10
	s_delay_alu instid0(VALU_DEP_1) | instskip(NEXT) | instid1(VALU_DEP_1)
	v_lshl_add_u32 v68, v2, 1, v2
	v_add_nc_u32_e32 v2, 3, v68
	v_cmp_gt_u32_e32 vcc_lo, s7, v68
	s_delay_alu instid0(VALU_DEP_2) | instskip(NEXT) | instid1(VALU_DEP_1)
	v_cmp_le_u32_e64 s2, s7, v2
	s_and_b32 s2, vcc_lo, s2
	s_delay_alu instid0(SALU_CYCLE_1)
	s_and_saveexec_b32 s11, s2
	s_cbranch_execz .LBB150_6
; %bb.1:
	v_dual_mov_b32 v66, s10 :: v_dual_mov_b32 v65, s9
	v_mov_b32_e32 v64, s8
	s_add_i32 s16, s7, -3
	s_mov_b32 s17, exec_lo
	v_cmpx_ne_u32_e64 s16, v68
	s_cbranch_execz .LBB150_5
; %bb.2:
	v_subrev_nc_u32_e32 v2, s16, v68
	s_mov_b32 s20, 0
	s_mov_b64 s[2:3], 0
	s_mov_b32 s9, s8
	s_mov_b32 s10, s8
	v_cmp_lt_u32_e32 vcc_lo, 1, v2
	v_cndmask_b32_e32 v2, 1, v2, vcc_lo
.LBB150_3:                              ; =>This Inner Loop Header: Depth=1
	s_cmp_lg_u32 s2, 2
	s_cselect_b32 s10, s10, 0
	s_cmp_lg_u32 s2, 1
	s_cselect_b32 s9, s9, 0
	;; [unrolled: 2-line block ×3, first 2 shown]
	s_add_u32 s2, s2, 1
	v_dual_mov_b32 v66, s10 :: v_dual_mov_b32 v65, s9
	v_cmp_eq_u32_e32 vcc_lo, s2, v2
	v_mov_b32_e32 v64, s8
	s_addc_u32 s3, s3, 0
	s_or_b32 s20, vcc_lo, s20
	s_delay_alu instid0(SALU_CYCLE_1)
	s_and_not1_b32 exec_lo, exec_lo, s20
	s_cbranch_execnz .LBB150_3
; %bb.4:
	s_or_b32 exec_lo, exec_lo, s20
	v_mov_b32_e32 v68, s16
.LBB150_5:
	s_or_b32 exec_lo, exec_lo, s17
.LBB150_6:
	s_delay_alu instid0(SALU_CYCLE_1)
	s_or_b32 exec_lo, exec_lo, s11
	s_load_b64 s[8:9], s[0:1], 0x28
	v_and_b32_e32 v0, 0x3ff, v0
	s_mul_i32 s2, s6, 5
	s_mov_b32 s10, exec_lo
	s_min_u32 s3, s2, 0x8000
	s_delay_alu instid0(VALU_DEP_1) | instskip(NEXT) | instid1(VALU_DEP_1)
	v_lshlrev_b32_e32 v67, 3, v0
	v_lshl_add_u32 v4, v1, 9, v67
	s_delay_alu instid0(VALU_DEP_1)
	v_cmpx_gt_u32_e64 s3, v4
	s_cbranch_execz .LBB150_9
; %bb.7:
	v_lshlrev_b32_e32 v5, 10, v1
	v_lshlrev_b32_e32 v6, 4, v0
	s_mov_b32 s11, 0
	s_delay_alu instid0(VALU_DEP_1) | instskip(NEXT) | instid1(VALU_DEP_1)
	v_add_co_u32 v2, s2, v5, v6
	v_add_co_ci_u32_e64 v3, null, 0, 0, s2
	v_add_nc_u32_e32 v5, v5, v6
	s_waitcnt lgkmcnt(0)
	s_delay_alu instid0(VALU_DEP_3) | instskip(NEXT) | instid1(VALU_DEP_3)
	v_add_co_u32 v2, vcc_lo, s12, v2
	v_add_co_ci_u32_e32 v3, vcc_lo, s13, v3, vcc_lo
	.p2align	6
.LBB150_8:                              ; =>This Inner Loop Header: Depth=1
	global_load_b128 v[6:9], v[2:3], off
	v_add_nc_u32_e32 v4, 0x2000, v4
	v_add_co_u32 v2, vcc_lo, 0x4000, v2
	v_add_co_ci_u32_e32 v3, vcc_lo, 0, v3, vcc_lo
	s_delay_alu instid0(VALU_DEP_3) | instskip(NEXT) | instid1(VALU_DEP_1)
	v_cmp_le_u32_e64 s2, s3, v4
	s_or_b32 s11, s2, s11
	s_waitcnt vmcnt(0)
	ds_store_b128 v5, v[6:9]
	v_add_nc_u32_e32 v5, 0x4000, v5
	s_and_not1_b32 exec_lo, exec_lo, s11
	s_cbranch_execnz .LBB150_8
.LBB150_9:
	s_or_b32 exec_lo, exec_lo, s10
	v_cmp_gt_u32_e32 vcc_lo, s18, v1
	v_cmp_gt_u32_e64 s2, s7, v68
	s_waitcnt lgkmcnt(0)
	s_barrier
	buffer_gl0_inv
	s_and_b32 s2, vcc_lo, s2
	s_delay_alu instid0(SALU_CYCLE_1)
	s_and_saveexec_b32 s3, s2
	s_cbranch_execz .LBB150_98
; %bb.10:
	s_cmp_lg_u32 s4, 0
	s_clause 0x1
	s_load_b64 s[10:11], s[0:1], 0x18
	s_load_b64 s[16:17], s[0:1], 0x30
	s_cselect_b32 s20, -1, 0
	s_add_i32 s21, s4, -8
	s_add_i32 s22, s7, -1
	s_cmp_lg_u64 s[8:9], 0
	s_mul_i32 s26, s18, s19
	s_cselect_b32 s23, -1, 0
	s_abs_i32 s2, s15
	s_add_i32 s15, s7, -3
	v_cvt_f32_u32_e32 v1, s2
	s_sub_i32 s1, 0, s2
	s_lshl_b32 s24, s6, 1
	s_sub_i32 s3, 0, s14
	s_sub_i32 s18, 1, s2
	v_rcp_iflag_f32_e32 v1, v1
	v_mad_u64_u32 v[71:72], null, s6, 3, v[67:68]
	v_add_nc_u32_e32 v89, s6, v67
	v_add_nc_u32_e32 v90, s24, v67
	v_mbcnt_lo_u32_b32 v93, -1, 0
	s_mov_b32 s25, 0
	v_mov_b32_e32 v70, 0
	s_mul_i32 s26, s26, 3
	s_mul_i32 s33, s6, 6
	s_waitcnt_depctr 0xfff
	v_dual_mul_f32 v1, 0x4f7ffffe, v1 :: v_dual_lshlrev_b32 v88, 4, v0
	s_delay_alu instid0(VALU_DEP_1) | instskip(NEXT) | instid1(VALU_DEP_1)
	v_cvt_u32_f32_e32 v1, v1
	v_readfirstlane_b32 s0, v1
	v_cvt_f32_u32_e32 v1, s14
	s_delay_alu instid0(VALU_DEP_2) | instskip(NEXT) | instid1(VALU_DEP_1)
	s_mul_i32 s1, s1, s0
	v_rcp_iflag_f32_e32 v1, v1
	s_mul_hi_u32 s1, s0, s1
	s_delay_alu instid0(SALU_CYCLE_1) | instskip(SKIP_3) | instid1(SALU_CYCLE_1)
	s_add_i32 s1, s0, s1
	s_cmp_lt_u32 s2, 2
	v_cmp_eq_u32_e64 s0, 63, v0
	s_cselect_b32 s18, s18, 1
	s_sub_i32 s19, s18, s2
	s_cmp_ge_u32 s18, s2
	s_waitcnt_depctr 0xfff
	v_mul_f32_e32 v1, 0x4f7ffffe, v1
	s_cselect_b32 s27, s19, s18
	s_lshr_b32 s18, s1, 31
	s_mul_i32 s27, s27, s14
	s_mul_i32 s18, s18, s2
	v_cvt_u32_f32_e32 v0, v1
	s_sub_i32 s18, 2, s18
	s_delay_alu instid0(SALU_CYCLE_1) | instskip(SKIP_1) | instid1(VALU_DEP_1)
	s_sub_i32 s19, s18, s2
	s_cmp_ge_u32 s18, s2
	v_mul_lo_u32 v1, s3, v0
	s_cselect_b32 s18, s19, s18
	s_mul_hi_u32 s19, s1, 3
	s_sub_i32 s28, s18, s2
	s_cmp_ge_u32 s18, s2
	s_mul_i32 s19, s19, s2
	s_cselect_b32 s28, s28, s18
	s_sub_i32 s18, 3, s19
	v_mul_hi_u32 v1, v0, v1
	s_sub_i32 s3, s18, s2
	s_cmp_ge_u32 s18, s2
	s_mul_i32 s28, s28, s14
	s_cselect_b32 s3, s3, s18
	s_delay_alu instid0(SALU_CYCLE_1) | instskip(SKIP_1) | instid1(VALU_DEP_1)
	s_sub_i32 s18, s3, s2
	s_cmp_ge_u32 s3, s2
	v_add_nc_u32_e32 v91, v0, v1
	s_cselect_b32 s30, s18, s3
	s_lshr_b32 s1, s1, 30
	s_mul_i32 s30, s30, s14
	s_mul_i32 s1, s1, s2
	s_delay_alu instid0(SALU_CYCLE_1) | instskip(NEXT) | instid1(SALU_CYCLE_1)
	s_sub_i32 s1, 4, s1
	s_sub_i32 s3, s1, s2
	s_cmp_ge_u32 s1, s2
	s_cselect_b32 s1, s3, s1
	s_delay_alu instid0(SALU_CYCLE_1)
	s_sub_i32 s3, s1, s2
	s_cmp_ge_u32 s1, s2
	s_cselect_b32 s31, s3, s1
	s_lshl_b32 s29, s6, 2
	s_mul_i32 s31, s31, s14
	v_add_nc_u32_e32 v92, s29, v67
	s_lshl_b32 s6, s6, 3
	s_branch .LBB150_13
.LBB150_11:                             ;   in Loop: Header=BB150_13 Depth=1
	s_or_b32 exec_lo, exec_lo, s35
	v_mov_b32_e32 v68, s15
.LBB150_12:                             ;   in Loop: Header=BB150_13 Depth=1
	s_or_b32 exec_lo, exec_lo, s34
	s_delay_alu instid0(VALU_DEP_1) | instskip(SKIP_1) | instid1(SALU_CYCLE_1)
	v_cmp_le_u32_e32 vcc_lo, s7, v68
	s_or_b32 s25, vcc_lo, s25
	s_and_not1_b32 exec_lo, exec_lo, s25
	s_cbranch_execz .LBB150_98
.LBB150_13:                             ; =>This Loop Header: Depth=1
                                        ;     Child Loop BB150_18 Depth 2
                                        ;     Child Loop BB150_82 Depth 2
	v_dual_mov_b32 v108, v70 :: v_dual_add_nc_u32 v73, 1, v68
	v_dual_mov_b32 v107, v70 :: v_dual_add_nc_u32 v72, 2, v68
	v_mov_b32_e32 v106, v70
	v_mov_b32_e32 v105, v70
	;; [unrolled: 1-line block ×13, first 2 shown]
	s_and_not1_b32 vcc_lo, exec_lo, s20
	s_cbranch_vccnz .LBB150_60
; %bb.14:                               ;   in Loop: Header=BB150_13 Depth=1
	v_min_u32_e32 v0, s22, v68
	v_min_u32_e32 v1, s22, v73
	;; [unrolled: 1-line block ×3, first 2 shown]
	s_waitcnt lgkmcnt(0)
	v_dual_mov_b32 v3, v70 :: v_dual_mov_b32 v102, 0
	v_mul_lo_u32 v69, v0, s5
	v_mul_lo_u32 v0, v1, s5
	;; [unrolled: 1-line block ×3, first 2 shown]
	v_dual_mov_b32 v1, v70 :: v_dual_mov_b32 v100, 0
	v_dual_mov_b32 v99, 0 :: v_dual_mov_b32 v98, 0
	v_dual_mov_b32 v109, v88 :: v_dual_mov_b32 v96, 0
	v_lshlrev_b64 v[74:75], 1, v[69:70]
	s_delay_alu instid0(VALU_DEP_4)
	v_lshlrev_b64 v[76:77], 1, v[0:1]
	v_lshlrev_b64 v[78:79], 1, v[2:3]
	v_dual_mov_b32 v101, 0 :: v_dual_mov_b32 v94, 0
	v_dual_mov_b32 v97, 0 :: v_dual_mov_b32 v104, 0
	;; [unrolled: 1-line block ×4, first 2 shown]
	v_mov_b32_e32 v105, 0
	v_mov_b32_e32 v107, 0
	s_mov_b32 s1, 0
	s_branch .LBB150_18
.LBB150_15:                             ;   in Loop: Header=BB150_18 Depth=2
	s_or_b32 exec_lo, exec_lo, s18
.LBB150_16:                             ;   in Loop: Header=BB150_18 Depth=2
	s_delay_alu instid0(SALU_CYCLE_1)
	s_or_b32 exec_lo, exec_lo, s3
.LBB150_17:                             ;   in Loop: Header=BB150_18 Depth=2
	s_delay_alu instid0(SALU_CYCLE_1)
	s_or_b32 exec_lo, exec_lo, s2
	s_waitcnt vmcnt(0) lgkmcnt(0)
	;;#ASMSTART
	v_dot2_f32_f16 v108, v40, v20, v108
	;;#ASMEND
	;;#ASMSTART
	v_dot2_f32_f16 v107, v40, v16, v107
	;;#ASMEND
	;; [unrolled: 3-line block ×45, first 2 shown]
	v_add_nc_u32_e32 v109, 0x800, v109
	;;#ASMSTART
	v_dot2_f32_f16 v108, v43, v23, v108
	;;#ASMEND
	;;#ASMSTART
	v_dot2_f32_f16 v107, v43, v19, v107
	;;#ASMEND
	;; [unrolled: 3-line block ×15, first 2 shown]
	s_addk_i32 s1, 0x400
	;;#ASMSTART
	v_dot2_f32_f16 v108, v60, v8, v108
	;;#ASMEND
	;;#ASMSTART
	v_dot2_f32_f16 v107, v60, v4, v107
	;;#ASMEND
	;; [unrolled: 3-line block ×30, first 2 shown]
	s_cmp_ge_u32 s1, s4
	;;#ASMSTART
	v_dot2_f32_f16 v108, v62, v10, v108
	;;#ASMEND
	;;#ASMSTART
	v_dot2_f32_f16 v107, v62, v6, v107
	;;#ASMEND
	;; [unrolled: 3-line block ×30, first 2 shown]
	s_cbranch_scc1 .LBB150_60
.LBB150_18:                             ;   Parent Loop BB150_13 Depth=1
                                        ; =>  This Inner Loop Header: Depth=2
	v_dual_mov_b32 v46, 0 :: v_dual_add_nc_u32 v81, s1, v67
	s_waitcnt vmcnt(14)
	v_dual_mov_b32 v45, 0 :: v_dual_mov_b32 v44, 0
	v_dual_mov_b32 v51, 0 :: v_dual_mov_b32 v50, 0
	s_delay_alu instid0(VALU_DEP_3) | instskip(SKIP_2) | instid1(VALU_DEP_3)
	v_min_u32_e32 v69, s21, v81
	v_dual_mov_b32 v47, 0 :: v_dual_add_nc_u32 v80, 0x200, v81
	v_dual_mov_b32 v49, 0 :: v_dual_mov_b32 v48, 0
	v_lshlrev_b64 v[0:1], 1, v[69:70]
	s_delay_alu instid0(VALU_DEP_3)
	v_min_u32_e32 v69, s21, v80
	s_waitcnt vmcnt(0)
	v_dual_mov_b32 v31, 0 :: v_dual_mov_b32 v30, 0
	v_dual_mov_b32 v29, 0 :: v_dual_mov_b32 v28, 0
	s_waitcnt lgkmcnt(0)
	v_add_co_u32 v6, vcc_lo, s10, v0
	v_add_co_ci_u32_e32 v7, vcc_lo, s11, v1, vcc_lo
	v_lshlrev_b64 v[0:1], 1, v[69:70]
	s_delay_alu instid0(VALU_DEP_3) | instskip(NEXT) | instid1(VALU_DEP_3)
	v_add_co_u32 v2, vcc_lo, v6, v74
	v_add_co_ci_u32_e32 v3, vcc_lo, v7, v75, vcc_lo
	v_add_co_u32 v4, vcc_lo, v6, v76
	v_add_co_ci_u32_e32 v5, vcc_lo, v7, v77, vcc_lo
	;; [unrolled: 2-line block ×4, first 2 shown]
	s_delay_alu instid0(VALU_DEP_4) | instskip(NEXT) | instid1(VALU_DEP_4)
	v_add_co_u32 v6, vcc_lo, v8, v74
	v_add_co_ci_u32_e32 v7, vcc_lo, v9, v75, vcc_lo
	v_add_co_u32 v24, vcc_lo, v8, v76
	v_add_co_ci_u32_e32 v25, vcc_lo, v9, v77, vcc_lo
	;; [unrolled: 2-line block ×3, first 2 shown]
	s_clause 0x5
	global_load_b128 v[20:23], v[2:3], off slc dlc
	global_load_b128 v[16:19], v[4:5], off slc dlc
	;; [unrolled: 1-line block ×6, first 2 shown]
	v_cmp_gt_u32_e32 vcc_lo, s4, v81
	v_dual_mov_b32 v27, 0 :: v_dual_mov_b32 v26, 0
	v_dual_mov_b32 v25, 0 :: v_dual_mov_b32 v24, 0
	;; [unrolled: 1-line block ×14, first 2 shown]
	s_and_saveexec_b32 s2, vcc_lo
	s_cbranch_execz .LBB150_17
; %bb.19:                               ;   in Loop: Header=BB150_18 Depth=2
	s_mov_b32 s3, exec_lo
                                        ; implicit-def: $vgpr43
	v_cmpx_lt_u32_e32 0x7fff, v81
	s_xor_b32 s3, exec_lo, s3
	s_cbranch_execz .LBB150_21
; %bb.20:                               ;   in Loop: Header=BB150_18 Depth=2
	v_mov_b32_e32 v82, v70
	s_delay_alu instid0(VALU_DEP_1) | instskip(NEXT) | instid1(VALU_DEP_1)
	v_lshlrev_b64 v[24:25], 1, v[81:82]
	v_add_co_u32 v24, vcc_lo, s12, v24
	s_delay_alu instid0(VALU_DEP_2)
	v_add_co_ci_u32_e32 v25, vcc_lo, s13, v25, vcc_lo
	global_load_b128 v[40:43], v[24:25], off
.LBB150_21:                             ;   in Loop: Header=BB150_18 Depth=2
	s_and_not1_saveexec_b32 s3, s3
	s_cbranch_execz .LBB150_23
; %bb.22:                               ;   in Loop: Header=BB150_18 Depth=2
	s_waitcnt vmcnt(0)
	ds_load_b128 v[40:43], v109
.LBB150_23:                             ;   in Loop: Header=BB150_18 Depth=2
	s_or_b32 exec_lo, exec_lo, s3
	v_add_nc_u32_e32 v69, s1, v89
	s_mov_b32 s3, exec_lo
                                        ; implicit-def: $vgpr39
	s_delay_alu instid0(VALU_DEP_1)
	v_cmpx_lt_u32_e32 0x7fff, v69
	s_xor_b32 s3, exec_lo, s3
	s_cbranch_execz .LBB150_25
; %bb.24:                               ;   in Loop: Header=BB150_18 Depth=2
	v_lshlrev_b64 v[24:25], 1, v[69:70]
	s_delay_alu instid0(VALU_DEP_1) | instskip(NEXT) | instid1(VALU_DEP_2)
	v_add_co_u32 v24, vcc_lo, s12, v24
	v_add_co_ci_u32_e32 v25, vcc_lo, s13, v25, vcc_lo
	global_load_b128 v[36:39], v[24:25], off
.LBB150_25:                             ;   in Loop: Header=BB150_18 Depth=2
	s_and_not1_saveexec_b32 s3, s3
	s_cbranch_execz .LBB150_27
; %bb.26:                               ;   in Loop: Header=BB150_18 Depth=2
	v_add_nc_u32_e32 v24, s24, v109
	s_waitcnt vmcnt(0)
	ds_load_b128 v[36:39], v24
.LBB150_27:                             ;   in Loop: Header=BB150_18 Depth=2
	s_or_b32 exec_lo, exec_lo, s3
	v_add_nc_u32_e32 v86, s1, v90
	s_mov_b32 s3, exec_lo
                                        ; implicit-def: $vgpr35
	s_delay_alu instid0(VALU_DEP_1)
	v_cmpx_lt_u32_e32 0x7fff, v86
	s_xor_b32 s3, exec_lo, s3
	s_cbranch_execz .LBB150_29
; %bb.28:                               ;   in Loop: Header=BB150_18 Depth=2
	v_mov_b32_e32 v87, v70
	s_delay_alu instid0(VALU_DEP_1) | instskip(NEXT) | instid1(VALU_DEP_1)
	v_lshlrev_b64 v[24:25], 1, v[86:87]
	v_add_co_u32 v24, vcc_lo, s12, v24
	s_delay_alu instid0(VALU_DEP_2)
	v_add_co_ci_u32_e32 v25, vcc_lo, s13, v25, vcc_lo
	global_load_b128 v[32:35], v[24:25], off
.LBB150_29:                             ;   in Loop: Header=BB150_18 Depth=2
	s_and_not1_saveexec_b32 s3, s3
	s_cbranch_execz .LBB150_31
; %bb.30:                               ;   in Loop: Header=BB150_18 Depth=2
	v_add_nc_u32_e32 v24, s29, v109
	s_waitcnt vmcnt(0)
	ds_load_2addr_b32 v[32:33], v24 offset1:1
	ds_load_2addr_b32 v[34:35], v24 offset0:2 offset1:3
.LBB150_31:                             ;   in Loop: Header=BB150_18 Depth=2
	s_or_b32 exec_lo, exec_lo, s3
	v_add_nc_u32_e32 v84, s1, v71
	s_mov_b32 s3, exec_lo
                                        ; implicit-def: $vgpr31
	s_delay_alu instid0(VALU_DEP_1)
	v_cmpx_lt_u32_e32 0x7fff, v84
	s_xor_b32 s3, exec_lo, s3
	s_cbranch_execz .LBB150_33
; %bb.32:                               ;   in Loop: Header=BB150_18 Depth=2
	v_mov_b32_e32 v85, v70
	s_delay_alu instid0(VALU_DEP_1) | instskip(NEXT) | instid1(VALU_DEP_1)
	v_lshlrev_b64 v[24:25], 1, v[84:85]
	v_add_co_u32 v24, vcc_lo, s12, v24
	s_delay_alu instid0(VALU_DEP_2)
	v_add_co_ci_u32_e32 v25, vcc_lo, s13, v25, vcc_lo
	global_load_b128 v[28:31], v[24:25], off
.LBB150_33:                             ;   in Loop: Header=BB150_18 Depth=2
	s_and_not1_saveexec_b32 s3, s3
	s_cbranch_execz .LBB150_35
; %bb.34:                               ;   in Loop: Header=BB150_18 Depth=2
	v_add_nc_u32_e32 v24, s33, v109
	s_waitcnt vmcnt(0)
	ds_load_b128 v[28:31], v24
.LBB150_35:                             ;   in Loop: Header=BB150_18 Depth=2
	s_or_b32 exec_lo, exec_lo, s3
	v_add_nc_u32_e32 v82, s1, v92
	s_mov_b32 s3, exec_lo
                                        ; implicit-def: $vgpr27
	s_delay_alu instid0(VALU_DEP_1)
	v_cmpx_lt_u32_e32 0x7fff, v82
	s_xor_b32 s3, exec_lo, s3
	s_cbranch_execz .LBB150_37
; %bb.36:                               ;   in Loop: Header=BB150_18 Depth=2
	v_mov_b32_e32 v83, v70
	s_delay_alu instid0(VALU_DEP_1) | instskip(NEXT) | instid1(VALU_DEP_1)
	v_lshlrev_b64 v[24:25], 1, v[82:83]
	v_add_co_u32 v24, vcc_lo, s12, v24
	s_delay_alu instid0(VALU_DEP_2)
	v_add_co_ci_u32_e32 v25, vcc_lo, s13, v25, vcc_lo
	global_load_b128 v[24:27], v[24:25], off
.LBB150_37:                             ;   in Loop: Header=BB150_18 Depth=2
	s_and_not1_saveexec_b32 s3, s3
	s_cbranch_execz .LBB150_39
; %bb.38:                               ;   in Loop: Header=BB150_18 Depth=2
	s_waitcnt vmcnt(0)
	v_add_nc_u32_e32 v24, s6, v109
	ds_load_2addr_b64 v[24:27], v24 offset1:1
.LBB150_39:                             ;   in Loop: Header=BB150_18 Depth=2
	s_or_b32 exec_lo, exec_lo, s3
	v_cmp_gt_u32_e32 vcc_lo, s4, v80
	v_dual_mov_b32 v47, 0 :: v_dual_mov_b32 v46, 0
	v_dual_mov_b32 v45, 0 :: v_dual_mov_b32 v44, 0
	;; [unrolled: 1-line block ×10, first 2 shown]
	s_and_saveexec_b32 s3, vcc_lo
	s_cbranch_execz .LBB150_16
; %bb.40:                               ;   in Loop: Header=BB150_18 Depth=2
	s_mov_b32 s18, exec_lo
                                        ; implicit-def: $vgpr63
	v_cmpx_lt_u32_e32 0x7fff, v80
	s_xor_b32 s18, exec_lo, s18
	s_cbranch_execz .LBB150_42
; %bb.41:                               ;   in Loop: Header=BB150_18 Depth=2
	v_mov_b32_e32 v81, v70
	s_delay_alu instid0(VALU_DEP_1) | instskip(NEXT) | instid1(VALU_DEP_1)
	v_lshlrev_b64 v[44:45], 1, v[80:81]
	v_add_co_u32 v44, vcc_lo, s12, v44
	s_delay_alu instid0(VALU_DEP_2)
	v_add_co_ci_u32_e32 v45, vcc_lo, s13, v45, vcc_lo
	global_load_b128 v[60:63], v[44:45], off
.LBB150_42:                             ;   in Loop: Header=BB150_18 Depth=2
	s_and_not1_saveexec_b32 s18, s18
	s_cbranch_execz .LBB150_44
; %bb.43:                               ;   in Loop: Header=BB150_18 Depth=2
	s_waitcnt vmcnt(0)
	ds_load_b128 v[60:63], v109 offset:1024
.LBB150_44:                             ;   in Loop: Header=BB150_18 Depth=2
	s_or_b32 exec_lo, exec_lo, s18
	v_add_nc_u32_e32 v69, 0x200, v69
	s_mov_b32 s18, exec_lo
                                        ; implicit-def: $vgpr59
	s_delay_alu instid0(VALU_DEP_1)
	v_cmpx_lt_u32_e32 0x7fff, v69
	s_xor_b32 s18, exec_lo, s18
	s_cbranch_execz .LBB150_46
; %bb.45:                               ;   in Loop: Header=BB150_18 Depth=2
	v_lshlrev_b64 v[44:45], 1, v[69:70]
	s_delay_alu instid0(VALU_DEP_1) | instskip(NEXT) | instid1(VALU_DEP_2)
	v_add_co_u32 v44, vcc_lo, s12, v44
	v_add_co_ci_u32_e32 v45, vcc_lo, s13, v45, vcc_lo
	global_load_b128 v[56:59], v[44:45], off
.LBB150_46:                             ;   in Loop: Header=BB150_18 Depth=2
	s_and_not1_saveexec_b32 s18, s18
	s_cbranch_execz .LBB150_48
; %bb.47:                               ;   in Loop: Header=BB150_18 Depth=2
	v_add_nc_u32_e32 v44, s24, v109
	s_waitcnt vmcnt(0)
	ds_load_b128 v[56:59], v44 offset:1024
.LBB150_48:                             ;   in Loop: Header=BB150_18 Depth=2
	s_or_b32 exec_lo, exec_lo, s18
	v_add_nc_u32_e32 v69, 0x200, v86
	s_mov_b32 s18, exec_lo
                                        ; implicit-def: $vgpr55
	s_delay_alu instid0(VALU_DEP_1)
	v_cmpx_lt_u32_e32 0x7fff, v69
	s_xor_b32 s18, exec_lo, s18
	s_cbranch_execz .LBB150_50
; %bb.49:                               ;   in Loop: Header=BB150_18 Depth=2
	v_lshlrev_b64 v[44:45], 1, v[69:70]
	s_delay_alu instid0(VALU_DEP_1) | instskip(NEXT) | instid1(VALU_DEP_2)
	v_add_co_u32 v44, vcc_lo, s12, v44
	v_add_co_ci_u32_e32 v45, vcc_lo, s13, v45, vcc_lo
	global_load_b128 v[52:55], v[44:45], off
.LBB150_50:                             ;   in Loop: Header=BB150_18 Depth=2
	s_and_not1_saveexec_b32 s18, s18
	s_cbranch_execz .LBB150_52
; %bb.51:                               ;   in Loop: Header=BB150_18 Depth=2
	v_add_nc_u32_e32 v44, s29, v109
	s_delay_alu instid0(VALU_DEP_1)
	v_add_nc_u32_e32 v45, 0x400, v44
	v_add_nc_u32_e32 v44, 0x408, v44
	s_waitcnt vmcnt(0)
	ds_load_2addr_b32 v[52:53], v45 offset1:1
	ds_load_2addr_b32 v[54:55], v44 offset1:1
.LBB150_52:                             ;   in Loop: Header=BB150_18 Depth=2
	s_or_b32 exec_lo, exec_lo, s18
	v_add_nc_u32_e32 v69, 0x200, v84
	s_mov_b32 s18, exec_lo
                                        ; implicit-def: $vgpr51
	s_delay_alu instid0(VALU_DEP_1)
	v_cmpx_lt_u32_e32 0x7fff, v69
	s_xor_b32 s18, exec_lo, s18
	s_cbranch_execz .LBB150_54
; %bb.53:                               ;   in Loop: Header=BB150_18 Depth=2
	v_lshlrev_b64 v[44:45], 1, v[69:70]
	s_delay_alu instid0(VALU_DEP_1) | instskip(NEXT) | instid1(VALU_DEP_2)
	v_add_co_u32 v44, vcc_lo, s12, v44
	v_add_co_ci_u32_e32 v45, vcc_lo, s13, v45, vcc_lo
	global_load_b128 v[48:51], v[44:45], off
.LBB150_54:                             ;   in Loop: Header=BB150_18 Depth=2
	s_and_not1_saveexec_b32 s18, s18
	s_cbranch_execz .LBB150_56
; %bb.55:                               ;   in Loop: Header=BB150_18 Depth=2
	v_add_nc_u32_e32 v44, s33, v109
	s_waitcnt vmcnt(0)
	ds_load_b128 v[48:51], v44 offset:1024
.LBB150_56:                             ;   in Loop: Header=BB150_18 Depth=2
	s_or_b32 exec_lo, exec_lo, s18
	v_add_nc_u32_e32 v69, 0x200, v82
	s_mov_b32 s18, exec_lo
                                        ; implicit-def: $vgpr47
	s_delay_alu instid0(VALU_DEP_1)
	v_cmpx_lt_u32_e32 0x7fff, v69
	s_xor_b32 s18, exec_lo, s18
	s_cbranch_execz .LBB150_58
; %bb.57:                               ;   in Loop: Header=BB150_18 Depth=2
	v_lshlrev_b64 v[44:45], 1, v[69:70]
	s_delay_alu instid0(VALU_DEP_1) | instskip(NEXT) | instid1(VALU_DEP_2)
	v_add_co_u32 v44, vcc_lo, s12, v44
	v_add_co_ci_u32_e32 v45, vcc_lo, s13, v45, vcc_lo
	global_load_b128 v[44:47], v[44:45], off
.LBB150_58:                             ;   in Loop: Header=BB150_18 Depth=2
	s_and_not1_saveexec_b32 s18, s18
	s_cbranch_execz .LBB150_15
; %bb.59:                               ;   in Loop: Header=BB150_18 Depth=2
	s_waitcnt vmcnt(0)
	v_add_nc_u32_e32 v44, s6, v109
	ds_load_2addr_b64 v[44:47], v44 offset0:128 offset1:129
	s_branch .LBB150_15
.LBB150_60:                             ;   in Loop: Header=BB150_13 Depth=1
	v_xor_b32_e32 v0, 16, v93
	v_cvt_i32_f32_e32 v1, v108
	s_waitcnt lgkmcnt(0)
	v_cvt_i32_f32_e32 v3, v106
	v_cvt_i32_f32_e32 v4, v105
	;; [unrolled: 1-line block ×3, first 2 shown]
	v_cmp_gt_i32_e32 vcc_lo, 32, v0
	v_cvt_f32_i32_dpp v1, v1 row_shr:8 row_mask:0xf bank_mask:0xf bound_ctrl:1
	v_cvt_i32_f32_e32 v2, v107
	s_delay_alu instid0(VALU_DEP_2) | instskip(NEXT) | instid1(VALU_DEP_2)
	v_dual_cndmask_b32 v0, v93, v0 :: v_dual_add_f32 v1, v108, v1
	v_cvt_f32_i32_dpp v2, v2 row_shr:8 row_mask:0xf bank_mask:0xf bound_ctrl:1
	s_waitcnt vmcnt(0)
	s_delay_alu instid0(VALU_DEP_2) | instskip(SKIP_4) | instid1(VALU_DEP_3)
	v_lshlrev_b32_e32 v30, 2, v0
	v_cvt_f32_i32_dpp v0, v3 row_shr:8 row_mask:0xf bank_mask:0xf bound_ctrl:1
	v_cvt_f32_i32_dpp v3, v4 row_shr:8 row_mask:0xf bank_mask:0xf bound_ctrl:1
	;; [unrolled: 1-line block ×3, first 2 shown]
	v_cvt_i32_f32_e32 v5, v1
	v_add_f32_e32 v3, v105, v3
	s_delay_alu instid0(VALU_DEP_2) | instskip(SKIP_1) | instid1(VALU_DEP_3)
	v_cvt_f32_i32_dpp v5, v5 row_shr:4 row_mask:0xf bank_mask:0xf bound_ctrl:1
	v_add_f32_e32 v2, v107, v2
	v_cvt_i32_f32_e32 v8, v3
	s_delay_alu instid0(VALU_DEP_3) | instskip(NEXT) | instid1(VALU_DEP_3)
	v_add_f32_e32 v1, v1, v5
	v_cvt_i32_f32_e32 v6, v2
	s_delay_alu instid0(VALU_DEP_3) | instskip(NEXT) | instid1(VALU_DEP_3)
	v_cvt_f32_i32_dpp v8, v8 row_shr:4 row_mask:0xf bank_mask:0xf bound_ctrl:1
	v_cvt_i32_f32_e32 v5, v1
	s_delay_alu instid0(VALU_DEP_3) | instskip(NEXT) | instid1(VALU_DEP_3)
	v_cvt_f32_i32_dpp v6, v6 row_shr:4 row_mask:0xf bank_mask:0xf bound_ctrl:1
	v_add_f32_e32 v3, v3, v8
	s_delay_alu instid0(VALU_DEP_3) | instskip(SKIP_1) | instid1(VALU_DEP_4)
	v_cvt_f32_i32_dpp v5, v5 row_shr:2 row_mask:0xf bank_mask:0xf bound_ctrl:1
	v_add_f32_e32 v0, v106, v0
	v_add_f32_e32 v2, v2, v6
	s_delay_alu instid0(VALU_DEP_4) | instskip(NEXT) | instid1(VALU_DEP_4)
	v_cvt_i32_f32_e32 v8, v3
	v_add_f32_e32 v1, v1, v5
	s_delay_alu instid0(VALU_DEP_4) | instskip(NEXT) | instid1(VALU_DEP_4)
	v_cvt_i32_f32_e32 v7, v0
	v_cvt_i32_f32_e32 v6, v2
	s_delay_alu instid0(VALU_DEP_4) | instskip(NEXT) | instid1(VALU_DEP_4)
	v_cvt_f32_i32_dpp v8, v8 row_shr:2 row_mask:0xf bank_mask:0xf bound_ctrl:1
	v_cvt_i32_f32_e32 v5, v1
	s_delay_alu instid0(VALU_DEP_4) | instskip(NEXT) | instid1(VALU_DEP_4)
	v_cvt_f32_i32_dpp v7, v7 row_shr:4 row_mask:0xf bank_mask:0xf bound_ctrl:1
	v_cvt_f32_i32_dpp v6, v6 row_shr:2 row_mask:0xf bank_mask:0xf bound_ctrl:1
	s_delay_alu instid0(VALU_DEP_4) | instskip(NEXT) | instid1(VALU_DEP_4)
	v_add_f32_e32 v3, v3, v8
	v_cvt_f32_i32_dpp v5, v5 row_shr:1 row_mask:0xf bank_mask:0xf bound_ctrl:1
	s_delay_alu instid0(VALU_DEP_4) | instskip(NEXT) | instid1(VALU_DEP_3)
	v_add_f32_e32 v0, v0, v7
	v_cvt_i32_f32_e32 v8, v3
	s_delay_alu instid0(VALU_DEP_3) | instskip(NEXT) | instid1(VALU_DEP_3)
	v_add_f32_e32 v24, v1, v5
	v_cvt_i32_f32_e32 v7, v0
	v_cvt_i32_f32_e32 v1, v99
	s_delay_alu instid0(VALU_DEP_4) | instskip(NEXT) | instid1(VALU_DEP_3)
	v_cvt_f32_i32_dpp v8, v8 row_shr:1 row_mask:0xf bank_mask:0xf bound_ctrl:1
	v_cvt_f32_i32_dpp v7, v7 row_shr:2 row_mask:0xf bank_mask:0xf bound_ctrl:1
	s_delay_alu instid0(VALU_DEP_3) | instskip(NEXT) | instid1(VALU_DEP_1)
	v_cvt_f32_i32_dpp v1, v1 row_shr:8 row_mask:0xf bank_mask:0xf bound_ctrl:1
	v_dual_add_f32 v0, v0, v7 :: v_dual_add_f32 v1, v99, v1
	s_delay_alu instid0(VALU_DEP_1) | instskip(NEXT) | instid1(VALU_DEP_2)
	v_cvt_i32_f32_e32 v7, v0
	v_cvt_i32_f32_e32 v10, v1
	s_delay_alu instid0(VALU_DEP_2) | instskip(SKIP_1) | instid1(VALU_DEP_3)
	v_cvt_f32_i32_dpp v7, v7 row_shr:1 row_mask:0xf bank_mask:0xf bound_ctrl:1
	v_add_f32_e32 v2, v2, v6
	v_cvt_f32_i32_dpp v10, v10 row_shr:4 row_mask:0xf bank_mask:0xf bound_ctrl:1
	s_delay_alu instid0(VALU_DEP_3) | instskip(NEXT) | instid1(VALU_DEP_3)
	v_add_f32_e32 v13, v0, v7
	v_cvt_i32_f32_e32 v6, v2
	v_cvt_i32_f32_e32 v7, v101
	;; [unrolled: 1-line block ×3, first 2 shown]
	v_add_f32_e32 v1, v1, v10
	ds_bpermute_b32 v16, v30, v13
	v_cvt_f32_i32_dpp v6, v6 row_shr:1 row_mask:0xf bank_mask:0xf bound_ctrl:1
	v_add_f32_e32 v4, v104, v4
	v_cvt_f32_i32_dpp v7, v7 row_shr:8 row_mask:0xf bank_mask:0xf bound_ctrl:1
	v_cvt_f32_i32_dpp v0, v0 row_shr:8 row_mask:0xf bank_mask:0xf bound_ctrl:1
	v_cvt_i32_f32_e32 v10, v1
	v_add_f32_e32 v19, v2, v6
	v_cvt_i32_f32_e32 v9, v4
	v_add_f32_e32 v7, v101, v7
	s_delay_alu instid0(VALU_DEP_4) | instskip(SKIP_1) | instid1(VALU_DEP_4)
	v_cvt_f32_i32_dpp v10, v10 row_shr:2 row_mask:0xf bank_mask:0xf bound_ctrl:1
	v_add_f32_e32 v6, v3, v8
	v_cvt_f32_i32_dpp v9, v9 row_shr:4 row_mask:0xf bank_mask:0xf bound_ctrl:1
	v_cvt_i32_f32_e32 v3, v100
	v_cvt_i32_f32_e32 v14, v7
	v_add_f32_e32 v1, v1, v10
	ds_bpermute_b32 v22, v30, v19
	v_add_f32_e32 v4, v4, v9
	v_cvt_f32_i32_dpp v3, v3 row_shr:8 row_mask:0xf bank_mask:0xf bound_ctrl:1
	v_cvt_f32_i32_dpp v14, v14 row_shr:4 row_mask:0xf bank_mask:0xf bound_ctrl:1
	v_cvt_i32_f32_e32 v10, v1
	s_delay_alu instid0(VALU_DEP_4) | instskip(NEXT) | instid1(VALU_DEP_4)
	v_cvt_i32_f32_e32 v9, v4
	v_add_f32_e32 v3, v100, v3
	ds_bpermute_b32 v27, v30, v24
	v_cvt_f32_i32_dpp v10, v10 row_shr:1 row_mask:0xf bank_mask:0xf bound_ctrl:1
	v_add_f32_e32 v7, v7, v14
	v_cvt_f32_i32_dpp v9, v9 row_shr:2 row_mask:0xf bank_mask:0xf bound_ctrl:1
	v_cvt_i32_f32_e32 v11, v3
	s_delay_alu instid0(VALU_DEP_4) | instskip(SKIP_1) | instid1(VALU_DEP_4)
	v_add_f32_e32 v18, v1, v10
	v_cvt_i32_f32_e32 v1, v98
	v_add_f32_e32 v4, v4, v9
	s_delay_alu instid0(VALU_DEP_4) | instskip(SKIP_1) | instid1(VALU_DEP_4)
	v_cvt_f32_i32_dpp v11, v11 row_shr:4 row_mask:0xf bank_mask:0xf bound_ctrl:1
	v_cvt_i32_f32_e32 v14, v7
	v_cvt_f32_i32_dpp v1, v1 row_shr:8 row_mask:0xf bank_mask:0xf bound_ctrl:1
	s_delay_alu instid0(VALU_DEP_4)
	v_cvt_i32_f32_e32 v9, v4
	v_add_f32_e32 v0, v103, v0
	v_add_f32_e32 v3, v3, v11
	v_cvt_f32_i32_dpp v14, v14 row_shr:2 row_mask:0xf bank_mask:0xf bound_ctrl:1
	v_add_f32_e32 v1, v98, v1
	v_cvt_f32_i32_dpp v9, v9 row_shr:1 row_mask:0xf bank_mask:0xf bound_ctrl:1
	v_cvt_i32_f32_e32 v8, v0
	v_cvt_i32_f32_e32 v11, v3
	s_delay_alu instid0(VALU_DEP_3) | instskip(SKIP_1) | instid1(VALU_DEP_4)
	v_add_f32_e32 v2, v4, v9
	v_cvt_i32_f32_e32 v4, v102
	v_cvt_f32_i32_dpp v8, v8 row_shr:4 row_mask:0xf bank_mask:0xf bound_ctrl:1
	s_delay_alu instid0(VALU_DEP_4) | instskip(SKIP_4) | instid1(VALU_DEP_2)
	v_cvt_f32_i32_dpp v11, v11 row_shr:2 row_mask:0xf bank_mask:0xf bound_ctrl:1
	ds_bpermute_b32 v9, v30, v6
	ds_bpermute_b32 v5, v30, v2
	v_cvt_f32_i32_dpp v4, v4 row_shr:8 row_mask:0xf bank_mask:0xf bound_ctrl:1
	v_dual_add_f32 v0, v0, v8 :: v_dual_add_f32 v3, v3, v11
	v_add_f32_e32 v4, v102, v4
	s_delay_alu instid0(VALU_DEP_2) | instskip(NEXT) | instid1(VALU_DEP_3)
	v_cvt_i32_f32_e32 v8, v0
	v_cvt_i32_f32_e32 v11, v3
	s_delay_alu instid0(VALU_DEP_3) | instskip(NEXT) | instid1(VALU_DEP_3)
	v_cvt_i32_f32_e32 v12, v4
	v_cvt_f32_i32_dpp v8, v8 row_shr:2 row_mask:0xf bank_mask:0xf bound_ctrl:1
	s_delay_alu instid0(VALU_DEP_3) | instskip(NEXT) | instid1(VALU_DEP_3)
	v_cvt_f32_i32_dpp v11, v11 row_shr:1 row_mask:0xf bank_mask:0xf bound_ctrl:1
	v_cvt_f32_i32_dpp v12, v12 row_shr:4 row_mask:0xf bank_mask:0xf bound_ctrl:1
	s_delay_alu instid0(VALU_DEP_3) | instskip(SKIP_1) | instid1(VALU_DEP_2)
	v_add_f32_e32 v0, v0, v8
	v_add_f32_e32 v8, v7, v14
	v_cvt_i32_f32_e32 v7, v0
	s_delay_alu instid0(VALU_DEP_1) | instskip(NEXT) | instid1(VALU_DEP_1)
	v_cvt_f32_i32_dpp v7, v7 row_shr:1 row_mask:0xf bank_mask:0xf bound_ctrl:1
	v_add_f32_e32 v25, v0, v7
	s_delay_alu instid0(VALU_DEP_4) | instskip(SKIP_4) | instid1(VALU_DEP_1)
	v_cvt_i32_f32_e32 v14, v8
	ds_bpermute_b32 v28, v30, v25
	v_cvt_f32_i32_dpp v15, v14 row_shr:1 row_mask:0xf bank_mask:0xf bound_ctrl:1
	v_add_f32_e32 v14, v3, v11
	v_cvt_i32_f32_e32 v11, v95
	v_cvt_f32_i32_dpp v11, v11 row_shr:8 row_mask:0xf bank_mask:0xf bound_ctrl:1
	s_delay_alu instid0(VALU_DEP_1) | instskip(NEXT) | instid1(VALU_DEP_1)
	v_dual_add_f32 v4, v4, v12 :: v_dual_add_f32 v11, v95, v11
	v_cvt_i32_f32_e32 v12, v4
	s_delay_alu instid0(VALU_DEP_2) | instskip(NEXT) | instid1(VALU_DEP_2)
	v_cvt_i32_f32_e32 v26, v11
	v_cvt_f32_i32_dpp v12, v12 row_shr:2 row_mask:0xf bank_mask:0xf bound_ctrl:1
	s_delay_alu instid0(VALU_DEP_2) | instskip(NEXT) | instid1(VALU_DEP_1)
	v_cvt_f32_i32_dpp v26, v26 row_shr:4 row_mask:0xf bank_mask:0xf bound_ctrl:1
	v_dual_add_f32 v4, v4, v12 :: v_dual_add_f32 v11, v11, v26
	s_delay_alu instid0(VALU_DEP_1) | instskip(NEXT) | instid1(VALU_DEP_2)
	v_cvt_i32_f32_e32 v12, v4
	v_cvt_i32_f32_e32 v26, v11
	s_delay_alu instid0(VALU_DEP_2) | instskip(NEXT) | instid1(VALU_DEP_2)
	v_cvt_f32_i32_dpp v12, v12 row_shr:1 row_mask:0xf bank_mask:0xf bound_ctrl:1
	v_cvt_f32_i32_dpp v26, v26 row_shr:2 row_mask:0xf bank_mask:0xf bound_ctrl:1
	s_delay_alu instid0(VALU_DEP_2)
	v_add_f32_e32 v7, v4, v12
	v_cvt_i32_f32_e32 v12, v94
	v_add_f32_e32 v0, v8, v15
	v_cvt_i32_f32_e32 v15, v1
	;; [unrolled: 2-line block ×3, first 2 shown]
	v_cvt_f32_i32_dpp v12, v12 row_shr:8 row_mask:0xf bank_mask:0xf bound_ctrl:1
	v_cvt_i32_f32_e32 v4, v97
	v_cvt_f32_i32_dpp v15, v15 row_shr:4 row_mask:0xf bank_mask:0xf bound_ctrl:1
	ds_bpermute_b32 v21, v30, v18
	v_cvt_f32_i32_dpp v8, v8 row_shr:8 row_mask:0xf bank_mask:0xf bound_ctrl:1
	ds_bpermute_b32 v10, v30, v7
	;; [unrolled: 2-line block ×3, first 2 shown]
	v_dual_add_f32 v12, v94, v12 :: v_dual_add_f32 v1, v1, v15
	v_cvt_i32_f32_e32 v26, v11
	s_delay_alu instid0(VALU_DEP_2) | instskip(NEXT) | instid1(VALU_DEP_3)
	v_cvt_i32_f32_e32 v29, v12
	v_cvt_i32_f32_e32 v15, v1
	s_delay_alu instid0(VALU_DEP_3) | instskip(NEXT) | instid1(VALU_DEP_3)
	v_cvt_f32_i32_dpp v31, v26 row_shr:1 row_mask:0xf bank_mask:0xf bound_ctrl:1
	v_cvt_f32_i32_dpp v29, v29 row_shr:4 row_mask:0xf bank_mask:0xf bound_ctrl:1
	s_delay_alu instid0(VALU_DEP_3) | instskip(SKIP_1) | instid1(VALU_DEP_2)
	v_cvt_f32_i32_dpp v15, v15 row_shr:2 row_mask:0xf bank_mask:0xf bound_ctrl:1
	v_add_f32_e32 v8, v96, v8
	v_dual_add_f32 v12, v12, v29 :: v_dual_add_f32 v1, v1, v15
	s_delay_alu instid0(VALU_DEP_2) | instskip(NEXT) | instid1(VALU_DEP_2)
	v_cvt_i32_f32_e32 v23, v8
	v_cvt_i32_f32_e32 v29, v12
	s_delay_alu instid0(VALU_DEP_2) | instskip(NEXT) | instid1(VALU_DEP_2)
	v_cvt_f32_i32_dpp v23, v23 row_shr:4 row_mask:0xf bank_mask:0xf bound_ctrl:1
	v_cvt_f32_i32_dpp v29, v29 row_shr:2 row_mask:0xf bank_mask:0xf bound_ctrl:1
	s_delay_alu instid0(VALU_DEP_2) | instskip(NEXT) | instid1(VALU_DEP_2)
	v_add_f32_e32 v8, v8, v23
	v_add_f32_e32 v15, v12, v29
	v_cvt_i32_f32_e32 v12, v1
	s_delay_alu instid0(VALU_DEP_3) | instskip(SKIP_4) | instid1(VALU_DEP_3)
	v_cvt_i32_f32_e32 v23, v8
	ds_bpermute_b32 v17, v30, v14
	v_cvt_i32_f32_e32 v29, v15
	v_cvt_f32_i32_dpp v12, v12 row_shr:1 row_mask:0xf bank_mask:0xf bound_ctrl:1
	v_cvt_f32_i32_dpp v23, v23 row_shr:2 row_mask:0xf bank_mask:0xf bound_ctrl:1
	;; [unrolled: 1-line block ×3, first 2 shown]
	v_add_f32_e32 v4, v97, v4
	s_delay_alu instid0(VALU_DEP_4) | instskip(NEXT) | instid1(VALU_DEP_3)
	v_add_f32_e32 v26, v1, v12
	v_dual_add_f32 v8, v8, v23 :: v_dual_add_f32 v1, v15, v29
	s_delay_alu instid0(VALU_DEP_3) | instskip(SKIP_3) | instid1(VALU_DEP_2)
	v_cvt_i32_f32_e32 v20, v4
	ds_bpermute_b32 v29, v30, v26
	v_cvt_i32_f32_e32 v23, v8
	v_cvt_f32_i32_dpp v20, v20 row_shr:4 row_mask:0xf bank_mask:0xf bound_ctrl:1
	v_cvt_f32_i32_dpp v23, v23 row_shr:1 row_mask:0xf bank_mask:0xf bound_ctrl:1
	s_delay_alu instid0(VALU_DEP_2) | instskip(NEXT) | instid1(VALU_DEP_2)
	v_add_f32_e32 v4, v4, v20
	v_add_f32_e32 v12, v8, v23
	;; [unrolled: 1-line block ×3, first 2 shown]
	s_delay_alu instid0(VALU_DEP_3) | instskip(SKIP_3) | instid1(VALU_DEP_1)
	v_cvt_i32_f32_e32 v20, v4
	ds_bpermute_b32 v15, v30, v12
	ds_bpermute_b32 v11, v30, v8
	v_cvt_f32_i32_dpp v20, v20 row_shr:2 row_mask:0xf bank_mask:0xf bound_ctrl:1
	v_add_f32_e32 v4, v4, v20
	s_delay_alu instid0(VALU_DEP_1) | instskip(NEXT) | instid1(VALU_DEP_1)
	v_cvt_i32_f32_e32 v20, v4
	v_cvt_f32_i32_dpp v20, v20 row_shr:1 row_mask:0xf bank_mask:0xf bound_ctrl:1
	s_delay_alu instid0(VALU_DEP_1)
	v_add_f32_e32 v20, v4, v20
	ds_bpermute_b32 v4, v30, v1
	ds_bpermute_b32 v23, v30, v20
	s_and_saveexec_b32 s18, s0
	s_cbranch_execz .LBB150_79
; %bb.61:                               ;   in Loop: Header=BB150_13 Depth=1
	v_dual_mov_b32 v44, 0 :: v_dual_mov_b32 v43, 0
	v_dual_mov_b32 v42, 0 :: v_dual_mov_b32 v41, 0
	v_dual_mov_b32 v40, 0 :: v_dual_mov_b32 v39, 0
	v_dual_mov_b32 v37, 0 :: v_dual_mov_b32 v38, 0
	v_dual_mov_b32 v35, 0 :: v_dual_mov_b32 v36, 0
	v_dual_mov_b32 v34, 0 :: v_dual_mov_b32 v33, 0
	v_dual_mov_b32 v32, 0 :: v_dual_mov_b32 v31, 0
	v_mov_b32_e32 v30, 0
	s_and_not1_b32 vcc_lo, exec_lo, s23
	s_cbranch_vccnz .LBB150_63
; %bb.62:                               ;   in Loop: Header=BB150_13 Depth=1
	v_mul_hi_u32 v30, v68, v91
	v_mul_hi_u32 v31, v73, v91
	;; [unrolled: 1-line block ×3, first 2 shown]
	s_delay_alu instid0(VALU_DEP_3) | instskip(NEXT) | instid1(VALU_DEP_3)
	v_mul_lo_u32 v30, v30, s14
	v_mul_lo_u32 v31, v31, s14
	s_delay_alu instid0(VALU_DEP_3) | instskip(NEXT) | instid1(VALU_DEP_3)
	v_mul_lo_u32 v32, v32, s14
	v_sub_nc_u32_e32 v30, v68, v30
	s_delay_alu instid0(VALU_DEP_3) | instskip(NEXT) | instid1(VALU_DEP_3)
	v_sub_nc_u32_e32 v33, v73, v31
	v_sub_nc_u32_e32 v32, v72, v32
	s_delay_alu instid0(VALU_DEP_3) | instskip(SKIP_1) | instid1(VALU_DEP_4)
	v_subrev_nc_u32_e32 v34, s14, v30
	v_cmp_le_u32_e32 vcc_lo, s14, v30
	v_subrev_nc_u32_e32 v35, s14, v33
	s_delay_alu instid0(VALU_DEP_4) | instskip(NEXT) | instid1(VALU_DEP_4)
	v_subrev_nc_u32_e32 v36, s14, v32
	v_cndmask_b32_e32 v30, v30, v34, vcc_lo
	v_cmp_le_u32_e32 vcc_lo, s14, v33
	s_delay_alu instid0(VALU_DEP_4) | instskip(SKIP_2) | instid1(VALU_DEP_3)
	v_dual_mov_b32 v31, v70 :: v_dual_cndmask_b32 v34, v33, v35
	v_cmp_le_u32_e32 vcc_lo, s14, v32
	v_mov_b32_e32 v33, v70
	v_subrev_nc_u32_e32 v37, s14, v34
	v_cndmask_b32_e32 v32, v32, v36, vcc_lo
	v_subrev_nc_u32_e32 v36, s14, v30
	v_cmp_le_u32_e32 vcc_lo, s14, v30
	s_delay_alu instid0(VALU_DEP_3) | instskip(NEXT) | instid1(VALU_DEP_3)
	v_subrev_nc_u32_e32 v38, s14, v32
	v_cndmask_b32_e32 v69, v30, v36, vcc_lo
	v_cmp_le_u32_e32 vcc_lo, s14, v34
	v_cndmask_b32_e32 v30, v34, v37, vcc_lo
	v_cmp_le_u32_e32 vcc_lo, s14, v32
	v_mov_b32_e32 v35, v70
	s_delay_alu instid0(VALU_DEP_3)
	v_dual_mov_b32 v48, v70 :: v_dual_add_nc_u32 v49, s28, v30
	v_cndmask_b32_e32 v32, v32, v38, vcc_lo
	v_add_nc_u32_e32 v36, s27, v30
	v_lshlrev_b64 v[38:39], 1, v[69:70]
	v_lshlrev_b64 v[40:41], 1, v[30:31]
	v_dual_mov_b32 v37, v70 :: v_dual_add_nc_u32 v34, s27, v69
	v_lshlrev_b64 v[42:43], 1, v[32:33]
	v_add_nc_u32_e32 v47, s28, v69
	v_add_co_u32 v38, vcc_lo, s8, v38
	v_add_co_ci_u32_e32 v39, vcc_lo, s9, v39, vcc_lo
	v_add_co_u32 v40, vcc_lo, s8, v40
	v_add_co_ci_u32_e32 v41, vcc_lo, s9, v41, vcc_lo
	v_add_co_u32 v45, vcc_lo, s8, v42
	v_lshlrev_b64 v[33:34], 1, v[34:35]
	v_add_co_ci_u32_e32 v46, vcc_lo, s9, v43, vcc_lo
	v_dual_mov_b32 v43, v70 :: v_dual_add_nc_u32 v42, s27, v32
	v_lshlrev_b64 v[35:36], 1, v[36:37]
	s_delay_alu instid0(VALU_DEP_4) | instskip(SKIP_1) | instid1(VALU_DEP_4)
	v_add_co_u32 v33, vcc_lo, s8, v33
	v_add_co_ci_u32_e32 v34, vcc_lo, s9, v34, vcc_lo
	v_lshlrev_b64 v[42:43], 1, v[42:43]
	s_delay_alu instid0(VALU_DEP_4) | instskip(SKIP_2) | instid1(VALU_DEP_4)
	v_add_co_u32 v35, vcc_lo, s8, v35
	v_dual_mov_b32 v50, v70 :: v_dual_add_nc_u32 v55, s30, v69
	v_add_co_ci_u32_e32 v36, vcc_lo, s9, v36, vcc_lo
	v_add_co_u32 v51, vcc_lo, s8, v42
	v_lshlrev_b64 v[47:48], 1, v[47:48]
	v_add_co_ci_u32_e32 v52, vcc_lo, s9, v43, vcc_lo
	v_lshlrev_b64 v[42:43], 1, v[49:50]
	v_dual_mov_b32 v56, v70 :: v_dual_add_nc_u32 v49, s28, v32
	s_delay_alu instid0(VALU_DEP_4) | instskip(SKIP_1) | instid1(VALU_DEP_3)
	v_add_co_u32 v47, vcc_lo, s8, v47
	v_add_co_ci_u32_e32 v48, vcc_lo, s9, v48, vcc_lo
	v_lshlrev_b64 v[49:50], 1, v[49:50]
	v_add_co_u32 v53, vcc_lo, s8, v42
	v_add_co_ci_u32_e32 v54, vcc_lo, s9, v43, vcc_lo
	s_clause 0x7
	global_load_u16 v44, v[38:39], off
	global_load_u16 v43, v[40:41], off
	;; [unrolled: 1-line block ×8, first 2 shown]
	v_dual_mov_b32 v46, v70 :: v_dual_add_nc_u32 v45, s30, v30
	v_add_co_u32 v47, vcc_lo, s8, v49
	v_add_nc_u32_e32 v49, s30, v32
	v_lshlrev_b64 v[33:34], 1, v[55:56]
	v_add_co_ci_u32_e32 v48, vcc_lo, s9, v50, vcc_lo
	v_dual_mov_b32 v50, v70 :: v_dual_add_nc_u32 v69, s31, v69
	v_lshlrev_b64 v[45:46], 1, v[45:46]
	s_delay_alu instid0(VALU_DEP_4) | instskip(NEXT) | instid1(VALU_DEP_3)
	v_add_co_u32 v33, vcc_lo, s8, v33
	v_lshlrev_b64 v[49:50], 1, v[49:50]
	v_add_co_ci_u32_e32 v34, vcc_lo, s9, v34, vcc_lo
	s_delay_alu instid0(VALU_DEP_4)
	v_add_co_u32 v45, vcc_lo, s8, v45
	v_lshlrev_b64 v[51:52], 1, v[69:70]
	v_add_nc_u32_e32 v69, s31, v30
	v_add_co_ci_u32_e32 v46, vcc_lo, s9, v46, vcc_lo
	v_add_co_u32 v30, vcc_lo, s8, v49
	v_add_co_ci_u32_e32 v31, vcc_lo, s9, v50, vcc_lo
	s_delay_alu instid0(VALU_DEP_4) | instskip(SKIP_3) | instid1(VALU_DEP_3)
	v_lshlrev_b64 v[49:50], 1, v[69:70]
	v_add_nc_u32_e32 v69, s31, v32
	v_add_co_u32 v51, vcc_lo, s8, v51
	v_add_co_ci_u32_e32 v52, vcc_lo, s9, v52, vcc_lo
	v_lshlrev_b64 v[53:54], 1, v[69:70]
	v_add_co_u32 v49, vcc_lo, s8, v49
	v_add_co_ci_u32_e32 v50, vcc_lo, s9, v50, vcc_lo
	s_delay_alu instid0(VALU_DEP_3) | instskip(NEXT) | instid1(VALU_DEP_4)
	v_add_co_u32 v53, vcc_lo, s8, v53
	v_add_co_ci_u32_e32 v54, vcc_lo, s9, v54, vcc_lo
	s_clause 0x6
	global_load_u16 v38, v[47:48], off
	global_load_u16 v36, v[33:34], off
	;; [unrolled: 1-line block ×7, first 2 shown]
.LBB150_63:                             ;   in Loop: Header=BB150_13 Depth=1
	v_cmp_ne_u32_e32 vcc_lo, 0, v64
	s_and_saveexec_b32 s2, vcc_lo
	s_cbranch_execnz .LBB150_84
; %bb.64:                               ;   in Loop: Header=BB150_13 Depth=1
	s_or_b32 exec_lo, exec_lo, s2
	v_cmp_ne_u32_e64 s1, 0, v65
	s_delay_alu instid0(VALU_DEP_1)
	s_and_saveexec_b32 s3, s1
	s_cbranch_execnz .LBB150_85
.LBB150_65:                             ;   in Loop: Header=BB150_13 Depth=1
	s_or_b32 exec_lo, exec_lo, s3
	v_cmp_ne_u32_e64 s2, 0, v66
	s_delay_alu instid0(VALU_DEP_1)
	s_and_saveexec_b32 s19, s2
	s_cbranch_execnz .LBB150_86
.LBB150_66:                             ;   in Loop: Header=BB150_13 Depth=1
	s_or_b32 exec_lo, exec_lo, s19
	v_add_nc_u32_e32 v69, s7, v68
	s_and_saveexec_b32 s19, vcc_lo
	s_cbranch_execnz .LBB150_87
.LBB150_67:                             ;   in Loop: Header=BB150_13 Depth=1
	s_or_b32 exec_lo, exec_lo, s19
	s_and_saveexec_b32 s19, s1
	s_cbranch_execnz .LBB150_88
.LBB150_68:                             ;   in Loop: Header=BB150_13 Depth=1
	s_or_b32 exec_lo, exec_lo, s19
	s_and_saveexec_b32 s19, s2
	s_cbranch_execnz .LBB150_89
.LBB150_69:                             ;   in Loop: Header=BB150_13 Depth=1
	s_or_b32 exec_lo, exec_lo, s19
	v_add_nc_u32_e32 v69, s7, v69
	s_and_saveexec_b32 s19, vcc_lo
	s_cbranch_execnz .LBB150_90
.LBB150_70:                             ;   in Loop: Header=BB150_13 Depth=1
	s_or_b32 exec_lo, exec_lo, s19
	s_and_saveexec_b32 s19, s1
	s_cbranch_execnz .LBB150_91
.LBB150_71:                             ;   in Loop: Header=BB150_13 Depth=1
	s_or_b32 exec_lo, exec_lo, s19
	s_and_saveexec_b32 s19, s2
	s_cbranch_execnz .LBB150_92
.LBB150_72:                             ;   in Loop: Header=BB150_13 Depth=1
	s_or_b32 exec_lo, exec_lo, s19
	v_add_nc_u32_e32 v69, s7, v69
	s_and_saveexec_b32 s19, vcc_lo
	s_cbranch_execnz .LBB150_93
.LBB150_73:                             ;   in Loop: Header=BB150_13 Depth=1
	s_or_b32 exec_lo, exec_lo, s19
	s_and_saveexec_b32 s19, s1
	s_cbranch_execnz .LBB150_94
.LBB150_74:                             ;   in Loop: Header=BB150_13 Depth=1
	s_or_b32 exec_lo, exec_lo, s19
	s_and_saveexec_b32 s19, s2
	s_cbranch_execnz .LBB150_95
.LBB150_75:                             ;   in Loop: Header=BB150_13 Depth=1
	s_or_b32 exec_lo, exec_lo, s19
	v_add_nc_u32_e32 v69, s7, v69
	s_and_saveexec_b32 s3, vcc_lo
	s_cbranch_execnz .LBB150_96
.LBB150_76:                             ;   in Loop: Header=BB150_13 Depth=1
	s_or_b32 exec_lo, exec_lo, s3
	s_and_saveexec_b32 s3, s1
	s_cbranch_execnz .LBB150_97
.LBB150_77:                             ;   in Loop: Header=BB150_13 Depth=1
	s_or_b32 exec_lo, exec_lo, s3
	s_delay_alu instid0(SALU_CYCLE_1)
	s_and_b32 exec_lo, exec_lo, s2
	s_cbranch_execz .LBB150_79
.LBB150_78:                             ;   in Loop: Header=BB150_13 Depth=1
	s_waitcnt lgkmcnt(0)
	v_dual_add_f32 v0, v1, v4 :: v_dual_add_nc_u32 v69, 2, v69
	s_waitcnt vmcnt(0)
	v_cvt_f32_f16_e32 v1, v30
	s_delay_alu instid0(VALU_DEP_1) | instskip(NEXT) | instid1(VALU_DEP_3)
	v_add_f32_e32 v2, v0, v1
	v_lshlrev_b64 v[0:1], 1, v[69:70]
	s_delay_alu instid0(VALU_DEP_2) | instskip(NEXT) | instid1(VALU_DEP_2)
	v_cvt_f16_f32_e32 v2, v2
	v_add_co_u32 v0, vcc_lo, s16, v0
	s_delay_alu instid0(VALU_DEP_3)
	v_add_co_ci_u32_e32 v1, vcc_lo, s17, v1, vcc_lo
	global_store_b16 v[0:1], v2, off
.LBB150_79:                             ;   in Loop: Header=BB150_13 Depth=1
	s_or_b32 exec_lo, exec_lo, s18
	v_add_nc_u32_e32 v68, s26, v68
	s_delay_alu instid0(VALU_DEP_1) | instskip(SKIP_1) | instid1(VALU_DEP_2)
	v_add_nc_u32_e32 v0, 3, v68
	v_cmp_gt_u32_e32 vcc_lo, s7, v68
	v_cmp_le_u32_e64 s1, s7, v0
	s_delay_alu instid0(VALU_DEP_1) | instskip(NEXT) | instid1(SALU_CYCLE_1)
	s_and_b32 s1, vcc_lo, s1
	s_and_saveexec_b32 s34, s1
	s_cbranch_execz .LBB150_12
; %bb.80:                               ;   in Loop: Header=BB150_13 Depth=1
	s_mov_b32 s35, exec_lo
	v_cmpx_ne_u32_e64 s15, v68
	s_cbranch_execz .LBB150_11
; %bb.81:                               ;   in Loop: Header=BB150_13 Depth=1
	v_subrev_nc_u32_e32 v0, s15, v68
	s_mov_b32 s36, 0
	s_mov_b64 s[18:19], 0
	s_delay_alu instid0(VALU_DEP_1)
	v_cmp_lt_u32_e32 vcc_lo, 1, v0
	v_cndmask_b32_e32 v0, 1, v0, vcc_lo
	.p2align	6
.LBB150_82:                             ;   Parent Loop BB150_13 Depth=1
                                        ; =>  This Inner Loop Header: Depth=2
	s_cmp_lg_u32 s18, 2
	s_cselect_b32 vcc_lo, -1, 0
	s_cmp_lg_u32 s18, 1
	v_cndmask_b32_e32 v66, 0, v66, vcc_lo
	s_cselect_b32 s1, -1, 0
	s_cmp_lg_u32 s18, 0
	v_cndmask_b32_e64 v65, 0, v65, s1
	s_cselect_b32 s2, -1, 0
	s_add_u32 s18, s18, 1
	v_cndmask_b32_e64 v64, 0, v64, s2
	v_cmp_eq_u32_e64 s3, s18, v0
	s_addc_u32 s19, s19, 0
	s_delay_alu instid0(VALU_DEP_1) | instskip(NEXT) | instid1(SALU_CYCLE_1)
	s_or_b32 s36, s3, s36
	s_and_not1_b32 exec_lo, exec_lo, s36
	s_cbranch_execnz .LBB150_82
; %bb.83:                               ;   in Loop: Header=BB150_13 Depth=1
	s_or_b32 exec_lo, exec_lo, s36
	s_branch .LBB150_11
.LBB150_84:                             ;   in Loop: Header=BB150_13 Depth=1
	s_waitcnt lgkmcnt(0)
	v_dual_add_f32 v24, v24, v27 :: v_dual_mov_b32 v69, v70
	s_waitcnt vmcnt(14)
	v_cvt_f32_f16_e32 v27, v44
	s_delay_alu instid0(VALU_DEP_2) | instskip(NEXT) | instid1(VALU_DEP_2)
	v_lshlrev_b64 v[44:45], 1, v[68:69]
	v_add_f32_e32 v24, v24, v27
	s_delay_alu instid0(VALU_DEP_1) | instskip(NEXT) | instid1(VALU_DEP_3)
	v_cvt_f16_f32_e32 v24, v24
	v_add_co_u32 v44, s1, s16, v44
	s_delay_alu instid0(VALU_DEP_1) | instskip(SKIP_3) | instid1(VALU_DEP_1)
	v_add_co_ci_u32_e64 v45, s1, s17, v45, s1
	global_store_b16 v[44:45], v24, off
	s_or_b32 exec_lo, exec_lo, s2
	v_cmp_ne_u32_e64 s1, 0, v65
	s_and_saveexec_b32 s3, s1
	s_cbranch_execz .LBB150_65
.LBB150_85:                             ;   in Loop: Header=BB150_13 Depth=1
	s_waitcnt lgkmcnt(0)
	v_dual_add_f32 v19, v19, v22 :: v_dual_mov_b32 v74, v70
	s_waitcnt vmcnt(13)
	v_cvt_f32_f16_e32 v22, v43
	s_delay_alu instid0(VALU_DEP_2) | instskip(NEXT) | instid1(VALU_DEP_2)
	v_lshlrev_b64 v[43:44], 1, v[73:74]
	v_add_f32_e32 v19, v19, v22
	s_delay_alu instid0(VALU_DEP_1) | instskip(NEXT) | instid1(VALU_DEP_3)
	v_cvt_f16_f32_e32 v19, v19
	v_add_co_u32 v43, s2, s16, v43
	s_delay_alu instid0(VALU_DEP_1) | instskip(SKIP_3) | instid1(VALU_DEP_1)
	v_add_co_ci_u32_e64 v44, s2, s17, v44, s2
	global_store_b16 v[43:44], v19, off
	s_or_b32 exec_lo, exec_lo, s3
	v_cmp_ne_u32_e64 s2, 0, v66
	s_and_saveexec_b32 s19, s2
	s_cbranch_execz .LBB150_66
.LBB150_86:                             ;   in Loop: Header=BB150_13 Depth=1
	v_mov_b32_e32 v73, v70
	s_waitcnt lgkmcnt(0)
	v_add_f32_e32 v13, v13, v16
	s_waitcnt vmcnt(12)
	v_cvt_f32_f16_e32 v16, v42
	v_lshlrev_b64 v[42:43], 1, v[72:73]
	s_delay_alu instid0(VALU_DEP_2) | instskip(NEXT) | instid1(VALU_DEP_2)
	v_add_f32_e32 v13, v13, v16
	v_add_co_u32 v42, s3, s16, v42
	s_delay_alu instid0(VALU_DEP_2) | instskip(NEXT) | instid1(VALU_DEP_4)
	v_cvt_f16_f32_e32 v13, v13
	v_add_co_ci_u32_e64 v43, s3, s17, v43, s3
	global_store_b16 v[42:43], v13, off
	s_or_b32 exec_lo, exec_lo, s19
	v_add_nc_u32_e32 v69, s7, v68
	s_and_saveexec_b32 s19, vcc_lo
	s_cbranch_execz .LBB150_67
.LBB150_87:                             ;   in Loop: Header=BB150_13 Depth=1
	s_waitcnt lgkmcnt(0)
	v_add_f32_e32 v6, v6, v9
	s_waitcnt vmcnt(11)
	v_cvt_f32_f16_e32 v9, v41
	v_lshlrev_b64 v[41:42], 1, v[69:70]
	s_delay_alu instid0(VALU_DEP_2) | instskip(NEXT) | instid1(VALU_DEP_2)
	v_add_f32_e32 v6, v6, v9
	v_add_co_u32 v41, s3, s16, v41
	s_delay_alu instid0(VALU_DEP_1) | instskip(NEXT) | instid1(VALU_DEP_3)
	v_add_co_ci_u32_e64 v42, s3, s17, v42, s3
	v_cvt_f16_f32_e32 v6, v6
	global_store_b16 v[41:42], v6, off
	s_or_b32 exec_lo, exec_lo, s19
	s_and_saveexec_b32 s19, s1
	s_cbranch_execz .LBB150_68
.LBB150_88:                             ;   in Loop: Header=BB150_13 Depth=1
	s_waitcnt lgkmcnt(0)
	v_add_f32_e32 v2, v2, v5
	v_dual_mov_b32 v6, v70 :: v_dual_add_nc_u32 v5, 1, v69
	s_waitcnt vmcnt(10)
	v_cvt_f32_f16_e32 v9, v40
	s_delay_alu instid0(VALU_DEP_2) | instskip(NEXT) | instid1(VALU_DEP_2)
	v_lshlrev_b64 v[5:6], 1, v[5:6]
	v_add_f32_e32 v2, v2, v9
	s_delay_alu instid0(VALU_DEP_1) | instskip(NEXT) | instid1(VALU_DEP_3)
	v_cvt_f16_f32_e32 v2, v2
	v_add_co_u32 v5, s3, s16, v5
	s_delay_alu instid0(VALU_DEP_1)
	v_add_co_ci_u32_e64 v6, s3, s17, v6, s3
	global_store_b16 v[5:6], v2, off
	s_or_b32 exec_lo, exec_lo, s19
	s_and_saveexec_b32 s19, s2
	s_cbranch_execz .LBB150_69
.LBB150_89:                             ;   in Loop: Header=BB150_13 Depth=1
	s_waitcnt lgkmcnt(0)
	v_dual_add_f32 v2, v25, v28 :: v_dual_add_nc_u32 v5, 2, v69
	v_mov_b32_e32 v6, v70
	s_waitcnt vmcnt(9)
	v_cvt_f32_f16_e32 v9, v39
	s_delay_alu instid0(VALU_DEP_2) | instskip(NEXT) | instid1(VALU_DEP_2)
	v_lshlrev_b64 v[5:6], 1, v[5:6]
	v_add_f32_e32 v2, v2, v9
	s_delay_alu instid0(VALU_DEP_1) | instskip(NEXT) | instid1(VALU_DEP_3)
	v_cvt_f16_f32_e32 v2, v2
	v_add_co_u32 v5, s3, s16, v5
	s_delay_alu instid0(VALU_DEP_1)
	v_add_co_ci_u32_e64 v6, s3, s17, v6, s3
	global_store_b16 v[5:6], v2, off
	s_or_b32 exec_lo, exec_lo, s19
	v_add_nc_u32_e32 v69, s7, v69
	s_and_saveexec_b32 s19, vcc_lo
	s_cbranch_execz .LBB150_70
.LBB150_90:                             ;   in Loop: Header=BB150_13 Depth=1
	s_waitcnt lgkmcnt(0)
	v_add_f32_e32 v2, v18, v21
	s_waitcnt vmcnt(8)
	v_cvt_f32_f16_e32 v5, v37
	s_delay_alu instid0(VALU_DEP_1) | instskip(SKIP_1) | instid1(VALU_DEP_2)
	v_add_f32_e32 v2, v2, v5
	v_lshlrev_b64 v[5:6], 1, v[69:70]
	v_cvt_f16_f32_e32 v2, v2
	s_delay_alu instid0(VALU_DEP_2) | instskip(NEXT) | instid1(VALU_DEP_1)
	v_add_co_u32 v5, s3, s16, v5
	v_add_co_ci_u32_e64 v6, s3, s17, v6, s3
	global_store_b16 v[5:6], v2, off
	s_or_b32 exec_lo, exec_lo, s19
	s_and_saveexec_b32 s19, s1
	s_cbranch_execz .LBB150_71
.LBB150_91:                             ;   in Loop: Header=BB150_13 Depth=1
	s_waitcnt lgkmcnt(0)
	v_dual_mov_b32 v6, v70 :: v_dual_add_nc_u32 v5, 1, v69
	v_add_f32_e32 v2, v14, v17
	s_waitcnt vmcnt(7)
	v_cvt_f32_f16_e32 v9, v35
	s_delay_alu instid0(VALU_DEP_3) | instskip(NEXT) | instid1(VALU_DEP_2)
	v_lshlrev_b64 v[5:6], 1, v[5:6]
	v_add_f32_e32 v2, v2, v9
	s_delay_alu instid0(VALU_DEP_2) | instskip(NEXT) | instid1(VALU_DEP_2)
	v_add_co_u32 v5, s3, s16, v5
	v_cvt_f16_f32_e32 v2, v2
	s_delay_alu instid0(VALU_DEP_4)
	v_add_co_ci_u32_e64 v6, s3, s17, v6, s3
	global_store_b16 v[5:6], v2, off
	s_or_b32 exec_lo, exec_lo, s19
	s_and_saveexec_b32 s19, s2
	s_cbranch_execz .LBB150_72
.LBB150_92:                             ;   in Loop: Header=BB150_13 Depth=1
	s_waitcnt lgkmcnt(0)
	v_dual_add_f32 v2, v7, v10 :: v_dual_add_nc_u32 v5, 2, v69
	v_mov_b32_e32 v6, v70
	s_waitcnt vmcnt(6)
	v_cvt_f32_f16_e32 v7, v38
	s_delay_alu instid0(VALU_DEP_2) | instskip(NEXT) | instid1(VALU_DEP_2)
	v_lshlrev_b64 v[5:6], 1, v[5:6]
	v_add_f32_e32 v2, v2, v7
	s_delay_alu instid0(VALU_DEP_1) | instskip(NEXT) | instid1(VALU_DEP_3)
	v_cvt_f16_f32_e32 v2, v2
	v_add_co_u32 v5, s3, s16, v5
	s_delay_alu instid0(VALU_DEP_1)
	v_add_co_ci_u32_e64 v6, s3, s17, v6, s3
	global_store_b16 v[5:6], v2, off
	s_or_b32 exec_lo, exec_lo, s19
	v_add_nc_u32_e32 v69, s7, v69
	s_and_saveexec_b32 s19, vcc_lo
	s_cbranch_execz .LBB150_73
.LBB150_93:                             ;   in Loop: Header=BB150_13 Depth=1
	s_waitcnt lgkmcnt(0)
	v_add_f32_e32 v0, v0, v3
	s_waitcnt vmcnt(5)
	v_cvt_f32_f16_e32 v2, v36
	s_delay_alu instid0(VALU_DEP_1) | instskip(SKIP_1) | instid1(VALU_DEP_2)
	v_add_f32_e32 v0, v0, v2
	v_lshlrev_b64 v[2:3], 1, v[69:70]
	v_cvt_f16_f32_e32 v0, v0
	s_delay_alu instid0(VALU_DEP_2) | instskip(NEXT) | instid1(VALU_DEP_1)
	v_add_co_u32 v2, s3, s16, v2
	v_add_co_ci_u32_e64 v3, s3, s17, v3, s3
	global_store_b16 v[2:3], v0, off
	s_or_b32 exec_lo, exec_lo, s19
	s_and_saveexec_b32 s19, s1
	s_cbranch_execz .LBB150_74
.LBB150_94:                             ;   in Loop: Header=BB150_13 Depth=1
	s_waitcnt lgkmcnt(0)
	v_dual_mov_b32 v3, v70 :: v_dual_add_nc_u32 v2, 1, v69
	v_add_f32_e32 v0, v26, v29
	s_waitcnt vmcnt(4)
	v_cvt_f32_f16_e32 v5, v34
	s_delay_alu instid0(VALU_DEP_3) | instskip(NEXT) | instid1(VALU_DEP_2)
	v_lshlrev_b64 v[2:3], 1, v[2:3]
	v_add_f32_e32 v0, v0, v5
	s_delay_alu instid0(VALU_DEP_2) | instskip(NEXT) | instid1(VALU_DEP_2)
	v_add_co_u32 v2, s3, s16, v2
	v_cvt_f16_f32_e32 v0, v0
	s_delay_alu instid0(VALU_DEP_4)
	v_add_co_ci_u32_e64 v3, s3, s17, v3, s3
	global_store_b16 v[2:3], v0, off
	s_or_b32 exec_lo, exec_lo, s19
	s_and_saveexec_b32 s19, s2
	s_cbranch_execz .LBB150_75
.LBB150_95:                             ;   in Loop: Header=BB150_13 Depth=1
	s_waitcnt lgkmcnt(0)
	v_dual_add_f32 v0, v20, v23 :: v_dual_mov_b32 v3, v70
	v_add_nc_u32_e32 v2, 2, v69
	s_waitcnt vmcnt(3)
	v_cvt_f32_f16_e32 v5, v33
	s_delay_alu instid0(VALU_DEP_2) | instskip(NEXT) | instid1(VALU_DEP_2)
	v_lshlrev_b64 v[2:3], 1, v[2:3]
	v_add_f32_e32 v0, v0, v5
	s_delay_alu instid0(VALU_DEP_1) | instskip(NEXT) | instid1(VALU_DEP_3)
	v_cvt_f16_f32_e32 v0, v0
	v_add_co_u32 v2, s3, s16, v2
	s_delay_alu instid0(VALU_DEP_1)
	v_add_co_ci_u32_e64 v3, s3, s17, v3, s3
	global_store_b16 v[2:3], v0, off
	s_or_b32 exec_lo, exec_lo, s19
	v_add_nc_u32_e32 v69, s7, v69
	s_and_saveexec_b32 s3, vcc_lo
	s_cbranch_execz .LBB150_76
.LBB150_96:                             ;   in Loop: Header=BB150_13 Depth=1
	s_waitcnt lgkmcnt(0)
	v_add_f32_e32 v0, v12, v15
	s_waitcnt vmcnt(2)
	v_cvt_f32_f16_e32 v2, v32
	s_delay_alu instid0(VALU_DEP_1) | instskip(SKIP_1) | instid1(VALU_DEP_2)
	v_add_f32_e32 v0, v0, v2
	v_lshlrev_b64 v[2:3], 1, v[69:70]
	v_cvt_f16_f32_e32 v0, v0
	s_delay_alu instid0(VALU_DEP_2) | instskip(NEXT) | instid1(VALU_DEP_3)
	v_add_co_u32 v2, vcc_lo, s16, v2
	v_add_co_ci_u32_e32 v3, vcc_lo, s17, v3, vcc_lo
	global_store_b16 v[2:3], v0, off
	s_or_b32 exec_lo, exec_lo, s3
	s_and_saveexec_b32 s3, s1
	s_cbranch_execz .LBB150_77
.LBB150_97:                             ;   in Loop: Header=BB150_13 Depth=1
	s_waitcnt lgkmcnt(0)
	v_dual_add_f32 v0, v8, v11 :: v_dual_mov_b32 v3, v70
	v_add_nc_u32_e32 v2, 1, v69
	s_waitcnt vmcnt(1)
	v_cvt_f32_f16_e32 v5, v31
	s_delay_alu instid0(VALU_DEP_2) | instskip(NEXT) | instid1(VALU_DEP_2)
	v_lshlrev_b64 v[2:3], 1, v[2:3]
	v_add_f32_e32 v0, v0, v5
	s_delay_alu instid0(VALU_DEP_1) | instskip(NEXT) | instid1(VALU_DEP_3)
	v_cvt_f16_f32_e32 v0, v0
	v_add_co_u32 v2, vcc_lo, s16, v2
	s_delay_alu instid0(VALU_DEP_4) | instskip(SKIP_2) | instid1(SALU_CYCLE_1)
	v_add_co_ci_u32_e32 v3, vcc_lo, s17, v3, vcc_lo
	global_store_b16 v[2:3], v0, off
	s_or_b32 exec_lo, exec_lo, s3
	s_and_b32 exec_lo, exec_lo, s2
	s_cbranch_execnz .LBB150_78
	s_branch .LBB150_79
.LBB150_98:
	s_nop 0
	s_sendmsg sendmsg(MSG_DEALLOC_VGPRS)
	s_endpgm
	.section	.rodata,"a",@progbits
	.p2align	6, 0x0
	.amdhsa_kernel _Z12wvSplitK_hf_I6__halfLi64ELi3ELi16ELi8ELi2ELi5EEviiiiiiPKT_S3_S3_PS1_ii
		.amdhsa_group_segment_fixed_size 65536
		.amdhsa_private_segment_fixed_size 0
		.amdhsa_kernarg_size 64
		.amdhsa_user_sgpr_count 15
		.amdhsa_user_sgpr_dispatch_ptr 0
		.amdhsa_user_sgpr_queue_ptr 0
		.amdhsa_user_sgpr_kernarg_segment_ptr 1
		.amdhsa_user_sgpr_dispatch_id 0
		.amdhsa_user_sgpr_private_segment_size 0
		.amdhsa_wavefront_size32 1
		.amdhsa_uses_dynamic_stack 0
		.amdhsa_enable_private_segment 0
		.amdhsa_system_sgpr_workgroup_id_x 1
		.amdhsa_system_sgpr_workgroup_id_y 0
		.amdhsa_system_sgpr_workgroup_id_z 0
		.amdhsa_system_sgpr_workgroup_info 0
		.amdhsa_system_vgpr_workitem_id 1
		.amdhsa_next_free_vgpr 110
		.amdhsa_next_free_sgpr 37
		.amdhsa_reserve_vcc 1
		.amdhsa_float_round_mode_32 0
		.amdhsa_float_round_mode_16_64 0
		.amdhsa_float_denorm_mode_32 3
		.amdhsa_float_denorm_mode_16_64 3
		.amdhsa_dx10_clamp 1
		.amdhsa_ieee_mode 1
		.amdhsa_fp16_overflow 0
		.amdhsa_workgroup_processor_mode 1
		.amdhsa_memory_ordered 1
		.amdhsa_forward_progress 0
		.amdhsa_shared_vgpr_count 0
		.amdhsa_exception_fp_ieee_invalid_op 0
		.amdhsa_exception_fp_denorm_src 0
		.amdhsa_exception_fp_ieee_div_zero 0
		.amdhsa_exception_fp_ieee_overflow 0
		.amdhsa_exception_fp_ieee_underflow 0
		.amdhsa_exception_fp_ieee_inexact 0
		.amdhsa_exception_int_div_zero 0
	.end_amdhsa_kernel
	.section	.text._Z12wvSplitK_hf_I6__halfLi64ELi3ELi16ELi8ELi2ELi5EEviiiiiiPKT_S3_S3_PS1_ii,"axG",@progbits,_Z12wvSplitK_hf_I6__halfLi64ELi3ELi16ELi8ELi2ELi5EEviiiiiiPKT_S3_S3_PS1_ii,comdat
.Lfunc_end150:
	.size	_Z12wvSplitK_hf_I6__halfLi64ELi3ELi16ELi8ELi2ELi5EEviiiiiiPKT_S3_S3_PS1_ii, .Lfunc_end150-_Z12wvSplitK_hf_I6__halfLi64ELi3ELi16ELi8ELi2ELi5EEviiiiiiPKT_S3_S3_PS1_ii
                                        ; -- End function
	.section	.AMDGPU.csdata,"",@progbits
; Kernel info:
; codeLenInByte = 8804
; NumSgprs: 39
; NumVgprs: 110
; ScratchSize: 0
; MemoryBound: 0
; FloatMode: 240
; IeeeMode: 1
; LDSByteSize: 65536 bytes/workgroup (compile time only)
; SGPRBlocks: 4
; VGPRBlocks: 13
; NumSGPRsForWavesPerEU: 39
; NumVGPRsForWavesPerEU: 110
; Occupancy: 12
; WaveLimiterHint : 0
; COMPUTE_PGM_RSRC2:SCRATCH_EN: 0
; COMPUTE_PGM_RSRC2:USER_SGPR: 15
; COMPUTE_PGM_RSRC2:TRAP_HANDLER: 0
; COMPUTE_PGM_RSRC2:TGID_X_EN: 1
; COMPUTE_PGM_RSRC2:TGID_Y_EN: 0
; COMPUTE_PGM_RSRC2:TGID_Z_EN: 0
; COMPUTE_PGM_RSRC2:TIDIG_COMP_CNT: 1
	.section	.text._Z16wvSplitK_hf_big_I6__halfLi64ELi3ELi16ELi8ELi2ELi5EEviiiiiiPKT_S3_S3_PS1_ii,"axG",@progbits,_Z16wvSplitK_hf_big_I6__halfLi64ELi3ELi16ELi8ELi2ELi5EEviiiiiiPKT_S3_S3_PS1_ii,comdat
	.protected	_Z16wvSplitK_hf_big_I6__halfLi64ELi3ELi16ELi8ELi2ELi5EEviiiiiiPKT_S3_S3_PS1_ii ; -- Begin function _Z16wvSplitK_hf_big_I6__halfLi64ELi3ELi16ELi8ELi2ELi5EEviiiiiiPKT_S3_S3_PS1_ii
	.globl	_Z16wvSplitK_hf_big_I6__halfLi64ELi3ELi16ELi8ELi2ELi5EEviiiiiiPKT_S3_S3_PS1_ii
	.p2align	8
	.type	_Z16wvSplitK_hf_big_I6__halfLi64ELi3ELi16ELi8ELi2ELi5EEviiiiiiPKT_S3_S3_PS1_ii,@function
_Z16wvSplitK_hf_big_I6__halfLi64ELi3ELi16ELi8ELi2ELi5EEviiiiiiPKT_S3_S3_PS1_ii: ; @_Z16wvSplitK_hf_big_I6__halfLi64ELi3ELi16ELi8ELi2ELi5EEviiiiiiPKT_S3_S3_PS1_ii
; %bb.0:
	s_load_b64 s[20:21], s[0:1], 0x38
	v_bfe_u32 v1, v0, 10, 10
	s_mov_b32 s2, exec_lo
	s_waitcnt lgkmcnt(0)
	s_delay_alu instid0(VALU_DEP_1)
	v_cmpx_gt_u32_e64 s20, v1
	s_cbranch_execz .LBB151_70
; %bb.1:
	s_load_b128 s[16:19], s[0:1], 0x0
	v_mad_u64_u32 v[2:3], null, s15, s20, v[1:2]
	s_mov_b32 s4, 1
	s_delay_alu instid0(SALU_CYCLE_1) | instskip(SKIP_1) | instid1(SALU_CYCLE_1)
	s_mov_b32 s5, s4
	s_mov_b32 s6, s4
	v_mov_b32_e32 v62, s6
	s_delay_alu instid0(VALU_DEP_2) | instskip(SKIP_1) | instid1(VALU_DEP_2)
	v_lshl_add_u32 v66, v2, 1, v2
	v_dual_mov_b32 v60, s4 :: v_dual_mov_b32 v61, s5
	v_add_nc_u32_e32 v2, 3, v66
	s_waitcnt lgkmcnt(0)
	v_cmp_gt_u32_e32 vcc_lo, s19, v66
	s_delay_alu instid0(VALU_DEP_2) | instskip(NEXT) | instid1(VALU_DEP_1)
	v_cmp_le_u32_e64 s2, s19, v2
	s_and_b32 s2, vcc_lo, s2
	s_delay_alu instid0(SALU_CYCLE_1)
	s_and_saveexec_b32 s7, s2
	s_cbranch_execz .LBB151_7
; %bb.2:
	v_dual_mov_b32 v62, s6 :: v_dual_mov_b32 v61, s5
	v_mov_b32_e32 v60, s4
	s_add_i32 s8, s19, -3
	s_mov_b32 s9, exec_lo
	v_cmpx_ne_u32_e64 s8, v66
	s_cbranch_execz .LBB151_6
; %bb.3:
	v_subrev_nc_u32_e32 v2, s8, v66
	s_mov_b32 s10, 0
	s_mov_b64 s[2:3], 0
	s_mov_b32 s5, s4
	s_mov_b32 s6, s4
	v_cmp_lt_u32_e32 vcc_lo, 1, v2
	v_cndmask_b32_e32 v2, 1, v2, vcc_lo
.LBB151_4:                              ; =>This Inner Loop Header: Depth=1
	s_cmp_lg_u32 s2, 2
	s_cselect_b32 s6, s6, 0
	s_cmp_lg_u32 s2, 1
	s_cselect_b32 s5, s5, 0
	;; [unrolled: 2-line block ×3, first 2 shown]
	s_add_u32 s2, s2, 1
	v_dual_mov_b32 v62, s6 :: v_dual_mov_b32 v61, s5
	v_cmp_eq_u32_e32 vcc_lo, s2, v2
	v_mov_b32_e32 v60, s4
	s_addc_u32 s3, s3, 0
	s_or_b32 s10, vcc_lo, s10
	s_delay_alu instid0(SALU_CYCLE_1)
	s_and_not1_b32 exec_lo, exec_lo, s10
	s_cbranch_execnz .LBB151_4
; %bb.5:
	s_or_b32 exec_lo, exec_lo, s10
	v_mov_b32_e32 v66, s8
.LBB151_6:
	s_or_b32 exec_lo, exec_lo, s9
.LBB151_7:
	s_delay_alu instid0(SALU_CYCLE_1)
	s_or_b32 exec_lo, exec_lo, s7
	s_mul_i32 s2, s20, 3
	s_abs_i32 s6, s19
	s_abs_i32 s3, s2
	s_mov_b32 s23, 0
	v_cvt_f32_u32_e32 v2, s3
	s_sub_i32 s5, 0, s3
	s_delay_alu instid0(VALU_DEP_1) | instskip(SKIP_2) | instid1(VALU_DEP_1)
	v_rcp_iflag_f32_e32 v2, v2
	s_waitcnt_depctr 0xfff
	v_mul_f32_e32 v2, 0x4f7ffffe, v2
	v_cvt_u32_f32_e32 v2, v2
	s_delay_alu instid0(VALU_DEP_1) | instskip(NEXT) | instid1(VALU_DEP_1)
	v_readfirstlane_b32 s4, v2
	s_mul_i32 s5, s5, s4
	s_delay_alu instid0(SALU_CYCLE_1) | instskip(NEXT) | instid1(SALU_CYCLE_1)
	s_mul_hi_u32 s5, s4, s5
	s_add_i32 s4, s4, s5
	s_ashr_i32 s5, s19, 31
	s_mul_hi_u32 s4, s6, s4
	s_delay_alu instid0(SALU_CYCLE_1) | instskip(NEXT) | instid1(SALU_CYCLE_1)
	s_mul_i32 s4, s4, s3
	s_sub_i32 s4, s6, s4
	s_delay_alu instid0(SALU_CYCLE_1) | instskip(SKIP_2) | instid1(SALU_CYCLE_1)
	s_sub_i32 s6, s4, s3
	s_cmp_ge_u32 s4, s3
	s_cselect_b32 s4, s6, s4
	s_sub_i32 s6, s4, s3
	s_cmp_ge_u32 s4, s3
	s_cselect_b32 s3, s6, s4
	s_add_i32 s4, s2, s19
	s_xor_b32 s3, s3, s5
	s_delay_alu instid0(SALU_CYCLE_1) | instskip(NEXT) | instid1(SALU_CYCLE_1)
	s_sub_i32 s3, s3, s5
	s_sub_i32 s4, s4, s3
	s_cmp_eq_u32 s3, 0
	s_cselect_b32 s22, s19, s4
	s_delay_alu instid0(SALU_CYCLE_1)
	v_cmp_gt_u32_e32 vcc_lo, s22, v66
	s_and_b32 exec_lo, exec_lo, vcc_lo
	s_cbranch_execz .LBB151_70
; %bb.8:
	s_load_b256 s[4:11], s[0:1], 0x10
	s_min_u32 s24, s18, 0x1800
	s_cmp_lg_u32 s16, 0
	s_load_b64 s[12:13], s[0:1], 0x30
	s_cselect_b32 s25, -1, 0
	s_cmp_lg_u32 s18, 0
	v_and_b32_e32 v0, 0x3ff, v0
	s_cselect_b32 s26, -1, 0
	s_lshl_b32 s27, s20, 9
	s_add_i32 s28, s16, -8
	s_add_i32 s29, s19, -1
	v_lshlrev_b32_e32 v78, 3, v0
	v_mbcnt_lo_u32_b32 v77, -1, 0
	s_delay_alu instid0(VALU_DEP_2) | instskip(SKIP_2) | instid1(VALU_DEP_1)
	v_lshl_add_u32 v69, v1, 9, v78
	s_waitcnt lgkmcnt(0)
	s_cmp_lg_u64 s[10:11], 0
	v_mad_u64_u32 v[70:71], null, s18, 3, v[69:70]
	s_cselect_b32 s30, -1, 0
	s_abs_i32 s3, s5
	s_mul_i32 s5, s2, s21
	v_cvt_f32_u32_e32 v2, s3
	s_sub_i32 s1, 0, s3
	s_add_i32 s31, s19, -3
	s_sub_i32 s2, 0, s4
	s_sub_i32 s14, 1, s3
	v_rcp_iflag_f32_e32 v2, v2
	v_lshl_add_u32 v80, s18, 1, v69
	v_lshl_add_u32 v81, s18, 2, v69
	v_add_nc_u32_e32 v82, s18, v69
	s_mul_i32 s21, s24, 6
	s_waitcnt_depctr 0xfff
	v_mul_f32_e32 v2, 0x4f7ffffe, v2
	s_delay_alu instid0(VALU_DEP_1) | instskip(NEXT) | instid1(VALU_DEP_1)
	v_cvt_u32_f32_e32 v2, v2
	v_readfirstlane_b32 s0, v2
	v_cvt_f32_u32_e32 v2, s4
	s_delay_alu instid0(VALU_DEP_2) | instskip(NEXT) | instid1(VALU_DEP_1)
	s_mul_i32 s1, s1, s0
	v_rcp_iflag_f32_e32 v2, v2
	s_mul_hi_u32 s1, s0, s1
	s_delay_alu instid0(SALU_CYCLE_1)
	s_add_i32 s1, s0, s1
	s_cmp_lt_u32 s3, 2
	v_cmp_eq_u32_e64 s0, 63, v0
	s_cselect_b32 s14, s14, 1
	v_lshlrev_b32_e32 v0, 4, v0
	s_sub_i32 s15, s14, s3
	s_cmp_ge_u32 s14, s3
	s_waitcnt_depctr 0xfff
	v_mul_f32_e32 v2, 0x4f7ffffe, v2
	s_cselect_b32 s33, s15, s14
	s_lshr_b32 s14, s1, 31
	v_lshl_add_u32 v79, v1, 10, v0
	s_mul_i32 s14, s14, s3
	v_cvt_u32_f32_e32 v2, v2
	s_sub_i32 s14, 2, s14
	s_mul_i32 s33, s33, s4
	s_sub_i32 s15, s14, s3
	s_cmp_ge_u32 s14, s3
	v_mul_lo_u32 v3, s2, v2
	s_cselect_b32 s2, s15, s14
	s_mul_hi_u32 s14, s1, 3
	s_sub_i32 s15, s2, s3
	s_cmp_ge_u32 s2, s3
	s_mul_i32 s14, s14, s3
	s_cselect_b32 s34, s15, s2
	s_sub_i32 s2, 3, s14
	v_mul_hi_u32 v0, v2, v3
	s_sub_i32 s14, s2, s3
	s_cmp_ge_u32 s2, s3
	v_mov_b32_e32 v68, 0
	s_cselect_b32 s2, s14, s2
	s_mul_i32 s34, s34, s4
	s_sub_i32 s14, s2, s3
	s_cmp_ge_u32 s2, s3
	v_add_nc_u32_e32 v83, v2, v0
	s_cselect_b32 s35, s14, s2
	s_lshr_b32 s1, s1, 30
	s_mul_i32 s35, s35, s4
	s_mul_i32 s1, s1, s3
	s_delay_alu instid0(SALU_CYCLE_1) | instskip(NEXT) | instid1(SALU_CYCLE_1)
	s_sub_i32 s1, 4, s1
	s_sub_i32 s2, s1, s3
	s_cmp_ge_u32 s1, s3
	s_cselect_b32 s1, s2, s1
	s_delay_alu instid0(SALU_CYCLE_1)
	s_sub_i32 s2, s1, s3
	s_cmp_ge_u32 s1, s3
	s_cselect_b32 s40, s2, s1
	s_add_u32 s36, s12, 2
	s_addc_u32 s37, s13, 0
	s_lshl_b32 s38, s24, 3
	s_lshl_b32 s20, s20, 10
	;; [unrolled: 1-line block ×3, first 2 shown]
	s_mul_i32 s40, s40, s4
	s_lshl_b32 s41, s24, 1
	s_branch .LBB151_12
.LBB151_9:                              ;   in Loop: Header=BB151_12 Depth=1
	s_or_b32 exec_lo, exec_lo, s44
	v_mov_b32_e32 v66, s31
.LBB151_10:                             ;   in Loop: Header=BB151_12 Depth=1
	s_or_b32 exec_lo, exec_lo, s43
.LBB151_11:                             ;   in Loop: Header=BB151_12 Depth=1
	s_delay_alu instid0(SALU_CYCLE_1) | instskip(NEXT) | instid1(VALU_DEP_1)
	s_or_b32 exec_lo, exec_lo, s42
	v_cmp_le_u32_e32 vcc_lo, s22, v66
	s_or_b32 s23, vcc_lo, s23
	s_delay_alu instid0(SALU_CYCLE_1)
	s_and_not1_b32 exec_lo, exec_lo, s23
	s_cbranch_execz .LBB151_70
.LBB151_12:                             ; =>This Loop Header: Depth=1
                                        ;     Child Loop BB151_17 Depth 2
                                        ;       Child Loop BB151_22 Depth 3
                                        ;     Child Loop BB151_54 Depth 2
	v_mov_b32_e32 v98, v68
	v_mov_b32_e32 v97, v68
	;; [unrolled: 1-line block ×15, first 2 shown]
	s_and_not1_b32 vcc_lo, exec_lo, s25
	s_mov_b32 s3, 0
	s_cbranch_vccnz .LBB151_29
; %bb.13:                               ;   in Loop: Header=BB151_12 Depth=1
	v_add_nc_u32_e32 v0, 1, v66
	v_dual_mov_b32 v92, 0 :: v_dual_add_nc_u32 v1, 2, v66
	v_min_u32_e32 v2, s29, v66
	v_dual_mov_b32 v3, v68 :: v_dual_mov_b32 v88, 0
	s_delay_alu instid0(VALU_DEP_3)
	v_min_u32_e32 v4, s29, v1
	v_mov_b32_e32 v1, v68
	v_min_u32_e32 v0, s29, v0
	v_mul_lo_u32 v67, v2, s17
	v_cmp_gt_u32_e64 s1, s19, v66
	v_mul_lo_u32 v2, v4, s17
	v_dual_mov_b32 v91, 0 :: v_dual_mov_b32 v86, 0
	v_mul_lo_u32 v0, v0, s17
	v_dual_mov_b32 v93, 0 :: v_dual_mov_b32 v84, 0
	v_lshlrev_b64 v[71:72], 1, v[67:68]
	v_dual_mov_b32 v89, 0 :: v_dual_mov_b32 v90, 0
	v_lshlrev_b64 v[75:76], 1, v[2:3]
	;; [unrolled: 2-line block ×3, first 2 shown]
	v_dual_mov_b32 v85, 0 :: v_dual_mov_b32 v96, 0
	v_dual_mov_b32 v95, 0 :: v_dual_mov_b32 v98, 0
	v_mov_b32_e32 v97, 0
	s_mov_b32 s14, 0
	s_branch .LBB151_17
.LBB151_14:                             ;   in Loop: Header=BB151_17 Depth=2
	s_or_b32 exec_lo, exec_lo, s42
.LBB151_15:                             ;   in Loop: Header=BB151_17 Depth=2
	s_delay_alu instid0(SALU_CYCLE_1)
	s_or_b32 exec_lo, exec_lo, s15
	s_waitcnt vmcnt(5) lgkmcnt(4)
	;;#ASMSTART
	v_dot2_f32_f16 v98, v56, v36, v98
	;;#ASMEND
	s_waitcnt vmcnt(4)
	;;#ASMSTART
	v_dot2_f32_f16 v97, v56, v32, v97
	;;#ASMEND
	s_waitcnt vmcnt(3)
	;;#ASMSTART
	v_dot2_f32_f16 v96, v56, v28, v96
	;;#ASMEND
	s_waitcnt lgkmcnt(3)
	;;#ASMSTART
	v_dot2_f32_f16 v95, v52, v36, v95
	;;#ASMEND
	;;#ASMSTART
	v_dot2_f32_f16 v94, v52, v32, v94
	;;#ASMEND
	;;#ASMSTART
	v_dot2_f32_f16 v90, v52, v28, v90
	;;#ASMEND
	s_waitcnt lgkmcnt(2)
	;;#ASMSTART
	v_dot2_f32_f16 v91, v48, v36, v91
	;;#ASMEND
	;;#ASMSTART
	v_dot2_f32_f16 v93, v48, v32, v93
	;;#ASMEND
	;; [unrolled: 10-line block ×4, first 2 shown]
	;;#ASMSTART
	v_dot2_f32_f16 v84, v40, v28, v84
	;;#ASMEND
	;;#ASMSTART
	v_dot2_f32_f16 v98, v57, v37, v98
	;;#ASMEND
	;; [unrolled: 3-line block ×46, first 2 shown]
	s_waitcnt vmcnt(2)
	;;#ASMSTART
	v_dot2_f32_f16 v98, v24, v8, v98
	;;#ASMEND
	s_waitcnt vmcnt(1)
	;;#ASMSTART
	v_dot2_f32_f16 v97, v24, v4, v97
	;;#ASMEND
	;; [unrolled: 4-line block ×3, first 2 shown]
	;;#ASMSTART
	v_dot2_f32_f16 v95, v20, v8, v95
	;;#ASMEND
	;;#ASMSTART
	v_dot2_f32_f16 v94, v20, v4, v94
	;;#ASMEND
	;; [unrolled: 3-line block ×57, first 2 shown]
.LBB151_16:                             ;   in Loop: Header=BB151_17 Depth=2
	s_or_b32 exec_lo, exec_lo, s2
	s_addk_i32 s14, 0x400
	s_delay_alu instid0(SALU_CYCLE_1)
	s_cmp_ge_u32 s14, s16
	s_cbranch_scc1 .LBB151_29
.LBB151_17:                             ;   Parent Loop BB151_12 Depth=1
                                        ; =>  This Loop Header: Depth=2
                                        ;       Child Loop BB151_22 Depth 3
	s_cmp_eq_u32 s14, 0
	s_cselect_b32 s15, -1, 0
	s_add_i32 s2, s3, s24
	s_delay_alu instid0(SALU_CYCLE_1) | instskip(SKIP_1) | instid1(SALU_CYCLE_1)
	s_cmp_eq_u32 s14, s2
	s_cselect_b32 s42, -1, 0
	s_or_b32 s42, s15, s42
	s_delay_alu instid0(SALU_CYCLE_1)
	s_and_not1_b32 vcc_lo, exec_lo, s42
	s_cbranch_vccz .LBB151_19
; %bb.18:                               ;   in Loop: Header=BB151_17 Depth=2
	s_and_saveexec_b32 s2, s1
	s_cbranch_execz .LBB151_16
	s_branch .LBB151_26
.LBB151_19:                             ;   in Loop: Header=BB151_17 Depth=2
	s_and_b32 s15, s15, exec_lo
	s_cselect_b32 s3, s3, s2
	s_and_not1_b32 vcc_lo, exec_lo, s26
	s_waitcnt vmcnt(0) lgkmcnt(0)
	s_waitcnt_vscnt null, 0x0
	s_barrier
	buffer_gl0_inv
	s_cbranch_vccnz .LBB151_25
; %bb.20:                               ;   in Loop: Header=BB151_17 Depth=2
	v_dual_mov_b32 v5, v79 :: v_dual_add_nc_u32 v0, s3, v80
	v_add_nc_u32_e32 v1, s3, v70
	v_add_nc_u32_e32 v2, s3, v81
	;; [unrolled: 1-line block ×4, first 2 shown]
	s_mov_b32 s15, 0
	s_mov_b32 s42, 0
                                        ; implicit-def: $sgpr43
	s_branch .LBB151_22
.LBB151_21:                             ;   in Loop: Header=BB151_22 Depth=3
	s_or_b32 exec_lo, exec_lo, s2
	s_delay_alu instid0(SALU_CYCLE_1) | instskip(NEXT) | instid1(SALU_CYCLE_1)
	s_and_b32 s2, exec_lo, s43
	s_or_b32 s15, s2, s15
	s_delay_alu instid0(SALU_CYCLE_1)
	s_and_not1_b32 exec_lo, exec_lo, s15
	s_cbranch_execz .LBB151_24
.LBB151_22:                             ;   Parent Loop BB151_12 Depth=1
                                        ;     Parent Loop BB151_17 Depth=2
                                        ; =>    This Inner Loop Header: Depth=3
	s_delay_alu instid0(VALU_DEP_1) | instskip(SKIP_2) | instid1(VALU_DEP_2)
	v_add_nc_u32_e32 v67, s42, v4
	v_add_nc_u32_e32 v6, s42, v69
	s_or_b32 s43, s43, exec_lo
	v_cmp_gt_u32_e32 vcc_lo, s18, v67
	s_delay_alu instid0(VALU_DEP_2) | instskip(NEXT) | instid1(VALU_DEP_1)
	v_cmp_gt_u32_e64 s2, s24, v6
	s_and_b32 s44, s2, vcc_lo
	s_delay_alu instid0(SALU_CYCLE_1)
	s_and_saveexec_b32 s2, s44
	s_cbranch_execz .LBB151_21
; %bb.23:                               ;   in Loop: Header=BB151_22 Depth=3
	v_lshlrev_b64 v[6:7], 1, v[67:68]
	v_add_nc_u32_e32 v67, s42, v3
	v_add_nc_u32_e32 v26, s41, v5
	;; [unrolled: 1-line block ×3, first 2 shown]
	s_delay_alu instid0(VALU_DEP_3) | instskip(SKIP_3) | instid1(VALU_DEP_3)
	v_lshlrev_b64 v[8:9], 1, v[67:68]
	v_add_nc_u32_e32 v67, s42, v0
	v_add_co_u32 v6, vcc_lo, s8, v6
	v_add_co_ci_u32_e32 v7, vcc_lo, s9, v7, vcc_lo
	v_lshlrev_b64 v[10:11], 1, v[67:68]
	v_add_nc_u32_e32 v67, s42, v1
	v_add_co_u32 v12, vcc_lo, s8, v8
	v_add_co_ci_u32_e32 v13, vcc_lo, s9, v9, vcc_lo
	s_delay_alu instid0(VALU_DEP_3) | instskip(SKIP_3) | instid1(VALU_DEP_3)
	v_lshlrev_b64 v[18:19], 1, v[67:68]
	v_add_nc_u32_e32 v67, s42, v2
	v_add_co_u32 v14, vcc_lo, s8, v10
	v_add_co_ci_u32_e32 v15, vcc_lo, s9, v11, vcc_lo
	v_lshlrev_b64 v[20:21], 1, v[67:68]
	v_add_co_u32 v18, vcc_lo, s8, v18
	v_add_co_ci_u32_e32 v19, vcc_lo, s9, v19, vcc_lo
	s_clause 0x2
	global_load_b128 v[6:9], v[6:7], off
	global_load_b128 v[10:13], v[12:13], off
	;; [unrolled: 1-line block ×3, first 2 shown]
	v_add_co_u32 v22, vcc_lo, s8, v20
	v_add_co_ci_u32_e32 v23, vcc_lo, s9, v21, vcc_lo
	s_clause 0x1
	global_load_b128 v[18:21], v[18:19], off
	global_load_b128 v[22:25], v[22:23], off
	s_add_i32 s42, s42, s27
	s_waitcnt vmcnt(4)
	ds_store_b128 v5, v[6:9]
	s_waitcnt vmcnt(3)
	ds_store_2addr_b64 v26, v[10:11], v[12:13] offset1:1
	s_waitcnt vmcnt(2)
	ds_store_2addr_b32 v27, v14, v15 offset1:1
	ds_store_2addr_b32 v27, v16, v17 offset0:2 offset1:3
	s_cmp_ge_u32 s42, s24
	v_add_nc_u32_e32 v6, s21, v5
	s_cselect_b32 s44, -1, 0
	v_add_nc_u32_e32 v7, s38, v5
	v_add_nc_u32_e32 v5, s20, v5
	s_and_not1_b32 s43, s43, exec_lo
	s_and_b32 s44, s44, exec_lo
	s_waitcnt vmcnt(1)
	ds_store_2addr_b64 v6, v[18:19], v[20:21] offset1:1
	s_or_b32 s43, s43, s44
	s_waitcnt vmcnt(0)
	ds_store_2addr_b64 v7, v[22:23], v[24:25] offset1:1
	s_branch .LBB151_21
.LBB151_24:                             ;   in Loop: Header=BB151_17 Depth=2
	s_or_b32 exec_lo, exec_lo, s15
.LBB151_25:                             ;   in Loop: Header=BB151_17 Depth=2
	s_waitcnt lgkmcnt(0)
	s_barrier
	buffer_gl0_inv
	s_and_saveexec_b32 s2, s1
	s_cbranch_execz .LBB151_16
.LBB151_26:                             ;   in Loop: Header=BB151_17 Depth=2
	v_dual_mov_b32 v56, 0 :: v_dual_add_nc_u32 v99, s14, v78
	v_dual_mov_b32 v58, 0 :: v_dual_mov_b32 v59, 0
	s_waitcnt lgkmcnt(2)
	v_dual_mov_b32 v24, 0 :: v_dual_mov_b32 v25, 0
	s_delay_alu instid0(VALU_DEP_3) | instskip(SKIP_2) | instid1(VALU_DEP_3)
	v_min_u32_e32 v67, s28, v99
	v_dual_mov_b32 v57, 0 :: v_dual_add_nc_u32 v100, 0x200, v99
	v_dual_mov_b32 v26, 0 :: v_dual_mov_b32 v27, 0
	v_lshlrev_b64 v[0:1], 1, v[67:68]
	s_delay_alu instid0(VALU_DEP_3) | instskip(SKIP_2) | instid1(VALU_DEP_4)
	v_min_u32_e32 v67, s28, v100
	v_dual_mov_b32 v52, 0 :: v_dual_mov_b32 v53, 0
	v_dual_mov_b32 v54, 0 :: v_dual_mov_b32 v55, 0
	v_add_co_u32 v6, vcc_lo, s6, v0
	v_add_co_ci_u32_e32 v7, vcc_lo, s7, v1, vcc_lo
	v_lshlrev_b64 v[0:1], 1, v[67:68]
	s_delay_alu instid0(VALU_DEP_3) | instskip(NEXT) | instid1(VALU_DEP_3)
	v_add_co_u32 v2, vcc_lo, v6, v71
	v_add_co_ci_u32_e32 v3, vcc_lo, v7, v72, vcc_lo
	v_add_co_u32 v4, vcc_lo, v6, v73
	v_add_co_ci_u32_e32 v5, vcc_lo, v7, v74, vcc_lo
	v_add_co_u32 v8, vcc_lo, s6, v0
	v_add_co_ci_u32_e32 v9, vcc_lo, s7, v1, vcc_lo
	v_add_co_u32 v0, vcc_lo, v6, v75
	v_add_co_ci_u32_e32 v1, vcc_lo, v7, v76, vcc_lo
	s_delay_alu instid0(VALU_DEP_4) | instskip(NEXT) | instid1(VALU_DEP_4)
	v_add_co_u32 v6, vcc_lo, v8, v71
	v_add_co_ci_u32_e32 v7, vcc_lo, v9, v72, vcc_lo
	v_add_co_u32 v12, vcc_lo, v8, v73
	s_waitcnt lgkmcnt(0)
	v_add_co_ci_u32_e32 v13, vcc_lo, v9, v74, vcc_lo
	v_add_co_u32 v14, vcc_lo, v8, v75
	v_add_co_ci_u32_e32 v15, vcc_lo, v9, v76, vcc_lo
	s_clause 0x5
	global_load_b128 v[36:39], v[2:3], off slc dlc
	global_load_b128 v[32:35], v[4:5], off slc dlc
	;; [unrolled: 1-line block ×6, first 2 shown]
	v_cmp_gt_u32_e32 vcc_lo, s16, v99
	v_dual_mov_b32 v20, 0 :: v_dual_mov_b32 v21, 0
	v_dual_mov_b32 v22, 0 :: v_dual_mov_b32 v23, 0
	;; [unrolled: 1-line block ×6, first 2 shown]
	s_waitcnt vmcnt(19)
	v_dual_mov_b32 v44, 0 :: v_dual_mov_b32 v45, 0
	v_dual_mov_b32 v46, 0 :: v_dual_mov_b32 v47, 0
	;; [unrolled: 1-line block ×4, first 2 shown]
	s_waitcnt vmcnt(15)
	v_dual_mov_b32 v40, 0 :: v_dual_mov_b32 v41, 0
	v_dual_mov_b32 v42, 0 :: v_dual_mov_b32 v43, 0
	;; [unrolled: 1-line block ×3, first 2 shown]
	v_mov_b32_e32 v63, 0
	v_mov_b32_e32 v65, 0
	s_and_saveexec_b32 s15, vcc_lo
	s_cbranch_execz .LBB151_15
; %bb.27:                               ;   in Loop: Header=BB151_17 Depth=2
	v_subrev_nc_u32_e32 v12, s3, v99
	v_cmp_gt_u32_e32 vcc_lo, s16, v100
	v_mov_b32_e32 v67, 0
	v_dual_mov_b32 v15, 0 :: v_dual_mov_b32 v16, 0
	s_delay_alu instid0(VALU_DEP_4) | instskip(SKIP_2) | instid1(VALU_DEP_3)
	v_dual_mov_b32 v64, 0 :: v_dual_lshlrev_b32 v103, 1, v12
	v_dual_mov_b32 v13, 0 :: v_dual_mov_b32 v22, 0
	v_mov_b32_e32 v12, 0
	v_dual_mov_b32 v65, 0 :: v_dual_add_nc_u32 v102, s41, v103
	v_dual_mov_b32 v19, 0 :: v_dual_mov_b32 v20, 0
	v_dual_mov_b32 v17, 0 :: v_dual_mov_b32 v26, 0
	s_delay_alu instid0(VALU_DEP_3) | instskip(SKIP_1) | instid1(VALU_DEP_2)
	v_dual_mov_b32 v14, 0 :: v_dual_add_nc_u32 v99, s41, v102
	v_dual_mov_b32 v23, 0 :: v_dual_mov_b32 v24, 0
	v_dual_mov_b32 v63, 0 :: v_dual_add_nc_u32 v100, s41, v99
	v_mov_b32_e32 v21, 0
	v_mov_b32_e32 v27, 0
	v_dual_mov_b32 v25, 0 :: v_dual_mov_b32 v18, 0
	s_delay_alu instid0(VALU_DEP_4)
	v_add_nc_u32_e32 v101, s41, v100
	ds_load_b128 v[56:59], v103
	ds_load_b128 v[52:55], v102
	;; [unrolled: 1-line block ×5, first 2 shown]
	s_and_saveexec_b32 s42, vcc_lo
	s_cbranch_execz .LBB151_14
; %bb.28:                               ;   in Loop: Header=BB151_17 Depth=2
	ds_load_b128 v[24:27], v103 offset:1024
	ds_load_b128 v[20:23], v102 offset:1024
	ds_load_b128 v[16:19], v99 offset:1024
	ds_load_b128 v[12:15], v100 offset:1024
	ds_load_b32 v67, v101 offset:1024
	ds_load_b96 v[63:65], v101 offset:1028
	s_branch .LBB151_14
.LBB151_29:                             ;   in Loop: Header=BB151_12 Depth=1
	s_mov_b32 s1, exec_lo
	v_cmpx_le_u32_e64 s19, v66
	s_xor_b32 s1, exec_lo, s1
; %bb.30:                               ;   in Loop: Header=BB151_12 Depth=1
	v_add_nc_u32_e32 v66, s5, v66
                                        ; implicit-def: $vgpr98
                                        ; implicit-def: $vgpr97
                                        ; implicit-def: $vgpr96
                                        ; implicit-def: $vgpr95
                                        ; implicit-def: $vgpr94
                                        ; implicit-def: $vgpr90
                                        ; implicit-def: $vgpr84
                                        ; implicit-def: $vgpr85
                                        ; implicit-def: $vgpr86
                                        ; implicit-def: $vgpr88
                                        ; implicit-def: $vgpr87
                                        ; implicit-def: $vgpr89
                                        ; implicit-def: $vgpr92
                                        ; implicit-def: $vgpr93
                                        ; implicit-def: $vgpr91
; %bb.31:                               ;   in Loop: Header=BB151_12 Depth=1
	s_and_not1_saveexec_b32 s42, s1
	s_cbranch_execz .LBB151_11
; %bb.32:                               ;   in Loop: Header=BB151_12 Depth=1
	v_xor_b32_e32 v0, 16, v77
	v_cvt_i32_f32_e32 v1, v98
	v_cvt_i32_f32_e32 v2, v97
	;; [unrolled: 1-line block ×3, first 2 shown]
	s_waitcnt lgkmcnt(6)
	v_cvt_i32_f32_e32 v5, v94
	v_cmp_gt_i32_e32 vcc_lo, 32, v0
	v_cvt_f32_i32_dpp v1, v1 row_shr:8 row_mask:0xf bank_mask:0xf bound_ctrl:1
	v_cvt_f32_i32_dpp v2, v2 row_shr:8 row_mask:0xf bank_mask:0xf bound_ctrl:1
	v_cvt_i32_f32_e32 v4, v95
	v_cvt_f32_i32_dpp v3, v3 row_shr:8 row_mask:0xf bank_mask:0xf bound_ctrl:1
	s_delay_alu instid0(VALU_DEP_4) | instskip(SKIP_3) | instid1(VALU_DEP_4)
	v_dual_cndmask_b32 v0, v77, v0 :: v_dual_add_f32 v1, v98, v1
	v_cvt_f32_i32_dpp v5, v5 row_shr:8 row_mask:0xf bank_mask:0xf bound_ctrl:1
	v_add_f32_e32 v2, v97, v2
	v_cvt_f32_i32_dpp v4, v4 row_shr:8 row_mask:0xf bank_mask:0xf bound_ctrl:1
	v_dual_add_f32 v3, v96, v3 :: v_dual_lshlrev_b32 v0, 2, v0
	s_delay_alu instid0(VALU_DEP_4)
	v_add_f32_e32 v5, v94, v5
	s_waitcnt lgkmcnt(4)
	v_cvt_i32_f32_e32 v6, v1
	v_cvt_i32_f32_e32 v7, v2
	;; [unrolled: 1-line block ×4, first 2 shown]
	s_delay_alu instid0(VALU_DEP_4)
	v_cvt_f32_i32_dpp v6, v6 row_shr:4 row_mask:0xf bank_mask:0xf bound_ctrl:1
	v_add_f32_e32 v4, v95, v4
	v_cvt_f32_i32_dpp v7, v7 row_shr:4 row_mask:0xf bank_mask:0xf bound_ctrl:1
	v_cvt_f32_i32_dpp v8, v8 row_shr:4 row_mask:0xf bank_mask:0xf bound_ctrl:1
	;; [unrolled: 1-line block ×3, first 2 shown]
	v_add_f32_e32 v1, v1, v6
	v_cvt_i32_f32_e32 v9, v4
	s_delay_alu instid0(VALU_DEP_4) | instskip(NEXT) | instid1(VALU_DEP_4)
	v_dual_add_f32 v2, v2, v7 :: v_dual_add_f32 v3, v3, v8
	v_add_f32_e32 v5, v5, v10
	s_delay_alu instid0(VALU_DEP_4) | instskip(NEXT) | instid1(VALU_DEP_4)
	v_cvt_i32_f32_e32 v6, v1
	v_cvt_f32_i32_dpp v9, v9 row_shr:4 row_mask:0xf bank_mask:0xf bound_ctrl:1
	s_delay_alu instid0(VALU_DEP_4)
	v_cvt_i32_f32_e32 v7, v2
	v_cvt_i32_f32_e32 v8, v3
	;; [unrolled: 1-line block ×3, first 2 shown]
	v_cvt_f32_i32_dpp v6, v6 row_shr:2 row_mask:0xf bank_mask:0xf bound_ctrl:1
	v_add_f32_e32 v4, v4, v9
	v_cvt_f32_i32_dpp v7, v7 row_shr:2 row_mask:0xf bank_mask:0xf bound_ctrl:1
	v_cvt_f32_i32_dpp v8, v8 row_shr:2 row_mask:0xf bank_mask:0xf bound_ctrl:1
	;; [unrolled: 1-line block ×3, first 2 shown]
	v_add_f32_e32 v1, v1, v6
	v_cvt_i32_f32_e32 v9, v4
	v_add_f32_e32 v2, v2, v7
	s_delay_alu instid0(VALU_DEP_3) | instskip(NEXT) | instid1(VALU_DEP_3)
	v_cvt_i32_f32_e32 v6, v1
	v_cvt_f32_i32_dpp v9, v9 row_shr:2 row_mask:0xf bank_mask:0xf bound_ctrl:1
	s_delay_alu instid0(VALU_DEP_3) | instskip(SKIP_1) | instid1(VALU_DEP_4)
	v_cvt_i32_f32_e32 v7, v2
	v_add_f32_e32 v3, v3, v8
	v_cvt_f32_i32_dpp v6, v6 row_shr:1 row_mask:0xf bank_mask:0xf bound_ctrl:1
	s_delay_alu instid0(VALU_DEP_4) | instskip(NEXT) | instid1(VALU_DEP_4)
	v_add_f32_e32 v4, v4, v9
	v_cvt_f32_i32_dpp v7, v7 row_shr:1 row_mask:0xf bank_mask:0xf bound_ctrl:1
	v_add_f32_e32 v5, v5, v10
	v_cvt_i32_f32_e32 v8, v3
	s_delay_alu instid0(VALU_DEP_4) | instskip(NEXT) | instid1(VALU_DEP_4)
	v_cvt_i32_f32_e32 v9, v4
	v_add_f32_e32 v20, v2, v7
	s_delay_alu instid0(VALU_DEP_4) | instskip(NEXT) | instid1(VALU_DEP_4)
	v_cvt_i32_f32_e32 v10, v5
	v_cvt_f32_i32_dpp v8, v8 row_shr:1 row_mask:0xf bank_mask:0xf bound_ctrl:1
	v_cvt_i32_f32_e32 v2, v90
	v_cvt_f32_i32_dpp v9, v9 row_shr:1 row_mask:0xf bank_mask:0xf bound_ctrl:1
	v_add_f32_e32 v25, v1, v6
	v_cvt_f32_i32_dpp v10, v10 row_shr:1 row_mask:0xf bank_mask:0xf bound_ctrl:1
	v_add_f32_e32 v1, v3, v8
	v_cvt_i32_f32_e32 v3, v91
	v_add_f32_e32 v8, v4, v9
	v_cvt_i32_f32_e32 v6, v92
	;; [unrolled: 2-line block ×3, first 2 shown]
	v_cvt_f32_i32_dpp v2, v2 row_shr:8 row_mask:0xf bank_mask:0xf bound_ctrl:1
	v_cvt_f32_i32_dpp v3, v3 row_shr:8 row_mask:0xf bank_mask:0xf bound_ctrl:1
	;; [unrolled: 1-line block ×3, first 2 shown]
	v_cvt_i32_f32_e32 v9, v89
	v_cvt_f32_i32_dpp v5, v5 row_shr:8 row_mask:0xf bank_mask:0xf bound_ctrl:1
	s_delay_alu instid0(VALU_DEP_4) | instskip(NEXT) | instid1(VALU_DEP_4)
	v_dual_add_f32 v2, v90, v2 :: v_dual_add_f32 v3, v91, v3
	v_add_f32_e32 v6, v92, v6
	s_delay_alu instid0(VALU_DEP_4) | instskip(NEXT) | instid1(VALU_DEP_4)
	v_cvt_f32_i32_dpp v9, v9 row_shr:8 row_mask:0xf bank_mask:0xf bound_ctrl:1
	v_add_f32_e32 v5, v93, v5
	s_delay_alu instid0(VALU_DEP_4)
	v_cvt_i32_f32_e32 v10, v2
	s_waitcnt lgkmcnt(3)
	v_cvt_i32_f32_e32 v12, v3
	v_cvt_i32_f32_e32 v14, v6
	ds_bpermute_b32 v28, v0, v25
	s_waitcnt lgkmcnt(1)
	v_cvt_i32_f32_e32 v13, v5
	v_cvt_f32_i32_dpp v10, v10 row_shr:4 row_mask:0xf bank_mask:0xf bound_ctrl:1
	v_add_f32_e32 v9, v89, v9
	v_cvt_f32_i32_dpp v12, v12 row_shr:4 row_mask:0xf bank_mask:0xf bound_ctrl:1
	v_cvt_f32_i32_dpp v14, v14 row_shr:4 row_mask:0xf bank_mask:0xf bound_ctrl:1
	;; [unrolled: 1-line block ×3, first 2 shown]
	v_add_f32_e32 v2, v2, v10
	v_cvt_i32_f32_e32 v15, v9
	s_delay_alu instid0(VALU_DEP_4)
	v_dual_add_f32 v3, v3, v12 :: v_dual_add_f32 v6, v6, v14
	ds_bpermute_b32 v23, v0, v20
	v_cvt_i32_f32_e32 v10, v2
	v_cvt_f32_i32_dpp v15, v15 row_shr:4 row_mask:0xf bank_mask:0xf bound_ctrl:1
	v_cvt_i32_f32_e32 v12, v3
	v_cvt_i32_f32_e32 v14, v6
	ds_bpermute_b32 v17, v0, v1
	v_cvt_f32_i32_dpp v10, v10 row_shr:2 row_mask:0xf bank_mask:0xf bound_ctrl:1
	v_add_f32_e32 v5, v5, v13
	v_cvt_f32_i32_dpp v12, v12 row_shr:2 row_mask:0xf bank_mask:0xf bound_ctrl:1
	v_cvt_f32_i32_dpp v14, v14 row_shr:2 row_mask:0xf bank_mask:0xf bound_ctrl:1
	s_delay_alu instid0(VALU_DEP_4) | instskip(NEXT) | instid1(VALU_DEP_4)
	v_dual_add_f32 v9, v9, v15 :: v_dual_add_f32 v2, v2, v10
	v_cvt_i32_f32_e32 v13, v5
	ds_bpermute_b32 v11, v0, v8
	v_add_f32_e32 v6, v6, v14
	v_cvt_i32_f32_e32 v15, v9
	ds_bpermute_b32 v7, v0, v4
	v_cvt_f32_i32_dpp v13, v13 row_shr:2 row_mask:0xf bank_mask:0xf bound_ctrl:1
	v_cvt_i32_f32_e32 v14, v6
	v_cvt_f32_i32_dpp v15, v15 row_shr:2 row_mask:0xf bank_mask:0xf bound_ctrl:1
	v_add_f32_e32 v3, v3, v12
	s_delay_alu instid0(VALU_DEP_3) | instskip(NEXT) | instid1(VALU_DEP_3)
	v_cvt_f32_i32_dpp v14, v14 row_shr:1 row_mask:0xf bank_mask:0xf bound_ctrl:1
	v_add_f32_e32 v10, v9, v15
	v_cvt_i32_f32_e32 v9, v2
	s_delay_alu instid0(VALU_DEP_4) | instskip(NEXT) | instid1(VALU_DEP_3)
	v_cvt_i32_f32_e32 v12, v3
	v_cvt_i32_f32_e32 v15, v10
	s_delay_alu instid0(VALU_DEP_3) | instskip(NEXT) | instid1(VALU_DEP_3)
	v_cvt_f32_i32_dpp v9, v9 row_shr:1 row_mask:0xf bank_mask:0xf bound_ctrl:1
	v_cvt_f32_i32_dpp v12, v12 row_shr:1 row_mask:0xf bank_mask:0xf bound_ctrl:1
	s_delay_alu instid0(VALU_DEP_3) | instskip(SKIP_1) | instid1(VALU_DEP_3)
	v_cvt_f32_i32_dpp v16, v15 row_shr:1 row_mask:0xf bank_mask:0xf bound_ctrl:1
	v_add_f32_e32 v5, v5, v13
	v_dual_add_f32 v26, v2, v9 :: v_dual_add_f32 v19, v3, v12
	v_cvt_i32_f32_e32 v3, v87
	s_delay_alu instid0(VALU_DEP_4) | instskip(NEXT) | instid1(VALU_DEP_4)
	v_add_f32_e32 v2, v10, v16
	v_cvt_i32_f32_e32 v13, v5
	v_add_f32_e32 v9, v6, v14
	v_cvt_i32_f32_e32 v6, v88
	v_cvt_i32_f32_e32 v10, v86
	v_cvt_f32_i32_dpp v3, v3 row_shr:8 row_mask:0xf bank_mask:0xf bound_ctrl:1
	v_cvt_f32_i32_dpp v13, v13 row_shr:1 row_mask:0xf bank_mask:0xf bound_ctrl:1
	v_cvt_i32_f32_e32 v14, v84
	v_cvt_f32_i32_dpp v6, v6 row_shr:8 row_mask:0xf bank_mask:0xf bound_ctrl:1
	v_cvt_f32_i32_dpp v10, v10 row_shr:8 row_mask:0xf bank_mask:0xf bound_ctrl:1
	v_add_f32_e32 v3, v87, v3
	v_add_f32_e32 v15, v5, v13
	v_cvt_i32_f32_e32 v13, v85
	v_add_f32_e32 v6, v88, v6
	v_cvt_f32_i32_dpp v14, v14 row_shr:8 row_mask:0xf bank_mask:0xf bound_ctrl:1
	v_add_f32_e32 v10, v86, v10
	v_cvt_i32_f32_e32 v16, v3
	v_cvt_f32_i32_dpp v13, v13 row_shr:8 row_mask:0xf bank_mask:0xf bound_ctrl:1
	v_cvt_i32_f32_e32 v21, v6
	v_add_f32_e32 v14, v84, v14
	v_cvt_i32_f32_e32 v24, v10
	v_cvt_f32_i32_dpp v16, v16 row_shr:4 row_mask:0xf bank_mask:0xf bound_ctrl:1
	v_add_f32_e32 v13, v85, v13
	v_cvt_f32_i32_dpp v21, v21 row_shr:4 row_mask:0xf bank_mask:0xf bound_ctrl:1
	v_cvt_i32_f32_e32 v30, v14
	v_cvt_f32_i32_dpp v24, v24 row_shr:4 row_mask:0xf bank_mask:0xf bound_ctrl:1
	v_add_f32_e32 v3, v3, v16
	v_cvt_i32_f32_e32 v27, v13
	v_add_f32_e32 v6, v6, v21
	v_cvt_f32_i32_dpp v30, v30 row_shr:4 row_mask:0xf bank_mask:0xf bound_ctrl:1
	ds_bpermute_b32 v29, v0, v26
	v_cvt_i32_f32_e32 v16, v3
	v_cvt_f32_i32_dpp v27, v27 row_shr:4 row_mask:0xf bank_mask:0xf bound_ctrl:1
	v_add_f32_e32 v10, v10, v24
	v_cvt_i32_f32_e32 v21, v6
	ds_bpermute_b32 v22, v0, v19
	v_cvt_f32_i32_dpp v16, v16 row_shr:2 row_mask:0xf bank_mask:0xf bound_ctrl:1
	v_dual_add_f32 v13, v13, v27 :: v_dual_add_f32 v14, v14, v30
	v_cvt_i32_f32_e32 v24, v10
	v_cvt_f32_i32_dpp v21, v21 row_shr:2 row_mask:0xf bank_mask:0xf bound_ctrl:1
	s_delay_alu instid0(VALU_DEP_4) | instskip(NEXT) | instid1(VALU_DEP_4)
	v_add_f32_e32 v3, v3, v16
	v_cvt_i32_f32_e32 v27, v13
	v_cvt_i32_f32_e32 v30, v14
	v_cvt_f32_i32_dpp v24, v24 row_shr:2 row_mask:0xf bank_mask:0xf bound_ctrl:1
	ds_bpermute_b32 v18, v0, v15
	ds_bpermute_b32 v5, v0, v2
	v_cvt_f32_i32_dpp v27, v27 row_shr:2 row_mask:0xf bank_mask:0xf bound_ctrl:1
	v_cvt_f32_i32_dpp v30, v30 row_shr:2 row_mask:0xf bank_mask:0xf bound_ctrl:1
	s_delay_alu instid0(VALU_DEP_2) | instskip(NEXT) | instid1(VALU_DEP_2)
	v_dual_add_f32 v6, v6, v21 :: v_dual_add_f32 v13, v13, v27
	v_add_f32_e32 v16, v14, v30
	v_cvt_i32_f32_e32 v14, v3
	s_delay_alu instid0(VALU_DEP_3) | instskip(NEXT) | instid1(VALU_DEP_4)
	v_cvt_i32_f32_e32 v21, v6
	v_cvt_i32_f32_e32 v27, v13
	s_delay_alu instid0(VALU_DEP_4) | instskip(NEXT) | instid1(VALU_DEP_4)
	v_cvt_i32_f32_e32 v30, v16
	v_cvt_f32_i32_dpp v14, v14 row_shr:1 row_mask:0xf bank_mask:0xf bound_ctrl:1
	v_add_f32_e32 v10, v10, v24
	v_cvt_f32_i32_dpp v21, v21 row_shr:1 row_mask:0xf bank_mask:0xf bound_ctrl:1
	s_waitcnt vmcnt(0)
	v_cvt_f32_i32_dpp v31, v27 row_shr:1 row_mask:0xf bank_mask:0xf bound_ctrl:1
	v_cvt_f32_i32_dpp v30, v30 row_shr:1 row_mask:0xf bank_mask:0xf bound_ctrl:1
	v_add_f32_e32 v27, v3, v14
	v_cvt_i32_f32_e32 v24, v10
	v_add_f32_e32 v21, v6, v21
	s_delay_alu instid0(VALU_DEP_4)
	v_add_f32_e32 v3, v16, v30
	ds_bpermute_b32 v30, v0, v27
	v_cvt_f32_i32_dpp v24, v24 row_shr:1 row_mask:0xf bank_mask:0xf bound_ctrl:1
	ds_bpermute_b32 v6, v0, v3
	v_add_f32_e32 v14, v10, v24
	v_add_f32_e32 v10, v13, v31
	ds_bpermute_b32 v12, v0, v9
	ds_bpermute_b32 v24, v0, v21
	;; [unrolled: 1-line block ×4, first 2 shown]
	s_and_saveexec_b32 s14, s0
	s_cbranch_execz .LBB151_51
; %bb.33:                               ;   in Loop: Header=BB151_12 Depth=1
	v_dual_mov_b32 v45, 0 :: v_dual_add_nc_u32 v0, 2, v66
	v_dual_mov_b32 v44, 0 :: v_dual_mov_b32 v43, 0
	v_dual_mov_b32 v42, 0 :: v_dual_mov_b32 v41, 0
	;; [unrolled: 1-line block ×7, first 2 shown]
	s_and_not1_b32 vcc_lo, exec_lo, s30
	s_cbranch_vccnz .LBB151_35
; %bb.34:                               ;   in Loop: Header=BB151_12 Depth=1
	v_mul_hi_u32 v32, v66, v83
	v_add_nc_u32_e32 v31, 1, v66
	v_mul_hi_u32 v33, v0, v83
	v_mov_b32_e32 v55, v68
	s_delay_alu instid0(VALU_DEP_4) | instskip(NEXT) | instid1(VALU_DEP_3)
	v_mul_lo_u32 v32, v32, s4
	v_mul_lo_u32 v33, v33, s4
	s_delay_alu instid0(VALU_DEP_2) | instskip(SKIP_2) | instid1(VALU_DEP_4)
	v_sub_nc_u32_e32 v35, v66, v32
	v_mov_b32_e32 v32, v68
	v_mul_hi_u32 v34, v31, v83
	v_sub_nc_u32_e32 v33, v0, v33
	s_delay_alu instid0(VALU_DEP_4) | instskip(SKIP_1) | instid1(VALU_DEP_3)
	v_subrev_nc_u32_e32 v37, s4, v35
	v_cmp_le_u32_e32 vcc_lo, s4, v35
	v_subrev_nc_u32_e32 v38, s4, v33
	v_mul_lo_u32 v34, v34, s4
	s_delay_alu instid0(VALU_DEP_4) | instskip(SKIP_1) | instid1(VALU_DEP_4)
	v_cndmask_b32_e32 v35, v35, v37, vcc_lo
	v_cmp_le_u32_e32 vcc_lo, s4, v33
	v_dual_mov_b32 v36, v68 :: v_dual_cndmask_b32 v33, v33, v38
	s_delay_alu instid0(VALU_DEP_4) | instskip(SKIP_2) | instid1(VALU_DEP_4)
	v_sub_nc_u32_e32 v31, v31, v34
	v_mov_b32_e32 v34, v68
	v_subrev_nc_u32_e32 v38, s4, v35
	v_subrev_nc_u32_e32 v40, s4, v33
	s_delay_alu instid0(VALU_DEP_4) | instskip(SKIP_1) | instid1(VALU_DEP_2)
	v_subrev_nc_u32_e32 v39, s4, v31
	v_cmp_le_u32_e32 vcc_lo, s4, v31
	v_cndmask_b32_e32 v31, v31, v39, vcc_lo
	v_cmp_le_u32_e32 vcc_lo, s4, v35
	v_cndmask_b32_e32 v67, v35, v38, vcc_lo
	;; [unrolled: 2-line block ×3, first 2 shown]
	s_delay_alu instid0(VALU_DEP_1) | instskip(SKIP_2) | instid1(VALU_DEP_2)
	v_add_nc_u32_e32 v38, s33, v33
	v_subrev_nc_u32_e32 v41, s4, v31
	v_cmp_le_u32_e32 vcc_lo, s4, v31
	v_cndmask_b32_e32 v31, v31, v41, vcc_lo
	v_mov_b32_e32 v37, v68
	s_delay_alu instid0(VALU_DEP_2)
	v_dual_mov_b32 v49, v68 :: v_dual_add_nc_u32 v48, s34, v31
	v_lshlrev_b64 v[40:41], 1, v[67:68]
	v_add_nc_u32_e32 v35, s33, v67
	v_add_nc_u32_e32 v54, s35, v67
	v_lshlrev_b64 v[42:43], 1, v[33:34]
	v_lshlrev_b64 v[44:45], 1, v[31:32]
	v_mov_b32_e32 v39, v68
	v_add_co_u32 v40, vcc_lo, s10, v40
	v_lshlrev_b64 v[34:35], 1, v[35:36]
	v_add_nc_u32_e32 v36, s33, v31
	v_add_co_ci_u32_e32 v41, vcc_lo, s11, v41, vcc_lo
	v_add_co_u32 v42, vcc_lo, s10, v42
	v_add_co_ci_u32_e32 v43, vcc_lo, s11, v43, vcc_lo
	v_add_co_u32 v46, vcc_lo, s10, v44
	v_add_nc_u32_e32 v44, s34, v67
	v_lshlrev_b64 v[36:37], 1, v[36:37]
	v_add_co_ci_u32_e32 v47, vcc_lo, s11, v45, vcc_lo
	v_mov_b32_e32 v45, v68
	v_add_co_u32 v34, vcc_lo, s10, v34
	v_lshlrev_b64 v[38:39], 1, v[38:39]
	v_add_co_ci_u32_e32 v35, vcc_lo, s11, v35, vcc_lo
	v_add_co_u32 v36, vcc_lo, s10, v36
	v_lshlrev_b64 v[44:45], 1, v[44:45]
	v_add_co_ci_u32_e32 v37, vcc_lo, s11, v37, vcc_lo
	v_add_co_u32 v38, vcc_lo, s10, v38
	v_add_co_ci_u32_e32 v39, vcc_lo, s11, v39, vcc_lo
	v_lshlrev_b64 v[48:49], 1, v[48:49]
	v_add_co_u32 v50, vcc_lo, s10, v44
	v_add_nc_u32_e32 v44, s34, v33
	v_add_co_ci_u32_e32 v51, vcc_lo, s11, v45, vcc_lo
	v_mov_b32_e32 v45, v68
	v_add_co_u32 v48, vcc_lo, s10, v48
	v_add_co_ci_u32_e32 v49, vcc_lo, s11, v49, vcc_lo
	s_delay_alu instid0(VALU_DEP_3)
	v_lshlrev_b64 v[52:53], 1, v[44:45]
	s_clause 0x7
	global_load_u16 v45, v[40:41], off
	global_load_u16 v44, v[46:47], off
	;; [unrolled: 1-line block ×8, first 2 shown]
	v_add_nc_u32_e32 v50, s35, v33
	v_dual_mov_b32 v47, v68 :: v_dual_add_nc_u32 v46, s35, v31
	v_lshlrev_b64 v[34:35], 1, v[54:55]
	v_mov_b32_e32 v51, v68
	v_add_co_u32 v48, vcc_lo, s10, v52
	s_delay_alu instid0(VALU_DEP_4)
	v_lshlrev_b64 v[46:47], 1, v[46:47]
	v_add_nc_u32_e32 v67, s40, v67
	v_add_co_ci_u32_e32 v49, vcc_lo, s11, v53, vcc_lo
	v_add_co_u32 v34, vcc_lo, s10, v34
	v_lshlrev_b64 v[50:51], 1, v[50:51]
	v_add_co_ci_u32_e32 v35, vcc_lo, s11, v35, vcc_lo
	v_add_co_u32 v46, vcc_lo, s10, v46
	v_lshlrev_b64 v[52:53], 1, v[67:68]
	v_add_nc_u32_e32 v67, s40, v31
	v_add_co_ci_u32_e32 v47, vcc_lo, s11, v47, vcc_lo
	v_add_co_u32 v31, vcc_lo, s10, v50
	v_add_co_ci_u32_e32 v32, vcc_lo, s11, v51, vcc_lo
	s_delay_alu instid0(VALU_DEP_4) | instskip(SKIP_3) | instid1(VALU_DEP_3)
	v_lshlrev_b64 v[50:51], 1, v[67:68]
	v_add_nc_u32_e32 v67, s40, v33
	v_add_co_u32 v52, vcc_lo, s10, v52
	v_add_co_ci_u32_e32 v53, vcc_lo, s11, v53, vcc_lo
	v_lshlrev_b64 v[54:55], 1, v[67:68]
	v_add_co_u32 v50, vcc_lo, s10, v50
	v_add_co_ci_u32_e32 v51, vcc_lo, s11, v51, vcc_lo
	s_delay_alu instid0(VALU_DEP_3) | instskip(NEXT) | instid1(VALU_DEP_4)
	v_add_co_u32 v54, vcc_lo, s10, v54
	v_add_co_ci_u32_e32 v55, vcc_lo, s11, v55, vcc_lo
	s_clause 0x6
	global_load_u16 v39, v[48:49], off
	global_load_u16 v37, v[34:35], off
	;; [unrolled: 1-line block ×7, first 2 shown]
.LBB151_35:                             ;   in Loop: Header=BB151_12 Depth=1
	v_cmp_ne_u32_e32 vcc_lo, 0, v60
	s_and_saveexec_b32 s2, vcc_lo
	s_cbranch_execnz .LBB151_56
; %bb.36:                               ;   in Loop: Header=BB151_12 Depth=1
	s_or_b32 exec_lo, exec_lo, s2
	v_cmp_ne_u32_e64 s1, 0, v61
	s_delay_alu instid0(VALU_DEP_1)
	s_and_saveexec_b32 s3, s1
	s_cbranch_execnz .LBB151_57
.LBB151_37:                             ;   in Loop: Header=BB151_12 Depth=1
	s_or_b32 exec_lo, exec_lo, s3
	v_cmp_ne_u32_e64 s2, 0, v62
	s_delay_alu instid0(VALU_DEP_1)
	s_and_saveexec_b32 s15, s2
	s_cbranch_execnz .LBB151_58
.LBB151_38:                             ;   in Loop: Header=BB151_12 Depth=1
	s_or_b32 exec_lo, exec_lo, s15
	v_add_nc_u32_e32 v67, s19, v66
	s_and_saveexec_b32 s15, vcc_lo
	s_cbranch_execnz .LBB151_59
.LBB151_39:                             ;   in Loop: Header=BB151_12 Depth=1
	s_or_b32 exec_lo, exec_lo, s15
	s_and_saveexec_b32 s15, s1
	s_cbranch_execnz .LBB151_60
.LBB151_40:                             ;   in Loop: Header=BB151_12 Depth=1
	s_or_b32 exec_lo, exec_lo, s15
	s_and_saveexec_b32 s15, s2
	s_cbranch_execnz .LBB151_61
.LBB151_41:                             ;   in Loop: Header=BB151_12 Depth=1
	s_or_b32 exec_lo, exec_lo, s15
	v_add_nc_u32_e32 v67, s19, v67
	s_and_saveexec_b32 s15, vcc_lo
	s_cbranch_execnz .LBB151_62
.LBB151_42:                             ;   in Loop: Header=BB151_12 Depth=1
	s_or_b32 exec_lo, exec_lo, s15
	s_and_saveexec_b32 s15, s1
	s_cbranch_execnz .LBB151_63
.LBB151_43:                             ;   in Loop: Header=BB151_12 Depth=1
	s_or_b32 exec_lo, exec_lo, s15
	s_and_saveexec_b32 s15, s2
	s_cbranch_execnz .LBB151_64
.LBB151_44:                             ;   in Loop: Header=BB151_12 Depth=1
	s_or_b32 exec_lo, exec_lo, s15
	v_add_nc_u32_e32 v67, s19, v67
	s_and_saveexec_b32 s15, vcc_lo
	s_cbranch_execnz .LBB151_65
.LBB151_45:                             ;   in Loop: Header=BB151_12 Depth=1
	s_or_b32 exec_lo, exec_lo, s15
	s_and_saveexec_b32 s15, s1
	s_cbranch_execnz .LBB151_66
.LBB151_46:                             ;   in Loop: Header=BB151_12 Depth=1
	s_or_b32 exec_lo, exec_lo, s15
	s_and_saveexec_b32 s15, s2
	s_cbranch_execnz .LBB151_67
.LBB151_47:                             ;   in Loop: Header=BB151_12 Depth=1
	s_or_b32 exec_lo, exec_lo, s15
	v_add_nc_u32_e32 v67, s19, v67
	s_and_saveexec_b32 s3, vcc_lo
	s_cbranch_execnz .LBB151_68
.LBB151_48:                             ;   in Loop: Header=BB151_12 Depth=1
	s_or_b32 exec_lo, exec_lo, s3
	s_and_saveexec_b32 s3, s1
	s_cbranch_execnz .LBB151_69
.LBB151_49:                             ;   in Loop: Header=BB151_12 Depth=1
	s_or_b32 exec_lo, exec_lo, s3
	s_delay_alu instid0(SALU_CYCLE_1)
	s_and_b32 exec_lo, exec_lo, s2
	s_cbranch_execz .LBB151_51
.LBB151_50:                             ;   in Loop: Header=BB151_12 Depth=1
	s_waitcnt lgkmcnt(4)
	v_dual_add_f32 v0, v3, v6 :: v_dual_add_nc_u32 v67, 2, v67
	s_waitcnt vmcnt(0)
	v_cvt_f32_f16_e32 v1, v31
	s_delay_alu instid0(VALU_DEP_1) | instskip(NEXT) | instid1(VALU_DEP_3)
	v_add_f32_e32 v2, v0, v1
	v_lshlrev_b64 v[0:1], 1, v[67:68]
	s_delay_alu instid0(VALU_DEP_2) | instskip(NEXT) | instid1(VALU_DEP_2)
	v_cvt_f16_f32_e32 v2, v2
	v_add_co_u32 v0, vcc_lo, s12, v0
	s_delay_alu instid0(VALU_DEP_3)
	v_add_co_ci_u32_e32 v1, vcc_lo, s13, v1, vcc_lo
	global_store_b16 v[0:1], v2, off
.LBB151_51:                             ;   in Loop: Header=BB151_12 Depth=1
	s_or_b32 exec_lo, exec_lo, s14
	v_add_nc_u32_e32 v66, s5, v66
	s_delay_alu instid0(VALU_DEP_1) | instskip(SKIP_1) | instid1(VALU_DEP_2)
	v_add_nc_u32_e32 v0, 3, v66
	v_cmp_gt_u32_e32 vcc_lo, s19, v66
	v_cmp_le_u32_e64 s1, s19, v0
	s_delay_alu instid0(VALU_DEP_1) | instskip(NEXT) | instid1(SALU_CYCLE_1)
	s_and_b32 s1, vcc_lo, s1
	s_and_saveexec_b32 s43, s1
	s_cbranch_execz .LBB151_10
; %bb.52:                               ;   in Loop: Header=BB151_12 Depth=1
	s_mov_b32 s44, exec_lo
	v_cmpx_ne_u32_e64 s31, v66
	s_cbranch_execz .LBB151_9
; %bb.53:                               ;   in Loop: Header=BB151_12 Depth=1
	v_subrev_nc_u32_e32 v0, s31, v66
	s_mov_b32 s45, 0
	s_mov_b64 s[14:15], 0
	s_delay_alu instid0(VALU_DEP_1)
	v_cmp_lt_u32_e32 vcc_lo, 1, v0
	v_cndmask_b32_e32 v0, 1, v0, vcc_lo
	.p2align	6
.LBB151_54:                             ;   Parent Loop BB151_12 Depth=1
                                        ; =>  This Inner Loop Header: Depth=2
	s_cmp_lg_u32 s14, 2
	s_cselect_b32 vcc_lo, -1, 0
	s_cmp_lg_u32 s14, 1
	v_cndmask_b32_e32 v62, 0, v62, vcc_lo
	s_cselect_b32 s1, -1, 0
	s_cmp_lg_u32 s14, 0
	v_cndmask_b32_e64 v61, 0, v61, s1
	s_cselect_b32 s2, -1, 0
	s_add_u32 s14, s14, 1
	v_cndmask_b32_e64 v60, 0, v60, s2
	v_cmp_eq_u32_e64 s3, s14, v0
	s_addc_u32 s15, s15, 0
	s_delay_alu instid0(VALU_DEP_1) | instskip(NEXT) | instid1(SALU_CYCLE_1)
	s_or_b32 s45, s3, s45
	s_and_not1_b32 exec_lo, exec_lo, s45
	s_cbranch_execnz .LBB151_54
; %bb.55:                               ;   in Loop: Header=BB151_12 Depth=1
	s_or_b32 exec_lo, exec_lo, s45
	s_branch .LBB151_9
.LBB151_56:                             ;   in Loop: Header=BB151_12 Depth=1
	v_mov_b32_e32 v67, v68
	s_waitcnt lgkmcnt(14)
	v_add_f32_e32 v25, v25, v28
	s_waitcnt vmcnt(14)
	v_cvt_f32_f16_e32 v28, v45
	v_lshlrev_b64 v[45:46], 1, v[66:67]
	s_delay_alu instid0(VALU_DEP_2) | instskip(NEXT) | instid1(VALU_DEP_2)
	v_add_f32_e32 v25, v25, v28
	v_add_co_u32 v45, s1, s12, v45
	s_delay_alu instid0(VALU_DEP_2) | instskip(NEXT) | instid1(VALU_DEP_4)
	v_cvt_f16_f32_e32 v25, v25
	v_add_co_ci_u32_e64 v46, s1, s13, v46, s1
	global_store_b16 v[45:46], v25, off
	s_or_b32 exec_lo, exec_lo, s2
	v_cmp_ne_u32_e64 s1, 0, v61
	s_delay_alu instid0(VALU_DEP_1)
	s_and_saveexec_b32 s3, s1
	s_cbranch_execz .LBB151_37
.LBB151_57:                             ;   in Loop: Header=BB151_12 Depth=1
	v_mov_b32_e32 v67, v68
	s_waitcnt lgkmcnt(13)
	v_add_f32_e32 v20, v20, v23
	s_waitcnt vmcnt(13)
	v_cvt_f32_f16_e32 v23, v44
	v_lshlrev_b64 v[44:45], 1, v[66:67]
	s_delay_alu instid0(VALU_DEP_2) | instskip(NEXT) | instid1(VALU_DEP_2)
	v_add_f32_e32 v20, v20, v23
	v_add_co_u32 v44, s2, s36, v44
	s_delay_alu instid0(VALU_DEP_2) | instskip(NEXT) | instid1(VALU_DEP_4)
	v_cvt_f16_f32_e32 v20, v20
	v_add_co_ci_u32_e64 v45, s2, s37, v45, s2
	global_store_b16 v[44:45], v20, off
	s_or_b32 exec_lo, exec_lo, s3
	v_cmp_ne_u32_e64 s2, 0, v62
	s_delay_alu instid0(VALU_DEP_1)
	s_and_saveexec_b32 s15, s2
	s_cbranch_execz .LBB151_38
.LBB151_58:                             ;   in Loop: Header=BB151_12 Depth=1
	s_waitcnt lgkmcnt(12)
	v_add_f32_e32 v17, v1, v17
	v_mov_b32_e32 v1, v68
	s_waitcnt vmcnt(12)
	v_cvt_f32_f16_e32 v20, v43
	s_delay_alu instid0(VALU_DEP_2) | instskip(NEXT) | instid1(VALU_DEP_2)
	v_lshlrev_b64 v[0:1], 1, v[0:1]
	v_add_f32_e32 v17, v17, v20
	s_delay_alu instid0(VALU_DEP_1) | instskip(NEXT) | instid1(VALU_DEP_3)
	v_cvt_f16_f32_e32 v17, v17
	v_add_co_u32 v0, s3, s12, v0
	s_delay_alu instid0(VALU_DEP_1)
	v_add_co_ci_u32_e64 v1, s3, s13, v1, s3
	global_store_b16 v[0:1], v17, off
	s_or_b32 exec_lo, exec_lo, s15
	v_add_nc_u32_e32 v67, s19, v66
	s_and_saveexec_b32 s15, vcc_lo
	s_cbranch_execz .LBB151_39
.LBB151_59:                             ;   in Loop: Header=BB151_12 Depth=1
	s_waitcnt lgkmcnt(11)
	v_add_f32_e32 v0, v8, v11
	s_waitcnt vmcnt(11)
	v_cvt_f32_f16_e32 v1, v42
	s_delay_alu instid0(VALU_DEP_1) | instskip(SKIP_1) | instid1(VALU_DEP_2)
	v_add_f32_e32 v8, v0, v1
	v_lshlrev_b64 v[0:1], 1, v[67:68]
	v_cvt_f16_f32_e32 v8, v8
	s_delay_alu instid0(VALU_DEP_2) | instskip(NEXT) | instid1(VALU_DEP_1)
	v_add_co_u32 v0, s3, s12, v0
	v_add_co_ci_u32_e64 v1, s3, s13, v1, s3
	global_store_b16 v[0:1], v8, off
	s_or_b32 exec_lo, exec_lo, s15
	s_and_saveexec_b32 s15, s1
	s_cbranch_execz .LBB151_40
.LBB151_60:                             ;   in Loop: Header=BB151_12 Depth=1
	v_dual_mov_b32 v1, v68 :: v_dual_add_nc_u32 v0, 1, v67
	s_waitcnt lgkmcnt(10)
	v_add_f32_e32 v4, v4, v7
	s_waitcnt vmcnt(10)
	v_cvt_f32_f16_e32 v7, v41
	v_lshlrev_b64 v[0:1], 1, v[0:1]
	s_delay_alu instid0(VALU_DEP_2) | instskip(NEXT) | instid1(VALU_DEP_2)
	v_add_f32_e32 v4, v4, v7
	v_add_co_u32 v0, s3, s12, v0
	s_delay_alu instid0(VALU_DEP_2) | instskip(NEXT) | instid1(VALU_DEP_4)
	v_cvt_f16_f32_e32 v4, v4
	v_add_co_ci_u32_e64 v1, s3, s13, v1, s3
	global_store_b16 v[0:1], v4, off
	s_or_b32 exec_lo, exec_lo, s15
	s_and_saveexec_b32 s15, s2
	s_cbranch_execz .LBB151_41
.LBB151_61:                             ;   in Loop: Header=BB151_12 Depth=1
	s_waitcnt lgkmcnt(9)
	v_dual_add_f32 v4, v26, v29 :: v_dual_mov_b32 v1, v68
	v_add_nc_u32_e32 v0, 2, v67
	s_waitcnt vmcnt(9)
	v_cvt_f32_f16_e32 v7, v40
	s_delay_alu instid0(VALU_DEP_2) | instskip(NEXT) | instid1(VALU_DEP_2)
	v_lshlrev_b64 v[0:1], 1, v[0:1]
	v_add_f32_e32 v4, v4, v7
	s_delay_alu instid0(VALU_DEP_1) | instskip(NEXT) | instid1(VALU_DEP_3)
	v_cvt_f16_f32_e32 v4, v4
	v_add_co_u32 v0, s3, s12, v0
	s_delay_alu instid0(VALU_DEP_1)
	v_add_co_ci_u32_e64 v1, s3, s13, v1, s3
	global_store_b16 v[0:1], v4, off
	s_or_b32 exec_lo, exec_lo, s15
	v_add_nc_u32_e32 v67, s19, v67
	s_and_saveexec_b32 s15, vcc_lo
	s_cbranch_execz .LBB151_42
.LBB151_62:                             ;   in Loop: Header=BB151_12 Depth=1
	s_waitcnt lgkmcnt(8)
	v_add_f32_e32 v0, v19, v22
	s_waitcnt vmcnt(8)
	v_cvt_f32_f16_e32 v1, v38
	s_delay_alu instid0(VALU_DEP_1) | instskip(SKIP_1) | instid1(VALU_DEP_2)
	v_add_f32_e32 v4, v0, v1
	v_lshlrev_b64 v[0:1], 1, v[67:68]
	v_cvt_f16_f32_e32 v4, v4
	s_delay_alu instid0(VALU_DEP_2) | instskip(NEXT) | instid1(VALU_DEP_1)
	v_add_co_u32 v0, s3, s12, v0
	v_add_co_ci_u32_e64 v1, s3, s13, v1, s3
	global_store_b16 v[0:1], v4, off
	s_or_b32 exec_lo, exec_lo, s15
	s_and_saveexec_b32 s15, s1
	s_cbranch_execz .LBB151_43
.LBB151_63:                             ;   in Loop: Header=BB151_12 Depth=1
	s_waitcnt lgkmcnt(7)
	v_dual_add_f32 v4, v15, v18 :: v_dual_mov_b32 v1, v68
	v_add_nc_u32_e32 v0, 1, v67
	s_waitcnt vmcnt(7)
	v_cvt_f32_f16_e32 v7, v36
	s_delay_alu instid0(VALU_DEP_2) | instskip(NEXT) | instid1(VALU_DEP_2)
	v_lshlrev_b64 v[0:1], 1, v[0:1]
	v_add_f32_e32 v4, v4, v7
	s_delay_alu instid0(VALU_DEP_1) | instskip(NEXT) | instid1(VALU_DEP_3)
	v_cvt_f16_f32_e32 v4, v4
	v_add_co_u32 v0, s3, s12, v0
	s_delay_alu instid0(VALU_DEP_1)
	v_add_co_ci_u32_e64 v1, s3, s13, v1, s3
	global_store_b16 v[0:1], v4, off
	s_or_b32 exec_lo, exec_lo, s15
	s_and_saveexec_b32 s15, s2
	s_cbranch_execz .LBB151_44
.LBB151_64:                             ;   in Loop: Header=BB151_12 Depth=1
	s_waitcnt lgkmcnt(3)
	v_dual_add_f32 v4, v9, v12 :: v_dual_mov_b32 v1, v68
	v_add_nc_u32_e32 v0, 2, v67
	s_waitcnt vmcnt(6)
	v_cvt_f32_f16_e32 v7, v39
	s_delay_alu instid0(VALU_DEP_2) | instskip(NEXT) | instid1(VALU_DEP_2)
	v_lshlrev_b64 v[0:1], 1, v[0:1]
	v_add_f32_e32 v4, v4, v7
	s_delay_alu instid0(VALU_DEP_1) | instskip(NEXT) | instid1(VALU_DEP_3)
	v_cvt_f16_f32_e32 v4, v4
	v_add_co_u32 v0, s3, s12, v0
	s_delay_alu instid0(VALU_DEP_1)
	v_add_co_ci_u32_e64 v1, s3, s13, v1, s3
	global_store_b16 v[0:1], v4, off
	s_or_b32 exec_lo, exec_lo, s15
	v_add_nc_u32_e32 v67, s19, v67
	s_and_saveexec_b32 s15, vcc_lo
	s_cbranch_execz .LBB151_45
.LBB151_65:                             ;   in Loop: Header=BB151_12 Depth=1
	s_waitcnt lgkmcnt(6)
	v_add_f32_e32 v0, v2, v5
	s_waitcnt vmcnt(5)
	v_cvt_f32_f16_e32 v1, v37
	s_delay_alu instid0(VALU_DEP_1) | instskip(SKIP_1) | instid1(VALU_DEP_2)
	v_add_f32_e32 v2, v0, v1
	v_lshlrev_b64 v[0:1], 1, v[67:68]
	v_cvt_f16_f32_e32 v2, v2
	s_delay_alu instid0(VALU_DEP_2) | instskip(NEXT) | instid1(VALU_DEP_1)
	v_add_co_u32 v0, s3, s12, v0
	v_add_co_ci_u32_e64 v1, s3, s13, v1, s3
	global_store_b16 v[0:1], v2, off
	s_or_b32 exec_lo, exec_lo, s15
	s_and_saveexec_b32 s15, s1
	s_cbranch_execz .LBB151_46
.LBB151_66:                             ;   in Loop: Header=BB151_12 Depth=1
	s_waitcnt lgkmcnt(5)
	v_dual_add_f32 v2, v27, v30 :: v_dual_mov_b32 v1, v68
	v_add_nc_u32_e32 v0, 1, v67
	s_waitcnt vmcnt(4)
	v_cvt_f32_f16_e32 v4, v35
	s_delay_alu instid0(VALU_DEP_2) | instskip(NEXT) | instid1(VALU_DEP_2)
	v_lshlrev_b64 v[0:1], 1, v[0:1]
	v_add_f32_e32 v2, v2, v4
	s_delay_alu instid0(VALU_DEP_1) | instskip(NEXT) | instid1(VALU_DEP_3)
	v_cvt_f16_f32_e32 v2, v2
	v_add_co_u32 v0, s3, s12, v0
	s_delay_alu instid0(VALU_DEP_1)
	v_add_co_ci_u32_e64 v1, s3, s13, v1, s3
	global_store_b16 v[0:1], v2, off
	s_or_b32 exec_lo, exec_lo, s15
	s_and_saveexec_b32 s15, s2
	s_cbranch_execz .LBB151_47
.LBB151_67:                             ;   in Loop: Header=BB151_12 Depth=1
	s_waitcnt lgkmcnt(2)
	v_dual_add_f32 v2, v21, v24 :: v_dual_mov_b32 v1, v68
	v_add_nc_u32_e32 v0, 2, v67
	s_waitcnt vmcnt(3)
	v_cvt_f32_f16_e32 v4, v34
	s_delay_alu instid0(VALU_DEP_2) | instskip(NEXT) | instid1(VALU_DEP_2)
	v_lshlrev_b64 v[0:1], 1, v[0:1]
	v_add_f32_e32 v2, v2, v4
	s_delay_alu instid0(VALU_DEP_1) | instskip(NEXT) | instid1(VALU_DEP_3)
	v_cvt_f16_f32_e32 v2, v2
	v_add_co_u32 v0, s3, s12, v0
	s_delay_alu instid0(VALU_DEP_1)
	v_add_co_ci_u32_e64 v1, s3, s13, v1, s3
	global_store_b16 v[0:1], v2, off
	s_or_b32 exec_lo, exec_lo, s15
	v_add_nc_u32_e32 v67, s19, v67
	s_and_saveexec_b32 s3, vcc_lo
	s_cbranch_execz .LBB151_48
.LBB151_68:                             ;   in Loop: Header=BB151_12 Depth=1
	s_waitcnt lgkmcnt(1)
	v_add_f32_e32 v0, v14, v16
	s_waitcnt vmcnt(2)
	v_cvt_f32_f16_e32 v1, v33
	s_delay_alu instid0(VALU_DEP_1) | instskip(SKIP_1) | instid1(VALU_DEP_2)
	v_add_f32_e32 v2, v0, v1
	v_lshlrev_b64 v[0:1], 1, v[67:68]
	v_cvt_f16_f32_e32 v2, v2
	s_delay_alu instid0(VALU_DEP_2) | instskip(NEXT) | instid1(VALU_DEP_3)
	v_add_co_u32 v0, vcc_lo, s12, v0
	v_add_co_ci_u32_e32 v1, vcc_lo, s13, v1, vcc_lo
	global_store_b16 v[0:1], v2, off
	s_or_b32 exec_lo, exec_lo, s3
	s_and_saveexec_b32 s3, s1
	s_cbranch_execz .LBB151_49
.LBB151_69:                             ;   in Loop: Header=BB151_12 Depth=1
	s_waitcnt lgkmcnt(0)
	v_dual_add_f32 v2, v10, v13 :: v_dual_mov_b32 v1, v68
	v_add_nc_u32_e32 v0, 1, v67
	s_waitcnt vmcnt(1)
	v_cvt_f32_f16_e32 v4, v32
	s_delay_alu instid0(VALU_DEP_2) | instskip(NEXT) | instid1(VALU_DEP_2)
	v_lshlrev_b64 v[0:1], 1, v[0:1]
	v_add_f32_e32 v2, v2, v4
	s_delay_alu instid0(VALU_DEP_1) | instskip(NEXT) | instid1(VALU_DEP_3)
	v_cvt_f16_f32_e32 v2, v2
	v_add_co_u32 v0, vcc_lo, s12, v0
	s_delay_alu instid0(VALU_DEP_4) | instskip(SKIP_2) | instid1(SALU_CYCLE_1)
	v_add_co_ci_u32_e32 v1, vcc_lo, s13, v1, vcc_lo
	global_store_b16 v[0:1], v2, off
	s_or_b32 exec_lo, exec_lo, s3
	s_and_b32 exec_lo, exec_lo, s2
	s_cbranch_execnz .LBB151_50
	s_branch .LBB151_51
.LBB151_70:
	s_nop 0
	s_sendmsg sendmsg(MSG_DEALLOC_VGPRS)
	s_endpgm
	.section	.rodata,"a",@progbits
	.p2align	6, 0x0
	.amdhsa_kernel _Z16wvSplitK_hf_big_I6__halfLi64ELi3ELi16ELi8ELi2ELi5EEviiiiiiPKT_S3_S3_PS1_ii
		.amdhsa_group_segment_fixed_size 65536
		.amdhsa_private_segment_fixed_size 0
		.amdhsa_kernarg_size 64
		.amdhsa_user_sgpr_count 15
		.amdhsa_user_sgpr_dispatch_ptr 0
		.amdhsa_user_sgpr_queue_ptr 0
		.amdhsa_user_sgpr_kernarg_segment_ptr 1
		.amdhsa_user_sgpr_dispatch_id 0
		.amdhsa_user_sgpr_private_segment_size 0
		.amdhsa_wavefront_size32 1
		.amdhsa_uses_dynamic_stack 0
		.amdhsa_enable_private_segment 0
		.amdhsa_system_sgpr_workgroup_id_x 1
		.amdhsa_system_sgpr_workgroup_id_y 0
		.amdhsa_system_sgpr_workgroup_id_z 0
		.amdhsa_system_sgpr_workgroup_info 0
		.amdhsa_system_vgpr_workitem_id 1
		.amdhsa_next_free_vgpr 104
		.amdhsa_next_free_sgpr 46
		.amdhsa_reserve_vcc 1
		.amdhsa_float_round_mode_32 0
		.amdhsa_float_round_mode_16_64 0
		.amdhsa_float_denorm_mode_32 3
		.amdhsa_float_denorm_mode_16_64 3
		.amdhsa_dx10_clamp 1
		.amdhsa_ieee_mode 1
		.amdhsa_fp16_overflow 0
		.amdhsa_workgroup_processor_mode 1
		.amdhsa_memory_ordered 1
		.amdhsa_forward_progress 0
		.amdhsa_shared_vgpr_count 0
		.amdhsa_exception_fp_ieee_invalid_op 0
		.amdhsa_exception_fp_denorm_src 0
		.amdhsa_exception_fp_ieee_div_zero 0
		.amdhsa_exception_fp_ieee_overflow 0
		.amdhsa_exception_fp_ieee_underflow 0
		.amdhsa_exception_fp_ieee_inexact 0
		.amdhsa_exception_int_div_zero 0
	.end_amdhsa_kernel
	.section	.text._Z16wvSplitK_hf_big_I6__halfLi64ELi3ELi16ELi8ELi2ELi5EEviiiiiiPKT_S3_S3_PS1_ii,"axG",@progbits,_Z16wvSplitK_hf_big_I6__halfLi64ELi3ELi16ELi8ELi2ELi5EEviiiiiiPKT_S3_S3_PS1_ii,comdat
.Lfunc_end151:
	.size	_Z16wvSplitK_hf_big_I6__halfLi64ELi3ELi16ELi8ELi2ELi5EEviiiiiiPKT_S3_S3_PS1_ii, .Lfunc_end151-_Z16wvSplitK_hf_big_I6__halfLi64ELi3ELi16ELi8ELi2ELi5EEviiiiiiPKT_S3_S3_PS1_ii
                                        ; -- End function
	.section	.AMDGPU.csdata,"",@progbits
; Kernel info:
; codeLenInByte = 8460
; NumSgprs: 48
; NumVgprs: 104
; ScratchSize: 0
; MemoryBound: 0
; FloatMode: 240
; IeeeMode: 1
; LDSByteSize: 65536 bytes/workgroup (compile time only)
; SGPRBlocks: 5
; VGPRBlocks: 12
; NumSGPRsForWavesPerEU: 48
; NumVGPRsForWavesPerEU: 104
; Occupancy: 12
; WaveLimiterHint : 0
; COMPUTE_PGM_RSRC2:SCRATCH_EN: 0
; COMPUTE_PGM_RSRC2:USER_SGPR: 15
; COMPUTE_PGM_RSRC2:TRAP_HANDLER: 0
; COMPUTE_PGM_RSRC2:TGID_X_EN: 1
; COMPUTE_PGM_RSRC2:TGID_Y_EN: 0
; COMPUTE_PGM_RSRC2:TGID_Z_EN: 0
; COMPUTE_PGM_RSRC2:TIDIG_COMP_CNT: 1
	.section	.text._Z16wvSplitK_hf_sml_I6__halfLi64ELi4ELi16ELi8ELi1ELi5EEviiiiiiPKT_S3_S3_PS1_ii,"axG",@progbits,_Z16wvSplitK_hf_sml_I6__halfLi64ELi4ELi16ELi8ELi1ELi5EEviiiiiiPKT_S3_S3_PS1_ii,comdat
	.protected	_Z16wvSplitK_hf_sml_I6__halfLi64ELi4ELi16ELi8ELi1ELi5EEviiiiiiPKT_S3_S3_PS1_ii ; -- Begin function _Z16wvSplitK_hf_sml_I6__halfLi64ELi4ELi16ELi8ELi1ELi5EEviiiiiiPKT_S3_S3_PS1_ii
	.globl	_Z16wvSplitK_hf_sml_I6__halfLi64ELi4ELi16ELi8ELi1ELi5EEviiiiiiPKT_S3_S3_PS1_ii
	.p2align	8
	.type	_Z16wvSplitK_hf_sml_I6__halfLi64ELi4ELi16ELi8ELi1ELi5EEviiiiiiPKT_S3_S3_PS1_ii,@function
_Z16wvSplitK_hf_sml_I6__halfLi64ELi4ELi16ELi8ELi1ELi5EEviiiiiiPKT_S3_S3_PS1_ii: ; @_Z16wvSplitK_hf_sml_I6__halfLi64ELi4ELi16ELi8ELi1ELi5EEviiiiiiPKT_S3_S3_PS1_ii
; %bb.0:
	s_clause 0x2
	s_load_b128 s[4:7], s[0:1], 0x0
	s_load_b64 s[8:9], s[0:1], 0x10
	s_load_b64 s[10:11], s[0:1], 0x28
	v_and_b32_e32 v2, 0x3ff, v0
	v_bfe_u32 v3, v0, 10, 10
	s_mov_b32 s12, exec_lo
	s_delay_alu instid0(VALU_DEP_2) | instskip(NEXT) | instid1(VALU_DEP_1)
	v_lshlrev_b32_e32 v47, 3, v2
	v_lshl_add_u32 v4, v3, 9, v47
	s_waitcnt lgkmcnt(0)
	s_mul_i32 s2, s6, 5
	s_delay_alu instid0(SALU_CYCLE_1)
	s_min_u32 s3, s2, 0x8000
	s_delay_alu instid0(VALU_DEP_1) | instid1(SALU_CYCLE_1)
	v_cmpx_gt_u32_e64 s3, v4
	s_cbranch_execz .LBB152_3
; %bb.1:
	s_load_b64 s[16:17], s[0:1], 0x20
	v_lshlrev_b32_e32 v5, 10, v3
	v_lshlrev_b32_e32 v6, 4, v2
	s_mov_b32 s13, 0
	s_delay_alu instid0(VALU_DEP_1) | instskip(NEXT) | instid1(VALU_DEP_1)
	v_add_co_u32 v0, s2, v5, v6
	v_add_co_ci_u32_e64 v1, null, 0, 0, s2
	v_add_nc_u32_e32 v5, v5, v6
	s_waitcnt lgkmcnt(0)
	s_delay_alu instid0(VALU_DEP_3) | instskip(NEXT) | instid1(VALU_DEP_3)
	v_add_co_u32 v0, vcc_lo, s16, v0
	v_add_co_ci_u32_e32 v1, vcc_lo, s17, v1, vcc_lo
	.p2align	6
.LBB152_2:                              ; =>This Inner Loop Header: Depth=1
	global_load_b128 v[6:9], v[0:1], off
	v_add_nc_u32_e32 v4, 0x2000, v4
	v_add_co_u32 v0, vcc_lo, 0x4000, v0
	v_add_co_ci_u32_e32 v1, vcc_lo, 0, v1, vcc_lo
	s_delay_alu instid0(VALU_DEP_3) | instskip(NEXT) | instid1(VALU_DEP_1)
	v_cmp_le_u32_e64 s2, s3, v4
	s_or_b32 s13, s2, s13
	s_waitcnt vmcnt(0)
	ds_store_b128 v5, v[6:9]
	v_add_nc_u32_e32 v5, 0x4000, v5
	s_and_not1_b32 exec_lo, exec_lo, s13
	s_cbranch_execnz .LBB152_2
.LBB152_3:
	s_or_b32 exec_lo, exec_lo, s12
	s_load_b64 s[2:3], s[0:1], 0x38
	s_waitcnt lgkmcnt(0)
	s_barrier
	buffer_gl0_inv
	s_mov_b32 s12, exec_lo
	v_cmpx_gt_u32_e64 s2, v3
	s_cbranch_execz .LBB152_18
; %bb.4:
	s_mul_i32 s15, s15, s2
	s_delay_alu instid0(SALU_CYCLE_1) | instskip(NEXT) | instid1(VALU_DEP_1)
	v_add_lshl_u32 v32, s15, v3, 2
	v_cmp_gt_u32_e32 vcc_lo, s7, v32
	s_and_b32 exec_lo, exec_lo, vcc_lo
	s_cbranch_execz .LBB152_18
; %bb.5:
	s_cmp_lg_u32 s4, 0
	s_mul_i32 s2, s2, s3
	s_cselect_b32 s14, -1, 0
	s_add_i32 s15, s4, -8
	s_add_i32 s16, s7, -1
	s_cmp_lg_u64 s[10:11], 0
	v_cvt_f32_u32_e32 v1, s8
	s_cselect_b32 s17, -1, 0
	s_abs_i32 s21, s9
	s_lshl_b32 s9, s2, 2
	v_cvt_f32_u32_e32 v0, s21
	s_sub_i32 s2, 0, s21
	s_sub_i32 s18, 0, s8
	;; [unrolled: 1-line block ×3, first 2 shown]
	v_mov_b32_e32 v34, 0
	v_rcp_iflag_f32_e32 v0, v0
	v_lshlrev_b32_e32 v48, 4, v2
	v_mbcnt_lo_u32_b32 v49, -1, 0
	s_waitcnt_depctr 0xfff
	v_mul_f32_e32 v0, 0x4f7ffffe, v0
	s_delay_alu instid0(VALU_DEP_1) | instskip(NEXT) | instid1(VALU_DEP_1)
	v_cvt_u32_f32_e32 v0, v0
	v_readfirstlane_b32 s3, v0
	v_rcp_iflag_f32_e32 v0, v1
	s_delay_alu instid0(VALU_DEP_1) | instskip(NEXT) | instid1(SALU_CYCLE_1)
	s_mul_i32 s2, s2, s3
	s_mul_hi_u32 s2, s3, s2
	s_delay_alu instid0(SALU_CYCLE_1)
	s_add_i32 s19, s3, s2
	s_cmp_lt_u32 s21, 2
	s_waitcnt_depctr 0xfff
	v_mul_f32_e32 v0, 0x4f7ffffe, v0
	s_cselect_b32 s20, s12, 1
	s_clause 0x1
	s_load_b64 s[2:3], s[0:1], 0x18
	s_load_b64 s[12:13], s[0:1], 0x30
	s_sub_i32 s0, s20, s21
	s_cmp_ge_u32 s20, s21
	v_cvt_u32_f32_e32 v0, v0
	s_cselect_b32 s20, s0, s20
	s_lshr_b32 s0, s19, 31
	s_mov_b32 s1, 0
	s_mul_i32 s0, s0, s21
	v_mul_lo_u32 v1, s18, v0
	s_sub_i32 s22, 2, s0
	v_cmp_eq_u32_e64 s0, 63, v2
	s_sub_i32 s23, s22, s21
	s_cmp_ge_u32 s22, s21
	s_cselect_b32 s18, s23, s22
	s_mul_hi_u32 s22, s19, 3
	s_sub_i32 s23, s18, s21
	s_cmp_ge_u32 s18, s21
	s_mul_i32 s22, s22, s21
	s_cselect_b32 s23, s23, s18
	s_sub_i32 s18, 3, s22
	v_mul_hi_u32 v1, v0, v1
	s_sub_i32 s22, s18, s21
	s_cmp_ge_u32 s18, s21
	s_cselect_b32 s22, s22, s18
	s_mul_i32 s18, s6, 6
	s_sub_i32 s24, s22, s21
	s_cmp_ge_u32 s22, s21
	s_delay_alu instid0(VALU_DEP_1) | instskip(SKIP_2) | instid1(SALU_CYCLE_1)
	v_add_nc_u32_e32 v50, v0, v1
	s_cselect_b32 s22, s24, s22
	s_lshr_b32 s19, s19, 30
	s_mul_i32 s19, s19, s21
	s_delay_alu instid0(SALU_CYCLE_1)
	s_sub_i32 s24, 4, s19
	s_mul_i32 s19, s20, s8
	s_sub_i32 s25, s24, s21
	s_cmp_ge_u32 s24, s21
	s_mul_i32 s20, s23, s8
	s_cselect_b32 s24, s25, s24
	s_delay_alu instid0(SALU_CYCLE_1)
	s_sub_i32 s23, s24, s21
	s_cmp_ge_u32 s24, s21
	s_mul_i32 s21, s22, s8
	s_cselect_b32 s24, s23, s24
	s_lshl_b32 s22, s6, 3
	s_lshl_b32 s23, s6, 2
	s_mul_i32 s24, s24, s8
	s_lshl_b32 s6, s6, 1
	s_branch .LBB152_8
.LBB152_6:                              ;   in Loop: Header=BB152_8 Depth=1
	s_waitcnt lgkmcnt(0)
	v_dual_add_f32 v0, v0, v5 :: v_dual_add_f32 v1, v1, v6
	v_dual_add_f32 v2, v2, v7 :: v_dual_add_f32 v3, v3, v8
	s_waitcnt vmcnt(19)
	v_cvt_f32_f16_e32 v7, v63
	v_dual_add_f32 v4, v4, v9 :: v_dual_add_f32 v5, v10, v15
	v_dual_add_f32 v6, v11, v16 :: v_dual_add_f32 v9, v13, v18
	;; [unrolled: 1-line block ×5, first 2 shown]
	s_waitcnt vmcnt(18)
	v_cvt_f32_f16_e32 v19, v62
	s_waitcnt vmcnt(17)
	v_cvt_f32_f16_e32 v20, v61
	;; [unrolled: 2-line block ×3, first 2 shown]
	v_add_f32_e32 v0, v0, v7
	v_dual_add_f32 v14, v23, v28 :: v_dual_add_f32 v7, v1, v19
	s_delay_alu instid0(VALU_DEP_3) | instskip(SKIP_1) | instid1(VALU_DEP_4)
	v_dual_add_f32 v18, v37, v40 :: v_dual_add_f32 v3, v3, v21
	v_add_f32_e32 v2, v2, v20
	v_cvt_f16_f32_e32 v19, v0
	v_lshlrev_b64 v[0:1], 1, v[32:33]
	v_cvt_f16_f32_e32 v7, v7
	v_cvt_f16_f32_e32 v3, v3
	;; [unrolled: 1-line block ×3, first 2 shown]
	s_waitcnt vmcnt(15)
	v_cvt_f32_f16_e32 v20, v58
	v_add_nc_u32_e32 v33, s7, v32
	v_add_co_u32 v0, vcc_lo, s12, v0
	v_add_co_ci_u32_e32 v1, vcc_lo, s13, v1, vcc_lo
	v_pack_b32_f16 v3, v2, v3
	v_pack_b32_f16 v2, v19, v7
	s_waitcnt vmcnt(14)
	v_cvt_f32_f16_e32 v7, v56
	s_waitcnt vmcnt(13)
	v_cvt_f32_f16_e32 v21, v54
	;; [unrolled: 2-line block ×3, first 2 shown]
	v_add_f32_e32 v4, v4, v20
	global_store_b64 v[0:1], v[2:3], off
	v_dual_mov_b32 v3, v34 :: v_dual_add_nc_u32 v2, 1, v33
	v_add_f32_e32 v7, v5, v7
	v_mov_b32_e32 v5, v34
	v_dual_add_f32 v21, v6, v21 :: v_dual_add_f32 v8, v8, v24
	v_lshlrev_b64 v[0:1], 1, v[33:34]
	v_cvt_f16_f32_e32 v20, v4
	v_add_nc_u32_e32 v4, 2, v33
	v_lshlrev_b64 v[2:3], 1, v[2:3]
	v_cvt_f16_f32_e32 v23, v7
	v_mov_b32_e32 v7, v34
	v_cvt_f16_f32_e32 v24, v8
	s_waitcnt vmcnt(11)
	v_cvt_f32_f16_e32 v8, v66
	v_add_nc_u32_e32 v6, 3, v33
	v_add_co_u32 v0, vcc_lo, s12, v0
	v_lshlrev_b64 v[4:5], 1, v[4:5]
	s_delay_alu instid0(VALU_DEP_4)
	v_add_f32_e32 v25, v9, v8
	v_add_co_ci_u32_e32 v1, vcc_lo, s13, v1, vcc_lo
	v_add_co_u32 v2, vcc_lo, s12, v2
	v_lshlrev_b64 v[6:7], 1, v[6:7]
	v_add_co_ci_u32_e32 v3, vcc_lo, s13, v3, vcc_lo
	v_add_co_u32 v4, vcc_lo, s12, v4
	v_add_co_ci_u32_e32 v5, vcc_lo, s13, v5, vcc_lo
	s_waitcnt vmcnt(10)
	v_cvt_f32_f16_e32 v26, v65
	v_add_co_u32 v6, vcc_lo, s12, v6
	v_cvt_f16_f32_e32 v21, v21
	v_add_nc_u32_e32 v33, s7, v33
	v_add_co_ci_u32_e32 v7, vcc_lo, s13, v7, vcc_lo
	s_clause 0x3
	global_store_b16 v[0:1], v20, off
	global_store_b16 v[2:3], v23, off
	;; [unrolled: 1-line block ×4, first 2 shown]
	v_add_f32_e32 v2, v10, v26
	v_lshlrev_b64 v[8:9], 1, v[33:34]
	s_waitcnt vmcnt(9)
	v_cvt_f32_f16_e32 v4, v64
	v_mov_b32_e32 v3, v34
	v_mov_b32_e32 v5, v34
	v_cvt_f16_f32_e32 v7, v2
	v_add_nc_u32_e32 v2, 2, v33
	v_add_co_u32 v0, vcc_lo, s12, v8
	v_add_f32_e32 v8, v11, v4
	v_add_nc_u32_e32 v4, 3, v33
	s_delay_alu instid0(VALU_DEP_4)
	v_lshlrev_b64 v[2:3], 1, v[2:3]
	v_cvt_f16_f32_e32 v6, v25
	v_add_co_ci_u32_e32 v1, vcc_lo, s13, v9, vcc_lo
	s_waitcnt vmcnt(8)
	v_cvt_f32_f16_e32 v9, v59
	v_lshlrev_b64 v[4:5], 1, v[4:5]
	v_pack_b32_f16 v6, v6, v7
	v_cvt_f16_f32_e32 v7, v8
	v_add_co_u32 v2, vcc_lo, s12, v2
	v_add_f32_e32 v8, v12, v9
	v_add_co_ci_u32_e32 v3, vcc_lo, s13, v3, vcc_lo
	s_waitcnt vmcnt(7)
	v_cvt_f32_f16_e32 v9, v57
	v_add_co_u32 v4, vcc_lo, s12, v4
	v_cvt_f16_f32_e32 v8, v8
	v_add_co_ci_u32_e32 v5, vcc_lo, s13, v5, vcc_lo
	s_clause 0x2
	global_store_b32 v[0:1], v6, off
	global_store_b16 v[2:3], v7, off
	global_store_b16 v[4:5], v8, off
	v_mov_b32_e32 v5, v34
	s_waitcnt vmcnt(5)
	v_cvt_f32_f16_e32 v7, v53
	v_add_f32_e32 v9, v13, v9
	v_cvt_f32_f16_e32 v10, v55
	v_add_nc_u32_e32 v33, s7, v33
	v_dual_add_f32 v16, v38, v41 :: v_dual_add_f32 v17, v39, v42
	v_add_f32_e32 v8, v15, v7
	v_cvt_f16_f32_e32 v12, v9
	s_waitcnt vmcnt(4)
	v_cvt_f32_f16_e32 v9, v51
	v_add_f32_e32 v6, v14, v10
	v_dual_mov_b32 v7, v34 :: v_dual_add_nc_u32 v2, 1, v33
	v_mov_b32_e32 v3, v34
	v_lshlrev_b64 v[0:1], 1, v[33:34]
	v_cvt_f16_f32_e32 v14, v8
	v_add_f32_e32 v8, v16, v9
	v_dual_add_f32 v22, v35, v36 :: v_dual_add_f32 v19, v30, v31
	s_waitcnt vmcnt(0)
	v_cvt_f32_f16_e32 v11, v43
	v_add_nc_u32_e32 v4, 2, v33
	v_lshlrev_b64 v[2:3], 1, v[2:3]
	v_cvt_f16_f32_e32 v13, v6
	s_delay_alu instid0(VALU_DEP_4)
	v_dual_add_f32 v11, v19, v11 :: v_dual_add_nc_u32 v6, 3, v33
	v_cvt_f16_f32_e32 v15, v8
	v_cvt_f32_f16_e32 v8, v46
	v_cvt_f32_f16_e32 v9, v45
	;; [unrolled: 1-line block ×3, first 2 shown]
	v_add_co_u32 v0, vcc_lo, s12, v0
	v_lshlrev_b64 v[4:5], 1, v[4:5]
	v_dual_add_f32 v16, v17, v8 :: v_dual_add_nc_u32 v33, s7, v33
	v_add_co_ci_u32_e32 v1, vcc_lo, s13, v1, vcc_lo
	v_add_co_u32 v2, vcc_lo, s12, v2
	v_lshlrev_b64 v[6:7], 1, v[6:7]
	v_add_f32_e32 v17, v18, v9
	v_add_f32_e32 v10, v22, v10
	v_add_co_ci_u32_e32 v3, vcc_lo, s13, v3, vcc_lo
	v_add_co_u32 v4, vcc_lo, s12, v4
	v_lshlrev_b64 v[8:9], 1, v[33:34]
	v_add_co_ci_u32_e32 v5, vcc_lo, s13, v5, vcc_lo
	v_add_co_u32 v6, vcc_lo, s12, v6
	v_cvt_f16_f32_e32 v16, v16
	v_cvt_f16_f32_e32 v17, v17
	;; [unrolled: 1-line block ×4, first 2 shown]
	v_add_co_ci_u32_e32 v7, vcc_lo, s13, v7, vcc_lo
	v_add_co_u32 v8, vcc_lo, s12, v8
	v_add_co_ci_u32_e32 v9, vcc_lo, s13, v9, vcc_lo
	s_delay_alu instid0(VALU_DEP_4)
	v_pack_b32_f16 v11, v10, v11
	v_pack_b32_f16 v10, v16, v17
	s_clause 0x4
	global_store_b16 v[0:1], v12, off
	global_store_b16 v[2:3], v13, off
	;; [unrolled: 1-line block ×4, first 2 shown]
	global_store_b64 v[8:9], v[10:11], off
.LBB152_7:                              ;   in Loop: Header=BB152_8 Depth=1
	s_or_b32 exec_lo, exec_lo, s25
	v_add_nc_u32_e32 v32, s9, v32
	s_delay_alu instid0(VALU_DEP_1) | instskip(SKIP_1) | instid1(SALU_CYCLE_1)
	v_cmp_le_u32_e32 vcc_lo, s7, v32
	s_or_b32 s1, vcc_lo, s1
	s_and_not1_b32 exec_lo, exec_lo, s1
	s_cbranch_execz .LBB152_18
.LBB152_8:                              ; =>This Loop Header: Depth=1
                                        ;     Child Loop BB152_11 Depth 2
	v_mov_b32_e32 v70, v34
	v_mov_b32_e32 v69, v34
	;; [unrolled: 1-line block ×20, first 2 shown]
	s_and_not1_b32 vcc_lo, exec_lo, s14
	s_cbranch_vccnz .LBB152_13
; %bb.9:                                ;   in Loop: Header=BB152_8 Depth=1
	v_or_b32_e32 v0, 1, v32
	v_or_b32_e32 v1, 2, v32
	;; [unrolled: 1-line block ×3, first 2 shown]
	v_min_u32_e32 v3, s16, v32
	s_waitcnt lgkmcnt(0)
	v_dual_mov_b32 v5, v34 :: v_dual_mov_b32 v62, 0
	v_min_u32_e32 v0, s16, v0
	v_min_u32_e32 v1, s16, v1
	;; [unrolled: 1-line block ×3, first 2 shown]
	v_mul_lo_u32 v33, v3, s5
	v_dual_mov_b32 v3, v34 :: v_dual_mov_b32 v64, 0
	v_mul_lo_u32 v0, v0, s5
	v_mul_lo_u32 v2, v1, s5
	;; [unrolled: 1-line block ×3, first 2 shown]
	v_dual_mov_b32 v1, v34 :: v_dual_mov_b32 v66, 0
	v_lshlrev_b64 v[35:36], 1, v[33:34]
	v_dual_mov_b32 v71, v48 :: v_dual_mov_b32 v60, 0
	s_delay_alu instid0(VALU_DEP_3)
	v_lshlrev_b64 v[37:38], 1, v[0:1]
	v_lshlrev_b64 v[39:40], 1, v[2:3]
	;; [unrolled: 1-line block ×3, first 2 shown]
	v_dual_mov_b32 v65, 0 :: v_dual_mov_b32 v58, 0
	v_dual_mov_b32 v63, 0 :: v_dual_mov_b32 v56, 0
	;; [unrolled: 1-line block ×6, first 2 shown]
	v_mov_b32_e32 v53, 0
	v_mov_b32_e32 v51, 0
	v_mov_b32_e32 v67, 0
	v_mov_b32_e32 v69, 0
	s_mov_b32 s25, 0
	s_branch .LBB152_11
.LBB152_10:                             ;   in Loop: Header=BB152_11 Depth=2
	s_or_b32 exec_lo, exec_lo, s26
	v_add_nc_u32_e32 v71, 0x400, v71
	s_addk_i32 s25, 0x200
	s_waitcnt vmcnt(3) lgkmcnt(1)
	;;#ASMSTART
	v_dot2_f32_f16 v70, v28, v12, v70
	;;#ASMEND
	s_waitcnt vmcnt(2)
	;;#ASMSTART
	v_dot2_f32_f16 v69, v28, v8, v69
	;;#ASMEND
	s_waitcnt vmcnt(1)
	;; [unrolled: 4-line block ×3, first 2 shown]
	;;#ASMSTART
	v_dot2_f32_f16 v67, v28, v0, v67
	;;#ASMEND
	;;#ASMSTART
	v_dot2_f32_f16 v66, v24, v12, v66
	;;#ASMEND
	;; [unrolled: 3-line block ×13, first 2 shown]
	s_waitcnt lgkmcnt(0)
	;;#ASMSTART
	v_dot2_f32_f16 v54, v16, v12, v54
	;;#ASMEND
	;;#ASMSTART
	v_dot2_f32_f16 v53, v16, v8, v53
	;;#ASMEND
	;; [unrolled: 3-line block ×24, first 2 shown]
	s_cmp_ge_u32 s25, s4
	;;#ASMSTART
	v_dot2_f32_f16 v70, v30, v14, v70
	;;#ASMEND
	;;#ASMSTART
	v_dot2_f32_f16 v69, v30, v10, v69
	;;#ASMEND
	;; [unrolled: 3-line block ×40, first 2 shown]
	s_cbranch_scc1 .LBB152_13
.LBB152_11:                             ;   Parent Loop BB152_8 Depth=1
                                        ; =>  This Inner Loop Header: Depth=2
	v_dual_mov_b32 v29, 0 :: v_dual_add_nc_u32 v18, s25, v47
	v_dual_mov_b32 v28, 0 :: v_dual_mov_b32 v31, 0
	v_dual_mov_b32 v30, 0 :: v_dual_mov_b32 v25, 0
	s_delay_alu instid0(VALU_DEP_3) | instskip(SKIP_2) | instid1(VALU_DEP_3)
	v_min_u32_e32 v33, s15, v18
	v_dual_mov_b32 v24, 0 :: v_dual_mov_b32 v27, 0
	v_dual_mov_b32 v26, 0 :: v_dual_mov_b32 v45, 0
	v_lshlrev_b64 v[0:1], 1, v[33:34]
	v_dual_mov_b32 v46, 0 :: v_dual_mov_b32 v43, 0
	v_dual_mov_b32 v44, 0 :: v_dual_mov_b32 v21, 0
	;; [unrolled: 1-line block ×3, first 2 shown]
	s_waitcnt lgkmcnt(0)
	s_delay_alu instid0(VALU_DEP_4) | instskip(SKIP_2) | instid1(VALU_DEP_3)
	v_add_co_u32 v6, vcc_lo, s2, v0
	v_add_co_ci_u32_e32 v7, vcc_lo, s3, v1, vcc_lo
	v_mov_b32_e32 v22, 0
	v_add_co_u32 v0, vcc_lo, v6, v35
	s_delay_alu instid0(VALU_DEP_3)
	v_add_co_ci_u32_e32 v1, vcc_lo, v7, v36, vcc_lo
	v_add_co_u32 v2, vcc_lo, v6, v37
	v_add_co_ci_u32_e32 v3, vcc_lo, v7, v38, vcc_lo
	v_add_co_u32 v4, vcc_lo, v6, v39
	;; [unrolled: 2-line block ×3, first 2 shown]
	v_add_co_ci_u32_e32 v17, vcc_lo, v7, v42, vcc_lo
	s_clause 0x3
	global_load_b128 v[12:15], v[0:1], off slc dlc
	global_load_b128 v[8:11], v[2:3], off slc dlc
	;; [unrolled: 1-line block ×4, first 2 shown]
	v_mov_b32_e32 v17, 0
	v_cmp_gt_u32_e32 vcc_lo, s4, v18
	v_dual_mov_b32 v16, 0 :: v_dual_mov_b32 v19, 0
	v_mov_b32_e32 v18, 0
	s_and_saveexec_b32 s26, vcc_lo
	s_cbranch_execz .LBB152_10
; %bb.12:                               ;   in Loop: Header=BB152_11 Depth=2
	v_add_nc_u32_e32 v16, s6, v71
	v_add_nc_u32_e32 v17, s23, v71
	;; [unrolled: 1-line block ×4, first 2 shown]
	ds_load_b128 v[24:27], v16
	ds_load_2addr_b32 v[45:46], v17 offset1:1
	ds_load_2addr_b32 v[43:44], v17 offset0:2 offset1:3
	ds_load_b128 v[20:23], v18
	ds_load_b128 v[28:31], v71
	ds_load_2addr_b64 v[16:19], v19 offset1:1
	s_branch .LBB152_10
.LBB152_13:                             ;   in Loop: Header=BB152_8 Depth=1
	; sched_barrier mask(0x00000000)
	v_xor_b32_e32 v0, 16, v49
	v_cvt_i32_f32_e32 v1, v70
	v_cvt_i32_f32_e32 v2, v69
	;; [unrolled: 1-line block ×4, first 2 shown]
	v_cmp_gt_i32_e32 vcc_lo, 32, v0
	v_cvt_f32_i32_dpp v1, v1 row_shr:8 row_mask:0xf bank_mask:0xf bound_ctrl:1
	s_waitcnt lgkmcnt(0)
	v_cvt_i32_f32_e32 v5, v66
	v_cvt_f32_i32_dpp v2, v2 row_shr:8 row_mask:0xf bank_mask:0xf bound_ctrl:1
	v_cvt_i32_f32_e32 v11, v64
	v_dual_cndmask_b32 v0, v49, v0 :: v_dual_add_f32 v1, v70, v1
	v_cvt_i32_f32_e32 v10, v65
	v_cvt_i32_f32_e32 v13, v62
	s_delay_alu instid0(VALU_DEP_4) | instskip(NEXT) | instid1(VALU_DEP_4)
	v_cvt_f32_i32_dpp v11, v11 row_shr:8 row_mask:0xf bank_mask:0xf bound_ctrl:1
	v_dual_add_f32 v2, v69, v2 :: v_dual_lshlrev_b32 v31, 2, v0
	v_cvt_f32_i32_dpp v0, v3 row_shr:8 row_mask:0xf bank_mask:0xf bound_ctrl:1
	v_cvt_f32_i32_dpp v3, v4 row_shr:8 row_mask:0xf bank_mask:0xf bound_ctrl:1
	;; [unrolled: 1-line block ×3, first 2 shown]
	v_cvt_i32_f32_e32 v5, v1
	v_cvt_i32_f32_e32 v6, v2
	s_delay_alu instid0(VALU_DEP_4) | instskip(SKIP_1) | instid1(VALU_DEP_4)
	v_dual_add_f32 v0, v68, v0 :: v_dual_add_f32 v3, v67, v3
	v_cvt_f32_i32_dpp v10, v10 row_shr:8 row_mask:0xf bank_mask:0xf bound_ctrl:1
	v_cvt_f32_i32_dpp v5, v5 row_shr:4 row_mask:0xf bank_mask:0xf bound_ctrl:1
	v_add_f32_e32 v4, v66, v4
	s_delay_alu instid0(VALU_DEP_4)
	v_cvt_i32_f32_e32 v7, v0
	v_cvt_i32_f32_e32 v8, v3
	v_cvt_f32_i32_dpp v6, v6 row_shr:4 row_mask:0xf bank_mask:0xf bound_ctrl:1
	v_add_f32_e32 v1, v1, v5
	v_cvt_i32_f32_e32 v9, v4
	v_cvt_f32_i32_dpp v7, v7 row_shr:4 row_mask:0xf bank_mask:0xf bound_ctrl:1
	v_cvt_f32_i32_dpp v8, v8 row_shr:4 row_mask:0xf bank_mask:0xf bound_ctrl:1
	v_add_f32_e32 v2, v2, v6
	v_cvt_i32_f32_e32 v5, v1
	v_cvt_f32_i32_dpp v9, v9 row_shr:4 row_mask:0xf bank_mask:0xf bound_ctrl:1
	;; [unrolled: 4-line block ×3, first 2 shown]
	v_add_f32_e32 v0, v0, v7
	v_cvt_i32_f32_e32 v12, v63
	v_cvt_i32_f32_e32 v8, v3
	v_cvt_f32_i32_dpp v6, v6 row_shr:2 row_mask:0xf bank_mask:0xf bound_ctrl:1
	v_add_f32_e32 v1, v1, v5
	v_cvt_i32_f32_e32 v7, v0
	v_dual_add_f32 v10, v65, v10 :: v_dual_add_f32 v13, v62, v13
	v_cvt_f32_i32_dpp v8, v8 row_shr:2 row_mask:0xf bank_mask:0xf bound_ctrl:1
	v_add_f32_e32 v4, v4, v9
	s_delay_alu instid0(VALU_DEP_4)
	v_cvt_f32_i32_dpp v7, v7 row_shr:2 row_mask:0xf bank_mask:0xf bound_ctrl:1
	v_add_f32_e32 v2, v2, v6
	v_cvt_i32_f32_e32 v14, v61
	v_add_f32_e32 v3, v3, v8
	v_cvt_i32_f32_e32 v9, v4
	;; [unrolled: 2-line block ×3, first 2 shown]
	v_cvt_i32_f32_e32 v6, v2
	v_cvt_f32_i32_dpp v12, v12 row_shr:8 row_mask:0xf bank_mask:0xf bound_ctrl:1
	v_cvt_f32_i32_dpp v9, v9 row_shr:2 row_mask:0xf bank_mask:0xf bound_ctrl:1
	v_add_f32_e32 v11, v64, v11
	v_cvt_f32_i32_dpp v0, v0 row_shr:1 row_mask:0xf bank_mask:0xf bound_ctrl:1
	v_cvt_f32_i32_dpp v6, v6 row_shr:1 row_mask:0xf bank_mask:0xf bound_ctrl:1
	v_cvt_i32_f32_e32 v18, v13
	v_add_f32_e32 v4, v4, v9
	v_cvt_i32_f32_e32 v16, v11
	s_delay_alu instid0(VALU_DEP_4) | instskip(SKIP_1) | instid1(VALU_DEP_4)
	v_dual_add_f32 v0, v1, v0 :: v_dual_add_f32 v1, v2, v6
	v_cvt_f32_i32_dpp v14, v14 row_shr:8 row_mask:0xf bank_mask:0xf bound_ctrl:1
	v_cvt_i32_f32_e32 v9, v4
	s_delay_alu instid0(VALU_DEP_4)
	v_cvt_f32_i32_dpp v16, v16 row_shr:4 row_mask:0xf bank_mask:0xf bound_ctrl:1
	v_cvt_f32_i32_dpp v18, v18 row_shr:4 row_mask:0xf bank_mask:0xf bound_ctrl:1
	v_add_f32_e32 v12, v63, v12
	v_cvt_i32_f32_e32 v15, v10
	v_cvt_f32_i32_dpp v9, v9 row_shr:1 row_mask:0xf bank_mask:0xf bound_ctrl:1
	v_add_f32_e32 v11, v11, v16
	v_add_f32_e32 v13, v13, v18
	v_cvt_i32_f32_e32 v17, v12
	v_cvt_f32_i32_dpp v15, v15 row_shr:4 row_mask:0xf bank_mask:0xf bound_ctrl:1
	v_add_f32_e32 v4, v4, v9
	v_cvt_i32_f32_e32 v16, v11
	v_cvt_i32_f32_e32 v18, v13
	v_cvt_f32_i32_dpp v17, v17 row_shr:4 row_mask:0xf bank_mask:0xf bound_ctrl:1
	v_cvt_i32_f32_e32 v21, v59
	v_cvt_i32_f32_e32 v23, v57
	v_cvt_f32_i32_dpp v16, v16 row_shr:2 row_mask:0xf bank_mask:0xf bound_ctrl:1
	v_add_f32_e32 v14, v61, v14
	v_cvt_f32_i32_dpp v18, v18 row_shr:2 row_mask:0xf bank_mask:0xf bound_ctrl:1
	v_add_f32_e32 v10, v10, v15
	;; [unrolled: 2-line block ×3, first 2 shown]
	v_cvt_i32_f32_e32 v19, v14
	v_add_f32_e32 v13, v13, v18
	v_cvt_i32_f32_e32 v15, v10
	v_cvt_f32_i32_dpp v23, v23 row_shr:8 row_mask:0xf bank_mask:0xf bound_ctrl:1
	v_cvt_i32_f32_e32 v16, v11
	v_cvt_f32_i32_dpp v19, v19 row_shr:4 row_mask:0xf bank_mask:0xf bound_ctrl:1
	;; [unrolled: 2-line block ×3, first 2 shown]
	v_add_f32_e32 v21, v59, v21
	v_cvt_f32_i32_dpp v16, v16 row_shr:1 row_mask:0xf bank_mask:0xf bound_ctrl:1
	v_add_f32_e32 v12, v12, v17
	v_cvt_f32_i32_dpp v18, v18 row_shr:1 row_mask:0xf bank_mask:0xf bound_ctrl:1
	v_add_f32_e32 v14, v14, v19
	s_delay_alu instid0(VALU_DEP_4) | instskip(NEXT) | instid1(VALU_DEP_4)
	v_dual_add_f32 v10, v10, v15 :: v_dual_add_f32 v11, v11, v16
	v_cvt_i32_f32_e32 v17, v12
	s_delay_alu instid0(VALU_DEP_4) | instskip(NEXT) | instid1(VALU_DEP_4)
	v_add_f32_e32 v13, v13, v18
	v_cvt_i32_f32_e32 v19, v14
	s_delay_alu instid0(VALU_DEP_4)
	v_cvt_i32_f32_e32 v15, v10
	v_cvt_i32_f32_e32 v26, v21
	v_cvt_f32_i32_dpp v17, v17 row_shr:2 row_mask:0xf bank_mask:0xf bound_ctrl:1
	v_cvt_i32_f32_e32 v36, v52
	v_cvt_f32_i32_dpp v19, v19 row_shr:2 row_mask:0xf bank_mask:0xf bound_ctrl:1
	v_add_f32_e32 v23, v57, v23
	v_cvt_f32_i32_dpp v15, v15 row_shr:1 row_mask:0xf bank_mask:0xf bound_ctrl:1
	v_add_f32_e32 v12, v12, v17
	v_cvt_f32_i32_dpp v26, v26 row_shr:4 row_mask:0xf bank_mask:0xf bound_ctrl:1
	v_cvt_f32_i32_dpp v36, v36 row_shr:8 row_mask:0xf bank_mask:0xf bound_ctrl:1
	v_cvt_i32_f32_e32 v28, v23
	v_add_f32_e32 v14, v14, v19
	v_cvt_i32_f32_e32 v17, v12
	s_delay_alu instid0(VALU_DEP_4) | instskip(NEXT) | instid1(VALU_DEP_4)
	v_dual_add_f32 v21, v21, v26 :: v_dual_add_f32 v36, v52, v36
	v_cvt_f32_i32_dpp v28, v28 row_shr:4 row_mask:0xf bank_mask:0xf bound_ctrl:1
	v_add_f32_e32 v10, v10, v15
	v_cvt_i32_f32_e32 v19, v14
	s_delay_alu instid0(VALU_DEP_4)
	v_cvt_i32_f32_e32 v26, v21
	v_cvt_i32_f32_e32 v41, v36
	v_add_f32_e32 v23, v23, v28
	v_cvt_f32_i32_dpp v17, v17 row_shr:1 row_mask:0xf bank_mask:0xf bound_ctrl:1
	v_cvt_f32_i32_dpp v19, v19 row_shr:1 row_mask:0xf bank_mask:0xf bound_ctrl:1
	;; [unrolled: 1-line block ×4, first 2 shown]
	v_cvt_i32_f32_e32 v28, v23
	v_add_f32_e32 v12, v12, v17
	v_cvt_i32_f32_e32 v20, v60
	v_add_f32_e32 v21, v21, v26
	v_cvt_i32_f32_e32 v22, v58
	v_cvt_f32_i32_dpp v28, v28 row_shr:2 row_mask:0xf bank_mask:0xf bound_ctrl:1
	v_add_f32_e32 v14, v14, v19
	v_add_f32_e32 v36, v36, v41
	v_cvt_f32_i32_dpp v20, v20 row_shr:8 row_mask:0xf bank_mask:0xf bound_ctrl:1
	v_cvt_f32_i32_dpp v22, v22 row_shr:8 row_mask:0xf bank_mask:0xf bound_ctrl:1
	v_add_f32_e32 v23, v23, v28
	v_cvt_i32_f32_e32 v26, v21
	v_cvt_i32_f32_e32 v41, v36
	;; [unrolled: 1-line block ×5, first 2 shown]
	v_cvt_f32_i32_dpp v26, v26 row_shr:1 row_mask:0xf bank_mask:0xf bound_ctrl:1
	v_add_f32_e32 v20, v60, v20
	v_cvt_f32_i32_dpp v41, v41 row_shr:2 row_mask:0xf bank_mask:0xf bound_ctrl:1
	v_cvt_i32_f32_e32 v33, v54
	v_cvt_f32_i32_dpp v28, v28 row_shr:1 row_mask:0xf bank_mask:0xf bound_ctrl:1
	v_add_f32_e32 v21, v21, v26
	v_add_f32_e32 v22, v58, v22
	v_cvt_i32_f32_e32 v25, v20
	v_cvt_i32_f32_e32 v35, v53
	v_add_f32_e32 v23, v23, v28
	v_cvt_i32_f32_e32 v37, v51
	v_cvt_i32_f32_e32 v27, v22
	v_add_f32_e32 v36, v36, v41
	v_cvt_f32_i32_dpp v24, v24 row_shr:8 row_mask:0xf bank_mask:0xf bound_ctrl:1
	v_cvt_f32_i32_dpp v25, v25 row_shr:4 row_mask:0xf bank_mask:0xf bound_ctrl:1
	;; [unrolled: 1-line block ×7, first 2 shown]
	v_cvt_i32_f32_e32 v41, v36
	s_delay_alu instid0(VALU_DEP_4) | instskip(NEXT) | instid1(VALU_DEP_4)
	v_dual_add_f32 v24, v56, v24 :: v_dual_add_f32 v33, v54, v33
	v_dual_add_f32 v20, v20, v25 :: v_dual_add_f32 v35, v53, v35
	s_delay_alu instid0(VALU_DEP_4) | instskip(NEXT) | instid1(VALU_DEP_4)
	v_dual_add_f32 v22, v22, v27 :: v_dual_add_f32 v37, v51, v37
	v_cvt_f32_i32_dpp v41, v41 row_shr:1 row_mask:0xf bank_mask:0xf bound_ctrl:1
	v_add_f32_e32 v30, v55, v30
	v_cvt_i32_f32_e32 v29, v24
	v_cvt_i32_f32_e32 v25, v20
	;; [unrolled: 1-line block ×7, first 2 shown]
	v_cvt_f32_i32_dpp v29, v29 row_shr:4 row_mask:0xf bank_mask:0xf bound_ctrl:1
	v_cvt_f32_i32_dpp v25, v25 row_shr:2 row_mask:0xf bank_mask:0xf bound_ctrl:1
	v_cvt_f32_i32_dpp v27, v27 row_shr:2 row_mask:0xf bank_mask:0xf bound_ctrl:1
	v_cvt_f32_i32_dpp v38, v38 row_shr:4 row_mask:0xf bank_mask:0xf bound_ctrl:1
	v_cvt_f32_i32_dpp v39, v39 row_shr:4 row_mask:0xf bank_mask:0xf bound_ctrl:1
	v_cvt_f32_i32_dpp v40, v40 row_shr:4 row_mask:0xf bank_mask:0xf bound_ctrl:1
	v_cvt_f32_i32_dpp v42, v42 row_shr:4 row_mask:0xf bank_mask:0xf bound_ctrl:1
	v_add_f32_e32 v24, v24, v29
	v_add_f32_e32 v20, v20, v25
	;; [unrolled: 1-line block ×7, first 2 shown]
	v_cvt_i32_f32_e32 v29, v24
	v_cvt_i32_f32_e32 v25, v20
	;; [unrolled: 1-line block ×6, first 2 shown]
	v_cvt_f32_i32_dpp v29, v29 row_shr:2 row_mask:0xf bank_mask:0xf bound_ctrl:1
	v_cvt_f32_i32_dpp v25, v25 row_shr:1 row_mask:0xf bank_mask:0xf bound_ctrl:1
	;; [unrolled: 1-line block ×6, first 2 shown]
	v_add_f32_e32 v24, v24, v29
	v_add_f32_e32 v20, v20, v25
	s_delay_alu instid0(VALU_DEP_4)
	v_dual_add_f32 v30, v30, v38 :: v_dual_add_f32 v35, v35, v40
	v_add_f32_e32 v33, v33, v39
	v_add_f32_e32 v40, v37, v42
	v_cvt_i32_f32_e32 v7, v5
	v_cvt_i32_f32_e32 v8, v3
	;; [unrolled: 1-line block ×8, first 2 shown]
	v_cvt_f32_i32_dpp v7, v7 row_shr:1 row_mask:0xf bank_mask:0xf bound_ctrl:1
	v_cvt_f32_i32_dpp v8, v8 row_shr:1 row_mask:0xf bank_mask:0xf bound_ctrl:1
	;; [unrolled: 1-line block ×8, first 2 shown]
	v_dual_add_f32 v2, v5, v7 :: v_dual_add_f32 v3, v3, v8
	v_add_f32_e32 v22, v22, v27
	v_dual_add_f32 v24, v24, v29 :: v_dual_add_f32 v39, v33, v43
	v_dual_add_f32 v38, v30, v37 :: v_dual_add_f32 v37, v35, v44
	v_add_f32_e32 v35, v36, v41
	v_add_f32_e32 v30, v40, v42
	ds_bpermute_b32 v5, v31, v0
	ds_bpermute_b32 v6, v31, v1
	;; [unrolled: 1-line block ×20, first 2 shown]
	s_and_saveexec_b32 s25, s0
	s_cbranch_execz .LBB152_7
; %bb.14:                               ;   in Loop: Header=BB152_8 Depth=1
	s_and_b32 vcc_lo, exec_lo, s17
	s_cbranch_vccz .LBB152_16
; %bb.15:                               ;   in Loop: Header=BB152_8 Depth=1
	v_mul_hi_u32 v33, v32, v50
	v_or_b32_e32 v43, 1, v32
	v_or_b32_e32 v45, 2, v32
	;; [unrolled: 1-line block ×3, first 2 shown]
	v_mov_b32_e32 v62, v34
	s_delay_alu instid0(VALU_DEP_4) | instskip(NEXT) | instid1(VALU_DEP_4)
	v_mul_hi_u32 v44, v43, v50
	v_mul_hi_u32 v46, v45, v50
	v_mul_lo_u32 v33, v33, s8
	v_mul_hi_u32 v52, v51, v50
	v_mov_b32_e32 v64, v34
	v_mov_b32_e32 v66, v34
	;; [unrolled: 1-line block ×4, first 2 shown]
	v_mul_lo_u32 v53, v44, s8
	v_mul_lo_u32 v54, v46, s8
	v_sub_nc_u32_e32 v33, v32, v33
	v_mul_lo_u32 v52, v52, s8
	s_delay_alu instid0(VALU_DEP_2)
	v_subrev_nc_u32_e32 v55, s8, v33
	v_sub_nc_u32_e32 v43, v43, v53
	v_cmp_le_u32_e32 vcc_lo, s8, v33
	v_mov_b32_e32 v44, v34
	v_sub_nc_u32_e32 v45, v45, v54
	v_sub_nc_u32_e32 v51, v51, v52
	v_subrev_nc_u32_e32 v53, s8, v43
	v_cndmask_b32_e32 v33, v33, v55, vcc_lo
	v_cmp_le_u32_e32 vcc_lo, s8, v43
	v_mov_b32_e32 v46, v34
	v_subrev_nc_u32_e32 v54, s8, v45
	v_subrev_nc_u32_e32 v55, s8, v51
	;; [unrolled: 1-line block ×3, first 2 shown]
	v_cndmask_b32_e32 v43, v43, v53, vcc_lo
	v_cmp_le_u32_e32 vcc_lo, s8, v45
	v_mov_b32_e32 v52, v34
	s_delay_alu instid0(VALU_DEP_3) | instskip(SKIP_2) | instid1(VALU_DEP_2)
	v_subrev_nc_u32_e32 v53, s8, v43
	v_cndmask_b32_e32 v45, v45, v54, vcc_lo
	v_cmp_le_u32_e32 vcc_lo, s8, v51
	v_subrev_nc_u32_e32 v54, s8, v45
	v_cndmask_b32_e32 v51, v51, v55, vcc_lo
	v_cmp_le_u32_e32 vcc_lo, s8, v33
	s_delay_alu instid0(VALU_DEP_2) | instskip(SKIP_2) | instid1(VALU_DEP_2)
	v_subrev_nc_u32_e32 v55, s8, v51
	v_cndmask_b32_e32 v33, v33, v56, vcc_lo
	v_cmp_le_u32_e32 vcc_lo, s8, v43
	v_add_nc_u32_e32 v61, s19, v33
	v_cndmask_b32_e32 v43, v43, v53, vcc_lo
	v_cmp_le_u32_e32 vcc_lo, s8, v45
	s_delay_alu instid0(VALU_DEP_3) | instskip(NEXT) | instid1(VALU_DEP_3)
	v_lshlrev_b64 v[61:62], 1, v[61:62]
	v_add_nc_u32_e32 v63, s19, v43
	v_cndmask_b32_e32 v45, v45, v54, vcc_lo
	v_cmp_le_u32_e32 vcc_lo, s8, v51
	v_lshlrev_b64 v[53:54], 1, v[33:34]
	v_add_nc_u32_e32 v75, s20, v43
	v_lshlrev_b64 v[63:64], 1, v[63:64]
	v_lshlrev_b64 v[57:58], 1, v[45:46]
	v_cndmask_b32_e32 v51, v51, v55, vcc_lo
	v_lshlrev_b64 v[55:56], 1, v[43:44]
	v_add_co_u32 v53, vcc_lo, s10, v53
	v_add_co_ci_u32_e32 v54, vcc_lo, s11, v54, vcc_lo
	s_delay_alu instid0(VALU_DEP_4) | instskip(NEXT) | instid1(VALU_DEP_4)
	v_lshlrev_b64 v[59:60], 1, v[51:52]
	v_add_co_u32 v55, vcc_lo, s10, v55
	v_add_co_ci_u32_e32 v56, vcc_lo, s11, v56, vcc_lo
	v_add_co_u32 v57, vcc_lo, s10, v57
	v_add_co_ci_u32_e32 v58, vcc_lo, s11, v58, vcc_lo
	v_add_co_u32 v59, vcc_lo, s10, v59
	v_add_nc_u32_e32 v65, s19, v45
	v_add_co_ci_u32_e32 v60, vcc_lo, s11, v60, vcc_lo
	v_add_co_u32 v67, vcc_lo, s10, v61
	v_add_co_ci_u32_e32 v68, vcc_lo, s11, v62, vcc_lo
	s_delay_alu instid0(VALU_DEP_4) | instskip(SKIP_3) | instid1(VALU_DEP_3)
	v_lshlrev_b64 v[61:62], 1, v[65:66]
	v_add_nc_u32_e32 v65, s19, v51
	v_add_co_u32 v69, vcc_lo, s10, v63
	v_add_co_ci_u32_e32 v70, vcc_lo, s11, v64, vcc_lo
	v_lshlrev_b64 v[63:64], 1, v[65:66]
	v_add_co_u32 v65, vcc_lo, s10, v61
	v_add_co_ci_u32_e32 v66, vcc_lo, s11, v62, vcc_lo
	v_dual_mov_b32 v62, v34 :: v_dual_add_nc_u32 v61, s20, v33
	s_delay_alu instid0(VALU_DEP_4) | instskip(SKIP_1) | instid1(VALU_DEP_3)
	v_add_co_u32 v71, vcc_lo, s10, v63
	v_add_co_ci_u32_e32 v72, vcc_lo, s11, v64, vcc_lo
	v_lshlrev_b64 v[73:74], 1, v[61:62]
	s_clause 0x7
	global_load_u16 v63, v[53:54], off
	global_load_u16 v62, v[55:56], off
	global_load_u16 v61, v[57:58], off
	global_load_u16 v60, v[59:60], off
	global_load_u16 v58, v[67:68], off
	global_load_u16 v56, v[69:70], off
	global_load_u16 v54, v[65:66], off
	global_load_u16 v52, v[71:72], off
	v_dual_mov_b32 v67, v34 :: v_dual_add_nc_u32 v66, s20, v45
	v_lshlrev_b64 v[64:65], 1, v[75:76]
	v_dual_mov_b32 v71, v34 :: v_dual_add_nc_u32 v70, s20, v51
	v_add_co_u32 v68, vcc_lo, s10, v73
	s_delay_alu instid0(VALU_DEP_4)
	v_lshlrev_b64 v[66:67], 1, v[66:67]
	v_add_co_ci_u32_e32 v69, vcc_lo, s11, v74, vcc_lo
	v_add_co_u32 v64, vcc_lo, s10, v64
	v_dual_mov_b32 v73, v34 :: v_dual_add_nc_u32 v72, s21, v33
	v_add_co_ci_u32_e32 v65, vcc_lo, s11, v65, vcc_lo
	v_lshlrev_b64 v[70:71], 1, v[70:71]
	v_add_co_u32 v74, vcc_lo, s10, v66
	v_add_co_ci_u32_e32 v75, vcc_lo, s11, v67, vcc_lo
	v_lshlrev_b64 v[66:67], 1, v[72:73]
	v_add_nc_u32_e32 v72, s21, v43
	v_add_co_u32 v70, vcc_lo, s10, v70
	v_add_nc_u32_e32 v76, s21, v45
	v_add_co_ci_u32_e32 v71, vcc_lo, s11, v71, vcc_lo
	s_delay_alu instid0(VALU_DEP_4)
	v_lshlrev_b64 v[72:73], 1, v[72:73]
	v_add_co_u32 v78, vcc_lo, s10, v66
	v_add_co_ci_u32_e32 v79, vcc_lo, s11, v67, vcc_lo
	v_lshlrev_b64 v[66:67], 1, v[76:77]
	v_add_nc_u32_e32 v76, s21, v51
	v_add_co_u32 v72, vcc_lo, s10, v72
	v_add_nc_u32_e32 v33, s24, v33
	v_add_co_ci_u32_e32 v73, vcc_lo, s11, v73, vcc_lo
	s_delay_alu instid0(VALU_DEP_4)
	v_lshlrev_b64 v[76:77], 1, v[76:77]
	v_add_co_u32 v80, vcc_lo, s10, v66
	v_add_co_ci_u32_e32 v81, vcc_lo, s11, v67, vcc_lo
	v_lshlrev_b64 v[66:67], 1, v[33:34]
	v_add_nc_u32_e32 v33, s24, v43
	v_add_co_u32 v43, vcc_lo, s10, v76
	v_add_co_ci_u32_e32 v44, vcc_lo, s11, v77, vcc_lo
	s_delay_alu instid0(VALU_DEP_3) | instskip(SKIP_3) | instid1(VALU_DEP_3)
	v_lshlrev_b64 v[76:77], 1, v[33:34]
	v_add_nc_u32_e32 v33, s24, v45
	v_add_co_u32 v45, vcc_lo, s10, v66
	v_add_co_ci_u32_e32 v46, vcc_lo, s11, v67, vcc_lo
	v_lshlrev_b64 v[66:67], 1, v[33:34]
	v_add_nc_u32_e32 v33, s24, v51
	v_add_co_u32 v76, vcc_lo, s10, v76
	v_add_co_ci_u32_e32 v77, vcc_lo, s11, v77, vcc_lo
	s_delay_alu instid0(VALU_DEP_3) | instskip(SKIP_3) | instid1(VALU_DEP_4)
	v_lshlrev_b64 v[82:83], 1, v[33:34]
	v_mov_b32_e32 v33, v34
	v_add_co_u32 v84, vcc_lo, s10, v66
	v_add_co_ci_u32_e32 v85, vcc_lo, s11, v67, vcc_lo
	v_add_co_u32 v82, vcc_lo, s10, v82
	v_add_co_ci_u32_e32 v83, vcc_lo, s11, v83, vcc_lo
	s_clause 0xb
	global_load_u16 v66, v[68:69], off
	global_load_u16 v65, v[64:65], off
	global_load_u16 v64, v[74:75], off
	global_load_u16 v59, v[70:71], off
	global_load_u16 v57, v[78:79], off
	global_load_u16 v55, v[72:73], off
	global_load_u16 v53, v[80:81], off
	global_load_u16 v51, v[43:44], off
	global_load_u16 v46, v[45:46], off
	global_load_u16 v45, v[76:77], off
	global_load_u16 v44, v[84:85], off
	global_load_u16 v43, v[82:83], off
	s_cbranch_execnz .LBB152_6
	s_branch .LBB152_17
.LBB152_16:                             ;   in Loop: Header=BB152_8 Depth=1
                                        ; implicit-def: $vgpr43
                                        ; implicit-def: $vgpr44
                                        ; implicit-def: $vgpr45
                                        ; implicit-def: $vgpr46
                                        ; implicit-def: $vgpr51
                                        ; implicit-def: $vgpr53
                                        ; implicit-def: $vgpr55
                                        ; implicit-def: $vgpr57
                                        ; implicit-def: $vgpr59
                                        ; implicit-def: $vgpr64
                                        ; implicit-def: $vgpr65
                                        ; implicit-def: $vgpr66
                                        ; implicit-def: $vgpr52
                                        ; implicit-def: $vgpr54
                                        ; implicit-def: $vgpr56
                                        ; implicit-def: $vgpr58
                                        ; implicit-def: $vgpr60
                                        ; implicit-def: $vgpr61
                                        ; implicit-def: $vgpr62
                                        ; implicit-def: $vgpr63
.LBB152_17:                             ;   in Loop: Header=BB152_8 Depth=1
	s_waitcnt vmcnt(18)
	v_dual_mov_b32 v33, v34 :: v_dual_mov_b32 v62, 0
	s_waitcnt vmcnt(16)
	v_dual_mov_b32 v63, 0 :: v_dual_mov_b32 v60, 0
	;; [unrolled: 2-line block ×10, first 2 shown]
	s_waitcnt vmcnt(0)
	v_mov_b32_e32 v43, 0
	s_branch .LBB152_6
.LBB152_18:
	s_nop 0
	s_sendmsg sendmsg(MSG_DEALLOC_VGPRS)
	s_endpgm
	.section	.rodata,"a",@progbits
	.p2align	6, 0x0
	.amdhsa_kernel _Z16wvSplitK_hf_sml_I6__halfLi64ELi4ELi16ELi8ELi1ELi5EEviiiiiiPKT_S3_S3_PS1_ii
		.amdhsa_group_segment_fixed_size 65536
		.amdhsa_private_segment_fixed_size 0
		.amdhsa_kernarg_size 64
		.amdhsa_user_sgpr_count 15
		.amdhsa_user_sgpr_dispatch_ptr 0
		.amdhsa_user_sgpr_queue_ptr 0
		.amdhsa_user_sgpr_kernarg_segment_ptr 1
		.amdhsa_user_sgpr_dispatch_id 0
		.amdhsa_user_sgpr_private_segment_size 0
		.amdhsa_wavefront_size32 1
		.amdhsa_uses_dynamic_stack 0
		.amdhsa_enable_private_segment 0
		.amdhsa_system_sgpr_workgroup_id_x 1
		.amdhsa_system_sgpr_workgroup_id_y 0
		.amdhsa_system_sgpr_workgroup_id_z 0
		.amdhsa_system_sgpr_workgroup_info 0
		.amdhsa_system_vgpr_workitem_id 1
		.amdhsa_next_free_vgpr 86
		.amdhsa_next_free_sgpr 27
		.amdhsa_reserve_vcc 1
		.amdhsa_float_round_mode_32 0
		.amdhsa_float_round_mode_16_64 0
		.amdhsa_float_denorm_mode_32 3
		.amdhsa_float_denorm_mode_16_64 3
		.amdhsa_dx10_clamp 1
		.amdhsa_ieee_mode 1
		.amdhsa_fp16_overflow 0
		.amdhsa_workgroup_processor_mode 1
		.amdhsa_memory_ordered 1
		.amdhsa_forward_progress 0
		.amdhsa_shared_vgpr_count 0
		.amdhsa_exception_fp_ieee_invalid_op 0
		.amdhsa_exception_fp_denorm_src 0
		.amdhsa_exception_fp_ieee_div_zero 0
		.amdhsa_exception_fp_ieee_overflow 0
		.amdhsa_exception_fp_ieee_underflow 0
		.amdhsa_exception_fp_ieee_inexact 0
		.amdhsa_exception_int_div_zero 0
	.end_amdhsa_kernel
	.section	.text._Z16wvSplitK_hf_sml_I6__halfLi64ELi4ELi16ELi8ELi1ELi5EEviiiiiiPKT_S3_S3_PS1_ii,"axG",@progbits,_Z16wvSplitK_hf_sml_I6__halfLi64ELi4ELi16ELi8ELi1ELi5EEviiiiiiPKT_S3_S3_PS1_ii,comdat
.Lfunc_end152:
	.size	_Z16wvSplitK_hf_sml_I6__halfLi64ELi4ELi16ELi8ELi1ELi5EEviiiiiiPKT_S3_S3_PS1_ii, .Lfunc_end152-_Z16wvSplitK_hf_sml_I6__halfLi64ELi4ELi16ELi8ELi1ELi5EEviiiiiiPKT_S3_S3_PS1_ii
                                        ; -- End function
	.section	.AMDGPU.csdata,"",@progbits
; Kernel info:
; codeLenInByte = 6444
; NumSgprs: 29
; NumVgprs: 86
; ScratchSize: 0
; MemoryBound: 0
; FloatMode: 240
; IeeeMode: 1
; LDSByteSize: 65536 bytes/workgroup (compile time only)
; SGPRBlocks: 3
; VGPRBlocks: 10
; NumSGPRsForWavesPerEU: 29
; NumVGPRsForWavesPerEU: 86
; Occupancy: 16
; WaveLimiterHint : 0
; COMPUTE_PGM_RSRC2:SCRATCH_EN: 0
; COMPUTE_PGM_RSRC2:USER_SGPR: 15
; COMPUTE_PGM_RSRC2:TRAP_HANDLER: 0
; COMPUTE_PGM_RSRC2:TGID_X_EN: 1
; COMPUTE_PGM_RSRC2:TGID_Y_EN: 0
; COMPUTE_PGM_RSRC2:TGID_Z_EN: 0
; COMPUTE_PGM_RSRC2:TIDIG_COMP_CNT: 1
	.section	.text._Z12wvSplitK_hf_I6__halfLi64ELi4ELi16ELi8ELi1ELi5EEviiiiiiPKT_S3_S3_PS1_ii,"axG",@progbits,_Z12wvSplitK_hf_I6__halfLi64ELi4ELi16ELi8ELi1ELi5EEviiiiiiPKT_S3_S3_PS1_ii,comdat
	.protected	_Z12wvSplitK_hf_I6__halfLi64ELi4ELi16ELi8ELi1ELi5EEviiiiiiPKT_S3_S3_PS1_ii ; -- Begin function _Z12wvSplitK_hf_I6__halfLi64ELi4ELi16ELi8ELi1ELi5EEviiiiiiPKT_S3_S3_PS1_ii
	.globl	_Z12wvSplitK_hf_I6__halfLi64ELi4ELi16ELi8ELi1ELi5EEviiiiiiPKT_S3_S3_PS1_ii
	.p2align	8
	.type	_Z12wvSplitK_hf_I6__halfLi64ELi4ELi16ELi8ELi1ELi5EEviiiiiiPKT_S3_S3_PS1_ii,@function
_Z12wvSplitK_hf_I6__halfLi64ELi4ELi16ELi8ELi1ELi5EEviiiiiiPKT_S3_S3_PS1_ii: ; @_Z12wvSplitK_hf_I6__halfLi64ELi4ELi16ELi8ELi1ELi5EEviiiiiiPKT_S3_S3_PS1_ii
; %bb.0:
	s_clause 0x1
	s_load_b64 s[18:19], s[0:1], 0x38
	s_load_b128 s[8:11], s[0:1], 0x0
	v_bfe_u32 v7, v0, 10, 10
	s_clause 0x1
	s_load_b64 s[12:13], s[0:1], 0x20
	s_load_b64 s[16:17], s[0:1], 0x10
	s_mov_b32 s4, 1
	s_delay_alu instid0(SALU_CYCLE_1) | instskip(SKIP_4) | instid1(SALU_CYCLE_1)
	s_mov_b32 s5, s4
	s_mov_b32 s6, s4
	;; [unrolled: 1-line block ×3, first 2 shown]
	s_waitcnt lgkmcnt(0)
	s_mul_i32 s15, s15, s18
	v_add_lshl_u32 v41, s15, v7, 2
	s_delay_alu instid0(VALU_DEP_1) | instskip(SKIP_1) | instid1(VALU_DEP_2)
	v_add_nc_u32_e32 v1, 4, v41
	v_cmp_gt_u32_e32 vcc_lo, s11, v41
	v_cmp_le_u32_e64 s2, s11, v1
	v_dual_mov_b32 v1, s4 :: v_dual_mov_b32 v4, s7
	v_dual_mov_b32 v2, s5 :: v_dual_mov_b32 v3, s6
	s_delay_alu instid0(VALU_DEP_3) | instskip(NEXT) | instid1(SALU_CYCLE_1)
	s_and_b32 s2, vcc_lo, s2
	s_and_saveexec_b32 s14, s2
	s_cbranch_execz .LBB153_6
; %bb.1:
	v_dual_mov_b32 v1, s4 :: v_dual_mov_b32 v2, s5
	v_dual_mov_b32 v3, s6 :: v_dual_mov_b32 v4, s7
	s_add_i32 s15, s11, -4
	s_mov_b32 s20, exec_lo
	v_cmpx_ne_u32_e64 s15, v41
	s_cbranch_execz .LBB153_5
; %bb.2:
	v_subrev_nc_u32_e32 v1, s15, v41
	s_mov_b32 s21, 0
	s_mov_b64 s[2:3], 0
	s_mov_b32 s5, s4
	s_mov_b32 s6, s4
	v_cmp_lt_u32_e32 vcc_lo, 1, v1
	s_mov_b32 s7, s4
	v_cndmask_b32_e32 v5, 1, v1, vcc_lo
	.p2align	6
.LBB153_3:                              ; =>This Inner Loop Header: Depth=1
	s_cmp_lg_u32 s2, 3
	s_cselect_b32 s7, s7, 0
	s_cmp_lg_u32 s2, 2
	s_cselect_b32 s6, s6, 0
	;; [unrolled: 2-line block ×4, first 2 shown]
	s_add_u32 s2, s2, 1
	v_dual_mov_b32 v1, s4 :: v_dual_mov_b32 v2, s5
	v_cmp_eq_u32_e32 vcc_lo, s2, v5
	v_dual_mov_b32 v3, s6 :: v_dual_mov_b32 v4, s7
	s_addc_u32 s3, s3, 0
	s_or_b32 s21, vcc_lo, s21
	s_delay_alu instid0(SALU_CYCLE_1)
	s_and_not1_b32 exec_lo, exec_lo, s21
	s_cbranch_execnz .LBB153_3
; %bb.4:
	s_or_b32 exec_lo, exec_lo, s21
	v_mov_b32_e32 v41, s15
.LBB153_5:
	s_or_b32 exec_lo, exec_lo, s20
.LBB153_6:
	s_delay_alu instid0(SALU_CYCLE_1)
	s_or_b32 exec_lo, exec_lo, s14
	s_load_b64 s[6:7], s[0:1], 0x28
	v_and_b32_e32 v8, 0x3ff, v0
	s_mul_i32 s2, s10, 5
	s_mov_b32 s4, exec_lo
	s_min_u32 s3, s2, 0x8000
	s_delay_alu instid0(VALU_DEP_1) | instskip(NEXT) | instid1(VALU_DEP_1)
	v_lshlrev_b32_e32 v0, 3, v8
	v_lshl_add_u32 v9, v7, 9, v0
	s_delay_alu instid0(VALU_DEP_1)
	v_cmpx_gt_u32_e64 s3, v9
	s_cbranch_execz .LBB153_9
; %bb.7:
	v_lshlrev_b32_e32 v10, 10, v7
	v_lshlrev_b32_e32 v11, 4, v8
	s_mov_b32 s5, 0
	s_delay_alu instid0(VALU_DEP_1) | instskip(NEXT) | instid1(VALU_DEP_1)
	v_add_co_u32 v5, s2, v10, v11
	v_add_co_ci_u32_e64 v6, null, 0, 0, s2
	v_add_nc_u32_e32 v10, v10, v11
	s_delay_alu instid0(VALU_DEP_3) | instskip(NEXT) | instid1(VALU_DEP_3)
	v_add_co_u32 v5, vcc_lo, s12, v5
	v_add_co_ci_u32_e32 v6, vcc_lo, s13, v6, vcc_lo
	.p2align	6
.LBB153_8:                              ; =>This Inner Loop Header: Depth=1
	global_load_b128 v[11:14], v[5:6], off
	v_add_nc_u32_e32 v9, 0x2000, v9
	v_add_co_u32 v5, vcc_lo, 0x4000, v5
	v_add_co_ci_u32_e32 v6, vcc_lo, 0, v6, vcc_lo
	s_delay_alu instid0(VALU_DEP_3) | instskip(NEXT) | instid1(VALU_DEP_1)
	v_cmp_le_u32_e64 s2, s3, v9
	s_or_b32 s5, s2, s5
	s_waitcnt vmcnt(0)
	ds_store_b128 v10, v[11:14]
	v_add_nc_u32_e32 v10, 0x4000, v10
	s_and_not1_b32 exec_lo, exec_lo, s5
	s_cbranch_execnz .LBB153_8
.LBB153_9:
	s_or_b32 exec_lo, exec_lo, s4
	v_cmp_gt_u32_e32 vcc_lo, s18, v7
	v_cmp_gt_u32_e64 s2, s11, v41
	s_waitcnt lgkmcnt(0)
	s_barrier
	buffer_gl0_inv
	s_and_b32 s2, vcc_lo, s2
	s_delay_alu instid0(SALU_CYCLE_1)
	s_and_saveexec_b32 s3, s2
	s_cbranch_execz .LBB153_86
; %bb.10:
	s_cmp_lg_u32 s8, 0
	s_mul_i32 s3, s18, s19
	s_cselect_b32 s20, -1, 0
	s_add_i32 s21, s8, -8
	s_add_i32 s22, s11, -1
	s_cmp_lg_u64 s[6:7], 0
	v_cvt_f32_u32_e32 v6, s16
	s_cselect_b32 s23, -1, 0
	s_abs_i32 s2, s17
	s_lshl_b32 s17, s3, 2
	v_cvt_f32_u32_e32 v5, s2
	s_sub_i32 s3, 0, s2
	s_add_i32 s24, s11, -4
	s_sub_i32 s5, 0, s16
	s_sub_i32 s14, 1, s2
	v_rcp_iflag_f32_e32 v5, v5
	v_mad_u64_u32 v[44:45], null, s10, 3, v[0:1]
	v_add_nc_u32_e32 v59, s10, v0
	v_mbcnt_lo_u32_b32 v63, -1, 0
	s_mov_b32 s25, 0
	s_mul_i32 s33, s10, 6
	s_waitcnt_depctr 0xfff
	v_dual_mul_f32 v5, 0x4f7ffffe, v5 :: v_dual_lshlrev_b32 v58, 4, v8
	s_delay_alu instid0(VALU_DEP_1) | instskip(NEXT) | instid1(VALU_DEP_1)
	v_cvt_u32_f32_e32 v5, v5
	v_readfirstlane_b32 s4, v5
	v_rcp_iflag_f32_e32 v5, v6
	s_delay_alu instid0(VALU_DEP_1) | instskip(NEXT) | instid1(SALU_CYCLE_1)
	s_mul_i32 s3, s3, s4
	s_mul_hi_u32 s3, s4, s3
	s_delay_alu instid0(SALU_CYCLE_1)
	s_add_i32 s4, s4, s3
	s_cmp_lt_u32 s2, 2
	s_waitcnt_depctr 0xfff
	v_mul_f32_e32 v5, 0x4f7ffffe, v5
	s_cselect_b32 s3, s14, 1
	s_clause 0x1
	s_load_b64 s[14:15], s[0:1], 0x18
	s_load_b64 s[18:19], s[0:1], 0x30
	s_sub_i32 s0, s3, s2
	s_cmp_ge_u32 s3, s2
	v_cvt_u32_f32_e32 v5, v5
	s_cselect_b32 s26, s0, s3
	s_lshr_b32 s0, s4, 31
	s_mul_i32 s26, s26, s16
	s_mul_i32 s0, s0, s2
	v_mul_lo_u32 v6, s5, v5
	s_sub_i32 s1, 2, s0
	v_cmp_eq_u32_e64 s0, 63, v8
	s_sub_i32 s3, s1, s2
	s_cmp_ge_u32 s1, s2
	s_cselect_b32 s1, s3, s1
	s_mul_hi_u32 s3, s4, 3
	s_sub_i32 s5, s1, s2
	s_cmp_ge_u32 s1, s2
	s_mul_i32 s3, s3, s2
	s_cselect_b32 s27, s5, s1
	s_sub_i32 s1, 3, s3
	v_mul_hi_u32 v6, v5, v6
	s_sub_i32 s3, s1, s2
	s_cmp_ge_u32 s1, s2
	v_mov_b32_e32 v43, 0
	s_cselect_b32 s1, s3, s1
	s_mul_i32 s27, s27, s16
	s_sub_i32 s3, s1, s2
	s_cmp_ge_u32 s1, s2
	v_add_nc_u32_e32 v60, v5, v6
	s_cselect_b32 s28, s3, s1
	s_lshr_b32 s1, s4, 30
	s_mul_i32 s28, s28, s16
	s_mul_i32 s1, s1, s2
	s_delay_alu instid0(SALU_CYCLE_1) | instskip(NEXT) | instid1(SALU_CYCLE_1)
	s_sub_i32 s1, 4, s1
	s_sub_i32 s3, s1, s2
	s_cmp_ge_u32 s1, s2
	s_cselect_b32 s1, s3, s1
	s_delay_alu instid0(SALU_CYCLE_1)
	s_sub_i32 s3, s1, s2
	s_cmp_ge_u32 s1, s2
	s_cselect_b32 s31, s3, s1
	s_lshl_b32 s29, s10, 1
	s_lshl_b32 s30, s10, 2
	v_add_nc_u32_e32 v61, s29, v0
	v_add_nc_u32_e32 v62, s30, v0
	s_mul_i32 s31, s31, s16
	s_lshl_b32 s10, s10, 3
	s_branch .LBB153_13
.LBB153_11:                             ;   in Loop: Header=BB153_13 Depth=1
	s_or_b32 exec_lo, exec_lo, s35
	v_mov_b32_e32 v41, s24
.LBB153_12:                             ;   in Loop: Header=BB153_13 Depth=1
	s_or_b32 exec_lo, exec_lo, s34
	s_delay_alu instid0(VALU_DEP_1) | instskip(SKIP_1) | instid1(SALU_CYCLE_1)
	v_cmp_le_u32_e32 vcc_lo, s11, v41
	s_or_b32 s25, vcc_lo, s25
	s_and_not1_b32 exec_lo, exec_lo, s25
	s_cbranch_execz .LBB153_86
.LBB153_13:                             ; =>This Loop Header: Depth=1
                                        ;     Child Loop BB153_17 Depth 2
                                        ;     Child Loop BB153_65 Depth 2
	v_dual_mov_b32 v82, v43 :: v_dual_add_nc_u32 v47, 1, v41
	v_dual_mov_b32 v83, v43 :: v_dual_add_nc_u32 v46, 2, v41
	;; [unrolled: 1-line block ×3, first 2 shown]
	v_mov_b32_e32 v81, v43
	s_waitcnt vmcnt(6)
	v_mov_b32_e32 v64, v43
	v_mov_b32_e32 v65, v43
	;; [unrolled: 1-line block ×16, first 2 shown]
	s_and_not1_b32 vcc_lo, exec_lo, s20
	s_cbranch_vccnz .LBB153_38
; %bb.14:                               ;   in Loop: Header=BB153_13 Depth=1
	v_min_u32_e32 v5, s22, v41
	v_min_u32_e32 v6, s22, v47
	;; [unrolled: 1-line block ×4, first 2 shown]
	s_waitcnt lgkmcnt(0)
	v_dual_mov_b32 v10, v43 :: v_dual_mov_b32 v75, 0
	v_mul_lo_u32 v42, v5, s9
	v_mul_lo_u32 v5, v6, s9
	;; [unrolled: 1-line block ×4, first 2 shown]
	v_dual_mov_b32 v6, v43 :: v_dual_mov_b32 v79, 0
	v_dual_mov_b32 v8, v43 :: v_dual_mov_b32 v77, 0
	v_lshlrev_b64 v[48:49], 1, v[42:43]
	s_delay_alu instid0(VALU_DEP_3)
	v_lshlrev_b64 v[50:51], 1, v[5:6]
	v_dual_mov_b32 v84, v58 :: v_dual_mov_b32 v73, 0
	s_waitcnt vmcnt(0)
	v_lshlrev_b64 v[52:53], 1, v[7:8]
	v_lshlrev_b64 v[54:55], 1, v[9:10]
	v_dual_mov_b32 v78, 0 :: v_dual_mov_b32 v71, 0
	v_dual_mov_b32 v76, 0 :: v_dual_mov_b32 v69, 0
	;; [unrolled: 1-line block ×6, first 2 shown]
	v_mov_b32_e32 v66, 0
	v_mov_b32_e32 v64, 0
	;; [unrolled: 1-line block ×4, first 2 shown]
	s_mov_b32 s1, 0
	s_branch .LBB153_17
.LBB153_15:                             ;   in Loop: Header=BB153_17 Depth=2
	s_or_b32 exec_lo, exec_lo, s3
.LBB153_16:                             ;   in Loop: Header=BB153_17 Depth=2
	s_delay_alu instid0(SALU_CYCLE_1)
	s_or_b32 exec_lo, exec_lo, s2
	v_add_nc_u32_e32 v84, 0x400, v84
	s_addk_i32 s1, 0x200
	s_waitcnt vmcnt(0) lgkmcnt(0)
	;;#ASMSTART
	v_dot2_f32_f16 v83, v21, v17, v83
	;;#ASMEND
	;;#ASMSTART
	v_dot2_f32_f16 v82, v21, v13, v82
	;;#ASMEND
	;; [unrolled: 3-line block ×40, first 2 shown]
	s_cmp_ge_u32 s1, s8
	;;#ASMSTART
	v_dot2_f32_f16 v83, v23, v19, v83
	;;#ASMEND
	;;#ASMSTART
	v_dot2_f32_f16 v82, v23, v15, v82
	;;#ASMEND
	;; [unrolled: 3-line block ×40, first 2 shown]
	s_cbranch_scc1 .LBB153_38
.LBB153_17:                             ;   Parent Loop BB153_13 Depth=1
                                        ; =>  This Inner Loop Header: Depth=2
	v_dual_mov_b32 v39, 0 :: v_dual_add_nc_u32 v56, s1, v0
	v_dual_mov_b32 v40, 0 :: v_dual_mov_b32 v37, 0
	v_dual_mov_b32 v38, 0 :: v_dual_mov_b32 v35, 0
	s_delay_alu instid0(VALU_DEP_3) | instskip(SKIP_2) | instid1(VALU_DEP_3)
	v_min_u32_e32 v42, s21, v56
	v_dual_mov_b32 v36, 0 :: v_dual_mov_b32 v33, 0
	v_dual_mov_b32 v34, 0 :: v_dual_mov_b32 v31, 0
	v_lshlrev_b64 v[5:6], 1, v[42:43]
	v_dual_mov_b32 v32, 0 :: v_dual_mov_b32 v29, 0
	v_dual_mov_b32 v30, 0 :: v_dual_mov_b32 v27, 0
	;; [unrolled: 1-line block ×3, first 2 shown]
	s_waitcnt lgkmcnt(0)
	s_delay_alu instid0(VALU_DEP_4) | instskip(SKIP_2) | instid1(VALU_DEP_3)
	v_add_co_u32 v11, vcc_lo, s14, v5
	v_add_co_ci_u32_e32 v12, vcc_lo, s15, v6, vcc_lo
	v_dual_mov_b32 v26, 0 :: v_dual_mov_b32 v23, 0
	v_add_co_u32 v5, vcc_lo, v11, v48
	s_delay_alu instid0(VALU_DEP_3)
	v_add_co_ci_u32_e32 v6, vcc_lo, v12, v49, vcc_lo
	v_add_co_u32 v7, vcc_lo, v11, v50
	v_add_co_ci_u32_e32 v8, vcc_lo, v12, v51, vcc_lo
	v_add_co_u32 v9, vcc_lo, v11, v52
	;; [unrolled: 2-line block ×3, first 2 shown]
	v_add_co_ci_u32_e32 v22, vcc_lo, v12, v55, vcc_lo
	s_clause 0x3
	global_load_b128 v[17:20], v[5:6], off slc dlc
	global_load_b128 v[13:16], v[7:8], off slc dlc
	;; [unrolled: 1-line block ×4, first 2 shown]
	v_cmp_gt_u32_e32 vcc_lo, s8, v56
	v_dual_mov_b32 v24, 0 :: v_dual_mov_b32 v21, 0
	v_mov_b32_e32 v22, 0
	s_and_saveexec_b32 s2, vcc_lo
	s_cbranch_execz .LBB153_16
; %bb.18:                               ;   in Loop: Header=BB153_17 Depth=2
	s_mov_b32 s3, exec_lo
                                        ; implicit-def: $vgpr24
	v_cmpx_lt_u32_e32 0x7fff, v56
	s_xor_b32 s3, exec_lo, s3
	s_cbranch_execz .LBB153_20
; %bb.19:                               ;   in Loop: Header=BB153_17 Depth=2
	v_mov_b32_e32 v57, v43
	s_delay_alu instid0(VALU_DEP_1) | instskip(NEXT) | instid1(VALU_DEP_1)
	v_lshlrev_b64 v[21:22], 1, v[56:57]
	v_add_co_u32 v21, vcc_lo, s12, v21
	s_delay_alu instid0(VALU_DEP_2)
	v_add_co_ci_u32_e32 v22, vcc_lo, s13, v22, vcc_lo
	global_load_b128 v[21:24], v[21:22], off
.LBB153_20:                             ;   in Loop: Header=BB153_17 Depth=2
	s_and_not1_saveexec_b32 s3, s3
	s_cbranch_execz .LBB153_22
; %bb.21:                               ;   in Loop: Header=BB153_17 Depth=2
	s_waitcnt vmcnt(0)
	ds_load_b128 v[21:24], v84
.LBB153_22:                             ;   in Loop: Header=BB153_17 Depth=2
	s_or_b32 exec_lo, exec_lo, s3
	v_add_nc_u32_e32 v42, s1, v59
	s_mov_b32 s3, exec_lo
                                        ; implicit-def: $vgpr28
	s_delay_alu instid0(VALU_DEP_1)
	v_cmpx_lt_u32_e32 0x7fff, v42
	s_xor_b32 s3, exec_lo, s3
	s_cbranch_execz .LBB153_24
; %bb.23:                               ;   in Loop: Header=BB153_17 Depth=2
	v_lshlrev_b64 v[25:26], 1, v[42:43]
	s_delay_alu instid0(VALU_DEP_1) | instskip(NEXT) | instid1(VALU_DEP_2)
	v_add_co_u32 v25, vcc_lo, s12, v25
	v_add_co_ci_u32_e32 v26, vcc_lo, s13, v26, vcc_lo
	global_load_b128 v[25:28], v[25:26], off
.LBB153_24:                             ;   in Loop: Header=BB153_17 Depth=2
	s_and_not1_saveexec_b32 s3, s3
	s_cbranch_execz .LBB153_26
; %bb.25:                               ;   in Loop: Header=BB153_17 Depth=2
	s_waitcnt vmcnt(0)
	v_add_nc_u32_e32 v25, s29, v84
	ds_load_b128 v[25:28], v25
.LBB153_26:                             ;   in Loop: Header=BB153_17 Depth=2
	s_or_b32 exec_lo, exec_lo, s3
	v_add_nc_u32_e32 v42, s1, v61
	s_mov_b32 s3, exec_lo
                                        ; implicit-def: $vgpr32
	s_delay_alu instid0(VALU_DEP_1)
	v_cmpx_lt_u32_e32 0x7fff, v42
	s_xor_b32 s3, exec_lo, s3
	s_cbranch_execz .LBB153_28
; %bb.27:                               ;   in Loop: Header=BB153_17 Depth=2
	v_lshlrev_b64 v[29:30], 1, v[42:43]
	s_delay_alu instid0(VALU_DEP_1) | instskip(NEXT) | instid1(VALU_DEP_2)
	v_add_co_u32 v29, vcc_lo, s12, v29
	v_add_co_ci_u32_e32 v30, vcc_lo, s13, v30, vcc_lo
	global_load_b128 v[29:32], v[29:30], off
.LBB153_28:                             ;   in Loop: Header=BB153_17 Depth=2
	s_and_not1_saveexec_b32 s3, s3
	s_cbranch_execz .LBB153_30
; %bb.29:                               ;   in Loop: Header=BB153_17 Depth=2
	s_waitcnt vmcnt(0)
	v_add_nc_u32_e32 v31, s30, v84
	ds_load_2addr_b32 v[29:30], v31 offset1:1
	ds_load_2addr_b32 v[31:32], v31 offset0:2 offset1:3
.LBB153_30:                             ;   in Loop: Header=BB153_17 Depth=2
	s_or_b32 exec_lo, exec_lo, s3
	v_add_nc_u32_e32 v42, s1, v44
	s_mov_b32 s3, exec_lo
                                        ; implicit-def: $vgpr36
	s_delay_alu instid0(VALU_DEP_1)
	v_cmpx_lt_u32_e32 0x7fff, v42
	s_xor_b32 s3, exec_lo, s3
	s_cbranch_execz .LBB153_32
; %bb.31:                               ;   in Loop: Header=BB153_17 Depth=2
	v_lshlrev_b64 v[33:34], 1, v[42:43]
	s_delay_alu instid0(VALU_DEP_1) | instskip(NEXT) | instid1(VALU_DEP_2)
	v_add_co_u32 v33, vcc_lo, s12, v33
	v_add_co_ci_u32_e32 v34, vcc_lo, s13, v34, vcc_lo
	global_load_b128 v[33:36], v[33:34], off
.LBB153_32:                             ;   in Loop: Header=BB153_17 Depth=2
	s_and_not1_saveexec_b32 s3, s3
	s_cbranch_execz .LBB153_34
; %bb.33:                               ;   in Loop: Header=BB153_17 Depth=2
	s_waitcnt vmcnt(0)
	v_add_nc_u32_e32 v33, s33, v84
	ds_load_b128 v[33:36], v33
.LBB153_34:                             ;   in Loop: Header=BB153_17 Depth=2
	s_or_b32 exec_lo, exec_lo, s3
	v_add_nc_u32_e32 v42, s1, v62
	s_mov_b32 s3, exec_lo
                                        ; implicit-def: $vgpr40
	s_delay_alu instid0(VALU_DEP_1)
	v_cmpx_lt_u32_e32 0x7fff, v42
	s_xor_b32 s3, exec_lo, s3
	s_cbranch_execz .LBB153_36
; %bb.35:                               ;   in Loop: Header=BB153_17 Depth=2
	v_lshlrev_b64 v[37:38], 1, v[42:43]
	s_delay_alu instid0(VALU_DEP_1) | instskip(NEXT) | instid1(VALU_DEP_2)
	v_add_co_u32 v37, vcc_lo, s12, v37
	v_add_co_ci_u32_e32 v38, vcc_lo, s13, v38, vcc_lo
	global_load_b128 v[37:40], v[37:38], off
.LBB153_36:                             ;   in Loop: Header=BB153_17 Depth=2
	s_and_not1_saveexec_b32 s3, s3
	s_cbranch_execz .LBB153_15
; %bb.37:                               ;   in Loop: Header=BB153_17 Depth=2
	s_waitcnt vmcnt(0)
	v_add_nc_u32_e32 v37, s10, v84
	ds_load_2addr_b64 v[37:40], v37 offset1:1
	s_branch .LBB153_15
.LBB153_38:                             ;   in Loop: Header=BB153_13 Depth=1
	v_xor_b32_e32 v5, 16, v63
	v_cvt_i32_f32_e32 v6, v83
	v_cvt_i32_f32_e32 v7, v82
	;; [unrolled: 1-line block ×3, first 2 shown]
	s_waitcnt lgkmcnt(0)
	v_cvt_i32_f32_e32 v10, v80
	v_cmp_gt_i32_e32 vcc_lo, 32, v5
	v_cvt_f32_i32_dpp v6, v6 row_shr:8 row_mask:0xf bank_mask:0xf bound_ctrl:1
	v_cvt_i32_f32_e32 v11, v79
	v_cvt_f32_i32_dpp v7, v7 row_shr:8 row_mask:0xf bank_mask:0xf bound_ctrl:1
	v_cvt_i32_f32_e32 v26, v64
	v_cndmask_b32_e32 v5, v63, v5, vcc_lo
	v_add_f32_e32 v6, v83, v6
	s_delay_alu instid0(VALU_DEP_3) | instskip(NEXT) | instid1(VALU_DEP_3)
	v_cvt_f32_i32_dpp v26, v26 row_shr:8 row_mask:0xf bank_mask:0xf bound_ctrl:1
	v_lshlrev_b32_e32 v9, 2, v5
	v_cvt_f32_i32_dpp v5, v8 row_shr:8 row_mask:0xf bank_mask:0xf bound_ctrl:1
	v_cvt_f32_i32_dpp v8, v10 row_shr:8 row_mask:0xf bank_mask:0xf bound_ctrl:1
	;; [unrolled: 1-line block ×3, first 2 shown]
	v_add_f32_e32 v7, v82, v7
	v_cvt_i32_f32_e32 v11, v6
	v_add_f32_e32 v26, v64, v26
	v_add_f32_e32 v8, v80, v8
	;; [unrolled: 1-line block ×3, first 2 shown]
	v_cvt_i32_f32_e32 v12, v7
	v_cvt_f32_i32_dpp v11, v11 row_shr:4 row_mask:0xf bank_mask:0xf bound_ctrl:1
	v_add_f32_e32 v5, v81, v5
	v_cvt_i32_f32_e32 v14, v8
	v_cvt_i32_f32_e32 v15, v10
	v_cvt_f32_i32_dpp v12, v12 row_shr:4 row_mask:0xf bank_mask:0xf bound_ctrl:1
	v_add_f32_e32 v6, v6, v11
	v_cvt_i32_f32_e32 v13, v5
	v_cvt_f32_i32_dpp v14, v14 row_shr:4 row_mask:0xf bank_mask:0xf bound_ctrl:1
	v_cvt_f32_i32_dpp v15, v15 row_shr:4 row_mask:0xf bank_mask:0xf bound_ctrl:1
	v_add_f32_e32 v7, v7, v12
	v_cvt_i32_f32_e32 v11, v6
	v_cvt_f32_i32_dpp v13, v13 row_shr:4 row_mask:0xf bank_mask:0xf bound_ctrl:1
	v_add_f32_e32 v8, v8, v14
	v_add_f32_e32 v10, v10, v15
	v_cvt_i32_f32_e32 v12, v7
	v_cvt_f32_i32_dpp v11, v11 row_shr:2 row_mask:0xf bank_mask:0xf bound_ctrl:1
	v_add_f32_e32 v5, v5, v13
	v_cvt_i32_f32_e32 v14, v8
	v_cvt_i32_f32_e32 v15, v10
	v_cvt_f32_i32_dpp v12, v12 row_shr:2 row_mask:0xf bank_mask:0xf bound_ctrl:1
	v_add_f32_e32 v6, v6, v11
	v_cvt_i32_f32_e32 v13, v5
	v_cvt_f32_i32_dpp v14, v14 row_shr:2 row_mask:0xf bank_mask:0xf bound_ctrl:1
	v_cvt_f32_i32_dpp v15, v15 row_shr:2 row_mask:0xf bank_mask:0xf bound_ctrl:1
	v_add_f32_e32 v7, v7, v12
	v_cvt_i32_f32_e32 v11, v6
	v_cvt_f32_i32_dpp v13, v13 row_shr:2 row_mask:0xf bank_mask:0xf bound_ctrl:1
	v_add_f32_e32 v8, v8, v14
	v_cvt_i32_f32_e32 v49, v26
	v_cvt_i32_f32_e32 v12, v7
	v_cvt_f32_i32_dpp v11, v11 row_shr:1 row_mask:0xf bank_mask:0xf bound_ctrl:1
	v_add_f32_e32 v5, v5, v13
	v_cvt_i32_f32_e32 v14, v8
	v_cvt_f32_i32_dpp v49, v49 row_shr:4 row_mask:0xf bank_mask:0xf bound_ctrl:1
	v_cvt_f32_i32_dpp v12, v12 row_shr:1 row_mask:0xf bank_mask:0xf bound_ctrl:1
	v_add_f32_e32 v10, v10, v15
	v_cvt_i32_f32_e32 v13, v5
	v_cvt_f32_i32_dpp v14, v14 row_shr:1 row_mask:0xf bank_mask:0xf bound_ctrl:1
	s_delay_alu instid0(VALU_DEP_4) | instskip(NEXT) | instid1(VALU_DEP_4)
	v_dual_add_f32 v26, v26, v49 :: v_dual_add_f32 v31, v7, v12
	v_cvt_i32_f32_e32 v15, v10
	v_cvt_i32_f32_e32 v12, v74
	v_cvt_f32_i32_dpp v13, v13 row_shr:1 row_mask:0xf bank_mask:0xf bound_ctrl:1
	v_cvt_i32_f32_e32 v7, v77
	ds_bpermute_b32 v35, v9, v31
	v_cvt_f32_i32_dpp v16, v15 row_shr:1 row_mask:0xf bank_mask:0xf bound_ctrl:1
	v_cvt_f32_i32_dpp v12, v12 row_shr:8 row_mask:0xf bank_mask:0xf bound_ctrl:1
	v_add_f32_e32 v15, v8, v14
	v_cvt_i32_f32_e32 v8, v76
	v_add_f32_e32 v23, v5, v13
	v_cvt_i32_f32_e32 v5, v78
	v_add_f32_e32 v12, v74, v12
	v_cvt_f32_i32_dpp v7, v7 row_shr:8 row_mask:0xf bank_mask:0xf bound_ctrl:1
	v_cvt_f32_i32_dpp v8, v8 row_shr:8 row_mask:0xf bank_mask:0xf bound_ctrl:1
	v_add_f32_e32 v39, v6, v11
	v_add_f32_e32 v6, v10, v16
	v_cvt_f32_i32_dpp v5, v5 row_shr:8 row_mask:0xf bank_mask:0xf bound_ctrl:1
	v_cvt_i32_f32_e32 v18, v12
	v_add_f32_e32 v8, v76, v8
	v_cvt_i32_f32_e32 v11, v75
	ds_bpermute_b32 v48, v9, v39
	ds_bpermute_b32 v27, v9, v23
	v_cvt_f32_i32_dpp v18, v18 row_shr:4 row_mask:0xf bank_mask:0xf bound_ctrl:1
	v_cvt_i32_f32_e32 v16, v8
	v_add_f32_e32 v7, v77, v7
	v_cvt_f32_i32_dpp v11, v11 row_shr:8 row_mask:0xf bank_mask:0xf bound_ctrl:1
	ds_bpermute_b32 v19, v9, v15
	v_add_f32_e32 v12, v12, v18
	v_cvt_f32_i32_dpp v16, v16 row_shr:4 row_mask:0xf bank_mask:0xf bound_ctrl:1
	v_add_f32_e32 v5, v78, v5
	v_cvt_i32_f32_e32 v14, v7
	ds_bpermute_b32 v10, v9, v6
	v_cvt_i32_f32_e32 v18, v12
	v_add_f32_e32 v8, v8, v16
	v_cvt_i32_f32_e32 v13, v5
	v_cvt_f32_i32_dpp v14, v14 row_shr:4 row_mask:0xf bank_mask:0xf bound_ctrl:1
	v_cvt_i32_f32_e32 v49, v26
	v_cvt_f32_i32_dpp v18, v18 row_shr:2 row_mask:0xf bank_mask:0xf bound_ctrl:1
	;; [unrolled: 2-line block ×3, first 2 shown]
	s_delay_alu instid0(VALU_DEP_4) | instskip(NEXT) | instid1(VALU_DEP_4)
	v_cvt_f32_i32_dpp v49, v49 row_shr:2 row_mask:0xf bank_mask:0xf bound_ctrl:1
	v_add_f32_e32 v12, v12, v18
	s_delay_alu instid0(VALU_DEP_4) | instskip(NEXT) | instid1(VALU_DEP_4)
	v_cvt_f32_i32_dpp v16, v16 row_shr:2 row_mask:0xf bank_mask:0xf bound_ctrl:1
	v_add_f32_e32 v5, v5, v13
	s_delay_alu instid0(VALU_DEP_4) | instskip(NEXT) | instid1(VALU_DEP_4)
	v_dual_add_f32 v11, v75, v11 :: v_dual_add_f32 v26, v26, v49
	v_cvt_i32_f32_e32 v18, v12
	s_delay_alu instid0(VALU_DEP_4) | instskip(NEXT) | instid1(VALU_DEP_4)
	v_add_f32_e32 v8, v8, v16
	v_cvt_i32_f32_e32 v13, v5
	s_delay_alu instid0(VALU_DEP_4)
	v_cvt_i32_f32_e32 v17, v11
	v_cvt_i32_f32_e32 v49, v26
	v_cvt_f32_i32_dpp v18, v18 row_shr:1 row_mask:0xf bank_mask:0xf bound_ctrl:1
	v_cvt_i32_f32_e32 v16, v8
	v_cvt_f32_i32_dpp v13, v13 row_shr:2 row_mask:0xf bank_mask:0xf bound_ctrl:1
	v_cvt_f32_i32_dpp v17, v17 row_shr:4 row_mask:0xf bank_mask:0xf bound_ctrl:1
	;; [unrolled: 1-line block ×3, first 2 shown]
	s_delay_alu instid0(VALU_DEP_4) | instskip(NEXT) | instid1(VALU_DEP_4)
	v_cvt_f32_i32_dpp v16, v16 row_shr:1 row_mask:0xf bank_mask:0xf bound_ctrl:1
	v_add_f32_e32 v5, v5, v13
	s_delay_alu instid0(VALU_DEP_2) | instskip(NEXT) | instid1(VALU_DEP_2)
	v_dual_add_f32 v11, v11, v17 :: v_dual_add_f32 v24, v8, v16
	v_cvt_i32_f32_e32 v13, v5
	v_cvt_i32_f32_e32 v16, v69
	s_delay_alu instid0(VALU_DEP_3)
	v_cvt_i32_f32_e32 v17, v11
	v_add_f32_e32 v8, v12, v18
	ds_bpermute_b32 v28, v9, v24
	v_cvt_f32_i32_dpp v13, v13 row_shr:1 row_mask:0xf bank_mask:0xf bound_ctrl:1
	v_add_f32_e32 v7, v7, v14
	v_cvt_f32_i32_dpp v16, v16 row_shr:8 row_mask:0xf bank_mask:0xf bound_ctrl:1
	v_cvt_f32_i32_dpp v17, v17 row_shr:2 row_mask:0xf bank_mask:0xf bound_ctrl:1
	ds_bpermute_b32 v12, v9, v8
	v_add_f32_e32 v40, v5, v13
	v_cvt_i32_f32_e32 v14, v7
	v_dual_add_f32 v16, v69, v16 :: v_dual_add_f32 v11, v11, v17
	v_cvt_i32_f32_e32 v5, v73
	ds_bpermute_b32 v51, v9, v40
	v_cvt_f32_i32_dpp v14, v14 row_shr:2 row_mask:0xf bank_mask:0xf bound_ctrl:1
	v_cvt_i32_f32_e32 v25, v16
	v_cvt_i32_f32_e32 v17, v11
	v_cvt_f32_i32_dpp v5, v5 row_shr:8 row_mask:0xf bank_mask:0xf bound_ctrl:1
	s_delay_alu instid0(VALU_DEP_4) | instskip(NEXT) | instid1(VALU_DEP_4)
	v_add_f32_e32 v7, v7, v14
	v_cvt_f32_i32_dpp v25, v25 row_shr:4 row_mask:0xf bank_mask:0xf bound_ctrl:1
	s_delay_alu instid0(VALU_DEP_4) | instskip(NEXT) | instid1(VALU_DEP_3)
	v_cvt_f32_i32_dpp v17, v17 row_shr:1 row_mask:0xf bank_mask:0xf bound_ctrl:1
	v_cvt_i32_f32_e32 v14, v7
	s_delay_alu instid0(VALU_DEP_3) | instskip(NEXT) | instid1(VALU_DEP_2)
	v_add_f32_e32 v16, v16, v25
	v_cvt_f32_i32_dpp v14, v14 row_shr:1 row_mask:0xf bank_mask:0xf bound_ctrl:1
	s_delay_alu instid0(VALU_DEP_2) | instskip(NEXT) | instid1(VALU_DEP_2)
	v_cvt_i32_f32_e32 v25, v16
	v_add_f32_e32 v32, v7, v14
	v_cvt_i32_f32_e32 v14, v70
	v_cvt_i32_f32_e32 v7, v72
	s_delay_alu instid0(VALU_DEP_4)
	v_cvt_f32_i32_dpp v25, v25 row_shr:2 row_mask:0xf bank_mask:0xf bound_ctrl:1
	ds_bpermute_b32 v36, v9, v32
	v_cvt_f32_i32_dpp v14, v14 row_shr:8 row_mask:0xf bank_mask:0xf bound_ctrl:1
	v_add_f32_e32 v13, v11, v17
	v_cvt_i32_f32_e32 v11, v71
	v_cvt_f32_i32_dpp v7, v7 row_shr:8 row_mask:0xf bank_mask:0xf bound_ctrl:1
	s_delay_alu instid0(VALU_DEP_4) | instskip(SKIP_3) | instid1(VALU_DEP_2)
	v_add_f32_e32 v14, v70, v14
	ds_bpermute_b32 v17, v9, v13
	v_cvt_f32_i32_dpp v11, v11 row_shr:8 row_mask:0xf bank_mask:0xf bound_ctrl:1
	v_cvt_i32_f32_e32 v22, v14
	v_add_f32_e32 v11, v71, v11
	s_delay_alu instid0(VALU_DEP_2) | instskip(SKIP_1) | instid1(VALU_DEP_3)
	v_cvt_f32_i32_dpp v22, v22 row_shr:4 row_mask:0xf bank_mask:0xf bound_ctrl:1
	v_add_f32_e32 v5, v73, v5
	v_cvt_i32_f32_e32 v21, v11
	s_delay_alu instid0(VALU_DEP_3) | instskip(NEXT) | instid1(VALU_DEP_3)
	v_add_f32_e32 v14, v14, v22
	v_cvt_i32_f32_e32 v18, v5
	s_delay_alu instid0(VALU_DEP_3) | instskip(NEXT) | instid1(VALU_DEP_3)
	v_cvt_f32_i32_dpp v21, v21 row_shr:4 row_mask:0xf bank_mask:0xf bound_ctrl:1
	v_cvt_i32_f32_e32 v22, v14
	s_delay_alu instid0(VALU_DEP_3) | instskip(NEXT) | instid1(VALU_DEP_2)
	v_cvt_f32_i32_dpp v18, v18 row_shr:4 row_mask:0xf bank_mask:0xf bound_ctrl:1
	v_cvt_f32_i32_dpp v22, v22 row_shr:2 row_mask:0xf bank_mask:0xf bound_ctrl:1
	s_delay_alu instid0(VALU_DEP_2) | instskip(NEXT) | instid1(VALU_DEP_2)
	v_add_f32_e32 v5, v5, v18
	v_dual_add_f32 v7, v72, v7 :: v_dual_add_f32 v14, v14, v22
	s_delay_alu instid0(VALU_DEP_2) | instskip(NEXT) | instid1(VALU_DEP_2)
	v_cvt_i32_f32_e32 v18, v5
	v_cvt_i32_f32_e32 v20, v7
	s_delay_alu instid0(VALU_DEP_3) | instskip(NEXT) | instid1(VALU_DEP_3)
	v_cvt_i32_f32_e32 v22, v14
	v_cvt_f32_i32_dpp v18, v18 row_shr:2 row_mask:0xf bank_mask:0xf bound_ctrl:1
	s_delay_alu instid0(VALU_DEP_3) | instskip(NEXT) | instid1(VALU_DEP_3)
	v_cvt_f32_i32_dpp v20, v20 row_shr:4 row_mask:0xf bank_mask:0xf bound_ctrl:1
	v_cvt_f32_i32_dpp v22, v22 row_shr:1 row_mask:0xf bank_mask:0xf bound_ctrl:1
	s_delay_alu instid0(VALU_DEP_3) | instskip(NEXT) | instid1(VALU_DEP_3)
	v_dual_add_f32 v5, v5, v18 :: v_dual_add_f32 v18, v16, v25
	v_add_f32_e32 v7, v7, v20
	s_delay_alu instid0(VALU_DEP_2) | instskip(NEXT) | instid1(VALU_DEP_3)
	v_cvt_i32_f32_e32 v16, v5
	v_cvt_i32_f32_e32 v25, v18
	s_delay_alu instid0(VALU_DEP_2) | instskip(SKIP_1) | instid1(VALU_DEP_3)
	v_cvt_f32_i32_dpp v16, v16 row_shr:1 row_mask:0xf bank_mask:0xf bound_ctrl:1
	v_add_f32_e32 v11, v11, v21
	v_cvt_f32_i32_dpp v25, v25 row_shr:1 row_mask:0xf bank_mask:0xf bound_ctrl:1
	s_delay_alu instid0(VALU_DEP_3)
	v_add_f32_e32 v38, v5, v16
	v_add_f32_e32 v16, v14, v22
	v_cvt_i32_f32_e32 v20, v7
	v_cvt_i32_f32_e32 v14, v67
	;; [unrolled: 1-line block ×5, first 2 shown]
	v_cvt_f32_i32_dpp v20, v20 row_shr:2 row_mask:0xf bank_mask:0xf bound_ctrl:1
	v_cvt_f32_i32_dpp v14, v14 row_shr:8 row_mask:0xf bank_mask:0xf bound_ctrl:1
	;; [unrolled: 1-line block ×5, first 2 shown]
	v_add_f32_e32 v7, v7, v20
	v_add_f32_e32 v14, v67, v14
	s_delay_alu instid0(VALU_DEP_4)
	v_dual_add_f32 v11, v11, v21 :: v_dual_add_f32 v22, v65, v22
	ds_bpermute_b32 v50, v9, v38
	v_cvt_i32_f32_e32 v20, v7
	v_cvt_i32_f32_e32 v33, v14
	;; [unrolled: 1-line block ×4, first 2 shown]
	s_delay_alu instid0(VALU_DEP_4) | instskip(NEXT) | instid1(VALU_DEP_4)
	v_cvt_f32_i32_dpp v20, v20 row_shr:1 row_mask:0xf bank_mask:0xf bound_ctrl:1
	v_cvt_f32_i32_dpp v33, v33 row_shr:4 row_mask:0xf bank_mask:0xf bound_ctrl:1
	s_delay_alu instid0(VALU_DEP_4) | instskip(NEXT) | instid1(VALU_DEP_4)
	v_cvt_f32_i32_dpp v21, v21 row_shr:1 row_mask:0xf bank_mask:0xf bound_ctrl:1
	v_cvt_f32_i32_dpp v42, v42 row_shr:4 row_mask:0xf bank_mask:0xf bound_ctrl:1
	s_delay_alu instid0(VALU_DEP_4) | instskip(SKIP_2) | instid1(VALU_DEP_4)
	v_dual_add_f32 v5, v68, v5 :: v_dual_add_f32 v30, v7, v20
	v_add_f32_e32 v7, v18, v25
	v_cvt_i32_f32_e32 v18, v66
	v_add_f32_e32 v22, v22, v42
	s_delay_alu instid0(VALU_DEP_4)
	v_cvt_i32_f32_e32 v29, v5
	v_add_f32_e32 v21, v11, v21
	ds_bpermute_b32 v34, v9, v30
	v_cvt_f32_i32_dpp v18, v18 row_shr:8 row_mask:0xf bank_mask:0xf bound_ctrl:1
	v_cvt_i32_f32_e32 v42, v22
	v_cvt_f32_i32_dpp v29, v29 row_shr:4 row_mask:0xf bank_mask:0xf bound_ctrl:1
	ds_bpermute_b32 v25, v9, v21
	ds_bpermute_b32 v20, v9, v16
	v_add_f32_e32 v18, v66, v18
	v_cvt_f32_i32_dpp v42, v42 row_shr:2 row_mask:0xf bank_mask:0xf bound_ctrl:1
	ds_bpermute_b32 v11, v9, v7
	v_cvt_i32_f32_e32 v37, v18
	s_delay_alu instid0(VALU_DEP_1) | instskip(NEXT) | instid1(VALU_DEP_1)
	v_cvt_f32_i32_dpp v37, v37 row_shr:4 row_mask:0xf bank_mask:0xf bound_ctrl:1
	v_add_f32_e32 v18, v18, v37
	s_delay_alu instid0(VALU_DEP_1) | instskip(NEXT) | instid1(VALU_DEP_1)
	v_cvt_i32_f32_e32 v37, v18
	v_cvt_f32_i32_dpp v37, v37 row_shr:2 row_mask:0xf bank_mask:0xf bound_ctrl:1
	s_delay_alu instid0(VALU_DEP_1) | instskip(NEXT) | instid1(VALU_DEP_1)
	v_add_f32_e32 v18, v18, v37
	v_cvt_i32_f32_e32 v37, v18
	s_waitcnt vmcnt(0)
	s_delay_alu instid0(VALU_DEP_1) | instskip(SKIP_1) | instid1(VALU_DEP_1)
	v_cvt_f32_i32_dpp v52, v37 row_shr:1 row_mask:0xf bank_mask:0xf bound_ctrl:1
	v_add_f32_e32 v5, v5, v29
	v_cvt_i32_f32_e32 v29, v5
	s_delay_alu instid0(VALU_DEP_1) | instskip(NEXT) | instid1(VALU_DEP_1)
	v_cvt_f32_i32_dpp v29, v29 row_shr:2 row_mask:0xf bank_mask:0xf bound_ctrl:1
	v_add_f32_e32 v5, v5, v29
	v_add_f32_e32 v14, v14, v33
	s_delay_alu instid0(VALU_DEP_1) | instskip(NEXT) | instid1(VALU_DEP_1)
	v_cvt_i32_f32_e32 v33, v14
	v_cvt_f32_i32_dpp v33, v33 row_shr:2 row_mask:0xf bank_mask:0xf bound_ctrl:1
	s_delay_alu instid0(VALU_DEP_1) | instskip(SKIP_2) | instid1(VALU_DEP_3)
	v_add_f32_e32 v14, v14, v33
	v_add_f32_e32 v33, v22, v42
	v_cvt_i32_f32_e32 v22, v5
	v_cvt_i32_f32_e32 v29, v14
	s_delay_alu instid0(VALU_DEP_3) | instskip(NEXT) | instid1(VALU_DEP_3)
	v_cvt_i32_f32_e32 v42, v33
	v_cvt_f32_i32_dpp v22, v22 row_shr:1 row_mask:0xf bank_mask:0xf bound_ctrl:1
	s_delay_alu instid0(VALU_DEP_3) | instskip(NEXT) | instid1(VALU_DEP_3)
	v_cvt_f32_i32_dpp v29, v29 row_shr:1 row_mask:0xf bank_mask:0xf bound_ctrl:1
	v_cvt_f32_i32_dpp v42, v42 row_shr:1 row_mask:0xf bank_mask:0xf bound_ctrl:1
	s_delay_alu instid0(VALU_DEP_3) | instskip(SKIP_1) | instid1(VALU_DEP_3)
	v_dual_add_f32 v37, v5, v22 :: v_dual_add_f32 v22, v18, v52
	v_add_f32_e32 v5, v26, v49
	v_dual_add_f32 v29, v14, v29 :: v_dual_add_f32 v14, v33, v42
	ds_bpermute_b32 v49, v9, v37
	ds_bpermute_b32 v26, v9, v22
	;; [unrolled: 1-line block ×5, first 2 shown]
	s_and_saveexec_b32 s5, s0
	s_cbranch_execz .LBB153_62
; %bb.39:                               ;   in Loop: Header=BB153_13 Depth=1
	v_dual_mov_b32 v77, 0 :: v_dual_mov_b32 v76, 0
	v_dual_mov_b32 v75, 0 :: v_dual_mov_b32 v74, 0
	;; [unrolled: 1-line block ×10, first 2 shown]
	s_and_not1_b32 vcc_lo, exec_lo, s23
	s_cbranch_vccnz .LBB153_41
; %bb.40:                               ;   in Loop: Header=BB153_13 Depth=1
	v_mul_hi_u32 v42, v41, v60
	v_mul_hi_u32 v52, v47, v60
	;; [unrolled: 1-line block ×4, first 2 shown]
	v_mov_b32_e32 v73, v43
	v_mov_b32_e32 v75, v43
	;; [unrolled: 1-line block ×4, first 2 shown]
	v_mul_lo_u32 v42, v42, s16
	v_mul_lo_u32 v52, v52, s16
	;; [unrolled: 1-line block ×4, first 2 shown]
	v_mov_b32_e32 v91, v43
	v_mov_b32_e32 v93, v43
	v_sub_nc_u32_e32 v42, v41, v42
	v_sub_nc_u32_e32 v52, v47, v52
	;; [unrolled: 1-line block ×4, first 2 shown]
	s_delay_alu instid0(VALU_DEP_4)
	v_subrev_nc_u32_e32 v57, s16, v42
	v_cmp_le_u32_e32 vcc_lo, s16, v42
	v_mov_b32_e32 v53, v43
	v_subrev_nc_u32_e32 v64, s16, v52
	v_subrev_nc_u32_e32 v65, s16, v56
	;; [unrolled: 1-line block ×3, first 2 shown]
	v_cndmask_b32_e32 v42, v42, v57, vcc_lo
	v_cmp_le_u32_e32 vcc_lo, s16, v52
	v_mov_b32_e32 v55, v43
	v_dual_mov_b32 v57, v43 :: v_dual_cndmask_b32 v52, v52, v64
	v_cmp_le_u32_e32 vcc_lo, s16, v56
	s_delay_alu instid0(VALU_DEP_2) | instskip(SKIP_2) | instid1(VALU_DEP_2)
	v_subrev_nc_u32_e32 v64, s16, v52
	v_cndmask_b32_e32 v56, v56, v65, vcc_lo
	v_cmp_le_u32_e32 vcc_lo, s16, v54
	v_subrev_nc_u32_e32 v65, s16, v56
	v_cndmask_b32_e32 v66, v54, v66, vcc_lo
	v_subrev_nc_u32_e32 v54, s16, v42
	v_cmp_le_u32_e32 vcc_lo, s16, v42
	s_delay_alu instid0(VALU_DEP_3) | instskip(NEXT) | instid1(VALU_DEP_3)
	v_subrev_nc_u32_e32 v67, s16, v66
	v_cndmask_b32_e32 v42, v42, v54, vcc_lo
	v_cmp_le_u32_e32 vcc_lo, s16, v52
	s_delay_alu instid0(VALU_DEP_2) | instskip(SKIP_2) | instid1(VALU_DEP_3)
	v_add_nc_u32_e32 v72, s26, v42
	v_cndmask_b32_e32 v52, v52, v64, vcc_lo
	v_cmp_le_u32_e32 vcc_lo, s16, v56
	v_lshlrev_b64 v[72:73], 1, v[72:73]
	s_delay_alu instid0(VALU_DEP_3)
	v_add_nc_u32_e32 v74, s26, v52
	v_cndmask_b32_e32 v54, v56, v65, vcc_lo
	v_cmp_le_u32_e32 vcc_lo, s16, v66
	v_lshlrev_b64 v[64:65], 1, v[42:43]
	v_add_nc_u32_e32 v88, s27, v52
	v_lshlrev_b64 v[74:75], 1, v[74:75]
	v_lshlrev_b64 v[68:69], 1, v[54:55]
	v_cndmask_b32_e32 v56, v66, v67, vcc_lo
	v_lshlrev_b64 v[66:67], 1, v[52:53]
	v_add_co_u32 v64, vcc_lo, s6, v64
	v_add_co_ci_u32_e32 v65, vcc_lo, s7, v65, vcc_lo
	s_delay_alu instid0(VALU_DEP_4) | instskip(NEXT) | instid1(VALU_DEP_4)
	v_lshlrev_b64 v[70:71], 1, v[56:57]
	v_add_co_u32 v66, vcc_lo, s6, v66
	v_add_co_ci_u32_e32 v67, vcc_lo, s7, v67, vcc_lo
	v_add_co_u32 v68, vcc_lo, s6, v68
	v_add_co_ci_u32_e32 v69, vcc_lo, s7, v69, vcc_lo
	v_add_co_u32 v70, vcc_lo, s6, v70
	v_add_nc_u32_e32 v76, s26, v54
	v_add_co_ci_u32_e32 v71, vcc_lo, s7, v71, vcc_lo
	v_add_co_u32 v78, vcc_lo, s6, v72
	v_add_co_ci_u32_e32 v79, vcc_lo, s7, v73, vcc_lo
	s_delay_alu instid0(VALU_DEP_4) | instskip(SKIP_3) | instid1(VALU_DEP_4)
	v_lshlrev_b64 v[72:73], 1, v[76:77]
	v_add_nc_u32_e32 v76, s26, v56
	v_add_co_u32 v80, vcc_lo, s6, v74
	v_add_co_ci_u32_e32 v81, vcc_lo, s7, v75, vcc_lo
	v_add_co_u32 v82, vcc_lo, s6, v72
	s_delay_alu instid0(VALU_DEP_4) | instskip(SKIP_3) | instid1(VALU_DEP_4)
	v_lshlrev_b64 v[74:75], 1, v[76:77]
	v_add_co_ci_u32_e32 v83, vcc_lo, s7, v73, vcc_lo
	v_dual_mov_b32 v73, v43 :: v_dual_add_nc_u32 v72, s27, v42
	v_add_nc_u32_e32 v90, s28, v54
	v_add_co_u32 v84, vcc_lo, s6, v74
	v_add_co_ci_u32_e32 v85, vcc_lo, s7, v75, vcc_lo
	s_delay_alu instid0(VALU_DEP_4)
	v_lshlrev_b64 v[86:87], 1, v[72:73]
	s_clause 0x7
	global_load_u16 v77, v[64:65], off
	global_load_u16 v76, v[66:67], off
	;; [unrolled: 1-line block ×8, first 2 shown]
	v_dual_mov_b32 v81, v43 :: v_dual_add_nc_u32 v80, s27, v54
	v_lshlrev_b64 v[78:79], 1, v[88:89]
	v_dual_mov_b32 v85, v43 :: v_dual_add_nc_u32 v84, s27, v56
	v_add_co_u32 v82, vcc_lo, s6, v86
	s_delay_alu instid0(VALU_DEP_4)
	v_lshlrev_b64 v[80:81], 1, v[80:81]
	v_add_co_ci_u32_e32 v83, vcc_lo, s7, v87, vcc_lo
	v_dual_mov_b32 v87, v43 :: v_dual_add_nc_u32 v86, s28, v42
	v_add_co_u32 v78, vcc_lo, s6, v78
	v_lshlrev_b64 v[84:85], 1, v[84:85]
	v_add_nc_u32_e32 v88, s28, v52
	v_add_co_ci_u32_e32 v79, vcc_lo, s7, v79, vcc_lo
	v_add_co_u32 v80, vcc_lo, s6, v80
	v_lshlrev_b64 v[86:87], 1, v[86:87]
	v_add_co_ci_u32_e32 v81, vcc_lo, s7, v81, vcc_lo
	v_add_co_u32 v84, vcc_lo, s6, v84
	v_lshlrev_b64 v[88:89], 1, v[88:89]
	v_add_nc_u32_e32 v92, s28, v56
	v_add_co_ci_u32_e32 v85, vcc_lo, s7, v85, vcc_lo
	v_add_co_u32 v86, vcc_lo, s6, v86
	v_lshlrev_b64 v[90:91], 1, v[90:91]
	v_add_nc_u32_e32 v42, s31, v42
	v_add_co_ci_u32_e32 v87, vcc_lo, s7, v87, vcc_lo
	v_add_co_u32 v88, vcc_lo, s6, v88
	v_lshlrev_b64 v[92:93], 1, v[92:93]
	v_add_co_ci_u32_e32 v89, vcc_lo, s7, v89, vcc_lo
	v_add_co_u32 v90, vcc_lo, s6, v90
	v_lshlrev_b64 v[94:95], 1, v[42:43]
	v_add_nc_u32_e32 v42, s31, v52
	v_add_co_ci_u32_e32 v91, vcc_lo, s7, v91, vcc_lo
	v_add_co_u32 v52, vcc_lo, s6, v92
	v_add_co_ci_u32_e32 v53, vcc_lo, s7, v93, vcc_lo
	s_delay_alu instid0(VALU_DEP_4) | instskip(SKIP_3) | instid1(VALU_DEP_3)
	v_lshlrev_b64 v[92:93], 1, v[42:43]
	v_add_nc_u32_e32 v42, s31, v54
	v_add_co_u32 v54, vcc_lo, s6, v94
	v_add_co_ci_u32_e32 v55, vcc_lo, s7, v95, vcc_lo
	v_lshlrev_b64 v[94:95], 1, v[42:43]
	v_add_nc_u32_e32 v42, s31, v56
	v_add_co_u32 v92, vcc_lo, s6, v92
	v_add_co_ci_u32_e32 v93, vcc_lo, s7, v93, vcc_lo
	s_delay_alu instid0(VALU_DEP_3) | instskip(SKIP_2) | instid1(VALU_DEP_3)
	v_lshlrev_b64 v[56:57], 1, v[42:43]
	v_add_co_u32 v94, vcc_lo, s6, v94
	v_add_co_ci_u32_e32 v95, vcc_lo, s7, v95, vcc_lo
	v_add_co_u32 v96, vcc_lo, s6, v56
	s_delay_alu instid0(VALU_DEP_4)
	v_add_co_ci_u32_e32 v97, vcc_lo, s7, v57, vcc_lo
	s_clause 0xb
	global_load_u16 v74, v[82:83], off
	global_load_u16 v72, v[78:79], off
	;; [unrolled: 1-line block ×12, first 2 shown]
.LBB153_41:                             ;   in Loop: Header=BB153_13 Depth=1
	v_cmp_ne_u32_e32 vcc_lo, 0, v1
	s_and_saveexec_b32 s2, vcc_lo
	s_cbranch_execnz .LBB153_67
; %bb.42:                               ;   in Loop: Header=BB153_13 Depth=1
	s_or_b32 exec_lo, exec_lo, s2
	v_cmp_ne_u32_e64 s1, 0, v2
	s_delay_alu instid0(VALU_DEP_1)
	s_and_saveexec_b32 s3, s1
	s_cbranch_execnz .LBB153_68
.LBB153_43:                             ;   in Loop: Header=BB153_13 Depth=1
	s_or_b32 exec_lo, exec_lo, s3
	v_cmp_ne_u32_e64 s2, 0, v3
	s_delay_alu instid0(VALU_DEP_1)
	s_and_saveexec_b32 s4, s2
	s_cbranch_execnz .LBB153_69
.LBB153_44:                             ;   in Loop: Header=BB153_13 Depth=1
	s_or_b32 exec_lo, exec_lo, s4
	v_cmp_ne_u32_e64 s3, 0, v4
	s_delay_alu instid0(VALU_DEP_1)
	s_and_saveexec_b32 s34, s3
	s_cbranch_execnz .LBB153_70
.LBB153_45:                             ;   in Loop: Header=BB153_13 Depth=1
	s_or_b32 exec_lo, exec_lo, s34
	v_add_nc_u32_e32 v42, s11, v41
	s_and_saveexec_b32 s34, vcc_lo
	s_cbranch_execnz .LBB153_71
.LBB153_46:                             ;   in Loop: Header=BB153_13 Depth=1
	s_or_b32 exec_lo, exec_lo, s34
	s_and_saveexec_b32 s34, s1
	s_cbranch_execnz .LBB153_72
.LBB153_47:                             ;   in Loop: Header=BB153_13 Depth=1
	s_or_b32 exec_lo, exec_lo, s34
	s_and_saveexec_b32 s34, s2
	s_cbranch_execnz .LBB153_73
.LBB153_48:                             ;   in Loop: Header=BB153_13 Depth=1
	s_or_b32 exec_lo, exec_lo, s34
	s_and_saveexec_b32 s34, s3
	s_cbranch_execnz .LBB153_74
.LBB153_49:                             ;   in Loop: Header=BB153_13 Depth=1
	s_or_b32 exec_lo, exec_lo, s34
	v_add_nc_u32_e32 v42, s11, v42
	s_and_saveexec_b32 s34, vcc_lo
	s_cbranch_execnz .LBB153_75
.LBB153_50:                             ;   in Loop: Header=BB153_13 Depth=1
	s_or_b32 exec_lo, exec_lo, s34
	s_and_saveexec_b32 s34, s1
	s_cbranch_execnz .LBB153_76
.LBB153_51:                             ;   in Loop: Header=BB153_13 Depth=1
	s_or_b32 exec_lo, exec_lo, s34
	s_and_saveexec_b32 s34, s2
	s_cbranch_execnz .LBB153_77
.LBB153_52:                             ;   in Loop: Header=BB153_13 Depth=1
	s_or_b32 exec_lo, exec_lo, s34
	s_and_saveexec_b32 s34, s3
	s_cbranch_execnz .LBB153_78
.LBB153_53:                             ;   in Loop: Header=BB153_13 Depth=1
	s_or_b32 exec_lo, exec_lo, s34
	v_add_nc_u32_e32 v42, s11, v42
	s_and_saveexec_b32 s34, vcc_lo
	s_cbranch_execnz .LBB153_79
.LBB153_54:                             ;   in Loop: Header=BB153_13 Depth=1
	s_or_b32 exec_lo, exec_lo, s34
	s_and_saveexec_b32 s34, s1
	s_cbranch_execnz .LBB153_80
.LBB153_55:                             ;   in Loop: Header=BB153_13 Depth=1
	s_or_b32 exec_lo, exec_lo, s34
	s_and_saveexec_b32 s34, s2
	s_cbranch_execnz .LBB153_81
.LBB153_56:                             ;   in Loop: Header=BB153_13 Depth=1
	s_or_b32 exec_lo, exec_lo, s34
	s_and_saveexec_b32 s34, s3
	s_cbranch_execnz .LBB153_82
.LBB153_57:                             ;   in Loop: Header=BB153_13 Depth=1
	s_or_b32 exec_lo, exec_lo, s34
	v_add_nc_u32_e32 v42, s11, v42
	s_and_saveexec_b32 s4, vcc_lo
	s_cbranch_execnz .LBB153_83
.LBB153_58:                             ;   in Loop: Header=BB153_13 Depth=1
	s_or_b32 exec_lo, exec_lo, s4
	s_and_saveexec_b32 s4, s1
	s_cbranch_execnz .LBB153_84
.LBB153_59:                             ;   in Loop: Header=BB153_13 Depth=1
	s_or_b32 exec_lo, exec_lo, s4
	s_and_saveexec_b32 s1, s2
	s_cbranch_execnz .LBB153_85
.LBB153_60:                             ;   in Loop: Header=BB153_13 Depth=1
	s_or_b32 exec_lo, exec_lo, s1
	s_delay_alu instid0(SALU_CYCLE_1)
	s_and_b32 exec_lo, exec_lo, s3
	s_cbranch_execz .LBB153_62
.LBB153_61:                             ;   in Loop: Header=BB153_13 Depth=1
	s_waitcnt lgkmcnt(0)
	v_dual_add_f32 v5, v5, v9 :: v_dual_add_nc_u32 v42, 3, v42
	s_waitcnt vmcnt(0)
	v_cvt_f32_f16_e32 v6, v52
	s_delay_alu instid0(VALU_DEP_1) | instskip(NEXT) | instid1(VALU_DEP_3)
	v_add_f32_e32 v7, v5, v6
	v_lshlrev_b64 v[5:6], 1, v[42:43]
	s_delay_alu instid0(VALU_DEP_2) | instskip(NEXT) | instid1(VALU_DEP_2)
	v_cvt_f16_f32_e32 v7, v7
	v_add_co_u32 v5, vcc_lo, s18, v5
	s_delay_alu instid0(VALU_DEP_3)
	v_add_co_ci_u32_e32 v6, vcc_lo, s19, v6, vcc_lo
	global_store_b16 v[5:6], v7, off
.LBB153_62:                             ;   in Loop: Header=BB153_13 Depth=1
	s_or_b32 exec_lo, exec_lo, s5
	v_add_nc_u32_e32 v41, s17, v41
	s_delay_alu instid0(VALU_DEP_1) | instskip(SKIP_1) | instid1(VALU_DEP_2)
	v_add_nc_u32_e32 v5, 4, v41
	v_cmp_gt_u32_e32 vcc_lo, s11, v41
	v_cmp_le_u32_e64 s1, s11, v5
	s_delay_alu instid0(VALU_DEP_1) | instskip(NEXT) | instid1(SALU_CYCLE_1)
	s_and_b32 s1, vcc_lo, s1
	s_and_saveexec_b32 s34, s1
	s_cbranch_execz .LBB153_12
; %bb.63:                               ;   in Loop: Header=BB153_13 Depth=1
	s_mov_b32 s35, exec_lo
	v_cmpx_ne_u32_e64 s24, v41
	s_cbranch_execz .LBB153_11
; %bb.64:                               ;   in Loop: Header=BB153_13 Depth=1
	v_subrev_nc_u32_e32 v5, s24, v41
	s_mov_b32 s36, 0
	s_mov_b64 s[4:5], 0
	s_delay_alu instid0(VALU_DEP_1)
	v_cmp_lt_u32_e32 vcc_lo, 1, v5
	v_cndmask_b32_e32 v5, 1, v5, vcc_lo
	.p2align	6
.LBB153_65:                             ;   Parent Loop BB153_13 Depth=1
                                        ; =>  This Inner Loop Header: Depth=2
	s_cmp_lg_u32 s4, 3
	s_cselect_b32 vcc_lo, -1, 0
	s_cmp_lg_u32 s4, 2
	v_cndmask_b32_e32 v4, 0, v4, vcc_lo
	s_cselect_b32 s1, -1, 0
	s_cmp_lg_u32 s4, 1
	v_cndmask_b32_e64 v3, 0, v3, s1
	s_cselect_b32 s2, -1, 0
	s_cmp_lg_u32 s4, 0
	v_cndmask_b32_e64 v2, 0, v2, s2
	s_cselect_b32 s3, -1, 0
	s_add_u32 s4, s4, 1
	v_cndmask_b32_e64 v1, 0, v1, s3
	v_cmp_eq_u32_e32 vcc_lo, s4, v5
	s_addc_u32 s5, s5, 0
	s_or_b32 s36, vcc_lo, s36
	s_delay_alu instid0(SALU_CYCLE_1)
	s_and_not1_b32 exec_lo, exec_lo, s36
	s_cbranch_execnz .LBB153_65
; %bb.66:                               ;   in Loop: Header=BB153_13 Depth=1
	s_or_b32 exec_lo, exec_lo, s36
	s_branch .LBB153_11
.LBB153_67:                             ;   in Loop: Header=BB153_13 Depth=1
	v_mov_b32_e32 v42, v43
	s_waitcnt lgkmcnt(0)
	v_add_f32_e32 v39, v39, v48
	s_waitcnt vmcnt(19)
	v_cvt_f32_f16_e32 v48, v77
	v_lshlrev_b64 v[77:78], 1, v[41:42]
	s_delay_alu instid0(VALU_DEP_2) | instskip(NEXT) | instid1(VALU_DEP_2)
	v_add_f32_e32 v39, v39, v48
	v_add_co_u32 v77, s1, s18, v77
	s_delay_alu instid0(VALU_DEP_2) | instskip(NEXT) | instid1(VALU_DEP_4)
	v_cvt_f16_f32_e32 v39, v39
	v_add_co_ci_u32_e64 v78, s1, s19, v78, s1
	global_store_b16 v[77:78], v39, off
	s_or_b32 exec_lo, exec_lo, s2
	v_cmp_ne_u32_e64 s1, 0, v2
	s_delay_alu instid0(VALU_DEP_1)
	s_and_saveexec_b32 s3, s1
	s_cbranch_execz .LBB153_43
.LBB153_68:                             ;   in Loop: Header=BB153_13 Depth=1
	s_waitcnt lgkmcnt(0)
	v_mov_b32_e32 v48, v43
	v_add_f32_e32 v31, v31, v35
	s_waitcnt vmcnt(18)
	v_cvt_f32_f16_e32 v35, v76
	s_delay_alu instid0(VALU_DEP_3) | instskip(NEXT) | instid1(VALU_DEP_2)
	v_lshlrev_b64 v[47:48], 1, v[47:48]
	v_add_f32_e32 v31, v31, v35
	s_delay_alu instid0(VALU_DEP_2) | instskip(NEXT) | instid1(VALU_DEP_2)
	v_add_co_u32 v47, s2, s18, v47
	v_cvt_f16_f32_e32 v31, v31
	s_delay_alu instid0(VALU_DEP_4) | instskip(SKIP_3) | instid1(VALU_DEP_1)
	v_add_co_ci_u32_e64 v48, s2, s19, v48, s2
	global_store_b16 v[47:48], v31, off
	s_or_b32 exec_lo, exec_lo, s3
	v_cmp_ne_u32_e64 s2, 0, v3
	s_and_saveexec_b32 s4, s2
	s_cbranch_execz .LBB153_44
.LBB153_69:                             ;   in Loop: Header=BB153_13 Depth=1
	v_mov_b32_e32 v47, v43
	s_waitcnt lgkmcnt(0)
	v_add_f32_e32 v23, v23, v27
	s_waitcnt vmcnt(17)
	v_cvt_f32_f16_e32 v27, v75
	v_lshlrev_b64 v[46:47], 1, v[46:47]
	s_delay_alu instid0(VALU_DEP_2) | instskip(NEXT) | instid1(VALU_DEP_2)
	v_add_f32_e32 v23, v23, v27
	v_add_co_u32 v46, s3, s18, v46
	s_delay_alu instid0(VALU_DEP_2) | instskip(NEXT) | instid1(VALU_DEP_4)
	v_cvt_f16_f32_e32 v23, v23
	v_add_co_ci_u32_e64 v47, s3, s19, v47, s3
	global_store_b16 v[46:47], v23, off
	s_or_b32 exec_lo, exec_lo, s4
	v_cmp_ne_u32_e64 s3, 0, v4
	s_delay_alu instid0(VALU_DEP_1)
	s_and_saveexec_b32 s34, s3
	s_cbranch_execz .LBB153_45
.LBB153_70:                             ;   in Loop: Header=BB153_13 Depth=1
	v_mov_b32_e32 v46, v43
	s_waitcnt lgkmcnt(0)
	v_add_f32_e32 v15, v15, v19
	s_waitcnt vmcnt(16)
	v_cvt_f32_f16_e32 v19, v73
	v_lshlrev_b64 v[45:46], 1, v[45:46]
	s_delay_alu instid0(VALU_DEP_2) | instskip(NEXT) | instid1(VALU_DEP_2)
	v_add_f32_e32 v15, v15, v19
	v_add_co_u32 v45, s4, s18, v45
	s_delay_alu instid0(VALU_DEP_2) | instskip(NEXT) | instid1(VALU_DEP_4)
	v_cvt_f16_f32_e32 v15, v15
	v_add_co_ci_u32_e64 v46, s4, s19, v46, s4
	global_store_b16 v[45:46], v15, off
	s_or_b32 exec_lo, exec_lo, s34
	v_add_nc_u32_e32 v42, s11, v41
	s_and_saveexec_b32 s34, vcc_lo
	s_cbranch_execz .LBB153_46
.LBB153_71:                             ;   in Loop: Header=BB153_13 Depth=1
	s_waitcnt lgkmcnt(0)
	v_add_f32_e32 v6, v6, v10
	s_waitcnt vmcnt(15)
	v_cvt_f32_f16_e32 v10, v71
	v_lshlrev_b64 v[45:46], 1, v[42:43]
	s_delay_alu instid0(VALU_DEP_2) | instskip(NEXT) | instid1(VALU_DEP_2)
	v_add_f32_e32 v6, v6, v10
	v_add_co_u32 v45, s4, s18, v45
	s_delay_alu instid0(VALU_DEP_1) | instskip(NEXT) | instid1(VALU_DEP_3)
	v_add_co_ci_u32_e64 v46, s4, s19, v46, s4
	v_cvt_f16_f32_e32 v6, v6
	global_store_b16 v[45:46], v6, off
	s_or_b32 exec_lo, exec_lo, s34
	s_and_saveexec_b32 s34, s1
	s_cbranch_execz .LBB153_47
.LBB153_72:                             ;   in Loop: Header=BB153_13 Depth=1
	s_waitcnt lgkmcnt(0)
	v_dual_add_f32 v6, v40, v51 :: v_dual_add_nc_u32 v39, 1, v42
	v_mov_b32_e32 v40, v43
	s_waitcnt vmcnt(14)
	v_cvt_f32_f16_e32 v10, v69
	s_delay_alu instid0(VALU_DEP_2) | instskip(NEXT) | instid1(VALU_DEP_2)
	v_lshlrev_b64 v[39:40], 1, v[39:40]
	v_add_f32_e32 v6, v6, v10
	s_delay_alu instid0(VALU_DEP_1) | instskip(NEXT) | instid1(VALU_DEP_3)
	v_cvt_f16_f32_e32 v6, v6
	v_add_co_u32 v39, s4, s18, v39
	s_delay_alu instid0(VALU_DEP_1)
	v_add_co_ci_u32_e64 v40, s4, s19, v40, s4
	global_store_b16 v[39:40], v6, off
	s_or_b32 exec_lo, exec_lo, s34
	s_and_saveexec_b32 s34, s2
	s_cbranch_execz .LBB153_48
.LBB153_73:                             ;   in Loop: Header=BB153_13 Depth=1
	s_waitcnt lgkmcnt(0)
	v_dual_add_f32 v6, v32, v36 :: v_dual_add_nc_u32 v31, 2, v42
	v_mov_b32_e32 v32, v43
	s_waitcnt vmcnt(13)
	v_cvt_f32_f16_e32 v10, v67
	s_delay_alu instid0(VALU_DEP_2) | instskip(NEXT) | instid1(VALU_DEP_2)
	v_lshlrev_b64 v[31:32], 1, v[31:32]
	v_add_f32_e32 v6, v6, v10
	s_delay_alu instid0(VALU_DEP_1) | instskip(NEXT) | instid1(VALU_DEP_3)
	v_cvt_f16_f32_e32 v6, v6
	v_add_co_u32 v31, s4, s18, v31
	s_delay_alu instid0(VALU_DEP_1)
	v_add_co_ci_u32_e64 v32, s4, s19, v32, s4
	global_store_b16 v[31:32], v6, off
	s_or_b32 exec_lo, exec_lo, s34
	s_and_saveexec_b32 s34, s3
	s_cbranch_execz .LBB153_49
.LBB153_74:                             ;   in Loop: Header=BB153_13 Depth=1
	s_waitcnt lgkmcnt(0)
	v_dual_add_f32 v6, v24, v28 :: v_dual_add_nc_u32 v23, 3, v42
	v_mov_b32_e32 v24, v43
	s_waitcnt vmcnt(12)
	v_cvt_f32_f16_e32 v10, v65
	s_delay_alu instid0(VALU_DEP_2) | instskip(NEXT) | instid1(VALU_DEP_2)
	v_lshlrev_b64 v[23:24], 1, v[23:24]
	v_add_f32_e32 v6, v6, v10
	s_delay_alu instid0(VALU_DEP_1) | instskip(NEXT) | instid1(VALU_DEP_3)
	v_cvt_f16_f32_e32 v6, v6
	v_add_co_u32 v23, s4, s18, v23
	s_delay_alu instid0(VALU_DEP_1)
	v_add_co_ci_u32_e64 v24, s4, s19, v24, s4
	global_store_b16 v[23:24], v6, off
	s_or_b32 exec_lo, exec_lo, s34
	v_add_nc_u32_e32 v42, s11, v42
	s_and_saveexec_b32 s34, vcc_lo
	s_cbranch_execz .LBB153_50
.LBB153_75:                             ;   in Loop: Header=BB153_13 Depth=1
	s_waitcnt lgkmcnt(0)
	v_add_f32_e32 v6, v13, v17
	s_waitcnt vmcnt(11)
	v_cvt_f32_f16_e32 v10, v74
	v_lshlrev_b64 v[23:24], 1, v[42:43]
	s_delay_alu instid0(VALU_DEP_2) | instskip(NEXT) | instid1(VALU_DEP_2)
	v_add_f32_e32 v6, v6, v10
	v_add_co_u32 v23, s4, s18, v23
	s_delay_alu instid0(VALU_DEP_1) | instskip(NEXT) | instid1(VALU_DEP_3)
	v_add_co_ci_u32_e64 v24, s4, s19, v24, s4
	v_cvt_f16_f32_e32 v6, v6
	global_store_b16 v[23:24], v6, off
	s_or_b32 exec_lo, exec_lo, s34
	s_and_saveexec_b32 s34, s1
	s_cbranch_execz .LBB153_51
.LBB153_76:                             ;   in Loop: Header=BB153_13 Depth=1
	s_waitcnt lgkmcnt(0)
	v_dual_add_f32 v6, v8, v12 :: v_dual_mov_b32 v13, v43
	v_add_nc_u32_e32 v12, 1, v42
	s_waitcnt vmcnt(10)
	v_cvt_f32_f16_e32 v8, v72
	s_delay_alu instid0(VALU_DEP_2) | instskip(NEXT) | instid1(VALU_DEP_2)
	v_lshlrev_b64 v[12:13], 1, v[12:13]
	v_add_f32_e32 v6, v6, v8
	s_delay_alu instid0(VALU_DEP_1) | instskip(NEXT) | instid1(VALU_DEP_3)
	v_cvt_f16_f32_e32 v6, v6
	v_add_co_u32 v12, s4, s18, v12
	s_delay_alu instid0(VALU_DEP_1)
	v_add_co_ci_u32_e64 v13, s4, s19, v13, s4
	global_store_b16 v[12:13], v6, off
	s_or_b32 exec_lo, exec_lo, s34
	s_and_saveexec_b32 s34, s2
	s_cbranch_execz .LBB153_52
.LBB153_77:                             ;   in Loop: Header=BB153_13 Depth=1
	s_waitcnt lgkmcnt(0)
	v_dual_add_f32 v6, v38, v50 :: v_dual_mov_b32 v13, v43
	v_add_nc_u32_e32 v12, 2, v42
	s_waitcnt vmcnt(9)
	v_cvt_f32_f16_e32 v8, v70
	s_delay_alu instid0(VALU_DEP_2) | instskip(NEXT) | instid1(VALU_DEP_2)
	v_lshlrev_b64 v[12:13], 1, v[12:13]
	v_add_f32_e32 v6, v6, v8
	s_delay_alu instid0(VALU_DEP_1) | instskip(NEXT) | instid1(VALU_DEP_3)
	v_cvt_f16_f32_e32 v6, v6
	v_add_co_u32 v12, s4, s18, v12
	s_delay_alu instid0(VALU_DEP_1)
	v_add_co_ci_u32_e64 v13, s4, s19, v13, s4
	global_store_b16 v[12:13], v6, off
	s_or_b32 exec_lo, exec_lo, s34
	s_and_saveexec_b32 s34, s3
	s_cbranch_execz .LBB153_53
.LBB153_78:                             ;   in Loop: Header=BB153_13 Depth=1
	s_waitcnt lgkmcnt(0)
	v_dual_add_f32 v6, v30, v34 :: v_dual_mov_b32 v13, v43
	v_add_nc_u32_e32 v12, 3, v42
	s_waitcnt vmcnt(8)
	v_cvt_f32_f16_e32 v8, v68
	s_delay_alu instid0(VALU_DEP_2) | instskip(NEXT) | instid1(VALU_DEP_2)
	v_lshlrev_b64 v[12:13], 1, v[12:13]
	v_add_f32_e32 v6, v6, v8
	s_delay_alu instid0(VALU_DEP_1) | instskip(NEXT) | instid1(VALU_DEP_3)
	v_cvt_f16_f32_e32 v6, v6
	v_add_co_u32 v12, s4, s18, v12
	s_delay_alu instid0(VALU_DEP_1)
	v_add_co_ci_u32_e64 v13, s4, s19, v13, s4
	global_store_b16 v[12:13], v6, off
	s_or_b32 exec_lo, exec_lo, s34
	v_add_nc_u32_e32 v42, s11, v42
	s_and_saveexec_b32 s34, vcc_lo
	s_cbranch_execz .LBB153_54
.LBB153_79:                             ;   in Loop: Header=BB153_13 Depth=1
	s_waitcnt lgkmcnt(0)
	v_add_f32_e32 v6, v21, v25
	s_waitcnt vmcnt(7)
	v_cvt_f32_f16_e32 v8, v66
	v_lshlrev_b64 v[12:13], 1, v[42:43]
	s_delay_alu instid0(VALU_DEP_2) | instskip(NEXT) | instid1(VALU_DEP_2)
	v_add_f32_e32 v6, v6, v8
	v_add_co_u32 v12, s4, s18, v12
	s_delay_alu instid0(VALU_DEP_1) | instskip(NEXT) | instid1(VALU_DEP_3)
	v_add_co_ci_u32_e64 v13, s4, s19, v13, s4
	v_cvt_f16_f32_e32 v6, v6
	global_store_b16 v[12:13], v6, off
	s_or_b32 exec_lo, exec_lo, s34
	s_and_saveexec_b32 s34, s1
	s_cbranch_execz .LBB153_55
.LBB153_80:                             ;   in Loop: Header=BB153_13 Depth=1
	s_waitcnt lgkmcnt(0)
	v_dual_add_f32 v6, v16, v20 :: v_dual_mov_b32 v13, v43
	v_add_nc_u32_e32 v12, 1, v42
	s_waitcnt vmcnt(6)
	v_cvt_f32_f16_e32 v8, v64
	s_delay_alu instid0(VALU_DEP_2) | instskip(NEXT) | instid1(VALU_DEP_2)
	v_lshlrev_b64 v[12:13], 1, v[12:13]
	v_add_f32_e32 v6, v6, v8
	s_delay_alu instid0(VALU_DEP_1) | instskip(NEXT) | instid1(VALU_DEP_3)
	v_cvt_f16_f32_e32 v6, v6
	v_add_co_u32 v12, s4, s18, v12
	s_delay_alu instid0(VALU_DEP_1)
	v_add_co_ci_u32_e64 v13, s4, s19, v13, s4
	global_store_b16 v[12:13], v6, off
	s_or_b32 exec_lo, exec_lo, s34
	s_and_saveexec_b32 s34, s2
	s_cbranch_execz .LBB153_56
.LBB153_81:                             ;   in Loop: Header=BB153_13 Depth=1
	s_waitcnt lgkmcnt(0)
	v_add_f32_e32 v8, v7, v11
	v_dual_mov_b32 v7, v43 :: v_dual_add_nc_u32 v6, 2, v42
	s_waitcnt vmcnt(5)
	v_cvt_f32_f16_e32 v10, v57
	s_delay_alu instid0(VALU_DEP_2) | instskip(NEXT) | instid1(VALU_DEP_2)
	v_lshlrev_b64 v[6:7], 1, v[6:7]
	v_add_f32_e32 v8, v8, v10
	s_delay_alu instid0(VALU_DEP_1) | instskip(NEXT) | instid1(VALU_DEP_3)
	v_cvt_f16_f32_e32 v8, v8
	v_add_co_u32 v6, s4, s18, v6
	s_delay_alu instid0(VALU_DEP_1)
	v_add_co_ci_u32_e64 v7, s4, s19, v7, s4
	global_store_b16 v[6:7], v8, off
	s_or_b32 exec_lo, exec_lo, s34
	s_and_saveexec_b32 s34, s3
	s_cbranch_execz .LBB153_57
.LBB153_82:                             ;   in Loop: Header=BB153_13 Depth=1
	s_waitcnt lgkmcnt(0)
	v_dual_add_f32 v8, v37, v49 :: v_dual_mov_b32 v7, v43
	v_add_nc_u32_e32 v6, 3, v42
	s_waitcnt vmcnt(4)
	v_cvt_f32_f16_e32 v10, v56
	s_delay_alu instid0(VALU_DEP_2) | instskip(NEXT) | instid1(VALU_DEP_2)
	v_lshlrev_b64 v[6:7], 1, v[6:7]
	v_add_f32_e32 v8, v8, v10
	s_delay_alu instid0(VALU_DEP_1) | instskip(NEXT) | instid1(VALU_DEP_3)
	v_cvt_f16_f32_e32 v8, v8
	v_add_co_u32 v6, s4, s18, v6
	s_delay_alu instid0(VALU_DEP_1)
	v_add_co_ci_u32_e64 v7, s4, s19, v7, s4
	global_store_b16 v[6:7], v8, off
	s_or_b32 exec_lo, exec_lo, s34
	v_add_nc_u32_e32 v42, s11, v42
	s_and_saveexec_b32 s4, vcc_lo
	s_cbranch_execz .LBB153_58
.LBB153_83:                             ;   in Loop: Header=BB153_13 Depth=1
	s_waitcnt lgkmcnt(0)
	v_add_f32_e32 v6, v29, v33
	s_waitcnt vmcnt(3)
	v_cvt_f32_f16_e32 v7, v55
	s_delay_alu instid0(VALU_DEP_1) | instskip(SKIP_1) | instid1(VALU_DEP_2)
	v_add_f32_e32 v8, v6, v7
	v_lshlrev_b64 v[6:7], 1, v[42:43]
	v_cvt_f16_f32_e32 v8, v8
	s_delay_alu instid0(VALU_DEP_2) | instskip(NEXT) | instid1(VALU_DEP_3)
	v_add_co_u32 v6, vcc_lo, s18, v6
	v_add_co_ci_u32_e32 v7, vcc_lo, s19, v7, vcc_lo
	global_store_b16 v[6:7], v8, off
	s_or_b32 exec_lo, exec_lo, s4
	s_and_saveexec_b32 s4, s1
	s_cbranch_execz .LBB153_59
.LBB153_84:                             ;   in Loop: Header=BB153_13 Depth=1
	s_waitcnt lgkmcnt(0)
	v_dual_add_f32 v8, v22, v26 :: v_dual_mov_b32 v7, v43
	v_add_nc_u32_e32 v6, 1, v42
	s_waitcnt vmcnt(2)
	v_cvt_f32_f16_e32 v10, v54
	s_delay_alu instid0(VALU_DEP_2) | instskip(NEXT) | instid1(VALU_DEP_2)
	v_lshlrev_b64 v[6:7], 1, v[6:7]
	v_add_f32_e32 v8, v8, v10
	s_delay_alu instid0(VALU_DEP_1) | instskip(NEXT) | instid1(VALU_DEP_3)
	v_cvt_f16_f32_e32 v8, v8
	v_add_co_u32 v6, vcc_lo, s18, v6
	s_delay_alu instid0(VALU_DEP_4)
	v_add_co_ci_u32_e32 v7, vcc_lo, s19, v7, vcc_lo
	global_store_b16 v[6:7], v8, off
	s_or_b32 exec_lo, exec_lo, s4
	s_and_saveexec_b32 s1, s2
	s_cbranch_execz .LBB153_60
.LBB153_85:                             ;   in Loop: Header=BB153_13 Depth=1
	s_waitcnt lgkmcnt(0)
	v_dual_add_f32 v8, v14, v18 :: v_dual_mov_b32 v7, v43
	v_add_nc_u32_e32 v6, 2, v42
	s_waitcnt vmcnt(1)
	v_cvt_f32_f16_e32 v10, v53
	s_delay_alu instid0(VALU_DEP_2) | instskip(NEXT) | instid1(VALU_DEP_2)
	v_lshlrev_b64 v[6:7], 1, v[6:7]
	v_add_f32_e32 v8, v8, v10
	s_delay_alu instid0(VALU_DEP_1) | instskip(NEXT) | instid1(VALU_DEP_3)
	v_cvt_f16_f32_e32 v8, v8
	v_add_co_u32 v6, vcc_lo, s18, v6
	s_delay_alu instid0(VALU_DEP_4) | instskip(SKIP_2) | instid1(SALU_CYCLE_1)
	v_add_co_ci_u32_e32 v7, vcc_lo, s19, v7, vcc_lo
	global_store_b16 v[6:7], v8, off
	s_or_b32 exec_lo, exec_lo, s1
	s_and_b32 exec_lo, exec_lo, s3
	s_cbranch_execnz .LBB153_61
	s_branch .LBB153_62
.LBB153_86:
	s_nop 0
	s_sendmsg sendmsg(MSG_DEALLOC_VGPRS)
	s_endpgm
	.section	.rodata,"a",@progbits
	.p2align	6, 0x0
	.amdhsa_kernel _Z12wvSplitK_hf_I6__halfLi64ELi4ELi16ELi8ELi1ELi5EEviiiiiiPKT_S3_S3_PS1_ii
		.amdhsa_group_segment_fixed_size 65536
		.amdhsa_private_segment_fixed_size 0
		.amdhsa_kernarg_size 64
		.amdhsa_user_sgpr_count 15
		.amdhsa_user_sgpr_dispatch_ptr 0
		.amdhsa_user_sgpr_queue_ptr 0
		.amdhsa_user_sgpr_kernarg_segment_ptr 1
		.amdhsa_user_sgpr_dispatch_id 0
		.amdhsa_user_sgpr_private_segment_size 0
		.amdhsa_wavefront_size32 1
		.amdhsa_uses_dynamic_stack 0
		.amdhsa_enable_private_segment 0
		.amdhsa_system_sgpr_workgroup_id_x 1
		.amdhsa_system_sgpr_workgroup_id_y 0
		.amdhsa_system_sgpr_workgroup_id_z 0
		.amdhsa_system_sgpr_workgroup_info 0
		.amdhsa_system_vgpr_workitem_id 1
		.amdhsa_next_free_vgpr 98
		.amdhsa_next_free_sgpr 37
		.amdhsa_reserve_vcc 1
		.amdhsa_float_round_mode_32 0
		.amdhsa_float_round_mode_16_64 0
		.amdhsa_float_denorm_mode_32 3
		.amdhsa_float_denorm_mode_16_64 3
		.amdhsa_dx10_clamp 1
		.amdhsa_ieee_mode 1
		.amdhsa_fp16_overflow 0
		.amdhsa_workgroup_processor_mode 1
		.amdhsa_memory_ordered 1
		.amdhsa_forward_progress 0
		.amdhsa_shared_vgpr_count 0
		.amdhsa_exception_fp_ieee_invalid_op 0
		.amdhsa_exception_fp_denorm_src 0
		.amdhsa_exception_fp_ieee_div_zero 0
		.amdhsa_exception_fp_ieee_overflow 0
		.amdhsa_exception_fp_ieee_underflow 0
		.amdhsa_exception_fp_ieee_inexact 0
		.amdhsa_exception_int_div_zero 0
	.end_amdhsa_kernel
	.section	.text._Z12wvSplitK_hf_I6__halfLi64ELi4ELi16ELi8ELi1ELi5EEviiiiiiPKT_S3_S3_PS1_ii,"axG",@progbits,_Z12wvSplitK_hf_I6__halfLi64ELi4ELi16ELi8ELi1ELi5EEviiiiiiPKT_S3_S3_PS1_ii,comdat
.Lfunc_end153:
	.size	_Z12wvSplitK_hf_I6__halfLi64ELi4ELi16ELi8ELi1ELi5EEviiiiiiPKT_S3_S3_PS1_ii, .Lfunc_end153-_Z12wvSplitK_hf_I6__halfLi64ELi4ELi16ELi8ELi1ELi5EEviiiiiiPKT_S3_S3_PS1_ii
                                        ; -- End function
	.section	.AMDGPU.csdata,"",@progbits
; Kernel info:
; codeLenInByte = 8396
; NumSgprs: 39
; NumVgprs: 98
; ScratchSize: 0
; MemoryBound: 0
; FloatMode: 240
; IeeeMode: 1
; LDSByteSize: 65536 bytes/workgroup (compile time only)
; SGPRBlocks: 4
; VGPRBlocks: 12
; NumSGPRsForWavesPerEU: 39
; NumVGPRsForWavesPerEU: 98
; Occupancy: 12
; WaveLimiterHint : 0
; COMPUTE_PGM_RSRC2:SCRATCH_EN: 0
; COMPUTE_PGM_RSRC2:USER_SGPR: 15
; COMPUTE_PGM_RSRC2:TRAP_HANDLER: 0
; COMPUTE_PGM_RSRC2:TGID_X_EN: 1
; COMPUTE_PGM_RSRC2:TGID_Y_EN: 0
; COMPUTE_PGM_RSRC2:TGID_Z_EN: 0
; COMPUTE_PGM_RSRC2:TIDIG_COMP_CNT: 1
	.section	.text._Z16wvSplitK_hf_big_I6__halfLi64ELi4ELi16ELi8ELi1ELi5EEviiiiiiPKT_S3_S3_PS1_ii,"axG",@progbits,_Z16wvSplitK_hf_big_I6__halfLi64ELi4ELi16ELi8ELi1ELi5EEviiiiiiPKT_S3_S3_PS1_ii,comdat
	.protected	_Z16wvSplitK_hf_big_I6__halfLi64ELi4ELi16ELi8ELi1ELi5EEviiiiiiPKT_S3_S3_PS1_ii ; -- Begin function _Z16wvSplitK_hf_big_I6__halfLi64ELi4ELi16ELi8ELi1ELi5EEviiiiiiPKT_S3_S3_PS1_ii
	.globl	_Z16wvSplitK_hf_big_I6__halfLi64ELi4ELi16ELi8ELi1ELi5EEviiiiiiPKT_S3_S3_PS1_ii
	.p2align	8
	.type	_Z16wvSplitK_hf_big_I6__halfLi64ELi4ELi16ELi8ELi1ELi5EEviiiiiiPKT_S3_S3_PS1_ii,@function
_Z16wvSplitK_hf_big_I6__halfLi64ELi4ELi16ELi8ELi1ELi5EEviiiiiiPKT_S3_S3_PS1_ii: ; @_Z16wvSplitK_hf_big_I6__halfLi64ELi4ELi16ELi8ELi1ELi5EEviiiiiiPKT_S3_S3_PS1_ii
; %bb.0:
	s_load_b64 s[20:21], s[0:1], 0x38
	v_bfe_u32 v5, v0, 10, 10
	s_mov_b32 s2, exec_lo
	s_waitcnt lgkmcnt(0)
	s_delay_alu instid0(VALU_DEP_1)
	v_cmpx_gt_u32_e64 s20, v5
	s_cbranch_execz .LBB154_78
; %bb.1:
	s_load_b128 s[16:19], s[0:1], 0x0
	s_mul_i32 s15, s15, s20
	s_mov_b32 s4, 1
	v_add_lshl_u32 v41, s15, v5, 2
	s_mov_b32 s5, s4
	s_mov_b32 s6, s4
	;; [unrolled: 1-line block ×3, first 2 shown]
	s_delay_alu instid0(VALU_DEP_1) | instskip(SKIP_2) | instid1(VALU_DEP_2)
	v_add_nc_u32_e32 v1, 4, v41
	s_waitcnt lgkmcnt(0)
	v_cmp_gt_u32_e32 vcc_lo, s19, v41
	v_cmp_le_u32_e64 s2, s19, v1
	v_dual_mov_b32 v1, s4 :: v_dual_mov_b32 v4, s7
	v_dual_mov_b32 v2, s5 :: v_dual_mov_b32 v3, s6
	s_delay_alu instid0(VALU_DEP_3) | instskip(NEXT) | instid1(SALU_CYCLE_1)
	s_and_b32 s2, vcc_lo, s2
	s_and_saveexec_b32 s8, s2
	s_cbranch_execz .LBB154_7
; %bb.2:
	v_dual_mov_b32 v1, s4 :: v_dual_mov_b32 v2, s5
	v_dual_mov_b32 v3, s6 :: v_dual_mov_b32 v4, s7
	s_add_i32 s9, s19, -4
	s_mov_b32 s10, exec_lo
	v_cmpx_ne_u32_e64 s9, v41
	s_cbranch_execz .LBB154_6
; %bb.3:
	v_subrev_nc_u32_e32 v1, s9, v41
	s_mov_b32 s11, 0
	s_mov_b64 s[2:3], 0
	s_mov_b32 s5, s4
	s_mov_b32 s6, s4
	v_cmp_lt_u32_e32 vcc_lo, 1, v1
	s_mov_b32 s7, s4
	v_cndmask_b32_e32 v6, 1, v1, vcc_lo
	.p2align	6
.LBB154_4:                              ; =>This Inner Loop Header: Depth=1
	s_cmp_lg_u32 s2, 3
	s_cselect_b32 s7, s7, 0
	s_cmp_lg_u32 s2, 2
	s_cselect_b32 s6, s6, 0
	;; [unrolled: 2-line block ×4, first 2 shown]
	s_add_u32 s2, s2, 1
	v_dual_mov_b32 v1, s4 :: v_dual_mov_b32 v2, s5
	v_cmp_eq_u32_e32 vcc_lo, s2, v6
	v_dual_mov_b32 v3, s6 :: v_dual_mov_b32 v4, s7
	s_addc_u32 s3, s3, 0
	s_or_b32 s11, vcc_lo, s11
	s_delay_alu instid0(SALU_CYCLE_1)
	s_and_not1_b32 exec_lo, exec_lo, s11
	s_cbranch_execnz .LBB154_4
; %bb.5:
	s_or_b32 exec_lo, exec_lo, s11
	v_mov_b32_e32 v41, s9
.LBB154_6:
	s_or_b32 exec_lo, exec_lo, s10
.LBB154_7:
	s_delay_alu instid0(SALU_CYCLE_1)
	s_or_b32 exec_lo, exec_lo, s8
	s_lshl_b32 s2, s20, 2
	s_abs_i32 s6, s19
	s_abs_i32 s3, s2
	s_mov_b32 s23, 0
	v_cvt_f32_u32_e32 v6, s3
	s_sub_i32 s5, 0, s3
	s_delay_alu instid0(VALU_DEP_1) | instskip(SKIP_2) | instid1(VALU_DEP_1)
	v_rcp_iflag_f32_e32 v6, v6
	s_waitcnt_depctr 0xfff
	v_mul_f32_e32 v6, 0x4f7ffffe, v6
	v_cvt_u32_f32_e32 v6, v6
	s_delay_alu instid0(VALU_DEP_1) | instskip(NEXT) | instid1(VALU_DEP_1)
	v_readfirstlane_b32 s4, v6
	s_mul_i32 s5, s5, s4
	s_delay_alu instid0(SALU_CYCLE_1) | instskip(NEXT) | instid1(SALU_CYCLE_1)
	s_mul_hi_u32 s5, s4, s5
	s_add_i32 s4, s4, s5
	s_ashr_i32 s5, s19, 31
	s_mul_hi_u32 s4, s6, s4
	s_delay_alu instid0(SALU_CYCLE_1) | instskip(NEXT) | instid1(SALU_CYCLE_1)
	s_mul_i32 s4, s4, s3
	s_sub_i32 s4, s6, s4
	s_delay_alu instid0(SALU_CYCLE_1) | instskip(SKIP_2) | instid1(SALU_CYCLE_1)
	s_sub_i32 s6, s4, s3
	s_cmp_ge_u32 s4, s3
	s_cselect_b32 s4, s6, s4
	s_sub_i32 s6, s4, s3
	s_cmp_ge_u32 s4, s3
	s_cselect_b32 s3, s6, s4
	s_add_i32 s2, s2, s19
	s_xor_b32 s3, s3, s5
	s_delay_alu instid0(SALU_CYCLE_1) | instskip(NEXT) | instid1(SALU_CYCLE_1)
	s_sub_i32 s3, s3, s5
	s_sub_i32 s2, s2, s3
	s_cmp_eq_u32 s3, 0
	s_cselect_b32 s22, s19, s2
	s_delay_alu instid0(SALU_CYCLE_1)
	v_cmp_gt_u32_e32 vcc_lo, s22, v41
	s_and_b32 exec_lo, exec_lo, vcc_lo
	s_cbranch_execz .LBB154_78
; %bb.8:
	s_load_b256 s[8:15], s[0:1], 0x10
	s_min_u32 s24, s18, 0x1800
	s_cmp_lg_u32 s16, 0
	s_mul_i32 s2, s21, s20
	s_cselect_b32 s25, -1, 0
	s_cmp_lg_u32 s18, 0
	s_load_b64 s[6:7], s[0:1], 0x30
	s_cselect_b32 s21, -1, 0
	s_lshl_b32 s26, s20, 9
	s_add_i32 s27, s16, -8
	s_add_i32 s28, s19, -1
	s_lshl_b32 s29, s2, 2
	v_and_b32_e32 v0, 0x3ff, v0
	v_mbcnt_lo_u32_b32 v53, -1, 0
	s_delay_alu instid0(VALU_DEP_2)
	v_dual_mov_b32 v43, 0 :: v_dual_lshlrev_b32 v54, 3, v0
	s_waitcnt lgkmcnt(0)
	s_cmp_lg_u64 s[14:15], 0
	s_cselect_b32 s30, -1, 0
	s_abs_i32 s2, s9
	s_add_i32 s31, s19, -4
	v_cvt_f32_u32_e32 v6, s2
	s_sub_i32 s1, 0, s2
	s_sub_i32 s3, 0, s8
	;; [unrolled: 1-line block ×3, first 2 shown]
	s_mul_i32 s9, s24, 6
	v_rcp_iflag_f32_e32 v6, v6
	s_waitcnt_depctr 0xfff
	v_mul_f32_e32 v6, 0x4f7ffffe, v6
	s_delay_alu instid0(VALU_DEP_1) | instskip(NEXT) | instid1(VALU_DEP_1)
	v_cvt_u32_f32_e32 v6, v6
	v_readfirstlane_b32 s0, v6
	v_cvt_f32_u32_e32 v6, s8
	s_delay_alu instid0(VALU_DEP_2) | instskip(NEXT) | instid1(VALU_DEP_1)
	s_mul_i32 s1, s1, s0
	v_rcp_iflag_f32_e32 v6, v6
	s_mul_hi_u32 s1, s0, s1
	v_lshlrev_b32_e32 v7, 4, v0
	s_add_i32 s1, s0, s1
	s_cmp_lt_u32 s2, 2
	v_cmp_eq_u32_e64 s0, 63, v0
	s_cselect_b32 s4, s4, 1
	s_delay_alu instid0(SALU_CYCLE_1)
	s_sub_i32 s5, s4, s2
	s_cmp_ge_u32 s4, s2
	s_waitcnt_depctr 0xfff
	v_mul_f32_e32 v0, 0x4f7ffffe, v6
	s_cselect_b32 s33, s5, s4
	s_lshr_b32 s4, s1, 31
	v_lshl_add_u32 v55, v5, 10, v7
	s_mul_i32 s4, s4, s2
	v_cvt_u32_f32_e32 v6, v0
	s_sub_i32 s4, 2, s4
	v_lshl_add_u32 v0, v5, 9, v54
	s_sub_i32 s5, s4, s2
	s_cmp_ge_u32 s4, s2
	v_mul_lo_u32 v8, s3, v6
	s_cselect_b32 s3, s5, s4
	s_mul_hi_u32 s4, s1, 3
	s_sub_i32 s5, s3, s2
	s_cmp_ge_u32 s3, s2
	s_mul_i32 s4, s4, s2
	s_cselect_b32 s34, s5, s3
	s_sub_i32 s3, 3, s4
	v_mul_hi_u32 v5, v6, v8
	s_sub_i32 s4, s3, s2
	s_cmp_ge_u32 s3, s2
	v_mad_u64_u32 v[44:45], null, s18, 3, v[0:1]
	s_cselect_b32 s3, s4, s3
	v_lshl_add_u32 v56, s18, 1, v0
	s_sub_i32 s4, s3, s2
	s_cmp_ge_u32 s3, s2
	v_lshl_add_u32 v57, s18, 2, v0
	s_cselect_b32 s35, s4, s3
	s_lshr_b32 s1, s1, 30
	v_add_nc_u32_e32 v58, s18, v0
	s_mul_i32 s1, s1, s2
	v_add_nc_u32_e32 v59, v6, v5
	s_sub_i32 s1, 4, s1
	s_mul_i32 s33, s33, s8
	s_sub_i32 s3, s1, s2
	s_cmp_ge_u32 s1, s2
	s_mul_i32 s34, s34, s8
	s_cselect_b32 s1, s3, s1
	s_mul_i32 s35, s35, s8
	s_sub_i32 s3, s1, s2
	s_cmp_ge_u32 s1, s2
	s_cselect_b32 s40, s3, s1
	s_add_u32 s36, s6, 2
	s_addc_u32 s37, s7, 0
	s_lshl_b32 s38, s24, 3
	s_lshl_b32 s20, s20, 10
	s_lshl_b32 s39, s24, 2
	s_mul_i32 s40, s40, s8
	s_lshl_b32 s41, s24, 1
	s_branch .LBB154_12
.LBB154_9:                              ;   in Loop: Header=BB154_12 Depth=1
	s_or_b32 exec_lo, exec_lo, s44
	v_mov_b32_e32 v41, s31
.LBB154_10:                             ;   in Loop: Header=BB154_12 Depth=1
	s_or_b32 exec_lo, exec_lo, s43
.LBB154_11:                             ;   in Loop: Header=BB154_12 Depth=1
	s_delay_alu instid0(SALU_CYCLE_1) | instskip(NEXT) | instid1(VALU_DEP_1)
	s_or_b32 exec_lo, exec_lo, s42
	v_cmp_le_u32_e32 vcc_lo, s22, v41
	s_or_b32 s23, vcc_lo, s23
	s_delay_alu instid0(SALU_CYCLE_1)
	s_and_not1_b32 exec_lo, exec_lo, s23
	s_cbranch_execz .LBB154_78
.LBB154_12:                             ; =>This Loop Header: Depth=1
                                        ;     Child Loop BB154_16 Depth 2
                                        ;       Child Loop BB154_21 Depth 3
                                        ;     Child Loop BB154_57 Depth 2
	v_mov_b32_e32 v78, v43
	s_waitcnt vmcnt(19)
	v_mov_b32_e32 v77, v43
	s_waitcnt vmcnt(18)
	;; [unrolled: 2-line block ×4, first 2 shown]
	v_mov_b32_e32 v60, v43
	v_mov_b32_e32 v61, v43
	;; [unrolled: 1-line block ×16, first 2 shown]
	s_and_not1_b32 vcc_lo, exec_lo, s25
	s_mov_b32 s3, 0
	s_cbranch_vccnz .LBB154_27
; %bb.13:                               ;   in Loop: Header=BB154_12 Depth=1
	v_dual_mov_b32 v79, 0 :: v_dual_add_nc_u32 v6, 2, v41
	v_add_nc_u32_e32 v5, 1, v41
	v_add_nc_u32_e32 v7, 3, v41
	v_min_u32_e32 v8, s28, v41
	s_delay_alu instid0(VALU_DEP_4) | instskip(SKIP_2) | instid1(VALU_DEP_4)
	v_min_u32_e32 v6, s28, v6
	v_dual_mov_b32 v10, v43 :: v_dual_mov_b32 v73, 0
	v_cmp_gt_u32_e64 s1, s19, v41
	v_mul_lo_u32 v42, v8, s17
	v_mov_b32_e32 v8, v43
	v_min_u32_e32 v9, s28, v7
	v_mul_lo_u32 v7, v6, s17
	v_mov_b32_e32 v6, v43
	v_min_u32_e32 v5, s28, v5
	v_dual_mov_b32 v74, 0 :: v_dual_mov_b32 v71, 0
	v_mul_lo_u32 v9, v9, s17
	v_lshlrev_b64 v[45:46], 1, v[42:43]
	s_delay_alu instid0(VALU_DEP_4)
	v_mul_lo_u32 v5, v5, s17
	s_waitcnt lgkmcnt(13)
	v_lshlrev_b64 v[49:50], 1, v[7:8]
	v_dual_mov_b32 v72, 0 :: v_dual_mov_b32 v69, 0
	v_dual_mov_b32 v70, 0 :: v_dual_mov_b32 v67, 0
	s_waitcnt vmcnt(0)
	v_lshlrev_b64 v[51:52], 1, v[9:10]
	v_dual_mov_b32 v68, 0 :: v_dual_mov_b32 v65, 0
	s_waitcnt lgkmcnt(4)
	v_lshlrev_b64 v[47:48], 1, v[5:6]
	v_dual_mov_b32 v66, 0 :: v_dual_mov_b32 v63, 0
	v_dual_mov_b32 v64, 0 :: v_dual_mov_b32 v61, 0
	;; [unrolled: 1-line block ×4, first 2 shown]
	v_mov_b32_e32 v76, 0
	v_mov_b32_e32 v78, 0
	s_mov_b32 s4, 0
	s_branch .LBB154_16
.LBB154_14:                             ;   in Loop: Header=BB154_16 Depth=2
	s_or_b32 exec_lo, exec_lo, s5
	s_waitcnt vmcnt(3) lgkmcnt(4)
	;;#ASMSTART
	v_dot2_f32_f16 v78, v37, v17, v78
	;;#ASMEND
	s_waitcnt vmcnt(2)
	;;#ASMSTART
	v_dot2_f32_f16 v77, v37, v13, v77
	;;#ASMEND
	s_waitcnt vmcnt(1)
	;;#ASMSTART
	v_dot2_f32_f16 v76, v37, v9, v76
	;;#ASMEND
	s_waitcnt vmcnt(0)
	;;#ASMSTART
	v_dot2_f32_f16 v75, v37, v5, v75
	;;#ASMEND
	s_waitcnt lgkmcnt(3)
	;;#ASMSTART
	v_dot2_f32_f16 v79, v33, v17, v79
	;;#ASMEND
	;;#ASMSTART
	v_dot2_f32_f16 v74, v33, v13, v74
	;;#ASMEND
	;;#ASMSTART
	v_dot2_f32_f16 v73, v33, v9, v73
	;;#ASMEND
	;;#ASMSTART
	v_dot2_f32_f16 v72, v33, v5, v72
	;;#ASMEND
	s_waitcnt lgkmcnt(2)
	;;#ASMSTART
	v_dot2_f32_f16 v71, v29, v17, v71
	;;#ASMEND
	;;#ASMSTART
	v_dot2_f32_f16 v70, v29, v13, v70
	;;#ASMEND
	;;#ASMSTART
	v_dot2_f32_f16 v69, v29, v9, v69
	;;#ASMEND
	;; [unrolled: 13-line block ×4, first 2 shown]
	;;#ASMSTART
	v_dot2_f32_f16 v60, v21, v5, v60
	;;#ASMEND
	;;#ASMSTART
	v_dot2_f32_f16 v78, v38, v18, v78
	;;#ASMEND
	;; [unrolled: 3-line block ×61, first 2 shown]
.LBB154_15:                             ;   in Loop: Header=BB154_16 Depth=2
	s_or_b32 exec_lo, exec_lo, s2
	s_addk_i32 s4, 0x200
	s_delay_alu instid0(SALU_CYCLE_1)
	s_cmp_ge_u32 s4, s16
	s_cbranch_scc1 .LBB154_27
.LBB154_16:                             ;   Parent Loop BB154_12 Depth=1
                                        ; =>  This Loop Header: Depth=2
                                        ;       Child Loop BB154_21 Depth 3
	s_cmp_eq_u32 s4, 0
	s_cselect_b32 s5, -1, 0
	s_add_i32 s2, s3, s24
	s_delay_alu instid0(SALU_CYCLE_1) | instskip(SKIP_1) | instid1(SALU_CYCLE_1)
	s_cmp_eq_u32 s4, s2
	s_cselect_b32 s42, -1, 0
	s_or_b32 s42, s5, s42
	s_delay_alu instid0(SALU_CYCLE_1)
	s_and_not1_b32 vcc_lo, exec_lo, s42
	s_cbranch_vccz .LBB154_18
; %bb.17:                               ;   in Loop: Header=BB154_16 Depth=2
	s_and_saveexec_b32 s2, s1
	s_cbranch_execz .LBB154_15
	s_branch .LBB154_25
.LBB154_18:                             ;   in Loop: Header=BB154_16 Depth=2
	s_and_b32 s5, s5, exec_lo
	s_cselect_b32 s3, s3, s2
	s_and_not1_b32 vcc_lo, exec_lo, s21
	s_waitcnt lgkmcnt(0)
	s_waitcnt_vscnt null, 0x0
	s_barrier
	buffer_gl0_inv
	s_cbranch_vccnz .LBB154_24
; %bb.19:                               ;   in Loop: Header=BB154_16 Depth=2
	v_dual_mov_b32 v10, v55 :: v_dual_add_nc_u32 v5, s3, v56
	v_add_nc_u32_e32 v6, s3, v44
	v_add_nc_u32_e32 v7, s3, v57
	;; [unrolled: 1-line block ×4, first 2 shown]
	s_mov_b32 s5, 0
	s_mov_b32 s42, 0
                                        ; implicit-def: $sgpr43
	s_branch .LBB154_21
.LBB154_20:                             ;   in Loop: Header=BB154_21 Depth=3
	s_or_b32 exec_lo, exec_lo, s2
	s_delay_alu instid0(SALU_CYCLE_1) | instskip(NEXT) | instid1(SALU_CYCLE_1)
	s_and_b32 s2, exec_lo, s43
	s_or_b32 s5, s2, s5
	s_delay_alu instid0(SALU_CYCLE_1)
	s_and_not1_b32 exec_lo, exec_lo, s5
	s_cbranch_execz .LBB154_23
.LBB154_21:                             ;   Parent Loop BB154_12 Depth=1
                                        ;     Parent Loop BB154_16 Depth=2
                                        ; =>    This Inner Loop Header: Depth=3
	s_delay_alu instid0(VALU_DEP_1) | instskip(SKIP_2) | instid1(VALU_DEP_2)
	v_add_nc_u32_e32 v42, s42, v9
	v_add_nc_u32_e32 v11, s42, v0
	s_or_b32 s43, s43, exec_lo
	v_cmp_gt_u32_e32 vcc_lo, s18, v42
	s_delay_alu instid0(VALU_DEP_2) | instskip(NEXT) | instid1(VALU_DEP_1)
	v_cmp_gt_u32_e64 s2, s24, v11
	s_and_b32 s44, s2, vcc_lo
	s_delay_alu instid0(SALU_CYCLE_1)
	s_and_saveexec_b32 s2, s44
	s_cbranch_execz .LBB154_20
; %bb.22:                               ;   in Loop: Header=BB154_21 Depth=3
	v_lshlrev_b64 v[11:12], 1, v[42:43]
	v_add_nc_u32_e32 v42, s42, v8
	v_add_nc_u32_e32 v31, s41, v10
	;; [unrolled: 1-line block ×3, first 2 shown]
	s_delay_alu instid0(VALU_DEP_3) | instskip(SKIP_3) | instid1(VALU_DEP_3)
	v_lshlrev_b64 v[13:14], 1, v[42:43]
	v_add_nc_u32_e32 v42, s42, v5
	v_add_co_u32 v11, vcc_lo, s12, v11
	v_add_co_ci_u32_e32 v12, vcc_lo, s13, v12, vcc_lo
	v_lshlrev_b64 v[15:16], 1, v[42:43]
	v_add_nc_u32_e32 v42, s42, v6
	v_add_co_u32 v17, vcc_lo, s12, v13
	v_add_co_ci_u32_e32 v18, vcc_lo, s13, v14, vcc_lo
	s_delay_alu instid0(VALU_DEP_3) | instskip(SKIP_3) | instid1(VALU_DEP_3)
	v_lshlrev_b64 v[23:24], 1, v[42:43]
	v_add_nc_u32_e32 v42, s42, v7
	v_add_co_u32 v19, vcc_lo, s12, v15
	v_add_co_ci_u32_e32 v20, vcc_lo, s13, v16, vcc_lo
	v_lshlrev_b64 v[25:26], 1, v[42:43]
	v_add_co_u32 v23, vcc_lo, s12, v23
	v_add_co_ci_u32_e32 v24, vcc_lo, s13, v24, vcc_lo
	s_clause 0x2
	global_load_b128 v[11:14], v[11:12], off
	global_load_b128 v[15:18], v[17:18], off
	;; [unrolled: 1-line block ×3, first 2 shown]
	v_add_co_u32 v27, vcc_lo, s12, v25
	v_add_co_ci_u32_e32 v28, vcc_lo, s13, v26, vcc_lo
	s_clause 0x1
	global_load_b128 v[23:26], v[23:24], off
	global_load_b128 v[27:30], v[27:28], off
	s_add_i32 s42, s42, s26
	s_waitcnt vmcnt(4)
	ds_store_b128 v10, v[11:14]
	s_waitcnt vmcnt(3)
	ds_store_2addr_b64 v31, v[15:16], v[17:18] offset1:1
	s_waitcnt vmcnt(2)
	ds_store_2addr_b32 v32, v19, v20 offset1:1
	ds_store_2addr_b32 v32, v21, v22 offset0:2 offset1:3
	s_cmp_ge_u32 s42, s24
	v_add_nc_u32_e32 v11, s9, v10
	s_cselect_b32 s44, -1, 0
	v_add_nc_u32_e32 v12, s38, v10
	v_add_nc_u32_e32 v10, s20, v10
	s_and_not1_b32 s43, s43, exec_lo
	s_and_b32 s44, s44, exec_lo
	s_waitcnt vmcnt(1)
	ds_store_2addr_b64 v11, v[23:24], v[25:26] offset1:1
	s_or_b32 s43, s43, s44
	s_waitcnt vmcnt(0)
	ds_store_2addr_b64 v12, v[27:28], v[29:30] offset1:1
	s_branch .LBB154_20
.LBB154_23:                             ;   in Loop: Header=BB154_16 Depth=2
	s_or_b32 exec_lo, exec_lo, s5
.LBB154_24:                             ;   in Loop: Header=BB154_16 Depth=2
	s_waitcnt lgkmcnt(0)
	s_barrier
	buffer_gl0_inv
	s_and_saveexec_b32 s2, s1
	s_cbranch_execz .LBB154_15
.LBB154_25:                             ;   in Loop: Header=BB154_16 Depth=2
	v_dual_mov_b32 v37, 0 :: v_dual_add_nc_u32 v80, s4, v54
	v_dual_mov_b32 v38, 0 :: v_dual_mov_b32 v39, 0
	v_dual_mov_b32 v40, 0 :: v_dual_mov_b32 v33, 0
	s_delay_alu instid0(VALU_DEP_3) | instskip(SKIP_3) | instid1(VALU_DEP_3)
	v_min_u32_e32 v42, s27, v80
	s_waitcnt lgkmcnt(2)
	v_dual_mov_b32 v34, 0 :: v_dual_mov_b32 v35, 0
	v_dual_mov_b32 v36, 0 :: v_dual_mov_b32 v29, 0
	v_lshlrev_b64 v[5:6], 1, v[42:43]
	v_dual_mov_b32 v30, 0 :: v_dual_mov_b32 v31, 0
	v_dual_mov_b32 v32, 0 :: v_dual_mov_b32 v25, 0
	;; [unrolled: 1-line block ×3, first 2 shown]
	s_delay_alu instid0(VALU_DEP_4) | instskip(SKIP_3) | instid1(VALU_DEP_3)
	v_add_co_u32 v11, vcc_lo, s10, v5
	s_waitcnt lgkmcnt(0)
	v_add_co_ci_u32_e32 v12, vcc_lo, s11, v6, vcc_lo
	v_mov_b32_e32 v28, 0
	v_add_co_u32 v5, vcc_lo, v11, v45
	s_delay_alu instid0(VALU_DEP_3)
	v_add_co_ci_u32_e32 v6, vcc_lo, v12, v46, vcc_lo
	v_add_co_u32 v7, vcc_lo, v11, v47
	v_add_co_ci_u32_e32 v8, vcc_lo, v12, v48, vcc_lo
	v_add_co_u32 v9, vcc_lo, v11, v49
	;; [unrolled: 2-line block ×3, first 2 shown]
	v_add_co_ci_u32_e32 v22, vcc_lo, v12, v52, vcc_lo
	s_clause 0x3
	global_load_b128 v[17:20], v[5:6], off slc dlc
	global_load_b128 v[13:16], v[7:8], off slc dlc
	;; [unrolled: 1-line block ×4, first 2 shown]
	v_mov_b32_e32 v21, 0
	v_cmp_gt_u32_e32 vcc_lo, s16, v80
	v_dual_mov_b32 v22, 0 :: v_dual_mov_b32 v23, 0
	v_mov_b32_e32 v24, 0
	s_and_saveexec_b32 s5, vcc_lo
	s_cbranch_execz .LBB154_14
; %bb.26:                               ;   in Loop: Header=BB154_16 Depth=2
	v_subrev_nc_u32_e32 v21, s3, v80
	s_delay_alu instid0(VALU_DEP_1) | instskip(NEXT) | instid1(VALU_DEP_1)
	v_lshlrev_b32_e32 v21, 1, v21
	v_add_nc_u32_e32 v22, s41, v21
	s_delay_alu instid0(VALU_DEP_1) | instskip(NEXT) | instid1(VALU_DEP_1)
	v_add_nc_u32_e32 v23, s41, v22
	v_add_nc_u32_e32 v24, s41, v23
	s_delay_alu instid0(VALU_DEP_1)
	v_add_nc_u32_e32 v42, s41, v24
	ds_load_b128 v[37:40], v21
	ds_load_b128 v[33:36], v22
	;; [unrolled: 1-line block ×5, first 2 shown]
	s_branch .LBB154_14
.LBB154_27:                             ;   in Loop: Header=BB154_12 Depth=1
	s_mov_b32 s1, exec_lo
	v_cmpx_le_u32_e64 s19, v41
	s_xor_b32 s1, exec_lo, s1
; %bb.28:                               ;   in Loop: Header=BB154_12 Depth=1
	v_add_nc_u32_e32 v41, s29, v41
                                        ; implicit-def: $vgpr78
                                        ; implicit-def: $vgpr77
                                        ; implicit-def: $vgpr76
                                        ; implicit-def: $vgpr75
                                        ; implicit-def: $vgpr60
                                        ; implicit-def: $vgpr61
                                        ; implicit-def: $vgpr62
                                        ; implicit-def: $vgpr63
                                        ; implicit-def: $vgpr64
                                        ; implicit-def: $vgpr65
                                        ; implicit-def: $vgpr66
                                        ; implicit-def: $vgpr67
                                        ; implicit-def: $vgpr68
                                        ; implicit-def: $vgpr69
                                        ; implicit-def: $vgpr70
                                        ; implicit-def: $vgpr71
                                        ; implicit-def: $vgpr72
                                        ; implicit-def: $vgpr73
                                        ; implicit-def: $vgpr74
                                        ; implicit-def: $vgpr79
; %bb.29:                               ;   in Loop: Header=BB154_12 Depth=1
	s_and_not1_saveexec_b32 s42, s1
	s_cbranch_execz .LBB154_11
; %bb.30:                               ;   in Loop: Header=BB154_12 Depth=1
	v_xor_b32_e32 v5, 16, v53
	v_cvt_i32_f32_e32 v6, v78
	v_cvt_i32_f32_e32 v7, v77
	;; [unrolled: 1-line block ×4, first 2 shown]
	v_cmp_gt_i32_e32 vcc_lo, 32, v5
	v_cvt_f32_i32_dpp v6, v6 row_shr:8 row_mask:0xf bank_mask:0xf bound_ctrl:1
	v_cvt_i32_f32_e32 v10, v79
	v_cvt_f32_i32_dpp v7, v7 row_shr:8 row_mask:0xf bank_mask:0xf bound_ctrl:1
	v_cvt_f32_i32_dpp v8, v8 row_shr:8 row_mask:0xf bank_mask:0xf bound_ctrl:1
	s_delay_alu instid0(VALU_DEP_4) | instskip(SKIP_3) | instid1(VALU_DEP_4)
	v_dual_cndmask_b32 v5, v53, v5 :: v_dual_add_f32 v6, v78, v6
	v_cvt_f32_i32_dpp v9, v9 row_shr:8 row_mask:0xf bank_mask:0xf bound_ctrl:1
	v_cvt_f32_i32_dpp v10, v10 row_shr:8 row_mask:0xf bank_mask:0xf bound_ctrl:1
	v_add_f32_e32 v7, v77, v7
	v_dual_add_f32 v8, v76, v8 :: v_dual_lshlrev_b32 v5, 2, v5
	v_cvt_i32_f32_e32 v11, v6
	s_delay_alu instid0(VALU_DEP_4)
	v_add_f32_e32 v10, v79, v10
	s_waitcnt lgkmcnt(0)
	v_cvt_i32_f32_e32 v12, v7
	v_cvt_i32_f32_e32 v13, v8
	v_cvt_f32_i32_dpp v11, v11 row_shr:4 row_mask:0xf bank_mask:0xf bound_ctrl:1
	v_add_f32_e32 v9, v75, v9
	s_delay_alu instid0(VALU_DEP_4)
	v_cvt_f32_i32_dpp v12, v12 row_shr:4 row_mask:0xf bank_mask:0xf bound_ctrl:1
	v_cvt_i32_f32_e32 v15, v10
	v_cvt_f32_i32_dpp v13, v13 row_shr:4 row_mask:0xf bank_mask:0xf bound_ctrl:1
	v_add_f32_e32 v6, v6, v11
	v_cvt_i32_f32_e32 v14, v9
	v_add_f32_e32 v7, v7, v12
	v_cvt_f32_i32_dpp v15, v15 row_shr:4 row_mask:0xf bank_mask:0xf bound_ctrl:1
	v_add_f32_e32 v8, v8, v13
	v_cvt_i32_f32_e32 v11, v6
	v_cvt_f32_i32_dpp v14, v14 row_shr:4 row_mask:0xf bank_mask:0xf bound_ctrl:1
	v_cvt_i32_f32_e32 v12, v7
	v_add_f32_e32 v10, v10, v15
	v_cvt_i32_f32_e32 v13, v8
	v_cvt_f32_i32_dpp v11, v11 row_shr:2 row_mask:0xf bank_mask:0xf bound_ctrl:1
	v_add_f32_e32 v9, v9, v14
	v_cvt_f32_i32_dpp v12, v12 row_shr:2 row_mask:0xf bank_mask:0xf bound_ctrl:1
	v_cvt_i32_f32_e32 v15, v10
	v_cvt_f32_i32_dpp v13, v13 row_shr:2 row_mask:0xf bank_mask:0xf bound_ctrl:1
	v_add_f32_e32 v6, v6, v11
	v_cvt_i32_f32_e32 v14, v9
	v_add_f32_e32 v7, v7, v12
	v_cvt_f32_i32_dpp v15, v15 row_shr:2 row_mask:0xf bank_mask:0xf bound_ctrl:1
	s_delay_alu instid0(VALU_DEP_4) | instskip(NEXT) | instid1(VALU_DEP_4)
	v_cvt_i32_f32_e32 v11, v6
	v_cvt_f32_i32_dpp v14, v14 row_shr:2 row_mask:0xf bank_mask:0xf bound_ctrl:1
	v_add_f32_e32 v8, v8, v13
	v_cvt_i32_f32_e32 v12, v7
	s_delay_alu instid0(VALU_DEP_4) | instskip(NEXT) | instid1(VALU_DEP_4)
	v_cvt_f32_i32_dpp v11, v11 row_shr:1 row_mask:0xf bank_mask:0xf bound_ctrl:1
	v_add_f32_e32 v9, v9, v14
	s_delay_alu instid0(VALU_DEP_4) | instskip(NEXT) | instid1(VALU_DEP_4)
	v_cvt_i32_f32_e32 v13, v8
	v_cvt_f32_i32_dpp v12, v12 row_shr:1 row_mask:0xf bank_mask:0xf bound_ctrl:1
	v_add_f32_e32 v10, v10, v15
	s_delay_alu instid0(VALU_DEP_4) | instskip(NEXT) | instid1(VALU_DEP_4)
	v_cvt_i32_f32_e32 v14, v9
	v_cvt_f32_i32_dpp v13, v13 row_shr:1 row_mask:0xf bank_mask:0xf bound_ctrl:1
	s_delay_alu instid0(VALU_DEP_4) | instskip(NEXT) | instid1(VALU_DEP_4)
	v_add_f32_e32 v33, v7, v12
	v_cvt_i32_f32_e32 v15, v10
	v_cvt_i32_f32_e32 v12, v70
	v_cvt_f32_i32_dpp v14, v14 row_shr:1 row_mask:0xf bank_mask:0xf bound_ctrl:1
	v_add_f32_e32 v45, v6, v11
	v_cvt_i32_f32_e32 v6, v74
	v_cvt_f32_i32_dpp v15, v15 row_shr:1 row_mask:0xf bank_mask:0xf bound_ctrl:1
	v_cvt_i32_f32_e32 v11, v71
	v_add_f32_e32 v18, v9, v14
	v_cvt_f32_i32_dpp v12, v12 row_shr:8 row_mask:0xf bank_mask:0xf bound_ctrl:1
	v_cvt_f32_i32_dpp v6, v6 row_shr:8 row_mask:0xf bank_mask:0xf bound_ctrl:1
	v_add_f32_e32 v7, v8, v13
	v_cvt_i32_f32_e32 v8, v73
	v_cvt_f32_i32_dpp v11, v11 row_shr:8 row_mask:0xf bank_mask:0xf bound_ctrl:1
	ds_bpermute_b32 v49, v5, v45
	v_add_f32_e32 v6, v74, v6
	ds_bpermute_b32 v37, v5, v33
	v_cvt_f32_i32_dpp v8, v8 row_shr:8 row_mask:0xf bank_mask:0xf bound_ctrl:1
	v_add_f32_e32 v9, v10, v15
	v_cvt_i32_f32_e32 v10, v72
	v_add_f32_e32 v11, v71, v11
	v_cvt_i32_f32_e32 v14, v6
	v_add_f32_e32 v8, v73, v8
	ds_bpermute_b32 v29, v5, v7
	v_cvt_f32_i32_dpp v10, v10 row_shr:8 row_mask:0xf bank_mask:0xf bound_ctrl:1
	v_cvt_i32_f32_e32 v17, v11
	v_cvt_f32_i32_dpp v14, v14 row_shr:4 row_mask:0xf bank_mask:0xf bound_ctrl:1
	v_cvt_i32_f32_e32 v15, v8
	ds_bpermute_b32 v22, v5, v18
	v_add_f32_e32 v10, v72, v10
	v_cvt_f32_i32_dpp v17, v17 row_shr:4 row_mask:0xf bank_mask:0xf bound_ctrl:1
	v_add_f32_e32 v12, v70, v12
	v_cvt_f32_i32_dpp v15, v15 row_shr:4 row_mask:0xf bank_mask:0xf bound_ctrl:1
	ds_bpermute_b32 v13, v5, v9
	v_cvt_i32_f32_e32 v16, v10
	v_add_f32_e32 v11, v11, v17
	v_cvt_i32_f32_e32 v19, v12
	s_delay_alu instid0(VALU_DEP_3) | instskip(NEXT) | instid1(VALU_DEP_3)
	v_cvt_f32_i32_dpp v16, v16 row_shr:4 row_mask:0xf bank_mask:0xf bound_ctrl:1
	v_cvt_i32_f32_e32 v17, v11
	s_delay_alu instid0(VALU_DEP_3) | instskip(NEXT) | instid1(VALU_DEP_2)
	v_cvt_f32_i32_dpp v19, v19 row_shr:4 row_mask:0xf bank_mask:0xf bound_ctrl:1
	v_cvt_f32_i32_dpp v17, v17 row_shr:2 row_mask:0xf bank_mask:0xf bound_ctrl:1
	s_delay_alu instid0(VALU_DEP_2) | instskip(NEXT) | instid1(VALU_DEP_2)
	v_add_f32_e32 v12, v12, v19
	v_dual_add_f32 v6, v6, v14 :: v_dual_add_f32 v11, v11, v17
	s_delay_alu instid0(VALU_DEP_2) | instskip(NEXT) | instid1(VALU_DEP_2)
	v_cvt_i32_f32_e32 v19, v12
	v_cvt_i32_f32_e32 v14, v6
	s_delay_alu instid0(VALU_DEP_3) | instskip(NEXT) | instid1(VALU_DEP_3)
	v_cvt_i32_f32_e32 v17, v11
	v_cvt_f32_i32_dpp v19, v19 row_shr:2 row_mask:0xf bank_mask:0xf bound_ctrl:1
	s_delay_alu instid0(VALU_DEP_3) | instskip(NEXT) | instid1(VALU_DEP_3)
	v_cvt_f32_i32_dpp v14, v14 row_shr:2 row_mask:0xf bank_mask:0xf bound_ctrl:1
	v_cvt_f32_i32_dpp v17, v17 row_shr:1 row_mask:0xf bank_mask:0xf bound_ctrl:1
	s_delay_alu instid0(VALU_DEP_3) | instskip(NEXT) | instid1(VALU_DEP_1)
	v_add_f32_e32 v12, v12, v19
	v_cvt_i32_f32_e32 v19, v12
	s_delay_alu instid0(VALU_DEP_1) | instskip(SKIP_1) | instid1(VALU_DEP_1)
	v_cvt_f32_i32_dpp v19, v19 row_shr:1 row_mask:0xf bank_mask:0xf bound_ctrl:1
	v_add_f32_e32 v10, v10, v16
	v_cvt_i32_f32_e32 v16, v10
	s_delay_alu instid0(VALU_DEP_1) | instskip(NEXT) | instid1(VALU_DEP_1)
	v_cvt_f32_i32_dpp v16, v16 row_shr:2 row_mask:0xf bank_mask:0xf bound_ctrl:1
	v_add_f32_e32 v10, v10, v16
	s_delay_alu instid0(VALU_DEP_1) | instskip(NEXT) | instid1(VALU_DEP_1)
	v_cvt_i32_f32_e32 v16, v10
	v_cvt_f32_i32_dpp v16, v16 row_shr:1 row_mask:0xf bank_mask:0xf bound_ctrl:1
	s_delay_alu instid0(VALU_DEP_1) | instskip(SKIP_3) | instid1(VALU_DEP_2)
	v_add_f32_e32 v26, v10, v16
	v_dual_add_f32 v16, v11, v17 :: v_dual_add_f32 v11, v12, v19
	v_cvt_i32_f32_e32 v12, v66
	v_cvt_i32_f32_e32 v10, v67
	v_cvt_f32_i32_dpp v12, v12 row_shr:8 row_mask:0xf bank_mask:0xf bound_ctrl:1
	s_delay_alu instid0(VALU_DEP_2) | instskip(NEXT) | instid1(VALU_DEP_2)
	v_cvt_f32_i32_dpp v10, v10 row_shr:8 row_mask:0xf bank_mask:0xf bound_ctrl:1
	v_add_f32_e32 v12, v66, v12
	s_delay_alu instid0(VALU_DEP_1) | instskip(NEXT) | instid1(VALU_DEP_1)
	v_cvt_i32_f32_e32 v23, v12
	v_cvt_f32_i32_dpp v23, v23 row_shr:4 row_mask:0xf bank_mask:0xf bound_ctrl:1
	s_delay_alu instid0(VALU_DEP_1) | instskip(NEXT) | instid1(VALU_DEP_1)
	v_add_f32_e32 v12, v12, v23
	v_cvt_i32_f32_e32 v23, v12
	s_delay_alu instid0(VALU_DEP_1) | instskip(NEXT) | instid1(VALU_DEP_1)
	v_cvt_f32_i32_dpp v23, v23 row_shr:2 row_mask:0xf bank_mask:0xf bound_ctrl:1
	v_add_f32_e32 v12, v12, v23
	s_delay_alu instid0(VALU_DEP_1) | instskip(NEXT) | instid1(VALU_DEP_1)
	v_cvt_i32_f32_e32 v23, v12
	v_cvt_f32_i32_dpp v23, v23 row_shr:1 row_mask:0xf bank_mask:0xf bound_ctrl:1
	v_add_f32_e32 v6, v6, v14
	s_delay_alu instid0(VALU_DEP_1) | instskip(NEXT) | instid1(VALU_DEP_1)
	v_cvt_i32_f32_e32 v14, v6
	v_cvt_f32_i32_dpp v14, v14 row_shr:1 row_mask:0xf bank_mask:0xf bound_ctrl:1
	s_delay_alu instid0(VALU_DEP_1) | instskip(SKIP_2) | instid1(VALU_DEP_2)
	v_add_f32_e32 v46, v6, v14
	v_cvt_i32_f32_e32 v6, v69
	v_cvt_i32_f32_e32 v14, v65
	v_cvt_f32_i32_dpp v6, v6 row_shr:8 row_mask:0xf bank_mask:0xf bound_ctrl:1
	s_delay_alu instid0(VALU_DEP_2) | instskip(NEXT) | instid1(VALU_DEP_2)
	v_cvt_f32_i32_dpp v14, v14 row_shr:8 row_mask:0xf bank_mask:0xf bound_ctrl:1
	v_add_f32_e32 v6, v69, v6
	s_delay_alu instid0(VALU_DEP_2) | instskip(NEXT) | instid1(VALU_DEP_2)
	v_add_f32_e32 v14, v65, v14
	v_cvt_i32_f32_e32 v17, v6
	s_delay_alu instid0(VALU_DEP_2) | instskip(NEXT) | instid1(VALU_DEP_2)
	v_cvt_i32_f32_e32 v24, v14
	v_cvt_f32_i32_dpp v17, v17 row_shr:4 row_mask:0xf bank_mask:0xf bound_ctrl:1
	s_delay_alu instid0(VALU_DEP_2) | instskip(NEXT) | instid1(VALU_DEP_2)
	v_cvt_f32_i32_dpp v24, v24 row_shr:4 row_mask:0xf bank_mask:0xf bound_ctrl:1
	v_add_f32_e32 v6, v6, v17
	s_delay_alu instid0(VALU_DEP_2) | instskip(NEXT) | instid1(VALU_DEP_2)
	v_add_f32_e32 v14, v14, v24
	v_cvt_i32_f32_e32 v17, v6
	s_delay_alu instid0(VALU_DEP_2) | instskip(NEXT) | instid1(VALU_DEP_2)
	;; [unrolled: 9-line block ×3, first 2 shown]
	v_cvt_i32_f32_e32 v24, v14
	v_cvt_f32_i32_dpp v17, v17 row_shr:1 row_mask:0xf bank_mask:0xf bound_ctrl:1
	s_delay_alu instid0(VALU_DEP_2) | instskip(NEXT) | instid1(VALU_DEP_2)
	v_cvt_f32_i32_dpp v25, v24 row_shr:1 row_mask:0xf bank_mask:0xf bound_ctrl:1
	v_add_f32_e32 v40, v6, v17
	v_cvt_i32_f32_e32 v17, v61
	v_cvt_i32_f32_e32 v6, v64
	ds_bpermute_b32 v48, v5, v40
	v_cvt_f32_i32_dpp v17, v17 row_shr:8 row_mask:0xf bank_mask:0xf bound_ctrl:1
	v_add_f32_e32 v8, v8, v15
	v_cvt_f32_i32_dpp v6, v6 row_shr:8 row_mask:0xf bank_mask:0xf bound_ctrl:1
	s_delay_alu instid0(VALU_DEP_3) | instskip(NEXT) | instid1(VALU_DEP_3)
	v_add_f32_e32 v17, v61, v17
	v_cvt_i32_f32_e32 v15, v8
	s_delay_alu instid0(VALU_DEP_3) | instskip(NEXT) | instid1(VALU_DEP_3)
	v_add_f32_e32 v6, v64, v6
	v_cvt_i32_f32_e32 v35, v17
	s_delay_alu instid0(VALU_DEP_3) | instskip(NEXT) | instid1(VALU_DEP_2)
	v_cvt_f32_i32_dpp v15, v15 row_shr:2 row_mask:0xf bank_mask:0xf bound_ctrl:1
	v_cvt_f32_i32_dpp v35, v35 row_shr:4 row_mask:0xf bank_mask:0xf bound_ctrl:1
	s_delay_alu instid0(VALU_DEP_2) | instskip(NEXT) | instid1(VALU_DEP_2)
	v_add_f32_e32 v8, v8, v15
	v_add_f32_e32 v17, v17, v35
	s_delay_alu instid0(VALU_DEP_2) | instskip(SKIP_3) | instid1(VALU_DEP_2)
	v_cvt_i32_f32_e32 v15, v8
	ds_bpermute_b32 v50, v5, v46
	v_cvt_i32_f32_e32 v35, v17
	v_cvt_f32_i32_dpp v15, v15 row_shr:1 row_mask:0xf bank_mask:0xf bound_ctrl:1
	v_cvt_f32_i32_dpp v35, v35 row_shr:2 row_mask:0xf bank_mask:0xf bound_ctrl:1
	s_delay_alu instid0(VALU_DEP_2)
	v_add_f32_e32 v34, v8, v15
	v_cvt_i32_f32_e32 v8, v68
	ds_bpermute_b32 v15, v5, v11
	v_add_f32_e32 v17, v17, v35
	ds_bpermute_b32 v38, v5, v34
	v_cvt_f32_i32_dpp v8, v8 row_shr:8 row_mask:0xf bank_mask:0xf bound_ctrl:1
	ds_bpermute_b32 v20, v5, v16
	v_cvt_i32_f32_e32 v35, v17
	s_delay_alu instid0(VALU_DEP_1) | instskip(NEXT) | instid1(VALU_DEP_1)
	v_cvt_f32_i32_dpp v35, v35 row_shr:1 row_mask:0xf bank_mask:0xf bound_ctrl:1
	v_dual_add_f32 v10, v67, v10 :: v_dual_add_f32 v17, v17, v35
	s_delay_alu instid0(VALU_DEP_1) | instskip(NEXT) | instid1(VALU_DEP_1)
	v_cvt_i32_f32_e32 v21, v10
	v_cvt_f32_i32_dpp v21, v21 row_shr:4 row_mask:0xf bank_mask:0xf bound_ctrl:1
	s_delay_alu instid0(VALU_DEP_1) | instskip(NEXT) | instid1(VALU_DEP_1)
	v_add_f32_e32 v10, v10, v21
	v_cvt_i32_f32_e32 v21, v10
	s_delay_alu instid0(VALU_DEP_1) | instskip(NEXT) | instid1(VALU_DEP_1)
	v_cvt_f32_i32_dpp v21, v21 row_shr:2 row_mask:0xf bank_mask:0xf bound_ctrl:1
	v_add_f32_e32 v10, v10, v21
	s_delay_alu instid0(VALU_DEP_1) | instskip(NEXT) | instid1(VALU_DEP_1)
	v_cvt_i32_f32_e32 v21, v10
	v_cvt_f32_i32_dpp v21, v21 row_shr:1 row_mask:0xf bank_mask:0xf bound_ctrl:1
	s_delay_alu instid0(VALU_DEP_1)
	v_add_f32_e32 v24, v10, v21
	v_cvt_i32_f32_e32 v21, v60
	v_add_f32_e32 v10, v14, v25
	v_cvt_i32_f32_e32 v25, v6
	ds_bpermute_b32 v27, v5, v24
	v_cvt_f32_i32_dpp v21, v21 row_shr:8 row_mask:0xf bank_mask:0xf bound_ctrl:1
	ds_bpermute_b32 v14, v5, v10
	v_cvt_f32_i32_dpp v25, v25 row_shr:4 row_mask:0xf bank_mask:0xf bound_ctrl:1
	v_add_f32_e32 v21, v60, v21
	s_delay_alu instid0(VALU_DEP_2) | instskip(NEXT) | instid1(VALU_DEP_2)
	v_add_f32_e32 v6, v6, v25
	v_cvt_i32_f32_e32 v39, v21
	s_delay_alu instid0(VALU_DEP_2) | instskip(NEXT) | instid1(VALU_DEP_2)
	v_cvt_i32_f32_e32 v25, v6
	v_cvt_f32_i32_dpp v39, v39 row_shr:4 row_mask:0xf bank_mask:0xf bound_ctrl:1
	s_delay_alu instid0(VALU_DEP_2) | instskip(NEXT) | instid1(VALU_DEP_2)
	v_cvt_f32_i32_dpp v25, v25 row_shr:2 row_mask:0xf bank_mask:0xf bound_ctrl:1
	v_add_f32_e32 v21, v21, v39
	ds_bpermute_b32 v30, v5, v26
	v_add_f32_e32 v6, v6, v25
	v_cvt_i32_f32_e32 v39, v21
	s_delay_alu instid0(VALU_DEP_2) | instskip(NEXT) | instid1(VALU_DEP_2)
	v_cvt_i32_f32_e32 v25, v6
	v_cvt_f32_i32_dpp v39, v39 row_shr:2 row_mask:0xf bank_mask:0xf bound_ctrl:1
	v_add_f32_e32 v8, v68, v8
	s_delay_alu instid0(VALU_DEP_3) | instskip(NEXT) | instid1(VALU_DEP_3)
	v_cvt_f32_i32_dpp v25, v25 row_shr:1 row_mask:0xf bank_mask:0xf bound_ctrl:1
	v_add_f32_e32 v21, v21, v39
	s_delay_alu instid0(VALU_DEP_3) | instskip(NEXT) | instid1(VALU_DEP_2)
	v_cvt_i32_f32_e32 v19, v8
	v_cvt_i32_f32_e32 v39, v21
	s_delay_alu instid0(VALU_DEP_2) | instskip(NEXT) | instid1(VALU_DEP_2)
	v_cvt_f32_i32_dpp v19, v19 row_shr:4 row_mask:0xf bank_mask:0xf bound_ctrl:1
	v_cvt_f32_i32_dpp v47, v39 row_shr:1 row_mask:0xf bank_mask:0xf bound_ctrl:1
	s_delay_alu instid0(VALU_DEP_2) | instskip(NEXT) | instid1(VALU_DEP_1)
	v_dual_add_f32 v8, v8, v19 :: v_dual_add_f32 v39, v6, v25
	v_cvt_i32_f32_e32 v19, v8
	s_delay_alu instid0(VALU_DEP_1) | instskip(NEXT) | instid1(VALU_DEP_1)
	v_cvt_f32_i32_dpp v19, v19 row_shr:2 row_mask:0xf bank_mask:0xf bound_ctrl:1
	v_add_f32_e32 v8, v8, v19
	s_delay_alu instid0(VALU_DEP_1) | instskip(NEXT) | instid1(VALU_DEP_1)
	v_cvt_i32_f32_e32 v19, v8
	v_cvt_f32_i32_dpp v19, v19 row_shr:1 row_mask:0xf bank_mask:0xf bound_ctrl:1
	s_delay_alu instid0(VALU_DEP_1)
	v_add_f32_e32 v32, v8, v19
	v_add_f32_e32 v19, v12, v23
	v_cvt_i32_f32_e32 v8, v63
	v_cvt_i32_f32_e32 v12, v62
	ds_bpermute_b32 v36, v5, v32
	ds_bpermute_b32 v23, v5, v19
	v_cvt_f32_i32_dpp v8, v8 row_shr:8 row_mask:0xf bank_mask:0xf bound_ctrl:1
	v_cvt_f32_i32_dpp v12, v12 row_shr:8 row_mask:0xf bank_mask:0xf bound_ctrl:1
	s_delay_alu instid0(VALU_DEP_2) | instskip(NEXT) | instid1(VALU_DEP_2)
	v_add_f32_e32 v8, v63, v8
	v_add_f32_e32 v12, v62, v12
	s_delay_alu instid0(VALU_DEP_2) | instskip(NEXT) | instid1(VALU_DEP_2)
	v_cvt_i32_f32_e32 v28, v8
	v_cvt_i32_f32_e32 v31, v12
	s_delay_alu instid0(VALU_DEP_2) | instskip(NEXT) | instid1(VALU_DEP_2)
	v_cvt_f32_i32_dpp v28, v28 row_shr:4 row_mask:0xf bank_mask:0xf bound_ctrl:1
	v_cvt_f32_i32_dpp v31, v31 row_shr:4 row_mask:0xf bank_mask:0xf bound_ctrl:1
	s_delay_alu instid0(VALU_DEP_2) | instskip(NEXT) | instid1(VALU_DEP_2)
	v_add_f32_e32 v8, v8, v28
	v_add_f32_e32 v12, v12, v31
	s_delay_alu instid0(VALU_DEP_2) | instskip(NEXT) | instid1(VALU_DEP_2)
	v_cvt_i32_f32_e32 v28, v8
	v_cvt_i32_f32_e32 v31, v12
	s_delay_alu instid0(VALU_DEP_2) | instskip(NEXT) | instid1(VALU_DEP_2)
	;; [unrolled: 9-line block ×3, first 2 shown]
	v_cvt_f32_i32_dpp v28, v28 row_shr:1 row_mask:0xf bank_mask:0xf bound_ctrl:1
	v_cvt_f32_i32_dpp v42, v31 row_shr:1 row_mask:0xf bank_mask:0xf bound_ctrl:1
	s_delay_alu instid0(VALU_DEP_2) | instskip(NEXT) | instid1(VALU_DEP_2)
	v_add_f32_e32 v31, v8, v28
	v_dual_add_f32 v25, v12, v42 :: v_dual_add_f32 v8, v21, v47
	ds_bpermute_b32 v47, v5, v39
	ds_bpermute_b32 v21, v5, v17
	;; [unrolled: 1-line block ×5, first 2 shown]
	s_and_saveexec_b32 s5, s0
	s_cbranch_execz .LBB154_54
; %bb.31:                               ;   in Loop: Header=BB154_12 Depth=1
	v_dual_mov_b32 v77, 0 :: v_dual_add_nc_u32 v6, 2, v41
	v_dual_mov_b32 v76, 0 :: v_dual_add_nc_u32 v5, 3, v41
	v_dual_mov_b32 v75, 0 :: v_dual_mov_b32 v74, 0
	v_dual_mov_b32 v73, 0 :: v_dual_mov_b32 v72, 0
	;; [unrolled: 1-line block ×8, first 2 shown]
	s_waitcnt vmcnt(0)
	v_dual_mov_b32 v52, 0 :: v_dual_mov_b32 v51, 0
	s_and_not1_b32 vcc_lo, exec_lo, s30
	s_cbranch_vccnz .LBB154_33
; %bb.32:                               ;   in Loop: Header=BB154_12 Depth=1
	v_mul_hi_u32 v42, v41, v59
	v_mul_hi_u32 v52, v6, v59
	v_add_nc_u32_e32 v51, 1, v41
	v_mul_hi_u32 v60, v5, v59
	v_mov_b32_e32 v75, v43
	v_mov_b32_e32 v79, v43
	;; [unrolled: 1-line block ×4, first 2 shown]
	v_mul_lo_u32 v42, v42, s8
	v_mul_lo_u32 v62, v52, s8
	v_mov_b32_e32 v52, v43
	v_mul_hi_u32 v61, v51, v59
	v_mul_lo_u32 v60, v60, s8
	v_mov_b32_e32 v91, v43
	v_mov_b32_e32 v89, v43
	v_sub_nc_u32_e32 v42, v41, v42
	v_sub_nc_u32_e32 v62, v6, v62
	v_mul_lo_u32 v64, v61, s8
	v_sub_nc_u32_e32 v60, v5, v60
	s_delay_alu instid0(VALU_DEP_4) | instskip(SKIP_2) | instid1(VALU_DEP_4)
	v_subrev_nc_u32_e32 v65, s8, v42
	v_cmp_le_u32_e32 vcc_lo, s8, v42
	v_mov_b32_e32 v61, v43
	v_subrev_nc_u32_e32 v66, s8, v60
	s_delay_alu instid0(VALU_DEP_4) | instskip(SKIP_4) | instid1(VALU_DEP_4)
	v_cndmask_b32_e32 v42, v42, v65, vcc_lo
	v_sub_nc_u32_e32 v51, v51, v64
	v_subrev_nc_u32_e32 v64, s8, v62
	v_cmp_le_u32_e32 vcc_lo, s8, v62
	v_mov_b32_e32 v63, v43
	v_subrev_nc_u32_e32 v65, s8, v51
	s_delay_alu instid0(VALU_DEP_4)
	v_cndmask_b32_e32 v62, v62, v64, vcc_lo
	v_cmp_le_u32_e32 vcc_lo, s8, v60
	v_cndmask_b32_e32 v64, v60, v66, vcc_lo
	v_cmp_le_u32_e32 vcc_lo, s8, v51
	v_subrev_nc_u32_e32 v60, s8, v42
	v_cndmask_b32_e32 v51, v51, v65, vcc_lo
	v_cmp_le_u32_e32 vcc_lo, s8, v42
	v_subrev_nc_u32_e32 v65, s8, v62
	v_subrev_nc_u32_e32 v66, s8, v64
	s_delay_alu instid0(VALU_DEP_4)
	v_subrev_nc_u32_e32 v67, s8, v51
	v_cndmask_b32_e32 v42, v42, v60, vcc_lo
	v_cmp_le_u32_e32 vcc_lo, s8, v62
	v_cndmask_b32_e32 v60, v62, v65, vcc_lo
	v_cmp_le_u32_e32 vcc_lo, s8, v64
	v_cndmask_b32_e32 v62, v64, v66, vcc_lo
	v_cmp_le_u32_e32 vcc_lo, s8, v51
	s_delay_alu instid0(VALU_DEP_2)
	v_lshlrev_b64 v[68:69], 1, v[62:63]
	v_cndmask_b32_e32 v51, v51, v67, vcc_lo
	v_lshlrev_b64 v[64:65], 1, v[42:43]
	v_add_nc_u32_e32 v63, s33, v42
	v_lshlrev_b64 v[66:67], 1, v[60:61]
	v_add_nc_u32_e32 v76, s33, v60
	v_lshlrev_b64 v[70:71], 1, v[51:52]
	v_add_nc_u32_e32 v74, s33, v51
	v_add_co_u32 v72, vcc_lo, s14, v64
	v_mov_b32_e32 v64, v43
	v_add_co_ci_u32_e32 v73, vcc_lo, s15, v65, vcc_lo
	v_add_co_u32 v70, vcc_lo, s14, v70
	v_add_co_ci_u32_e32 v71, vcc_lo, s15, v71, vcc_lo
	v_add_co_u32 v65, vcc_lo, s14, v66
	v_lshlrev_b64 v[63:64], 1, v[63:64]
	v_add_co_ci_u32_e32 v66, vcc_lo, s15, v67, vcc_lo
	v_add_co_u32 v67, vcc_lo, s14, v68
	v_lshlrev_b64 v[74:75], 1, v[74:75]
	;; [unrolled: 3-line block ×3, first 2 shown]
	v_add_nc_u32_e32 v78, s33, v62
	v_add_co_ci_u32_e32 v64, vcc_lo, s15, v64, vcc_lo
	v_add_co_u32 v80, vcc_lo, s14, v74
	v_add_co_ci_u32_e32 v81, vcc_lo, s15, v75, vcc_lo
	s_delay_alu instid0(VALU_DEP_4)
	v_lshlrev_b64 v[74:75], 1, v[78:79]
	v_add_co_u32 v78, vcc_lo, s14, v76
	v_add_co_ci_u32_e32 v79, vcc_lo, s15, v77, vcc_lo
	v_dual_mov_b32 v77, v43 :: v_dual_add_nc_u32 v76, s34, v42
	v_add_nc_u32_e32 v86, s34, v51
	v_add_co_u32 v82, vcc_lo, s14, v74
	v_add_co_ci_u32_e32 v83, vcc_lo, s15, v75, vcc_lo
	s_delay_alu instid0(VALU_DEP_4)
	v_lshlrev_b64 v[84:85], 1, v[76:77]
	s_clause 0x7
	global_load_u16 v77, v[72:73], off
	global_load_u16 v76, v[70:71], off
	;; [unrolled: 1-line block ×8, first 2 shown]
	v_dual_mov_b32 v79, v43 :: v_dual_add_nc_u32 v78, s34, v60
	v_mov_b32_e32 v83, v43
	v_lshlrev_b64 v[63:64], 1, v[86:87]
	v_add_nc_u32_e32 v82, s34, v62
	v_add_co_u32 v80, vcc_lo, s14, v84
	v_lshlrev_b64 v[78:79], 1, v[78:79]
	v_add_co_ci_u32_e32 v81, vcc_lo, s15, v85, vcc_lo
	v_dual_mov_b32 v85, v43 :: v_dual_add_nc_u32 v84, s35, v42
	v_add_co_u32 v63, vcc_lo, s14, v63
	v_lshlrev_b64 v[82:83], 1, v[82:83]
	v_add_nc_u32_e32 v86, s35, v51
	v_add_co_ci_u32_e32 v64, vcc_lo, s15, v64, vcc_lo
	v_add_co_u32 v78, vcc_lo, s14, v78
	v_lshlrev_b64 v[84:85], 1, v[84:85]
	v_add_nc_u32_e32 v88, s35, v60
	v_add_co_ci_u32_e32 v79, vcc_lo, s15, v79, vcc_lo
	;; [unrolled: 4-line block ×4, first 2 shown]
	v_add_co_u32 v86, vcc_lo, s14, v86
	v_lshlrev_b64 v[90:91], 1, v[90:91]
	v_add_co_ci_u32_e32 v87, vcc_lo, s15, v87, vcc_lo
	v_add_co_u32 v88, vcc_lo, s14, v88
	v_lshlrev_b64 v[92:93], 1, v[42:43]
	v_add_nc_u32_e32 v42, s40, v51
	v_add_co_ci_u32_e32 v89, vcc_lo, s15, v89, vcc_lo
	v_add_co_u32 v51, vcc_lo, s14, v90
	v_add_co_ci_u32_e32 v52, vcc_lo, s15, v91, vcc_lo
	s_delay_alu instid0(VALU_DEP_4) | instskip(SKIP_3) | instid1(VALU_DEP_3)
	v_lshlrev_b64 v[90:91], 1, v[42:43]
	v_add_nc_u32_e32 v42, s40, v60
	v_add_co_u32 v60, vcc_lo, s14, v92
	v_add_co_ci_u32_e32 v61, vcc_lo, s15, v93, vcc_lo
	v_lshlrev_b64 v[92:93], 1, v[42:43]
	v_add_nc_u32_e32 v42, s40, v62
	v_add_co_u32 v90, vcc_lo, s14, v90
	v_add_co_ci_u32_e32 v91, vcc_lo, s15, v91, vcc_lo
	s_delay_alu instid0(VALU_DEP_3) | instskip(SKIP_2) | instid1(VALU_DEP_3)
	v_lshlrev_b64 v[94:95], 1, v[42:43]
	v_add_co_u32 v92, vcc_lo, s14, v92
	v_add_co_ci_u32_e32 v93, vcc_lo, s15, v93, vcc_lo
	v_add_co_u32 v94, vcc_lo, s14, v94
	s_delay_alu instid0(VALU_DEP_4)
	v_add_co_ci_u32_e32 v95, vcc_lo, s15, v95, vcc_lo
	s_clause 0xb
	global_load_u16 v74, v[80:81], off
	global_load_u16 v72, v[63:64], off
	;; [unrolled: 1-line block ×12, first 2 shown]
.LBB154_33:                             ;   in Loop: Header=BB154_12 Depth=1
	v_cmp_ne_u32_e32 vcc_lo, 0, v1
	s_and_saveexec_b32 s2, vcc_lo
	s_cbranch_execnz .LBB154_59
; %bb.34:                               ;   in Loop: Header=BB154_12 Depth=1
	s_or_b32 exec_lo, exec_lo, s2
	v_cmp_ne_u32_e64 s1, 0, v2
	s_delay_alu instid0(VALU_DEP_1)
	s_and_saveexec_b32 s3, s1
	s_cbranch_execnz .LBB154_60
.LBB154_35:                             ;   in Loop: Header=BB154_12 Depth=1
	s_or_b32 exec_lo, exec_lo, s3
	v_cmp_ne_u32_e64 s2, 0, v3
	s_delay_alu instid0(VALU_DEP_1)
	s_and_saveexec_b32 s4, s2
	s_cbranch_execnz .LBB154_61
.LBB154_36:                             ;   in Loop: Header=BB154_12 Depth=1
	s_or_b32 exec_lo, exec_lo, s4
	v_cmp_ne_u32_e64 s3, 0, v4
	s_delay_alu instid0(VALU_DEP_1)
	s_and_saveexec_b32 s43, s3
	s_cbranch_execnz .LBB154_62
.LBB154_37:                             ;   in Loop: Header=BB154_12 Depth=1
	s_or_b32 exec_lo, exec_lo, s43
	v_add_nc_u32_e32 v42, s19, v41
	s_and_saveexec_b32 s43, vcc_lo
	s_cbranch_execnz .LBB154_63
.LBB154_38:                             ;   in Loop: Header=BB154_12 Depth=1
	s_or_b32 exec_lo, exec_lo, s43
	s_and_saveexec_b32 s43, s1
	s_cbranch_execnz .LBB154_64
.LBB154_39:                             ;   in Loop: Header=BB154_12 Depth=1
	s_or_b32 exec_lo, exec_lo, s43
	s_and_saveexec_b32 s43, s2
	s_cbranch_execnz .LBB154_65
.LBB154_40:                             ;   in Loop: Header=BB154_12 Depth=1
	s_or_b32 exec_lo, exec_lo, s43
	s_and_saveexec_b32 s43, s3
	s_cbranch_execnz .LBB154_66
.LBB154_41:                             ;   in Loop: Header=BB154_12 Depth=1
	s_or_b32 exec_lo, exec_lo, s43
	v_add_nc_u32_e32 v42, s19, v42
	s_and_saveexec_b32 s43, vcc_lo
	s_cbranch_execnz .LBB154_67
.LBB154_42:                             ;   in Loop: Header=BB154_12 Depth=1
	s_or_b32 exec_lo, exec_lo, s43
	s_and_saveexec_b32 s43, s1
	s_cbranch_execnz .LBB154_68
.LBB154_43:                             ;   in Loop: Header=BB154_12 Depth=1
	s_or_b32 exec_lo, exec_lo, s43
	s_and_saveexec_b32 s43, s2
	s_cbranch_execnz .LBB154_69
.LBB154_44:                             ;   in Loop: Header=BB154_12 Depth=1
	s_or_b32 exec_lo, exec_lo, s43
	s_and_saveexec_b32 s43, s3
	s_cbranch_execnz .LBB154_70
.LBB154_45:                             ;   in Loop: Header=BB154_12 Depth=1
	s_or_b32 exec_lo, exec_lo, s43
	v_add_nc_u32_e32 v42, s19, v42
	s_and_saveexec_b32 s43, vcc_lo
	s_cbranch_execnz .LBB154_71
.LBB154_46:                             ;   in Loop: Header=BB154_12 Depth=1
	s_or_b32 exec_lo, exec_lo, s43
	s_and_saveexec_b32 s43, s1
	s_cbranch_execnz .LBB154_72
.LBB154_47:                             ;   in Loop: Header=BB154_12 Depth=1
	s_or_b32 exec_lo, exec_lo, s43
	s_and_saveexec_b32 s43, s2
	s_cbranch_execnz .LBB154_73
.LBB154_48:                             ;   in Loop: Header=BB154_12 Depth=1
	s_or_b32 exec_lo, exec_lo, s43
	s_and_saveexec_b32 s43, s3
	s_cbranch_execnz .LBB154_74
.LBB154_49:                             ;   in Loop: Header=BB154_12 Depth=1
	s_or_b32 exec_lo, exec_lo, s43
	v_add_nc_u32_e32 v42, s19, v42
	s_and_saveexec_b32 s4, vcc_lo
	s_cbranch_execnz .LBB154_75
.LBB154_50:                             ;   in Loop: Header=BB154_12 Depth=1
	s_or_b32 exec_lo, exec_lo, s4
	s_and_saveexec_b32 s4, s1
	s_cbranch_execnz .LBB154_76
.LBB154_51:                             ;   in Loop: Header=BB154_12 Depth=1
	s_or_b32 exec_lo, exec_lo, s4
	s_and_saveexec_b32 s1, s2
	s_cbranch_execnz .LBB154_77
.LBB154_52:                             ;   in Loop: Header=BB154_12 Depth=1
	s_or_b32 exec_lo, exec_lo, s1
	s_delay_alu instid0(SALU_CYCLE_1)
	s_and_b32 exec_lo, exec_lo, s3
	s_cbranch_execz .LBB154_54
.LBB154_53:                             ;   in Loop: Header=BB154_12 Depth=1
	s_waitcnt lgkmcnt(0)
	v_dual_add_f32 v5, v8, v12 :: v_dual_add_nc_u32 v42, 3, v42
	s_waitcnt vmcnt(0)
	v_cvt_f32_f16_e32 v6, v51
	s_delay_alu instid0(VALU_DEP_1) | instskip(NEXT) | instid1(VALU_DEP_3)
	v_add_f32_e32 v7, v5, v6
	v_lshlrev_b64 v[5:6], 1, v[42:43]
	s_delay_alu instid0(VALU_DEP_2) | instskip(NEXT) | instid1(VALU_DEP_2)
	v_cvt_f16_f32_e32 v7, v7
	v_add_co_u32 v5, vcc_lo, s6, v5
	s_delay_alu instid0(VALU_DEP_3)
	v_add_co_ci_u32_e32 v6, vcc_lo, s7, v6, vcc_lo
	global_store_b16 v[5:6], v7, off
.LBB154_54:                             ;   in Loop: Header=BB154_12 Depth=1
	s_or_b32 exec_lo, exec_lo, s5
	v_add_nc_u32_e32 v41, s29, v41
	s_delay_alu instid0(VALU_DEP_1) | instskip(SKIP_1) | instid1(VALU_DEP_2)
	v_add_nc_u32_e32 v5, 4, v41
	v_cmp_gt_u32_e32 vcc_lo, s19, v41
	v_cmp_le_u32_e64 s1, s19, v5
	s_delay_alu instid0(VALU_DEP_1) | instskip(NEXT) | instid1(SALU_CYCLE_1)
	s_and_b32 s1, vcc_lo, s1
	s_and_saveexec_b32 s43, s1
	s_cbranch_execz .LBB154_10
; %bb.55:                               ;   in Loop: Header=BB154_12 Depth=1
	s_mov_b32 s44, exec_lo
	v_cmpx_ne_u32_e64 s31, v41
	s_cbranch_execz .LBB154_9
; %bb.56:                               ;   in Loop: Header=BB154_12 Depth=1
	v_subrev_nc_u32_e32 v5, s31, v41
	s_mov_b32 s45, 0
	s_mov_b64 s[4:5], 0
	s_delay_alu instid0(VALU_DEP_1)
	v_cmp_lt_u32_e32 vcc_lo, 1, v5
	v_cndmask_b32_e32 v5, 1, v5, vcc_lo
	.p2align	6
.LBB154_57:                             ;   Parent Loop BB154_12 Depth=1
                                        ; =>  This Inner Loop Header: Depth=2
	s_cmp_lg_u32 s4, 3
	s_cselect_b32 vcc_lo, -1, 0
	s_cmp_lg_u32 s4, 2
	v_cndmask_b32_e32 v4, 0, v4, vcc_lo
	s_cselect_b32 s1, -1, 0
	s_cmp_lg_u32 s4, 1
	v_cndmask_b32_e64 v3, 0, v3, s1
	s_cselect_b32 s2, -1, 0
	s_cmp_lg_u32 s4, 0
	v_cndmask_b32_e64 v2, 0, v2, s2
	s_cselect_b32 s3, -1, 0
	s_add_u32 s4, s4, 1
	v_cndmask_b32_e64 v1, 0, v1, s3
	v_cmp_eq_u32_e32 vcc_lo, s4, v5
	s_addc_u32 s5, s5, 0
	s_or_b32 s45, vcc_lo, s45
	s_delay_alu instid0(SALU_CYCLE_1)
	s_and_not1_b32 exec_lo, exec_lo, s45
	s_cbranch_execnz .LBB154_57
; %bb.58:                               ;   in Loop: Header=BB154_12 Depth=1
	s_or_b32 exec_lo, exec_lo, s45
	s_branch .LBB154_9
.LBB154_59:                             ;   in Loop: Header=BB154_12 Depth=1
	s_waitcnt lgkmcnt(19)
	v_dual_add_f32 v45, v45, v49 :: v_dual_mov_b32 v42, v43
	s_waitcnt vmcnt(19)
	v_cvt_f32_f16_e32 v49, v77
	s_delay_alu instid0(VALU_DEP_2) | instskip(NEXT) | instid1(VALU_DEP_2)
	v_lshlrev_b64 v[77:78], 1, v[41:42]
	v_add_f32_e32 v45, v45, v49
	s_delay_alu instid0(VALU_DEP_1) | instskip(NEXT) | instid1(VALU_DEP_3)
	v_cvt_f16_f32_e32 v42, v45
	v_add_co_u32 v77, s1, s6, v77
	s_delay_alu instid0(VALU_DEP_1) | instskip(SKIP_3) | instid1(VALU_DEP_1)
	v_add_co_ci_u32_e64 v78, s1, s7, v78, s1
	global_store_b16 v[77:78], v42, off
	s_or_b32 exec_lo, exec_lo, s2
	v_cmp_ne_u32_e64 s1, 0, v2
	s_and_saveexec_b32 s3, s1
	s_cbranch_execz .LBB154_35
.LBB154_60:                             ;   in Loop: Header=BB154_12 Depth=1
	s_waitcnt lgkmcnt(18)
	v_dual_add_f32 v33, v33, v37 :: v_dual_mov_b32 v42, v43
	s_waitcnt vmcnt(18)
	v_cvt_f32_f16_e32 v37, v76
	s_delay_alu instid0(VALU_DEP_2) | instskip(NEXT) | instid1(VALU_DEP_2)
	v_lshlrev_b64 v[76:77], 1, v[41:42]
	v_add_f32_e32 v33, v33, v37
	s_delay_alu instid0(VALU_DEP_1) | instskip(NEXT) | instid1(VALU_DEP_3)
	v_cvt_f16_f32_e32 v33, v33
	v_add_co_u32 v76, s2, s36, v76
	s_delay_alu instid0(VALU_DEP_1) | instskip(SKIP_3) | instid1(VALU_DEP_1)
	v_add_co_ci_u32_e64 v77, s2, s37, v77, s2
	global_store_b16 v[76:77], v33, off
	s_or_b32 exec_lo, exec_lo, s3
	v_cmp_ne_u32_e64 s2, 0, v3
	s_and_saveexec_b32 s4, s2
	s_cbranch_execz .LBB154_36
.LBB154_61:                             ;   in Loop: Header=BB154_12 Depth=1
	s_waitcnt lgkmcnt(17)
	v_add_f32_e32 v29, v7, v29
	v_mov_b32_e32 v7, v43
	s_waitcnt vmcnt(17)
	v_cvt_f32_f16_e32 v33, v75
	s_delay_alu instid0(VALU_DEP_2) | instskip(NEXT) | instid1(VALU_DEP_2)
	v_lshlrev_b64 v[6:7], 1, v[6:7]
	v_add_f32_e32 v29, v29, v33
	s_delay_alu instid0(VALU_DEP_1) | instskip(NEXT) | instid1(VALU_DEP_3)
	v_cvt_f16_f32_e32 v29, v29
	v_add_co_u32 v6, s3, s6, v6
	s_delay_alu instid0(VALU_DEP_1) | instskip(SKIP_3) | instid1(VALU_DEP_1)
	v_add_co_ci_u32_e64 v7, s3, s7, v7, s3
	global_store_b16 v[6:7], v29, off
	s_or_b32 exec_lo, exec_lo, s4
	v_cmp_ne_u32_e64 s3, 0, v4
	s_and_saveexec_b32 s43, s3
	s_cbranch_execz .LBB154_37
.LBB154_62:                             ;   in Loop: Header=BB154_12 Depth=1
	s_waitcnt lgkmcnt(16)
	v_dual_add_f32 v7, v18, v22 :: v_dual_mov_b32 v6, v43
	s_waitcnt vmcnt(16)
	v_cvt_f32_f16_e32 v18, v73
	s_delay_alu instid0(VALU_DEP_2) | instskip(NEXT) | instid1(VALU_DEP_2)
	v_lshlrev_b64 v[5:6], 1, v[5:6]
	v_add_f32_e32 v7, v7, v18
	s_delay_alu instid0(VALU_DEP_1) | instskip(NEXT) | instid1(VALU_DEP_3)
	v_cvt_f16_f32_e32 v7, v7
	v_add_co_u32 v5, s4, s6, v5
	s_delay_alu instid0(VALU_DEP_1)
	v_add_co_ci_u32_e64 v6, s4, s7, v6, s4
	global_store_b16 v[5:6], v7, off
	s_or_b32 exec_lo, exec_lo, s43
	v_add_nc_u32_e32 v42, s19, v41
	s_and_saveexec_b32 s43, vcc_lo
	s_cbranch_execz .LBB154_38
.LBB154_63:                             ;   in Loop: Header=BB154_12 Depth=1
	s_waitcnt lgkmcnt(15)
	v_add_f32_e32 v5, v9, v13
	s_waitcnt vmcnt(15)
	v_cvt_f32_f16_e32 v6, v71
	s_delay_alu instid0(VALU_DEP_1) | instskip(SKIP_1) | instid1(VALU_DEP_2)
	v_add_f32_e32 v7, v5, v6
	v_lshlrev_b64 v[5:6], 1, v[42:43]
	v_cvt_f16_f32_e32 v7, v7
	s_delay_alu instid0(VALU_DEP_2) | instskip(NEXT) | instid1(VALU_DEP_1)
	v_add_co_u32 v5, s4, s6, v5
	v_add_co_ci_u32_e64 v6, s4, s7, v6, s4
	global_store_b16 v[5:6], v7, off
	s_or_b32 exec_lo, exec_lo, s43
	s_and_saveexec_b32 s43, s1
	s_cbranch_execz .LBB154_39
.LBB154_64:                             ;   in Loop: Header=BB154_12 Depth=1
	s_waitcnt lgkmcnt(13)
	v_dual_add_f32 v7, v46, v50 :: v_dual_mov_b32 v6, v43
	v_add_nc_u32_e32 v5, 1, v42
	s_waitcnt vmcnt(14)
	v_cvt_f32_f16_e32 v9, v69
	s_delay_alu instid0(VALU_DEP_2) | instskip(NEXT) | instid1(VALU_DEP_2)
	v_lshlrev_b64 v[5:6], 1, v[5:6]
	v_add_f32_e32 v7, v7, v9
	s_delay_alu instid0(VALU_DEP_1) | instskip(NEXT) | instid1(VALU_DEP_3)
	v_cvt_f16_f32_e32 v7, v7
	v_add_co_u32 v5, s4, s6, v5
	s_delay_alu instid0(VALU_DEP_1)
	v_add_co_ci_u32_e64 v6, s4, s7, v6, s4
	global_store_b16 v[5:6], v7, off
	s_or_b32 exec_lo, exec_lo, s43
	s_and_saveexec_b32 s43, s2
	s_cbranch_execz .LBB154_40
.LBB154_65:                             ;   in Loop: Header=BB154_12 Depth=1
	s_waitcnt lgkmcnt(11)
	v_dual_add_f32 v7, v34, v38 :: v_dual_mov_b32 v6, v43
	v_add_nc_u32_e32 v5, 2, v42
	s_waitcnt vmcnt(13)
	v_cvt_f32_f16_e32 v9, v67
	s_delay_alu instid0(VALU_DEP_2) | instskip(NEXT) | instid1(VALU_DEP_2)
	v_lshlrev_b64 v[5:6], 1, v[5:6]
	v_add_f32_e32 v7, v7, v9
	s_delay_alu instid0(VALU_DEP_1) | instskip(NEXT) | instid1(VALU_DEP_3)
	v_cvt_f16_f32_e32 v7, v7
	v_add_co_u32 v5, s4, s6, v5
	s_delay_alu instid0(VALU_DEP_1)
	v_add_co_ci_u32_e64 v6, s4, s7, v6, s4
	global_store_b16 v[5:6], v7, off
	s_or_b32 exec_lo, exec_lo, s43
	s_and_saveexec_b32 s43, s3
	s_cbranch_execz .LBB154_41
.LBB154_66:                             ;   in Loop: Header=BB154_12 Depth=1
	s_waitcnt lgkmcnt(7)
	v_dual_add_f32 v7, v26, v30 :: v_dual_mov_b32 v6, v43
	v_add_nc_u32_e32 v5, 3, v42
	s_waitcnt vmcnt(12)
	v_cvt_f32_f16_e32 v9, v65
	s_delay_alu instid0(VALU_DEP_2) | instskip(NEXT) | instid1(VALU_DEP_2)
	v_lshlrev_b64 v[5:6], 1, v[5:6]
	v_add_f32_e32 v7, v7, v9
	s_delay_alu instid0(VALU_DEP_1) | instskip(NEXT) | instid1(VALU_DEP_3)
	v_cvt_f16_f32_e32 v7, v7
	v_add_co_u32 v5, s4, s6, v5
	s_delay_alu instid0(VALU_DEP_1)
	v_add_co_ci_u32_e64 v6, s4, s7, v6, s4
	global_store_b16 v[5:6], v7, off
	s_or_b32 exec_lo, exec_lo, s43
	v_add_nc_u32_e32 v42, s19, v42
	s_and_saveexec_b32 s43, vcc_lo
	s_cbranch_execz .LBB154_42
.LBB154_67:                             ;   in Loop: Header=BB154_12 Depth=1
	s_waitcnt lgkmcnt(10)
	v_add_f32_e32 v5, v16, v20
	s_waitcnt vmcnt(11)
	v_cvt_f32_f16_e32 v6, v74
	s_delay_alu instid0(VALU_DEP_1) | instskip(SKIP_1) | instid1(VALU_DEP_2)
	v_add_f32_e32 v7, v5, v6
	v_lshlrev_b64 v[5:6], 1, v[42:43]
	v_cvt_f16_f32_e32 v7, v7
	s_delay_alu instid0(VALU_DEP_2) | instskip(NEXT) | instid1(VALU_DEP_1)
	v_add_co_u32 v5, s4, s6, v5
	v_add_co_ci_u32_e64 v6, s4, s7, v6, s4
	global_store_b16 v[5:6], v7, off
	s_or_b32 exec_lo, exec_lo, s43
	s_and_saveexec_b32 s43, s1
	s_cbranch_execz .LBB154_43
.LBB154_68:                             ;   in Loop: Header=BB154_12 Depth=1
	v_dual_mov_b32 v6, v43 :: v_dual_add_nc_u32 v5, 1, v42
	s_waitcnt lgkmcnt(12)
	v_add_f32_e32 v7, v11, v15
	s_waitcnt vmcnt(10)
	v_cvt_f32_f16_e32 v9, v72
	v_lshlrev_b64 v[5:6], 1, v[5:6]
	s_delay_alu instid0(VALU_DEP_2) | instskip(NEXT) | instid1(VALU_DEP_2)
	v_add_f32_e32 v7, v7, v9
	v_add_co_u32 v5, s4, s6, v5
	s_delay_alu instid0(VALU_DEP_2) | instskip(NEXT) | instid1(VALU_DEP_4)
	v_cvt_f16_f32_e32 v7, v7
	v_add_co_ci_u32_e64 v6, s4, s7, v6, s4
	global_store_b16 v[5:6], v7, off
	s_or_b32 exec_lo, exec_lo, s43
	s_and_saveexec_b32 s43, s2
	s_cbranch_execz .LBB154_44
.LBB154_69:                             ;   in Loop: Header=BB154_12 Depth=1
	s_waitcnt lgkmcnt(14)
	v_dual_add_f32 v7, v40, v48 :: v_dual_mov_b32 v6, v43
	v_add_nc_u32_e32 v5, 2, v42
	s_waitcnt vmcnt(9)
	v_cvt_f32_f16_e32 v9, v70
	s_delay_alu instid0(VALU_DEP_2) | instskip(NEXT) | instid1(VALU_DEP_2)
	v_lshlrev_b64 v[5:6], 1, v[5:6]
	v_add_f32_e32 v7, v7, v9
	s_delay_alu instid0(VALU_DEP_1) | instskip(NEXT) | instid1(VALU_DEP_3)
	v_cvt_f16_f32_e32 v7, v7
	v_add_co_u32 v5, s4, s6, v5
	s_delay_alu instid0(VALU_DEP_1)
	v_add_co_ci_u32_e64 v6, s4, s7, v6, s4
	global_store_b16 v[5:6], v7, off
	s_or_b32 exec_lo, exec_lo, s43
	s_and_saveexec_b32 s43, s3
	s_cbranch_execz .LBB154_45
.LBB154_70:                             ;   in Loop: Header=BB154_12 Depth=1
	s_waitcnt lgkmcnt(6)
	v_dual_add_f32 v7, v32, v36 :: v_dual_mov_b32 v6, v43
	v_add_nc_u32_e32 v5, 3, v42
	s_waitcnt vmcnt(8)
	v_cvt_f32_f16_e32 v9, v68
	s_delay_alu instid0(VALU_DEP_2) | instskip(NEXT) | instid1(VALU_DEP_2)
	v_lshlrev_b64 v[5:6], 1, v[5:6]
	v_add_f32_e32 v7, v7, v9
	s_delay_alu instid0(VALU_DEP_1) | instskip(NEXT) | instid1(VALU_DEP_3)
	v_cvt_f16_f32_e32 v7, v7
	v_add_co_u32 v5, s4, s6, v5
	s_delay_alu instid0(VALU_DEP_1)
	v_add_co_ci_u32_e64 v6, s4, s7, v6, s4
	global_store_b16 v[5:6], v7, off
	s_or_b32 exec_lo, exec_lo, s43
	v_add_nc_u32_e32 v42, s19, v42
	s_and_saveexec_b32 s43, vcc_lo
	s_cbranch_execz .LBB154_46
.LBB154_71:                             ;   in Loop: Header=BB154_12 Depth=1
	s_waitcnt lgkmcnt(9)
	v_add_f32_e32 v5, v24, v27
	s_waitcnt vmcnt(7)
	v_cvt_f32_f16_e32 v6, v66
	s_delay_alu instid0(VALU_DEP_1) | instskip(SKIP_1) | instid1(VALU_DEP_2)
	v_add_f32_e32 v7, v5, v6
	v_lshlrev_b64 v[5:6], 1, v[42:43]
	v_cvt_f16_f32_e32 v7, v7
	s_delay_alu instid0(VALU_DEP_2) | instskip(NEXT) | instid1(VALU_DEP_1)
	v_add_co_u32 v5, s4, s6, v5
	v_add_co_ci_u32_e64 v6, s4, s7, v6, s4
	global_store_b16 v[5:6], v7, off
	s_or_b32 exec_lo, exec_lo, s43
	s_and_saveexec_b32 s43, s1
	s_cbranch_execz .LBB154_47
.LBB154_72:                             ;   in Loop: Header=BB154_12 Depth=1
	v_dual_mov_b32 v6, v43 :: v_dual_add_nc_u32 v5, 1, v42
	s_waitcnt lgkmcnt(5)
	v_add_f32_e32 v7, v19, v23
	s_waitcnt vmcnt(6)
	v_cvt_f32_f16_e32 v9, v64
	v_lshlrev_b64 v[5:6], 1, v[5:6]
	s_delay_alu instid0(VALU_DEP_2) | instskip(NEXT) | instid1(VALU_DEP_2)
	v_add_f32_e32 v7, v7, v9
	v_add_co_u32 v5, s4, s6, v5
	s_delay_alu instid0(VALU_DEP_2) | instskip(NEXT) | instid1(VALU_DEP_4)
	v_cvt_f16_f32_e32 v7, v7
	v_add_co_ci_u32_e64 v6, s4, s7, v6, s4
	global_store_b16 v[5:6], v7, off
	s_or_b32 exec_lo, exec_lo, s43
	s_and_saveexec_b32 s43, s2
	s_cbranch_execz .LBB154_48
.LBB154_73:                             ;   in Loop: Header=BB154_12 Depth=1
	s_waitcnt lgkmcnt(8)
	v_dual_add_f32 v7, v10, v14 :: v_dual_mov_b32 v6, v43
	v_add_nc_u32_e32 v5, 2, v42
	s_waitcnt vmcnt(5)
	v_cvt_f32_f16_e32 v9, v63
	s_delay_alu instid0(VALU_DEP_2) | instskip(NEXT) | instid1(VALU_DEP_2)
	v_lshlrev_b64 v[5:6], 1, v[5:6]
	v_add_f32_e32 v7, v7, v9
	s_delay_alu instid0(VALU_DEP_1) | instskip(NEXT) | instid1(VALU_DEP_3)
	v_cvt_f16_f32_e32 v7, v7
	v_add_co_u32 v5, s4, s6, v5
	s_delay_alu instid0(VALU_DEP_1)
	v_add_co_ci_u32_e64 v6, s4, s7, v6, s4
	global_store_b16 v[5:6], v7, off
	s_or_b32 exec_lo, exec_lo, s43
	s_and_saveexec_b32 s43, s3
	s_cbranch_execz .LBB154_49
.LBB154_74:                             ;   in Loop: Header=BB154_12 Depth=1
	v_dual_mov_b32 v6, v43 :: v_dual_add_nc_u32 v5, 3, v42
	s_waitcnt lgkmcnt(4)
	v_add_f32_e32 v7, v39, v47
	s_waitcnt vmcnt(4)
	v_cvt_f32_f16_e32 v9, v62
	v_lshlrev_b64 v[5:6], 1, v[5:6]
	s_delay_alu instid0(VALU_DEP_2) | instskip(NEXT) | instid1(VALU_DEP_2)
	v_add_f32_e32 v7, v7, v9
	v_add_co_u32 v5, s4, s6, v5
	s_delay_alu instid0(VALU_DEP_2) | instskip(NEXT) | instid1(VALU_DEP_4)
	v_cvt_f16_f32_e32 v7, v7
	v_add_co_ci_u32_e64 v6, s4, s7, v6, s4
	global_store_b16 v[5:6], v7, off
	s_or_b32 exec_lo, exec_lo, s43
	v_add_nc_u32_e32 v42, s19, v42
	s_and_saveexec_b32 s4, vcc_lo
	s_cbranch_execz .LBB154_50
.LBB154_75:                             ;   in Loop: Header=BB154_12 Depth=1
	s_waitcnt lgkmcnt(2)
	v_add_f32_e32 v5, v31, v35
	s_waitcnt vmcnt(3)
	v_cvt_f32_f16_e32 v6, v61
	s_delay_alu instid0(VALU_DEP_1) | instskip(SKIP_1) | instid1(VALU_DEP_2)
	v_add_f32_e32 v7, v5, v6
	v_lshlrev_b64 v[5:6], 1, v[42:43]
	v_cvt_f16_f32_e32 v7, v7
	s_delay_alu instid0(VALU_DEP_2) | instskip(NEXT) | instid1(VALU_DEP_3)
	v_add_co_u32 v5, vcc_lo, s6, v5
	v_add_co_ci_u32_e32 v6, vcc_lo, s7, v6, vcc_lo
	global_store_b16 v[5:6], v7, off
	s_or_b32 exec_lo, exec_lo, s4
	s_and_saveexec_b32 s4, s1
	s_cbranch_execz .LBB154_51
.LBB154_76:                             ;   in Loop: Header=BB154_12 Depth=1
	s_waitcnt lgkmcnt(1)
	v_dual_add_f32 v7, v25, v28 :: v_dual_mov_b32 v6, v43
	v_add_nc_u32_e32 v5, 1, v42
	s_waitcnt vmcnt(2)
	v_cvt_f32_f16_e32 v9, v60
	s_delay_alu instid0(VALU_DEP_2) | instskip(NEXT) | instid1(VALU_DEP_2)
	v_lshlrev_b64 v[5:6], 1, v[5:6]
	v_add_f32_e32 v7, v7, v9
	s_delay_alu instid0(VALU_DEP_1) | instskip(NEXT) | instid1(VALU_DEP_3)
	v_cvt_f16_f32_e32 v7, v7
	v_add_co_u32 v5, vcc_lo, s6, v5
	s_delay_alu instid0(VALU_DEP_4)
	v_add_co_ci_u32_e32 v6, vcc_lo, s7, v6, vcc_lo
	global_store_b16 v[5:6], v7, off
	s_or_b32 exec_lo, exec_lo, s4
	s_and_saveexec_b32 s1, s2
	s_cbranch_execz .LBB154_52
.LBB154_77:                             ;   in Loop: Header=BB154_12 Depth=1
	s_waitcnt lgkmcnt(3)
	v_dual_add_f32 v7, v17, v21 :: v_dual_mov_b32 v6, v43
	v_add_nc_u32_e32 v5, 2, v42
	s_waitcnt vmcnt(1)
	v_cvt_f32_f16_e32 v9, v52
	s_delay_alu instid0(VALU_DEP_2) | instskip(NEXT) | instid1(VALU_DEP_2)
	v_lshlrev_b64 v[5:6], 1, v[5:6]
	v_add_f32_e32 v7, v7, v9
	s_delay_alu instid0(VALU_DEP_1) | instskip(NEXT) | instid1(VALU_DEP_3)
	v_cvt_f16_f32_e32 v7, v7
	v_add_co_u32 v5, vcc_lo, s6, v5
	s_delay_alu instid0(VALU_DEP_4) | instskip(SKIP_2) | instid1(SALU_CYCLE_1)
	v_add_co_ci_u32_e32 v6, vcc_lo, s7, v6, vcc_lo
	global_store_b16 v[5:6], v7, off
	s_or_b32 exec_lo, exec_lo, s1
	s_and_b32 exec_lo, exec_lo, s3
	s_cbranch_execnz .LBB154_53
	s_branch .LBB154_54
.LBB154_78:
	s_nop 0
	s_sendmsg sendmsg(MSG_DEALLOC_VGPRS)
	s_endpgm
	.section	.rodata,"a",@progbits
	.p2align	6, 0x0
	.amdhsa_kernel _Z16wvSplitK_hf_big_I6__halfLi64ELi4ELi16ELi8ELi1ELi5EEviiiiiiPKT_S3_S3_PS1_ii
		.amdhsa_group_segment_fixed_size 65536
		.amdhsa_private_segment_fixed_size 0
		.amdhsa_kernarg_size 64
		.amdhsa_user_sgpr_count 15
		.amdhsa_user_sgpr_dispatch_ptr 0
		.amdhsa_user_sgpr_queue_ptr 0
		.amdhsa_user_sgpr_kernarg_segment_ptr 1
		.amdhsa_user_sgpr_dispatch_id 0
		.amdhsa_user_sgpr_private_segment_size 0
		.amdhsa_wavefront_size32 1
		.amdhsa_uses_dynamic_stack 0
		.amdhsa_enable_private_segment 0
		.amdhsa_system_sgpr_workgroup_id_x 1
		.amdhsa_system_sgpr_workgroup_id_y 0
		.amdhsa_system_sgpr_workgroup_id_z 0
		.amdhsa_system_sgpr_workgroup_info 0
		.amdhsa_system_vgpr_workitem_id 1
		.amdhsa_next_free_vgpr 96
		.amdhsa_next_free_sgpr 46
		.amdhsa_reserve_vcc 1
		.amdhsa_float_round_mode_32 0
		.amdhsa_float_round_mode_16_64 0
		.amdhsa_float_denorm_mode_32 3
		.amdhsa_float_denorm_mode_16_64 3
		.amdhsa_dx10_clamp 1
		.amdhsa_ieee_mode 1
		.amdhsa_fp16_overflow 0
		.amdhsa_workgroup_processor_mode 1
		.amdhsa_memory_ordered 1
		.amdhsa_forward_progress 0
		.amdhsa_shared_vgpr_count 0
		.amdhsa_exception_fp_ieee_invalid_op 0
		.amdhsa_exception_fp_denorm_src 0
		.amdhsa_exception_fp_ieee_div_zero 0
		.amdhsa_exception_fp_ieee_overflow 0
		.amdhsa_exception_fp_ieee_underflow 0
		.amdhsa_exception_fp_ieee_inexact 0
		.amdhsa_exception_int_div_zero 0
	.end_amdhsa_kernel
	.section	.text._Z16wvSplitK_hf_big_I6__halfLi64ELi4ELi16ELi8ELi1ELi5EEviiiiiiPKT_S3_S3_PS1_ii,"axG",@progbits,_Z16wvSplitK_hf_big_I6__halfLi64ELi4ELi16ELi8ELi1ELi5EEviiiiiiPKT_S3_S3_PS1_ii,comdat
.Lfunc_end154:
	.size	_Z16wvSplitK_hf_big_I6__halfLi64ELi4ELi16ELi8ELi1ELi5EEviiiiiiPKT_S3_S3_PS1_ii, .Lfunc_end154-_Z16wvSplitK_hf_big_I6__halfLi64ELi4ELi16ELi8ELi1ELi5EEviiiiiiPKT_S3_S3_PS1_ii
                                        ; -- End function
	.section	.AMDGPU.csdata,"",@progbits
; Kernel info:
; codeLenInByte = 8716
; NumSgprs: 48
; NumVgprs: 96
; ScratchSize: 0
; MemoryBound: 0
; FloatMode: 240
; IeeeMode: 1
; LDSByteSize: 65536 bytes/workgroup (compile time only)
; SGPRBlocks: 5
; VGPRBlocks: 11
; NumSGPRsForWavesPerEU: 48
; NumVGPRsForWavesPerEU: 96
; Occupancy: 16
; WaveLimiterHint : 0
; COMPUTE_PGM_RSRC2:SCRATCH_EN: 0
; COMPUTE_PGM_RSRC2:USER_SGPR: 15
; COMPUTE_PGM_RSRC2:TRAP_HANDLER: 0
; COMPUTE_PGM_RSRC2:TGID_X_EN: 1
; COMPUTE_PGM_RSRC2:TGID_Y_EN: 0
; COMPUTE_PGM_RSRC2:TGID_Z_EN: 0
; COMPUTE_PGM_RSRC2:TIDIG_COMP_CNT: 1
	.section	.text._Z16wvSplitK_hf_sml_I6__halfLi64ELi4ELi16ELi8ELi2ELi5EEviiiiiiPKT_S3_S3_PS1_ii,"axG",@progbits,_Z16wvSplitK_hf_sml_I6__halfLi64ELi4ELi16ELi8ELi2ELi5EEviiiiiiPKT_S3_S3_PS1_ii,comdat
	.protected	_Z16wvSplitK_hf_sml_I6__halfLi64ELi4ELi16ELi8ELi2ELi5EEviiiiiiPKT_S3_S3_PS1_ii ; -- Begin function _Z16wvSplitK_hf_sml_I6__halfLi64ELi4ELi16ELi8ELi2ELi5EEviiiiiiPKT_S3_S3_PS1_ii
	.globl	_Z16wvSplitK_hf_sml_I6__halfLi64ELi4ELi16ELi8ELi2ELi5EEviiiiiiPKT_S3_S3_PS1_ii
	.p2align	8
	.type	_Z16wvSplitK_hf_sml_I6__halfLi64ELi4ELi16ELi8ELi2ELi5EEviiiiiiPKT_S3_S3_PS1_ii,@function
_Z16wvSplitK_hf_sml_I6__halfLi64ELi4ELi16ELi8ELi2ELi5EEviiiiiiPKT_S3_S3_PS1_ii: ; @_Z16wvSplitK_hf_sml_I6__halfLi64ELi4ELi16ELi8ELi2ELi5EEviiiiiiPKT_S3_S3_PS1_ii
; %bb.0:
	s_clause 0x2
	s_load_b128 s[4:7], s[0:1], 0x0
	s_load_b64 s[8:9], s[0:1], 0x10
	s_load_b64 s[10:11], s[0:1], 0x28
	v_and_b32_e32 v2, 0x3ff, v0
	v_bfe_u32 v3, v0, 10, 10
	s_mov_b32 s12, exec_lo
	s_delay_alu instid0(VALU_DEP_2) | instskip(NEXT) | instid1(VALU_DEP_1)
	v_lshlrev_b32_e32 v83, 3, v2
	v_lshl_add_u32 v4, v3, 9, v83
	s_waitcnt lgkmcnt(0)
	s_mul_i32 s2, s6, 5
	s_delay_alu instid0(SALU_CYCLE_1)
	s_min_u32 s3, s2, 0x8000
	s_delay_alu instid0(VALU_DEP_1) | instid1(SALU_CYCLE_1)
	v_cmpx_gt_u32_e64 s3, v4
	s_cbranch_execz .LBB155_3
; %bb.1:
	s_load_b64 s[16:17], s[0:1], 0x20
	v_lshlrev_b32_e32 v5, 10, v3
	v_lshlrev_b32_e32 v6, 4, v2
	s_mov_b32 s13, 0
	s_delay_alu instid0(VALU_DEP_1) | instskip(NEXT) | instid1(VALU_DEP_1)
	v_add_co_u32 v0, s2, v5, v6
	v_add_co_ci_u32_e64 v1, null, 0, 0, s2
	v_add_nc_u32_e32 v5, v5, v6
	s_waitcnt lgkmcnt(0)
	s_delay_alu instid0(VALU_DEP_3) | instskip(NEXT) | instid1(VALU_DEP_3)
	v_add_co_u32 v0, vcc_lo, s16, v0
	v_add_co_ci_u32_e32 v1, vcc_lo, s17, v1, vcc_lo
	.p2align	6
.LBB155_2:                              ; =>This Inner Loop Header: Depth=1
	global_load_b128 v[6:9], v[0:1], off
	v_add_nc_u32_e32 v4, 0x2000, v4
	v_add_co_u32 v0, vcc_lo, 0x4000, v0
	v_add_co_ci_u32_e32 v1, vcc_lo, 0, v1, vcc_lo
	s_delay_alu instid0(VALU_DEP_3) | instskip(NEXT) | instid1(VALU_DEP_1)
	v_cmp_le_u32_e64 s2, s3, v4
	s_or_b32 s13, s2, s13
	s_waitcnt vmcnt(0)
	ds_store_b128 v5, v[6:9]
	v_add_nc_u32_e32 v5, 0x4000, v5
	s_and_not1_b32 exec_lo, exec_lo, s13
	s_cbranch_execnz .LBB155_2
.LBB155_3:
	s_or_b32 exec_lo, exec_lo, s12
	s_load_b64 s[2:3], s[0:1], 0x38
	s_waitcnt lgkmcnt(0)
	s_barrier
	buffer_gl0_inv
	s_mov_b32 s12, exec_lo
	v_cmpx_gt_u32_e64 s2, v3
	s_cbranch_execz .LBB155_20
; %bb.4:
	s_mul_i32 s15, s15, s2
	s_delay_alu instid0(SALU_CYCLE_1) | instskip(NEXT) | instid1(VALU_DEP_1)
	v_add_lshl_u32 v64, s15, v3, 2
	v_cmp_gt_u32_e32 vcc_lo, s7, v64
	s_and_b32 exec_lo, exec_lo, vcc_lo
	s_cbranch_execz .LBB155_20
; %bb.5:
	s_cmp_lg_u32 s4, 0
	s_mul_i32 s2, s2, s3
	s_cselect_b32 s14, -1, 0
	s_add_i32 s15, s4, -8
	s_add_i32 s16, s7, -1
	s_cmp_lg_u64 s[10:11], 0
	v_cvt_f32_u32_e32 v1, s8
	s_cselect_b32 s17, -1, 0
	s_abs_i32 s21, s9
	s_lshl_b32 s9, s2, 2
	v_cvt_f32_u32_e32 v0, s21
	s_sub_i32 s2, 0, s21
	s_sub_i32 s18, 0, s8
	;; [unrolled: 1-line block ×3, first 2 shown]
	v_mov_b32_e32 v66, 0
	v_rcp_iflag_f32_e32 v0, v0
	v_lshlrev_b32_e32 v84, 4, v2
	v_mbcnt_lo_u32_b32 v85, -1, 0
	s_waitcnt_depctr 0xfff
	v_mul_f32_e32 v0, 0x4f7ffffe, v0
	s_delay_alu instid0(VALU_DEP_1) | instskip(NEXT) | instid1(VALU_DEP_1)
	v_cvt_u32_f32_e32 v0, v0
	v_readfirstlane_b32 s3, v0
	v_rcp_iflag_f32_e32 v0, v1
	s_delay_alu instid0(VALU_DEP_1) | instskip(NEXT) | instid1(SALU_CYCLE_1)
	s_mul_i32 s2, s2, s3
	s_mul_hi_u32 s2, s3, s2
	s_delay_alu instid0(SALU_CYCLE_1)
	s_add_i32 s19, s3, s2
	s_cmp_lt_u32 s21, 2
	s_waitcnt_depctr 0xfff
	v_mul_f32_e32 v0, 0x4f7ffffe, v0
	s_cselect_b32 s20, s12, 1
	s_clause 0x1
	s_load_b64 s[2:3], s[0:1], 0x18
	s_load_b64 s[12:13], s[0:1], 0x30
	s_sub_i32 s0, s20, s21
	s_cmp_ge_u32 s20, s21
	v_cvt_u32_f32_e32 v0, v0
	s_cselect_b32 s20, s0, s20
	s_lshr_b32 s0, s19, 31
	s_mov_b32 s1, 0
	s_mul_i32 s0, s0, s21
	v_mul_lo_u32 v1, s18, v0
	s_sub_i32 s22, 2, s0
	v_cmp_eq_u32_e64 s0, 63, v2
	s_sub_i32 s23, s22, s21
	s_cmp_ge_u32 s22, s21
	s_cselect_b32 s18, s23, s22
	s_mul_hi_u32 s22, s19, 3
	s_sub_i32 s23, s18, s21
	s_cmp_ge_u32 s18, s21
	s_mul_i32 s22, s22, s21
	s_cselect_b32 s23, s23, s18
	s_sub_i32 s18, 3, s22
	v_mul_hi_u32 v1, v0, v1
	s_sub_i32 s22, s18, s21
	s_cmp_ge_u32 s18, s21
	s_cselect_b32 s22, s22, s18
	s_mul_i32 s18, s6, 6
	s_sub_i32 s24, s22, s21
	s_cmp_ge_u32 s22, s21
	s_delay_alu instid0(VALU_DEP_1) | instskip(SKIP_2) | instid1(SALU_CYCLE_1)
	v_add_nc_u32_e32 v86, v0, v1
	s_cselect_b32 s22, s24, s22
	s_lshr_b32 s19, s19, 30
	s_mul_i32 s19, s19, s21
	s_delay_alu instid0(SALU_CYCLE_1)
	s_sub_i32 s24, 4, s19
	s_mul_i32 s19, s20, s8
	s_sub_i32 s25, s24, s21
	s_cmp_ge_u32 s24, s21
	s_mul_i32 s20, s23, s8
	s_cselect_b32 s24, s25, s24
	s_delay_alu instid0(SALU_CYCLE_1)
	s_sub_i32 s23, s24, s21
	s_cmp_ge_u32 s24, s21
	s_mul_i32 s21, s22, s8
	s_cselect_b32 s24, s23, s24
	s_lshl_b32 s22, s6, 3
	s_lshl_b32 s23, s6, 2
	s_mul_i32 s24, s24, s8
	s_lshl_b32 s6, s6, 1
	s_branch .LBB155_8
.LBB155_6:                              ;   in Loop: Header=BB155_8 Depth=1
	s_waitcnt lgkmcnt(0)
	v_dual_add_f32 v0, v0, v5 :: v_dual_add_f32 v1, v1, v6
	v_dual_add_f32 v2, v2, v7 :: v_dual_add_f32 v3, v3, v8
	s_waitcnt vmcnt(19)
	v_cvt_f32_f16_e32 v7, v56
	v_dual_add_f32 v4, v4, v9 :: v_dual_add_f32 v5, v10, v15
	v_dual_add_f32 v6, v11, v16 :: v_dual_add_f32 v9, v13, v18
	;; [unrolled: 1-line block ×5, first 2 shown]
	s_waitcnt vmcnt(18)
	v_cvt_f32_f16_e32 v19, v55
	s_waitcnt vmcnt(17)
	v_cvt_f32_f16_e32 v20, v54
	;; [unrolled: 2-line block ×3, first 2 shown]
	v_add_f32_e32 v0, v0, v7
	v_dual_add_f32 v16, v35, v38 :: v_dual_add_f32 v7, v1, v19
	s_delay_alu instid0(VALU_DEP_3) | instskip(NEXT) | instid1(VALU_DEP_3)
	v_dual_add_f32 v2, v2, v20 :: v_dual_add_f32 v3, v3, v21
	v_cvt_f16_f32_e32 v19, v0
	v_lshlrev_b64 v[0:1], 1, v[64:65]
	s_delay_alu instid0(VALU_DEP_4) | instskip(NEXT) | instid1(VALU_DEP_4)
	v_cvt_f16_f32_e32 v7, v7
	v_cvt_f16_f32_e32 v2, v2
	v_cvt_f16_f32_e32 v3, v3
	s_waitcnt vmcnt(15)
	v_cvt_f32_f16_e32 v20, v51
	v_dual_add_f32 v18, v34, v37 :: v_dual_add_nc_u32 v65, s7, v64
	v_add_co_u32 v0, vcc_lo, s12, v0
	v_add_co_ci_u32_e32 v1, vcc_lo, s13, v1, vcc_lo
	v_pack_b32_f16 v3, v2, v3
	v_pack_b32_f16 v2, v19, v7
	s_waitcnt vmcnt(14)
	v_cvt_f32_f16_e32 v7, v49
	s_waitcnt vmcnt(13)
	v_cvt_f32_f16_e32 v21, v47
	;; [unrolled: 2-line block ×3, first 2 shown]
	v_add_f32_e32 v4, v4, v20
	global_store_b64 v[0:1], v[2:3], off
	v_dual_mov_b32 v3, v66 :: v_dual_add_nc_u32 v2, 1, v65
	v_add_f32_e32 v7, v5, v7
	v_mov_b32_e32 v5, v66
	v_dual_add_f32 v21, v6, v21 :: v_dual_add_f32 v8, v8, v24
	v_lshlrev_b64 v[0:1], 1, v[65:66]
	v_cvt_f16_f32_e32 v20, v4
	v_add_nc_u32_e32 v4, 2, v65
	v_lshlrev_b64 v[2:3], 1, v[2:3]
	v_dual_add_f32 v14, v23, v28 :: v_dual_add_f32 v17, v36, v39
	v_cvt_f16_f32_e32 v23, v7
	v_mov_b32_e32 v7, v66
	v_cvt_f16_f32_e32 v24, v8
	s_waitcnt vmcnt(11)
	v_cvt_f32_f16_e32 v8, v59
	v_add_nc_u32_e32 v6, 3, v65
	v_add_co_u32 v0, vcc_lo, s12, v0
	v_lshlrev_b64 v[4:5], 1, v[4:5]
	s_delay_alu instid0(VALU_DEP_4)
	v_add_f32_e32 v25, v9, v8
	v_add_co_ci_u32_e32 v1, vcc_lo, s13, v1, vcc_lo
	v_add_co_u32 v2, vcc_lo, s12, v2
	v_lshlrev_b64 v[6:7], 1, v[6:7]
	v_add_co_ci_u32_e32 v3, vcc_lo, s13, v3, vcc_lo
	v_add_co_u32 v4, vcc_lo, s12, v4
	v_add_co_ci_u32_e32 v5, vcc_lo, s13, v5, vcc_lo
	s_waitcnt vmcnt(10)
	v_cvt_f32_f16_e32 v26, v58
	v_add_co_u32 v6, vcc_lo, s12, v6
	v_cvt_f16_f32_e32 v21, v21
	v_add_nc_u32_e32 v65, s7, v65
	v_add_co_ci_u32_e32 v7, vcc_lo, s13, v7, vcc_lo
	s_clause 0x3
	global_store_b16 v[0:1], v20, off
	global_store_b16 v[2:3], v23, off
	;; [unrolled: 1-line block ×4, first 2 shown]
	v_add_f32_e32 v2, v10, v26
	v_lshlrev_b64 v[8:9], 1, v[65:66]
	s_waitcnt vmcnt(9)
	v_cvt_f32_f16_e32 v4, v57
	v_mov_b32_e32 v3, v66
	v_mov_b32_e32 v5, v66
	v_cvt_f16_f32_e32 v7, v2
	v_add_nc_u32_e32 v2, 2, v65
	v_add_co_u32 v0, vcc_lo, s12, v8
	v_add_f32_e32 v8, v11, v4
	v_add_nc_u32_e32 v4, 3, v65
	s_delay_alu instid0(VALU_DEP_4)
	v_lshlrev_b64 v[2:3], 1, v[2:3]
	v_cvt_f16_f32_e32 v6, v25
	v_add_co_ci_u32_e32 v1, vcc_lo, s13, v9, vcc_lo
	s_waitcnt vmcnt(8)
	v_cvt_f32_f16_e32 v9, v52
	v_lshlrev_b64 v[4:5], 1, v[4:5]
	v_pack_b32_f16 v6, v6, v7
	v_cvt_f16_f32_e32 v7, v8
	v_add_co_u32 v2, vcc_lo, s12, v2
	v_add_f32_e32 v8, v12, v9
	v_add_co_ci_u32_e32 v3, vcc_lo, s13, v3, vcc_lo
	s_waitcnt vmcnt(7)
	v_cvt_f32_f16_e32 v9, v50
	v_add_co_u32 v4, vcc_lo, s12, v4
	v_cvt_f16_f32_e32 v8, v8
	v_add_co_ci_u32_e32 v5, vcc_lo, s13, v5, vcc_lo
	s_clause 0x2
	global_store_b32 v[0:1], v6, off
	global_store_b16 v[2:3], v7, off
	global_store_b16 v[4:5], v8, off
	v_mov_b32_e32 v5, v66
	s_waitcnt vmcnt(5)
	v_cvt_f32_f16_e32 v7, v46
	v_add_f32_e32 v9, v13, v9
	v_cvt_f32_f16_e32 v10, v48
	v_add_nc_u32_e32 v65, s7, v65
	s_delay_alu instid0(VALU_DEP_4) | instskip(NEXT) | instid1(VALU_DEP_4)
	v_dual_mov_b32 v3, v66 :: v_dual_add_f32 v8, v15, v7
	v_cvt_f16_f32_e32 v12, v9
	s_delay_alu instid0(VALU_DEP_4)
	v_add_f32_e32 v6, v14, v10
	s_waitcnt vmcnt(4)
	v_cvt_f32_f16_e32 v9, v44
	v_dual_mov_b32 v7, v66 :: v_dual_add_nc_u32 v2, 1, v65
	v_lshlrev_b64 v[0:1], 1, v[65:66]
	v_cvt_f16_f32_e32 v14, v8
	s_delay_alu instid0(VALU_DEP_4)
	v_add_f32_e32 v8, v16, v9
	v_dual_add_f32 v22, v32, v33 :: v_dual_add_f32 v19, v30, v31
	s_waitcnt vmcnt(0)
	v_cvt_f32_f16_e32 v11, v40
	v_add_nc_u32_e32 v4, 2, v65
	v_lshlrev_b64 v[2:3], 1, v[2:3]
	v_cvt_f16_f32_e32 v13, v6
	s_delay_alu instid0(VALU_DEP_4)
	v_dual_add_f32 v11, v19, v11 :: v_dual_add_nc_u32 v6, 3, v65
	v_cvt_f16_f32_e32 v15, v8
	v_cvt_f32_f16_e32 v8, v43
	v_cvt_f32_f16_e32 v9, v42
	;; [unrolled: 1-line block ×3, first 2 shown]
	v_add_co_u32 v0, vcc_lo, s12, v0
	v_lshlrev_b64 v[4:5], 1, v[4:5]
	v_dual_add_f32 v16, v17, v8 :: v_dual_add_nc_u32 v65, s7, v65
	v_add_co_ci_u32_e32 v1, vcc_lo, s13, v1, vcc_lo
	v_add_co_u32 v2, vcc_lo, s12, v2
	v_lshlrev_b64 v[6:7], 1, v[6:7]
	v_add_f32_e32 v17, v18, v9
	v_add_f32_e32 v10, v22, v10
	v_add_co_ci_u32_e32 v3, vcc_lo, s13, v3, vcc_lo
	v_add_co_u32 v4, vcc_lo, s12, v4
	v_lshlrev_b64 v[8:9], 1, v[65:66]
	v_add_co_ci_u32_e32 v5, vcc_lo, s13, v5, vcc_lo
	v_add_co_u32 v6, vcc_lo, s12, v6
	v_cvt_f16_f32_e32 v16, v16
	v_cvt_f16_f32_e32 v17, v17
	;; [unrolled: 1-line block ×4, first 2 shown]
	v_add_co_ci_u32_e32 v7, vcc_lo, s13, v7, vcc_lo
	v_add_co_u32 v8, vcc_lo, s12, v8
	v_add_co_ci_u32_e32 v9, vcc_lo, s13, v9, vcc_lo
	s_delay_alu instid0(VALU_DEP_4)
	v_pack_b32_f16 v11, v10, v11
	v_pack_b32_f16 v10, v16, v17
	s_clause 0x4
	global_store_b16 v[0:1], v12, off
	global_store_b16 v[2:3], v13, off
	;; [unrolled: 1-line block ×4, first 2 shown]
	global_store_b64 v[8:9], v[10:11], off
.LBB155_7:                              ;   in Loop: Header=BB155_8 Depth=1
	s_or_b32 exec_lo, exec_lo, s25
	v_add_nc_u32_e32 v64, s9, v64
	s_delay_alu instid0(VALU_DEP_1) | instskip(SKIP_1) | instid1(SALU_CYCLE_1)
	v_cmp_le_u32_e32 vcc_lo, s7, v64
	s_or_b32 s1, vcc_lo, s1
	s_and_not1_b32 exec_lo, exec_lo, s1
	s_cbranch_execz .LBB155_20
.LBB155_8:                              ; =>This Loop Header: Depth=1
                                        ;     Child Loop BB155_12 Depth 2
	v_mov_b32_e32 v106, v66
	v_mov_b32_e32 v105, v66
	;; [unrolled: 1-line block ×20, first 2 shown]
	s_and_not1_b32 vcc_lo, exec_lo, s14
	s_cbranch_vccnz .LBB155_15
; %bb.9:                                ;   in Loop: Header=BB155_8 Depth=1
	v_or_b32_e32 v0, 1, v64
	v_or_b32_e32 v1, 2, v64
	;; [unrolled: 1-line block ×3, first 2 shown]
	v_min_u32_e32 v3, s16, v64
	s_waitcnt lgkmcnt(0)
	v_dual_mov_b32 v5, v66 :: v_dual_mov_b32 v94, 0
	v_min_u32_e32 v0, s16, v0
	v_min_u32_e32 v1, s16, v1
	;; [unrolled: 1-line block ×3, first 2 shown]
	v_mul_lo_u32 v65, v3, s5
	v_dual_mov_b32 v3, v66 :: v_dual_mov_b32 v96, 0
	v_mul_lo_u32 v0, v0, s5
	v_mul_lo_u32 v2, v1, s5
	;; [unrolled: 1-line block ×3, first 2 shown]
	v_dual_mov_b32 v1, v66 :: v_dual_mov_b32 v98, 0
	v_lshlrev_b64 v[67:68], 1, v[65:66]
	v_dual_mov_b32 v97, 0 :: v_dual_mov_b32 v92, 0
	s_delay_alu instid0(VALU_DEP_3)
	v_lshlrev_b64 v[69:70], 1, v[0:1]
	v_lshlrev_b64 v[71:72], 1, v[2:3]
	v_lshlrev_b64 v[73:74], 1, v[4:5]
	v_dual_mov_b32 v107, v84 :: v_dual_mov_b32 v90, 0
	v_dual_mov_b32 v95, 0 :: v_dual_mov_b32 v88, 0
	;; [unrolled: 1-line block ×6, first 2 shown]
	v_mov_b32_e32 v99, 0
	v_mov_b32_e32 v101, 0
	;; [unrolled: 1-line block ×4, first 2 shown]
	s_mov_b32 s25, 0
	s_branch .LBB155_12
.LBB155_10:                             ;   in Loop: Header=BB155_12 Depth=2
	s_or_b32 exec_lo, exec_lo, s27
.LBB155_11:                             ;   in Loop: Header=BB155_12 Depth=2
	s_delay_alu instid0(SALU_CYCLE_1)
	s_or_b32 exec_lo, exec_lo, s26
	s_waitcnt vmcnt(7) lgkmcnt(1)
	;;#ASMSTART
	v_dot2_f32_f16 v106, v60, v32, v106
	;;#ASMEND
	s_waitcnt vmcnt(6)
	;;#ASMSTART
	v_dot2_f32_f16 v105, v60, v28, v105
	;;#ASMEND
	s_waitcnt vmcnt(5)
	;; [unrolled: 4-line block ×3, first 2 shown]
	;;#ASMSTART
	v_dot2_f32_f16 v103, v60, v36, v103
	;;#ASMEND
	;;#ASMSTART
	v_dot2_f32_f16 v102, v56, v32, v102
	;;#ASMEND
	;; [unrolled: 3-line block ×13, first 2 shown]
	s_waitcnt lgkmcnt(0)
	;;#ASMSTART
	v_dot2_f32_f16 v90, v48, v32, v90
	;;#ASMEND
	;;#ASMSTART
	v_dot2_f32_f16 v89, v48, v28, v89
	;;#ASMEND
	;; [unrolled: 3-line block ×44, first 2 shown]
	v_add_nc_u32_e32 v107, 0x800, v107
	;;#ASMSTART
	v_dot2_f32_f16 v106, v63, v35, v106
	;;#ASMEND
	;;#ASMSTART
	v_dot2_f32_f16 v105, v63, v31, v105
	;;#ASMEND
	;;#ASMSTART
	v_dot2_f32_f16 v104, v63, v43, v104
	;;#ASMEND
	;;#ASMSTART
	v_dot2_f32_f16 v103, v63, v39, v103
	;;#ASMEND
	;;#ASMSTART
	v_dot2_f32_f16 v102, v59, v35, v102
	;;#ASMEND
	;;#ASMSTART
	v_dot2_f32_f16 v101, v59, v31, v101
	;;#ASMEND
	;;#ASMSTART
	v_dot2_f32_f16 v100, v59, v43, v100
	;;#ASMEND
	;;#ASMSTART
	v_dot2_f32_f16 v99, v59, v39, v99
	;;#ASMEND
	;;#ASMSTART
	v_dot2_f32_f16 v97, v80, v35, v97
	;;#ASMEND
	;;#ASMSTART
	v_dot2_f32_f16 v98, v80, v31, v98
	;;#ASMEND
	;;#ASMSTART
	v_dot2_f32_f16 v96, v80, v43, v96
	;;#ASMEND
	;;#ASMSTART
	v_dot2_f32_f16 v95, v80, v39, v95
	;;#ASMEND
	;;#ASMSTART
	v_dot2_f32_f16 v94, v55, v35, v94
	;;#ASMEND
	;;#ASMSTART
	v_dot2_f32_f16 v93, v55, v31, v93
	;;#ASMEND
	;;#ASMSTART
	v_dot2_f32_f16 v92, v55, v43, v92
	;;#ASMEND
	;;#ASMSTART
	v_dot2_f32_f16 v91, v55, v39, v91
	;;#ASMEND
	;;#ASMSTART
	v_dot2_f32_f16 v90, v51, v35, v90
	;;#ASMEND
	;;#ASMSTART
	v_dot2_f32_f16 v89, v51, v31, v89
	;;#ASMEND
	;;#ASMSTART
	v_dot2_f32_f16 v88, v51, v43, v88
	;;#ASMEND
	;;#ASMSTART
	v_dot2_f32_f16 v87, v51, v39, v87
	;;#ASMEND
	s_addk_i32 s25, 0x400
	s_waitcnt vmcnt(3)
	;;#ASMSTART
	v_dot2_f32_f16 v106, v44, v12, v106
	;;#ASMEND
	s_waitcnt vmcnt(2)
	;;#ASMSTART
	v_dot2_f32_f16 v105, v44, v8, v105
	;;#ASMEND
	;; [unrolled: 4-line block ×4, first 2 shown]
	;;#ASMSTART
	v_dot2_f32_f16 v102, v24, v12, v102
	;;#ASMEND
	;;#ASMSTART
	v_dot2_f32_f16 v101, v24, v8, v101
	;;#ASMEND
	;; [unrolled: 3-line block ×36, first 2 shown]
	s_cmp_ge_u32 s25, s4
	;;#ASMSTART
	v_dot2_f32_f16 v106, v46, v14, v106
	;;#ASMEND
	;;#ASMSTART
	v_dot2_f32_f16 v105, v46, v10, v105
	;;#ASMEND
	;; [unrolled: 3-line block ×40, first 2 shown]
	s_cbranch_scc1 .LBB155_15
.LBB155_12:                             ;   Parent Loop BB155_8 Depth=1
                                        ; =>  This Inner Loop Header: Depth=2
	v_dual_mov_b32 v61, 0 :: v_dual_add_nc_u32 v20, s25, v83
	v_dual_mov_b32 v60, 0 :: v_dual_mov_b32 v45, 0
	v_dual_mov_b32 v62, 0 :: v_dual_mov_b32 v47, 0
	s_delay_alu instid0(VALU_DEP_3) | instskip(SKIP_2) | instid1(VALU_DEP_3)
	v_min_u32_e32 v65, s15, v20
	v_dual_mov_b32 v63, 0 :: v_dual_add_nc_u32 v108, 0x200, v20
	v_dual_mov_b32 v44, 0 :: v_dual_mov_b32 v57, 0
	v_lshlrev_b64 v[0:1], 1, v[65:66]
	s_delay_alu instid0(VALU_DEP_3) | instskip(SKIP_3) | instid1(VALU_DEP_4)
	v_min_u32_e32 v65, s15, v108
	v_dual_mov_b32 v46, 0 :: v_dual_mov_b32 v59, 0
	v_dual_mov_b32 v56, 0 :: v_dual_mov_b32 v25, 0
	s_waitcnt lgkmcnt(0)
	v_add_co_u32 v8, vcc_lo, s2, v0
	v_add_co_ci_u32_e32 v9, vcc_lo, s3, v1, vcc_lo
	v_lshlrev_b64 v[0:1], 1, v[65:66]
	s_delay_alu instid0(VALU_DEP_3) | instskip(NEXT) | instid1(VALU_DEP_3)
	v_add_co_u32 v2, vcc_lo, v8, v67
	v_add_co_ci_u32_e32 v3, vcc_lo, v9, v68, vcc_lo
	v_add_co_u32 v4, vcc_lo, v8, v69
	v_add_co_ci_u32_e32 v5, vcc_lo, v9, v70, vcc_lo
	;; [unrolled: 2-line block ×5, first 2 shown]
	s_clause 0x1
	global_load_b128 v[32:35], v[2:3], off slc dlc
	global_load_b128 v[28:31], v[4:5], off slc dlc
	v_add_co_u32 v2, vcc_lo, v10, v67
	v_add_co_ci_u32_e32 v3, vcc_lo, v11, v68, vcc_lo
	v_add_co_u32 v4, vcc_lo, v10, v69
	v_add_co_ci_u32_e32 v5, vcc_lo, v11, v70, vcc_lo
	v_add_co_u32 v16, vcc_lo, v10, v71
	v_add_co_ci_u32_e32 v17, vcc_lo, v11, v72, vcc_lo
	v_add_co_u32 v18, vcc_lo, v10, v73
	v_add_co_ci_u32_e32 v19, vcc_lo, v11, v74, vcc_lo
	s_clause 0x5
	global_load_b128 v[40:43], v[6:7], off slc dlc
	global_load_b128 v[36:39], v[0:1], off slc dlc
	;; [unrolled: 1-line block ×6, first 2 shown]
	v_cmp_gt_u32_e32 vcc_lo, s4, v20
	v_dual_mov_b32 v58, 0 :: v_dual_mov_b32 v27, 0
	v_dual_mov_b32 v24, 0 :: v_dual_mov_b32 v81, 0
	;; [unrolled: 1-line block ×13, first 2 shown]
	v_mov_b32_e32 v16, 0
	v_mov_b32_e32 v18, 0
	s_and_saveexec_b32 s26, vcc_lo
	s_cbranch_execz .LBB155_11
; %bb.13:                               ;   in Loop: Header=BB155_12 Depth=2
	v_dual_mov_b32 v18, 0 :: v_dual_add_nc_u32 v109, s6, v107
	v_dual_mov_b32 v16, 0 :: v_dual_add_nc_u32 v111, s23, v107
	;; [unrolled: 1-line block ×4, first 2 shown]
	ds_load_b128 v[56:59], v109
	ds_load_2addr_b32 v[81:82], v111 offset1:1
	ds_load_2addr_b32 v[79:80], v111 offset0:2 offset1:3
	ds_load_b128 v[52:55], v110
	ds_load_b128 v[60:63], v107
	ds_load_2addr_b64 v[48:51], v65 offset1:1
	v_cmp_gt_u32_e32 vcc_lo, s4, v108
	v_dual_mov_b32 v17, 0 :: v_dual_mov_b32 v20, 0
	v_dual_mov_b32 v23, 0 :: v_dual_mov_b32 v76, 0
	;; [unrolled: 1-line block ×7, first 2 shown]
	v_mov_b32_e32 v47, 0
	v_mov_b32_e32 v45, 0
	s_and_saveexec_b32 s27, vcc_lo
	s_cbranch_execz .LBB155_10
; %bb.14:                               ;   in Loop: Header=BB155_12 Depth=2
	v_add_nc_u32_e32 v16, 0x408, v111
	v_add_nc_u32_e32 v17, 0x400, v111
	ds_load_b128 v[24:27], v109 offset:1024
	ds_load_b128 v[20:23], v110 offset:1024
	;; [unrolled: 1-line block ×3, first 2 shown]
	ds_load_2addr_b32 v[75:76], v16 offset1:1
	ds_load_2addr_b32 v[77:78], v17 offset1:1
	ds_load_2addr_b64 v[16:19], v65 offset0:128 offset1:129
	s_branch .LBB155_10
.LBB155_15:                             ;   in Loop: Header=BB155_8 Depth=1
	; sched_barrier mask(0x00000000)
	v_xor_b32_e32 v0, 16, v85
	v_cvt_i32_f32_e32 v1, v106
	v_cvt_i32_f32_e32 v2, v105
	;; [unrolled: 1-line block ×4, first 2 shown]
	v_cmp_gt_i32_e32 vcc_lo, 32, v0
	v_cvt_f32_i32_dpp v1, v1 row_shr:8 row_mask:0xf bank_mask:0xf bound_ctrl:1
	s_waitcnt lgkmcnt(0)
	v_cvt_i32_f32_e32 v5, v102
	v_cvt_f32_i32_dpp v2, v2 row_shr:8 row_mask:0xf bank_mask:0xf bound_ctrl:1
	v_cvt_i32_f32_e32 v11, v100
	v_dual_cndmask_b32 v0, v85, v0 :: v_dual_add_f32 v1, v106, v1
	v_cvt_i32_f32_e32 v10, v101
	v_cvt_i32_f32_e32 v12, v99
	s_delay_alu instid0(VALU_DEP_4) | instskip(NEXT) | instid1(VALU_DEP_4)
	v_cvt_f32_i32_dpp v11, v11 row_shr:8 row_mask:0xf bank_mask:0xf bound_ctrl:1
	v_dual_add_f32 v2, v105, v2 :: v_dual_lshlrev_b32 v31, 2, v0
	v_cvt_f32_i32_dpp v0, v3 row_shr:8 row_mask:0xf bank_mask:0xf bound_ctrl:1
	v_cvt_f32_i32_dpp v3, v4 row_shr:8 row_mask:0xf bank_mask:0xf bound_ctrl:1
	v_cvt_f32_i32_dpp v4, v5 row_shr:8 row_mask:0xf bank_mask:0xf bound_ctrl:1
	v_cvt_i32_f32_e32 v5, v1
	v_cvt_i32_f32_e32 v6, v2
	s_delay_alu instid0(VALU_DEP_4) | instskip(SKIP_1) | instid1(VALU_DEP_4)
	v_dual_add_f32 v0, v104, v0 :: v_dual_add_f32 v3, v103, v3
	v_cvt_i32_f32_e32 v13, v97
	v_cvt_f32_i32_dpp v5, v5 row_shr:4 row_mask:0xf bank_mask:0xf bound_ctrl:1
	v_add_f32_e32 v4, v102, v4
	s_delay_alu instid0(VALU_DEP_4)
	v_cvt_i32_f32_e32 v7, v0
	v_cvt_i32_f32_e32 v8, v3
	v_cvt_f32_i32_dpp v6, v6 row_shr:4 row_mask:0xf bank_mask:0xf bound_ctrl:1
	v_add_f32_e32 v1, v1, v5
	v_cvt_i32_f32_e32 v9, v4
	v_cvt_f32_i32_dpp v7, v7 row_shr:4 row_mask:0xf bank_mask:0xf bound_ctrl:1
	v_cvt_f32_i32_dpp v8, v8 row_shr:4 row_mask:0xf bank_mask:0xf bound_ctrl:1
	v_add_f32_e32 v2, v2, v6
	v_cvt_i32_f32_e32 v5, v1
	v_cvt_f32_i32_dpp v9, v9 row_shr:4 row_mask:0xf bank_mask:0xf bound_ctrl:1
	;; [unrolled: 4-line block ×3, first 2 shown]
	v_add_f32_e32 v0, v0, v7
	v_cvt_f32_i32_dpp v12, v12 row_shr:8 row_mask:0xf bank_mask:0xf bound_ctrl:1
	v_cvt_i32_f32_e32 v8, v3
	v_cvt_f32_i32_dpp v6, v6 row_shr:2 row_mask:0xf bank_mask:0xf bound_ctrl:1
	v_add_f32_e32 v1, v1, v5
	v_cvt_i32_f32_e32 v7, v0
	v_cvt_f32_i32_dpp v13, v13 row_shr:8 row_mask:0xf bank_mask:0xf bound_ctrl:1
	v_cvt_f32_i32_dpp v8, v8 row_shr:2 row_mask:0xf bank_mask:0xf bound_ctrl:1
	v_add_f32_e32 v4, v4, v9
	v_add_f32_e32 v12, v99, v12
	v_cvt_f32_i32_dpp v7, v7 row_shr:2 row_mask:0xf bank_mask:0xf bound_ctrl:1
	v_dual_add_f32 v13, v97, v13 :: v_dual_add_f32 v2, v2, v6
	v_add_f32_e32 v3, v3, v8
	v_cvt_i32_f32_e32 v9, v4
	s_delay_alu instid0(VALU_DEP_4)
	v_add_f32_e32 v5, v0, v7
	v_cvt_i32_f32_e32 v0, v1
	v_cvt_i32_f32_e32 v6, v2
	;; [unrolled: 1-line block ×3, first 2 shown]
	v_cvt_f32_i32_dpp v9, v9 row_shr:2 row_mask:0xf bank_mask:0xf bound_ctrl:1
	v_add_f32_e32 v11, v100, v11
	v_cvt_f32_i32_dpp v0, v0 row_shr:1 row_mask:0xf bank_mask:0xf bound_ctrl:1
	v_cvt_f32_i32_dpp v6, v6 row_shr:1 row_mask:0xf bank_mask:0xf bound_ctrl:1
	;; [unrolled: 1-line block ×3, first 2 shown]
	v_add_f32_e32 v4, v4, v9
	v_cvt_i32_f32_e32 v16, v11
	s_delay_alu instid0(VALU_DEP_4) | instskip(SKIP_1) | instid1(VALU_DEP_4)
	v_dual_add_f32 v0, v1, v0 :: v_dual_add_f32 v1, v2, v6
	v_cvt_i32_f32_e32 v14, v98
	v_cvt_i32_f32_e32 v9, v4
	s_delay_alu instid0(VALU_DEP_4)
	v_cvt_f32_i32_dpp v16, v16 row_shr:4 row_mask:0xf bank_mask:0xf bound_ctrl:1
	v_cvt_i32_f32_e32 v17, v12
	v_cvt_i32_f32_e32 v21, v95
	v_cvt_f32_i32_dpp v14, v14 row_shr:8 row_mask:0xf bank_mask:0xf bound_ctrl:1
	v_cvt_f32_i32_dpp v9, v9 row_shr:1 row_mask:0xf bank_mask:0xf bound_ctrl:1
	v_add_f32_e32 v11, v11, v16
	v_cvt_f32_i32_dpp v17, v17 row_shr:4 row_mask:0xf bank_mask:0xf bound_ctrl:1
	v_cvt_f32_i32_dpp v21, v21 row_shr:8 row_mask:0xf bank_mask:0xf bound_ctrl:1
	v_cvt_i32_f32_e32 v23, v93
	v_add_f32_e32 v4, v4, v9
	v_cvt_i32_f32_e32 v16, v11
	v_cvt_i32_f32_e32 v20, v96
	;; [unrolled: 1-line block ×3, first 2 shown]
	v_cvt_f32_i32_dpp v23, v23 row_shr:8 row_mask:0xf bank_mask:0xf bound_ctrl:1
	v_cvt_i32_f32_e32 v24, v92
	v_cvt_f32_i32_dpp v16, v16 row_shr:2 row_mask:0xf bank_mask:0xf bound_ctrl:1
	v_add_f32_e32 v10, v101, v10
	v_cvt_f32_i32_dpp v20, v20 row_shr:8 row_mask:0xf bank_mask:0xf bound_ctrl:1
	v_cvt_i32_f32_e32 v30, v91
	v_cvt_i32_f32_e32 v32, v90
	v_add_f32_e32 v11, v11, v16
	v_cvt_i32_f32_e32 v15, v10
	v_cvt_i32_f32_e32 v33, v89
	;; [unrolled: 1-line block ×5, first 2 shown]
	v_cvt_f32_i32_dpp v15, v15 row_shr:4 row_mask:0xf bank_mask:0xf bound_ctrl:1
	v_cvt_f32_i32_dpp v22, v22 row_shr:8 row_mask:0xf bank_mask:0xf bound_ctrl:1
	v_cvt_f32_i32_dpp v24, v24 row_shr:8 row_mask:0xf bank_mask:0xf bound_ctrl:1
	v_add_f32_e32 v13, v13, v18
	v_cvt_f32_i32_dpp v16, v16 row_shr:1 row_mask:0xf bank_mask:0xf bound_ctrl:1
	v_add_f32_e32 v10, v10, v15
	v_add_f32_e32 v14, v98, v14
	v_cvt_f32_i32_dpp v30, v30 row_shr:8 row_mask:0xf bank_mask:0xf bound_ctrl:1
	v_cvt_i32_f32_e32 v18, v13
	v_add_f32_e32 v11, v11, v16
	v_cvt_i32_f32_e32 v15, v10
	v_cvt_i32_f32_e32 v19, v14
	v_cvt_f32_i32_dpp v32, v32 row_shr:8 row_mask:0xf bank_mask:0xf bound_ctrl:1
	v_cvt_f32_i32_dpp v18, v18 row_shr:2 row_mask:0xf bank_mask:0xf bound_ctrl:1
	v_add_f32_e32 v12, v12, v17
	v_cvt_f32_i32_dpp v15, v15 row_shr:2 row_mask:0xf bank_mask:0xf bound_ctrl:1
	v_cvt_f32_i32_dpp v19, v19 row_shr:4 row_mask:0xf bank_mask:0xf bound_ctrl:1
	;; [unrolled: 1-line block ×3, first 2 shown]
	v_add_f32_e32 v13, v13, v18
	s_delay_alu instid0(VALU_DEP_4) | instskip(SKIP_2) | instid1(VALU_DEP_4)
	v_dual_add_f32 v21, v95, v21 :: v_dual_add_f32 v10, v10, v15
	v_cvt_i32_f32_e32 v17, v12
	v_cvt_f32_i32_dpp v34, v34 row_shr:8 row_mask:0xf bank_mask:0xf bound_ctrl:1
	v_cvt_i32_f32_e32 v18, v13
	s_delay_alu instid0(VALU_DEP_4)
	v_cvt_i32_f32_e32 v26, v21
	v_cvt_i32_f32_e32 v15, v10
	v_cvt_f32_i32_dpp v17, v17 row_shr:2 row_mask:0xf bank_mask:0xf bound_ctrl:1
	v_cvt_f32_i32_dpp v35, v35 row_shr:8 row_mask:0xf bank_mask:0xf bound_ctrl:1
	;; [unrolled: 1-line block ×3, first 2 shown]
	v_add_f32_e32 v14, v14, v19
	v_cvt_f32_i32_dpp v26, v26 row_shr:4 row_mask:0xf bank_mask:0xf bound_ctrl:1
	v_dual_add_f32 v12, v12, v17 :: v_dual_add_f32 v23, v93, v23
	s_delay_alu instid0(VALU_DEP_4) | instskip(NEXT) | instid1(VALU_DEP_4)
	v_add_f32_e32 v13, v13, v18
	v_cvt_i32_f32_e32 v19, v14
	v_cvt_f32_i32_dpp v15, v15 row_shr:1 row_mask:0xf bank_mask:0xf bound_ctrl:1
	s_delay_alu instid0(VALU_DEP_4) | instskip(SKIP_3) | instid1(VALU_DEP_4)
	v_cvt_i32_f32_e32 v17, v12
	v_cvt_i32_f32_e32 v28, v23
	v_dual_add_f32 v24, v92, v24 :: v_dual_add_f32 v33, v89, v33
	v_cvt_f32_i32_dpp v19, v19 row_shr:2 row_mask:0xf bank_mask:0xf bound_ctrl:1
	v_cvt_f32_i32_dpp v17, v17 row_shr:1 row_mask:0xf bank_mask:0xf bound_ctrl:1
	s_delay_alu instid0(VALU_DEP_4) | instskip(SKIP_1) | instid1(VALU_DEP_4)
	v_cvt_f32_i32_dpp v28, v28 row_shr:4 row_mask:0xf bank_mask:0xf bound_ctrl:1
	v_dual_add_f32 v21, v21, v26 :: v_dual_add_f32 v10, v10, v15
	v_add_f32_e32 v14, v14, v19
	v_add_f32_e32 v30, v91, v30
	s_delay_alu instid0(VALU_DEP_4) | instskip(NEXT) | instid1(VALU_DEP_4)
	v_add_f32_e32 v23, v23, v28
	v_cvt_i32_f32_e32 v26, v21
	v_add_f32_e32 v32, v90, v32
	v_cvt_i32_f32_e32 v19, v14
	v_add_f32_e32 v34, v88, v34
	v_cvt_i32_f32_e32 v28, v23
	v_cvt_f32_i32_dpp v26, v26 row_shr:2 row_mask:0xf bank_mask:0xf bound_ctrl:1
	v_add_f32_e32 v12, v12, v17
	v_cvt_f32_i32_dpp v19, v19 row_shr:1 row_mask:0xf bank_mask:0xf bound_ctrl:1
	v_cvt_i32_f32_e32 v29, v24
	v_cvt_f32_i32_dpp v28, v28 row_shr:2 row_mask:0xf bank_mask:0xf bound_ctrl:1
	v_add_f32_e32 v21, v21, v26
	v_cvt_i32_f32_e32 v36, v30
	v_add_f32_e32 v14, v14, v19
	v_cvt_i32_f32_e32 v37, v32
	;; [unrolled: 2-line block ×3, first 2 shown]
	v_cvt_i32_f32_e32 v38, v33
	v_cvt_i32_f32_e32 v39, v34
	v_cvt_f32_i32_dpp v29, v29 row_shr:4 row_mask:0xf bank_mask:0xf bound_ctrl:1
	v_cvt_i32_f32_e32 v28, v23
	v_cvt_f32_i32_dpp v26, v26 row_shr:1 row_mask:0xf bank_mask:0xf bound_ctrl:1
	v_add_f32_e32 v20, v96, v20
	v_cvt_f32_i32_dpp v36, v36 row_shr:4 row_mask:0xf bank_mask:0xf bound_ctrl:1
	v_cvt_f32_i32_dpp v37, v37 row_shr:4 row_mask:0xf bank_mask:0xf bound_ctrl:1
	;; [unrolled: 1-line block ×3, first 2 shown]
	v_add_f32_e32 v21, v21, v26
	v_cvt_i32_f32_e32 v25, v20
	v_add_f32_e32 v22, v94, v22
	v_cvt_f32_i32_dpp v38, v38 row_shr:4 row_mask:0xf bank_mask:0xf bound_ctrl:1
	v_add_f32_e32 v23, v23, v28
	v_cvt_f32_i32_dpp v39, v39 row_shr:4 row_mask:0xf bank_mask:0xf bound_ctrl:1
	v_cvt_f32_i32_dpp v25, v25 row_shr:4 row_mask:0xf bank_mask:0xf bound_ctrl:1
	v_cvt_i32_f32_e32 v27, v22
	v_add_f32_e32 v30, v30, v36
	v_dual_add_f32 v32, v32, v37 :: v_dual_add_f32 v35, v87, v35
	s_delay_alu instid0(VALU_DEP_4) | instskip(NEXT) | instid1(VALU_DEP_4)
	v_add_f32_e32 v20, v20, v25
	v_cvt_f32_i32_dpp v27, v27 row_shr:4 row_mask:0xf bank_mask:0xf bound_ctrl:1
	v_dual_add_f32 v33, v33, v38 :: v_dual_add_f32 v34, v34, v39
	s_delay_alu instid0(VALU_DEP_4) | instskip(NEXT) | instid1(VALU_DEP_4)
	v_cvt_i32_f32_e32 v40, v35
	v_cvt_i32_f32_e32 v25, v20
	s_delay_alu instid0(VALU_DEP_4)
	v_add_f32_e32 v22, v22, v27
	v_cvt_i32_f32_e32 v36, v30
	v_cvt_i32_f32_e32 v37, v32
	v_cvt_f32_i32_dpp v40, v40 row_shr:4 row_mask:0xf bank_mask:0xf bound_ctrl:1
	v_add_f32_e32 v24, v24, v29
	v_cvt_i32_f32_e32 v27, v22
	v_cvt_i32_f32_e32 v38, v33
	v_cvt_i32_f32_e32 v39, v34
	v_add_f32_e32 v35, v35, v40
	v_cvt_i32_f32_e32 v29, v24
	v_cvt_f32_i32_dpp v25, v25 row_shr:2 row_mask:0xf bank_mask:0xf bound_ctrl:1
	v_cvt_f32_i32_dpp v27, v27 row_shr:2 row_mask:0xf bank_mask:0xf bound_ctrl:1
	v_cvt_f32_i32_dpp v36, v36 row_shr:2 row_mask:0xf bank_mask:0xf bound_ctrl:1
	v_cvt_i32_f32_e32 v40, v35
	v_cvt_f32_i32_dpp v29, v29 row_shr:2 row_mask:0xf bank_mask:0xf bound_ctrl:1
	v_cvt_f32_i32_dpp v37, v37 row_shr:2 row_mask:0xf bank_mask:0xf bound_ctrl:1
	;; [unrolled: 1-line block ×5, first 2 shown]
	v_add_f32_e32 v20, v20, v25
	s_delay_alu instid0(VALU_DEP_4)
	v_dual_add_f32 v22, v22, v27 :: v_dual_add_f32 v33, v33, v38
	v_add_f32_e32 v24, v24, v29
	v_add_f32_e32 v30, v30, v36
	v_dual_add_f32 v32, v32, v37 :: v_dual_add_f32 v37, v34, v39
	v_add_f32_e32 v38, v35, v40
	v_cvt_i32_f32_e32 v7, v5
	v_cvt_i32_f32_e32 v8, v3
	;; [unrolled: 1-line block ×10, first 2 shown]
	v_cvt_f32_i32_dpp v7, v7 row_shr:1 row_mask:0xf bank_mask:0xf bound_ctrl:1
	v_cvt_f32_i32_dpp v8, v8 row_shr:1 row_mask:0xf bank_mask:0xf bound_ctrl:1
	;; [unrolled: 1-line block ×10, first 2 shown]
	v_dual_add_f32 v2, v5, v7 :: v_dual_add_f32 v3, v3, v8
	v_dual_add_f32 v20, v20, v25 :: v_dual_add_f32 v35, v30, v34
	v_add_f32_e32 v22, v22, v27
	v_add_f32_e32 v24, v24, v29
	;; [unrolled: 1-line block ×6, first 2 shown]
	ds_bpermute_b32 v5, v31, v0
	ds_bpermute_b32 v6, v31, v1
	;; [unrolled: 1-line block ×20, first 2 shown]
	s_and_saveexec_b32 s25, s0
	s_cbranch_execz .LBB155_7
; %bb.16:                               ;   in Loop: Header=BB155_8 Depth=1
	s_and_b32 vcc_lo, exec_lo, s17
	s_cbranch_vccz .LBB155_18
; %bb.17:                               ;   in Loop: Header=BB155_8 Depth=1
	v_mul_hi_u32 v40, v64, v86
	v_or_b32_e32 v42, 1, v64
	v_or_b32_e32 v44, 2, v64
	;; [unrolled: 1-line block ×3, first 2 shown]
	v_mov_b32_e32 v57, v66
	s_delay_alu instid0(VALU_DEP_4) | instskip(NEXT) | instid1(VALU_DEP_4)
	v_mul_hi_u32 v41, v42, v86
	v_mul_hi_u32 v43, v44, v86
	v_mul_lo_u32 v40, v40, s8
	v_mul_hi_u32 v46, v45, v86
	v_mov_b32_e32 v59, v66
	v_mov_b32_e32 v55, v66
	v_mul_lo_u32 v47, v41, s8
	v_mul_lo_u32 v48, v43, s8
	v_sub_nc_u32_e32 v40, v64, v40
	v_mul_lo_u32 v46, v46, s8
	s_delay_alu instid0(VALU_DEP_2)
	v_subrev_nc_u32_e32 v49, s8, v40
	v_sub_nc_u32_e32 v42, v42, v47
	v_cmp_le_u32_e32 vcc_lo, s8, v40
	v_mov_b32_e32 v41, v66
	v_sub_nc_u32_e32 v44, v44, v48
	v_sub_nc_u32_e32 v46, v45, v46
	v_subrev_nc_u32_e32 v47, s8, v42
	v_cndmask_b32_e32 v40, v40, v49, vcc_lo
	v_cmp_le_u32_e32 vcc_lo, s8, v42
	v_subrev_nc_u32_e32 v48, s8, v44
	v_subrev_nc_u32_e32 v49, s8, v46
	s_delay_alu instid0(VALU_DEP_4) | instskip(SKIP_4) | instid1(VALU_DEP_2)
	v_subrev_nc_u32_e32 v50, s8, v40
	v_cndmask_b32_e32 v42, v42, v47, vcc_lo
	v_cmp_le_u32_e32 vcc_lo, s8, v44
	v_dual_mov_b32 v43, v66 :: v_dual_cndmask_b32 v44, v44, v48
	v_cmp_le_u32_e32 vcc_lo, s8, v46
	v_subrev_nc_u32_e32 v47, s8, v44
	v_cndmask_b32_e32 v48, v46, v49, vcc_lo
	v_cmp_le_u32_e32 vcc_lo, s8, v40
	v_cndmask_b32_e32 v65, v40, v50, vcc_lo
	v_subrev_nc_u32_e32 v46, s8, v42
	v_cmp_le_u32_e32 vcc_lo, s8, v42
	s_delay_alu instid0(VALU_DEP_3) | instskip(NEXT) | instid1(VALU_DEP_3)
	v_add_nc_u32_e32 v54, s19, v65
	v_cndmask_b32_e32 v40, v42, v46, vcc_lo
	v_cmp_le_u32_e32 vcc_lo, s8, v44
	v_mov_b32_e32 v45, v66
	s_delay_alu instid0(VALU_DEP_4) | instskip(NEXT) | instid1(VALU_DEP_4)
	v_lshlrev_b64 v[54:55], 1, v[54:55]
	v_dual_cndmask_b32 v42, v44, v47 :: v_dual_add_nc_u32 v71, s20, v40
	v_subrev_nc_u32_e32 v49, s8, v48
	v_cmp_le_u32_e32 vcc_lo, s8, v48
	v_lshlrev_b64 v[46:47], 1, v[65:66]
	v_add_nc_u32_e32 v56, s19, v40
	v_lshlrev_b64 v[50:51], 1, v[42:43]
	v_add_nc_u32_e32 v58, s19, v42
	v_cndmask_b32_e32 v44, v48, v49, vcc_lo
	v_lshlrev_b64 v[48:49], 1, v[40:41]
	v_add_co_u32 v46, vcc_lo, s10, v46
	v_add_co_ci_u32_e32 v47, vcc_lo, s11, v47, vcc_lo
	s_delay_alu instid0(VALU_DEP_4) | instskip(NEXT) | instid1(VALU_DEP_4)
	v_lshlrev_b64 v[52:53], 1, v[44:45]
	v_add_co_u32 v48, vcc_lo, s10, v48
	v_add_co_ci_u32_e32 v49, vcc_lo, s11, v49, vcc_lo
	v_add_co_u32 v50, vcc_lo, s10, v50
	v_add_co_ci_u32_e32 v51, vcc_lo, s11, v51, vcc_lo
	;; [unrolled: 2-line block ×3, first 2 shown]
	v_lshlrev_b64 v[56:57], 1, v[56:57]
	v_add_co_u32 v60, vcc_lo, s10, v54
	v_add_co_ci_u32_e32 v61, vcc_lo, s11, v55, vcc_lo
	v_lshlrev_b64 v[54:55], 1, v[58:59]
	v_add_nc_u32_e32 v58, s19, v44
	v_add_co_u32 v62, vcc_lo, s10, v56
	v_add_co_ci_u32_e32 v63, vcc_lo, s11, v57, vcc_lo
	s_delay_alu instid0(VALU_DEP_3)
	v_lshlrev_b64 v[56:57], 1, v[58:59]
	v_add_co_u32 v58, vcc_lo, s10, v54
	v_add_co_ci_u32_e32 v59, vcc_lo, s11, v55, vcc_lo
	v_dual_mov_b32 v55, v66 :: v_dual_add_nc_u32 v54, s20, v65
	v_mov_b32_e32 v72, v66
	v_add_co_u32 v67, vcc_lo, s10, v56
	v_add_co_ci_u32_e32 v68, vcc_lo, s11, v57, vcc_lo
	s_delay_alu instid0(VALU_DEP_4)
	v_lshlrev_b64 v[69:70], 1, v[54:55]
	s_clause 0x7
	global_load_u16 v56, v[46:47], off
	global_load_u16 v55, v[48:49], off
	;; [unrolled: 1-line block ×8, first 2 shown]
	v_dual_mov_b32 v60, v66 :: v_dual_add_nc_u32 v59, s20, v42
	v_lshlrev_b64 v[57:58], 1, v[71:72]
	v_add_nc_u32_e32 v67, s20, v44
	v_add_co_u32 v61, vcc_lo, s10, v69
	v_add_nc_u32_e32 v69, s21, v65
	v_lshlrev_b64 v[59:60], 1, v[59:60]
	v_add_co_ci_u32_e32 v62, vcc_lo, s11, v70, vcc_lo
	v_mov_b32_e32 v68, v66
	v_add_co_u32 v57, vcc_lo, s10, v57
	v_dual_mov_b32 v70, v66 :: v_dual_add_nc_u32 v73, s21, v42
	v_add_co_ci_u32_e32 v58, vcc_lo, s11, v58, vcc_lo
	v_add_co_u32 v71, vcc_lo, s10, v59
	v_add_co_ci_u32_e32 v72, vcc_lo, s11, v60, vcc_lo
	s_delay_alu instid0(VALU_DEP_4) | instskip(SKIP_3) | instid1(VALU_DEP_3)
	v_lshlrev_b64 v[59:60], 1, v[69:70]
	v_add_nc_u32_e32 v69, s21, v40
	v_lshlrev_b64 v[67:68], 1, v[67:68]
	v_dual_mov_b32 v74, v66 :: v_dual_add_nc_u32 v65, s24, v65
	v_lshlrev_b64 v[69:70], 1, v[69:70]
	s_delay_alu instid0(VALU_DEP_3) | instskip(NEXT) | instid1(VALU_DEP_4)
	v_add_co_u32 v67, vcc_lo, s10, v67
	v_add_co_ci_u32_e32 v68, vcc_lo, s11, v68, vcc_lo
	v_add_co_u32 v75, vcc_lo, s10, v59
	v_add_co_ci_u32_e32 v76, vcc_lo, s11, v60, vcc_lo
	v_lshlrev_b64 v[59:60], 1, v[73:74]
	v_add_nc_u32_e32 v73, s21, v44
	v_add_co_u32 v69, vcc_lo, s10, v69
	v_add_co_ci_u32_e32 v70, vcc_lo, s11, v70, vcc_lo
	s_delay_alu instid0(VALU_DEP_3)
	v_lshlrev_b64 v[73:74], 1, v[73:74]
	v_add_co_u32 v77, vcc_lo, s10, v59
	v_add_co_ci_u32_e32 v78, vcc_lo, s11, v60, vcc_lo
	v_lshlrev_b64 v[59:60], 1, v[65:66]
	v_add_nc_u32_e32 v65, s24, v40
	v_add_co_u32 v40, vcc_lo, s10, v73
	v_add_co_ci_u32_e32 v41, vcc_lo, s11, v74, vcc_lo
	s_delay_alu instid0(VALU_DEP_3) | instskip(SKIP_3) | instid1(VALU_DEP_3)
	v_lshlrev_b64 v[73:74], 1, v[65:66]
	v_add_nc_u32_e32 v65, s24, v42
	v_add_co_u32 v42, vcc_lo, s10, v59
	v_add_co_ci_u32_e32 v43, vcc_lo, s11, v60, vcc_lo
	v_lshlrev_b64 v[59:60], 1, v[65:66]
	v_add_nc_u32_e32 v65, s24, v44
	v_add_co_u32 v73, vcc_lo, s10, v73
	v_add_co_ci_u32_e32 v74, vcc_lo, s11, v74, vcc_lo
	s_delay_alu instid0(VALU_DEP_3) | instskip(SKIP_3) | instid1(VALU_DEP_4)
	v_lshlrev_b64 v[79:80], 1, v[65:66]
	v_add_co_u32 v81, vcc_lo, s10, v59
	v_add_co_ci_u32_e32 v82, vcc_lo, s11, v60, vcc_lo
	v_mov_b32_e32 v65, v66
	v_add_co_u32 v79, vcc_lo, s10, v79
	v_add_co_ci_u32_e32 v80, vcc_lo, s11, v80, vcc_lo
	s_clause 0xb
	global_load_u16 v59, v[61:62], off
	global_load_u16 v58, v[57:58], off
	;; [unrolled: 1-line block ×12, first 2 shown]
	s_cbranch_execnz .LBB155_6
	s_branch .LBB155_19
.LBB155_18:                             ;   in Loop: Header=BB155_8 Depth=1
                                        ; implicit-def: $vgpr40
                                        ; implicit-def: $vgpr41
                                        ; implicit-def: $vgpr42
                                        ; implicit-def: $vgpr43
                                        ; implicit-def: $vgpr44
                                        ; implicit-def: $vgpr46
                                        ; implicit-def: $vgpr48
                                        ; implicit-def: $vgpr50
                                        ; implicit-def: $vgpr52
                                        ; implicit-def: $vgpr57
                                        ; implicit-def: $vgpr58
                                        ; implicit-def: $vgpr59
                                        ; implicit-def: $vgpr45
                                        ; implicit-def: $vgpr47
                                        ; implicit-def: $vgpr49
                                        ; implicit-def: $vgpr51
                                        ; implicit-def: $vgpr53
                                        ; implicit-def: $vgpr54
                                        ; implicit-def: $vgpr55
                                        ; implicit-def: $vgpr56
.LBB155_19:                             ;   in Loop: Header=BB155_8 Depth=1
	s_waitcnt vmcnt(19)
	v_dual_mov_b32 v65, v66 :: v_dual_mov_b32 v56, 0
	s_waitcnt vmcnt(17)
	v_dual_mov_b32 v55, 0 :: v_dual_mov_b32 v54, 0
	;; [unrolled: 2-line block ×10, first 2 shown]
	v_mov_b32_e32 v41, 0
	s_branch .LBB155_6
.LBB155_20:
	s_nop 0
	s_sendmsg sendmsg(MSG_DEALLOC_VGPRS)
	s_endpgm
	.section	.rodata,"a",@progbits
	.p2align	6, 0x0
	.amdhsa_kernel _Z16wvSplitK_hf_sml_I6__halfLi64ELi4ELi16ELi8ELi2ELi5EEviiiiiiPKT_S3_S3_PS1_ii
		.amdhsa_group_segment_fixed_size 65536
		.amdhsa_private_segment_fixed_size 0
		.amdhsa_kernarg_size 64
		.amdhsa_user_sgpr_count 15
		.amdhsa_user_sgpr_dispatch_ptr 0
		.amdhsa_user_sgpr_queue_ptr 0
		.amdhsa_user_sgpr_kernarg_segment_ptr 1
		.amdhsa_user_sgpr_dispatch_id 0
		.amdhsa_user_sgpr_private_segment_size 0
		.amdhsa_wavefront_size32 1
		.amdhsa_uses_dynamic_stack 0
		.amdhsa_enable_private_segment 0
		.amdhsa_system_sgpr_workgroup_id_x 1
		.amdhsa_system_sgpr_workgroup_id_y 0
		.amdhsa_system_sgpr_workgroup_id_z 0
		.amdhsa_system_sgpr_workgroup_info 0
		.amdhsa_system_vgpr_workitem_id 1
		.amdhsa_next_free_vgpr 112
		.amdhsa_next_free_sgpr 28
		.amdhsa_reserve_vcc 1
		.amdhsa_float_round_mode_32 0
		.amdhsa_float_round_mode_16_64 0
		.amdhsa_float_denorm_mode_32 3
		.amdhsa_float_denorm_mode_16_64 3
		.amdhsa_dx10_clamp 1
		.amdhsa_ieee_mode 1
		.amdhsa_fp16_overflow 0
		.amdhsa_workgroup_processor_mode 1
		.amdhsa_memory_ordered 1
		.amdhsa_forward_progress 0
		.amdhsa_shared_vgpr_count 0
		.amdhsa_exception_fp_ieee_invalid_op 0
		.amdhsa_exception_fp_denorm_src 0
		.amdhsa_exception_fp_ieee_div_zero 0
		.amdhsa_exception_fp_ieee_overflow 0
		.amdhsa_exception_fp_ieee_underflow 0
		.amdhsa_exception_fp_ieee_inexact 0
		.amdhsa_exception_int_div_zero 0
	.end_amdhsa_kernel
	.section	.text._Z16wvSplitK_hf_sml_I6__halfLi64ELi4ELi16ELi8ELi2ELi5EEviiiiiiPKT_S3_S3_PS1_ii,"axG",@progbits,_Z16wvSplitK_hf_sml_I6__halfLi64ELi4ELi16ELi8ELi2ELi5EEviiiiiiPKT_S3_S3_PS1_ii,comdat
.Lfunc_end155:
	.size	_Z16wvSplitK_hf_sml_I6__halfLi64ELi4ELi16ELi8ELi2ELi5EEviiiiiiPKT_S3_S3_PS1_ii, .Lfunc_end155-_Z16wvSplitK_hf_sml_I6__halfLi64ELi4ELi16ELi8ELi2ELi5EEviiiiiiPKT_S3_S3_PS1_ii
                                        ; -- End function
	.section	.AMDGPU.csdata,"",@progbits
; Kernel info:
; codeLenInByte = 8440
; NumSgprs: 30
; NumVgprs: 112
; ScratchSize: 0
; MemoryBound: 0
; FloatMode: 240
; IeeeMode: 1
; LDSByteSize: 65536 bytes/workgroup (compile time only)
; SGPRBlocks: 3
; VGPRBlocks: 13
; NumSGPRsForWavesPerEU: 30
; NumVGPRsForWavesPerEU: 112
; Occupancy: 12
; WaveLimiterHint : 0
; COMPUTE_PGM_RSRC2:SCRATCH_EN: 0
; COMPUTE_PGM_RSRC2:USER_SGPR: 15
; COMPUTE_PGM_RSRC2:TRAP_HANDLER: 0
; COMPUTE_PGM_RSRC2:TGID_X_EN: 1
; COMPUTE_PGM_RSRC2:TGID_Y_EN: 0
; COMPUTE_PGM_RSRC2:TGID_Z_EN: 0
; COMPUTE_PGM_RSRC2:TIDIG_COMP_CNT: 1
	.section	.text._Z12wvSplitK_hf_I6__halfLi64ELi4ELi16ELi8ELi2ELi5EEviiiiiiPKT_S3_S3_PS1_ii,"axG",@progbits,_Z12wvSplitK_hf_I6__halfLi64ELi4ELi16ELi8ELi2ELi5EEviiiiiiPKT_S3_S3_PS1_ii,comdat
	.protected	_Z12wvSplitK_hf_I6__halfLi64ELi4ELi16ELi8ELi2ELi5EEviiiiiiPKT_S3_S3_PS1_ii ; -- Begin function _Z12wvSplitK_hf_I6__halfLi64ELi4ELi16ELi8ELi2ELi5EEviiiiiiPKT_S3_S3_PS1_ii
	.globl	_Z12wvSplitK_hf_I6__halfLi64ELi4ELi16ELi8ELi2ELi5EEviiiiiiPKT_S3_S3_PS1_ii
	.p2align	8
	.type	_Z12wvSplitK_hf_I6__halfLi64ELi4ELi16ELi8ELi2ELi5EEviiiiiiPKT_S3_S3_PS1_ii,@function
_Z12wvSplitK_hf_I6__halfLi64ELi4ELi16ELi8ELi2ELi5EEviiiiiiPKT_S3_S3_PS1_ii: ; @_Z12wvSplitK_hf_I6__halfLi64ELi4ELi16ELi8ELi2ELi5EEviiiiiiPKT_S3_S3_PS1_ii
; %bb.0:
	s_clause 0x1
	s_load_b64 s[18:19], s[0:1], 0x38
	s_load_b128 s[8:11], s[0:1], 0x0
	v_bfe_u32 v7, v0, 10, 10
	s_clause 0x1
	s_load_b64 s[12:13], s[0:1], 0x20
	s_load_b64 s[16:17], s[0:1], 0x10
	s_mov_b32 s4, 1
	s_delay_alu instid0(SALU_CYCLE_1) | instskip(SKIP_4) | instid1(SALU_CYCLE_1)
	s_mov_b32 s5, s4
	s_mov_b32 s6, s4
	;; [unrolled: 1-line block ×3, first 2 shown]
	s_waitcnt lgkmcnt(0)
	s_mul_i32 s15, s15, s18
	v_add_lshl_u32 v77, s15, v7, 2
	s_delay_alu instid0(VALU_DEP_1) | instskip(SKIP_1) | instid1(VALU_DEP_2)
	v_add_nc_u32_e32 v1, 4, v77
	v_cmp_gt_u32_e32 vcc_lo, s11, v77
	v_cmp_le_u32_e64 s2, s11, v1
	v_dual_mov_b32 v1, s4 :: v_dual_mov_b32 v4, s7
	v_dual_mov_b32 v2, s5 :: v_dual_mov_b32 v3, s6
	s_delay_alu instid0(VALU_DEP_3) | instskip(NEXT) | instid1(SALU_CYCLE_1)
	s_and_b32 s2, vcc_lo, s2
	s_and_saveexec_b32 s14, s2
	s_cbranch_execz .LBB156_6
; %bb.1:
	v_dual_mov_b32 v1, s4 :: v_dual_mov_b32 v2, s5
	v_dual_mov_b32 v3, s6 :: v_dual_mov_b32 v4, s7
	s_add_i32 s15, s11, -4
	s_mov_b32 s20, exec_lo
	v_cmpx_ne_u32_e64 s15, v77
	s_cbranch_execz .LBB156_5
; %bb.2:
	v_subrev_nc_u32_e32 v1, s15, v77
	s_mov_b32 s21, 0
	s_mov_b64 s[2:3], 0
	s_mov_b32 s5, s4
	s_mov_b32 s6, s4
	v_cmp_lt_u32_e32 vcc_lo, 1, v1
	s_mov_b32 s7, s4
	v_cndmask_b32_e32 v5, 1, v1, vcc_lo
	.p2align	6
.LBB156_3:                              ; =>This Inner Loop Header: Depth=1
	s_cmp_lg_u32 s2, 3
	s_cselect_b32 s7, s7, 0
	s_cmp_lg_u32 s2, 2
	s_cselect_b32 s6, s6, 0
	;; [unrolled: 2-line block ×4, first 2 shown]
	s_add_u32 s2, s2, 1
	v_dual_mov_b32 v1, s4 :: v_dual_mov_b32 v2, s5
	v_cmp_eq_u32_e32 vcc_lo, s2, v5
	v_dual_mov_b32 v3, s6 :: v_dual_mov_b32 v4, s7
	s_addc_u32 s3, s3, 0
	s_or_b32 s21, vcc_lo, s21
	s_delay_alu instid0(SALU_CYCLE_1)
	s_and_not1_b32 exec_lo, exec_lo, s21
	s_cbranch_execnz .LBB156_3
; %bb.4:
	s_or_b32 exec_lo, exec_lo, s21
	v_mov_b32_e32 v77, s15
.LBB156_5:
	s_or_b32 exec_lo, exec_lo, s20
.LBB156_6:
	s_delay_alu instid0(SALU_CYCLE_1)
	s_or_b32 exec_lo, exec_lo, s14
	s_load_b64 s[6:7], s[0:1], 0x28
	v_and_b32_e32 v8, 0x3ff, v0
	s_mul_i32 s2, s10, 5
	s_mov_b32 s4, exec_lo
	s_min_u32 s3, s2, 0x8000
	s_delay_alu instid0(VALU_DEP_1) | instskip(NEXT) | instid1(VALU_DEP_1)
	v_lshlrev_b32_e32 v0, 3, v8
	v_lshl_add_u32 v9, v7, 9, v0
	s_delay_alu instid0(VALU_DEP_1)
	v_cmpx_gt_u32_e64 s3, v9
	s_cbranch_execz .LBB156_9
; %bb.7:
	v_lshlrev_b32_e32 v10, 10, v7
	v_lshlrev_b32_e32 v11, 4, v8
	s_mov_b32 s5, 0
	s_delay_alu instid0(VALU_DEP_1) | instskip(NEXT) | instid1(VALU_DEP_1)
	v_add_co_u32 v5, s2, v10, v11
	v_add_co_ci_u32_e64 v6, null, 0, 0, s2
	v_add_nc_u32_e32 v10, v10, v11
	s_delay_alu instid0(VALU_DEP_3) | instskip(NEXT) | instid1(VALU_DEP_3)
	v_add_co_u32 v5, vcc_lo, s12, v5
	v_add_co_ci_u32_e32 v6, vcc_lo, s13, v6, vcc_lo
	.p2align	6
.LBB156_8:                              ; =>This Inner Loop Header: Depth=1
	global_load_b128 v[11:14], v[5:6], off
	v_add_nc_u32_e32 v9, 0x2000, v9
	v_add_co_u32 v5, vcc_lo, 0x4000, v5
	v_add_co_ci_u32_e32 v6, vcc_lo, 0, v6, vcc_lo
	s_delay_alu instid0(VALU_DEP_3) | instskip(NEXT) | instid1(VALU_DEP_1)
	v_cmp_le_u32_e64 s2, s3, v9
	s_or_b32 s5, s2, s5
	s_waitcnt vmcnt(0)
	ds_store_b128 v10, v[11:14]
	v_add_nc_u32_e32 v10, 0x4000, v10
	s_and_not1_b32 exec_lo, exec_lo, s5
	s_cbranch_execnz .LBB156_8
.LBB156_9:
	s_or_b32 exec_lo, exec_lo, s4
	v_cmp_gt_u32_e32 vcc_lo, s18, v7
	v_cmp_gt_u32_e64 s2, s11, v77
	s_waitcnt lgkmcnt(0)
	s_barrier
	buffer_gl0_inv
	s_and_b32 s2, vcc_lo, s2
	s_delay_alu instid0(SALU_CYCLE_1)
	s_and_saveexec_b32 s3, s2
	s_cbranch_execz .LBB156_108
; %bb.10:
	s_cmp_lg_u32 s8, 0
	s_mul_i32 s3, s18, s19
	s_cselect_b32 s20, -1, 0
	s_add_i32 s21, s8, -8
	s_add_i32 s22, s11, -1
	s_cmp_lg_u64 s[6:7], 0
	v_cvt_f32_u32_e32 v6, s16
	s_cselect_b32 s23, -1, 0
	s_abs_i32 s2, s17
	s_lshl_b32 s17, s3, 2
	v_cvt_f32_u32_e32 v5, s2
	s_sub_i32 s3, 0, s2
	s_add_i32 s24, s11, -4
	s_lshl_b32 s25, s10, 1
	s_sub_i32 s5, 0, s16
	v_rcp_iflag_f32_e32 v5, v5
	s_sub_i32 s14, 1, s2
	v_mad_u64_u32 v[80:81], null, s10, 3, v[0:1]
	v_add_nc_u32_e32 v101, s10, v0
	v_mbcnt_lo_u32_b32 v105, -1, 0
	s_mov_b32 s26, 0
	v_lshlrev_b32_e32 v100, 4, v8
	s_mul_i32 s33, s10, 6
	s_waitcnt_depctr 0xfff
	v_dual_mul_f32 v5, 0x4f7ffffe, v5 :: v_dual_add_nc_u32 v102, s25, v0
	s_delay_alu instid0(VALU_DEP_1) | instskip(NEXT) | instid1(VALU_DEP_1)
	v_cvt_u32_f32_e32 v5, v5
	v_readfirstlane_b32 s4, v5
	v_rcp_iflag_f32_e32 v5, v6
	s_delay_alu instid0(VALU_DEP_1) | instskip(NEXT) | instid1(SALU_CYCLE_1)
	s_mul_i32 s3, s3, s4
	s_mul_hi_u32 s3, s4, s3
	s_delay_alu instid0(SALU_CYCLE_1)
	s_add_i32 s4, s4, s3
	s_cmp_lt_u32 s2, 2
	s_waitcnt_depctr 0xfff
	v_mul_f32_e32 v5, 0x4f7ffffe, v5
	s_cselect_b32 s3, s14, 1
	s_clause 0x1
	s_load_b64 s[14:15], s[0:1], 0x18
	s_load_b64 s[18:19], s[0:1], 0x30
	s_sub_i32 s0, s3, s2
	s_cmp_ge_u32 s3, s2
	v_cvt_u32_f32_e32 v5, v5
	s_cselect_b32 s27, s0, s3
	s_lshr_b32 s1, s4, 31
	v_cmp_eq_u32_e64 s0, 63, v8
	s_mul_i32 s1, s1, s2
	v_mul_lo_u32 v6, s5, v5
	s_sub_i32 s1, 2, s1
	s_mul_i32 s27, s27, s16
	s_sub_i32 s3, s1, s2
	s_cmp_ge_u32 s1, s2
	s_cselect_b32 s1, s3, s1
	s_mul_hi_u32 s3, s4, 3
	s_sub_i32 s28, s1, s2
	s_cmp_ge_u32 s1, s2
	s_mul_i32 s3, s3, s2
	s_cselect_b32 s28, s28, s1
	s_sub_i32 s1, 3, s3
	v_mul_hi_u32 v6, v5, v6
	s_sub_i32 s3, s1, s2
	s_cmp_ge_u32 s1, s2
	s_mul_i32 s28, s28, s16
	s_cselect_b32 s1, s3, s1
	s_delay_alu instid0(SALU_CYCLE_1) | instskip(SKIP_1) | instid1(VALU_DEP_1)
	s_sub_i32 s3, s1, s2
	s_cmp_ge_u32 s1, s2
	v_add_nc_u32_e32 v103, v5, v6
	s_cselect_b32 s30, s3, s1
	s_lshr_b32 s1, s4, 30
	s_mul_i32 s30, s30, s16
	s_mul_i32 s1, s1, s2
	s_delay_alu instid0(SALU_CYCLE_1) | instskip(NEXT) | instid1(SALU_CYCLE_1)
	s_sub_i32 s1, 4, s1
	s_sub_i32 s3, s1, s2
	s_cmp_ge_u32 s1, s2
	s_cselect_b32 s1, s3, s1
	s_delay_alu instid0(SALU_CYCLE_1) | instskip(SKIP_3) | instid1(SALU_CYCLE_1)
	s_sub_i32 s3, s1, s2
	s_cmp_ge_u32 s1, s2
	s_cselect_b32 s31, s3, s1
	s_lshl_b32 s29, s10, 2
	v_dual_mov_b32 v79, 0 :: v_dual_add_nc_u32 v104, s29, v0
	s_mul_i32 s31, s31, s16
	s_lshl_b32 s10, s10, 3
	s_branch .LBB156_13
.LBB156_11:                             ;   in Loop: Header=BB156_13 Depth=1
	s_or_b32 exec_lo, exec_lo, s35
	v_mov_b32_e32 v77, s24
.LBB156_12:                             ;   in Loop: Header=BB156_13 Depth=1
	s_or_b32 exec_lo, exec_lo, s34
	s_delay_alu instid0(VALU_DEP_1) | instskip(SKIP_1) | instid1(SALU_CYCLE_1)
	v_cmp_le_u32_e32 vcc_lo, s11, v77
	s_or_b32 s26, vcc_lo, s26
	s_and_not1_b32 exec_lo, exec_lo, s26
	s_cbranch_execz .LBB156_108
.LBB156_13:                             ; =>This Loop Header: Depth=1
                                        ;     Child Loop BB156_18 Depth 2
                                        ;     Child Loop BB156_87 Depth 2
	s_delay_alu instid0(VALU_DEP_1)
	v_dual_mov_b32 v124, v79 :: v_dual_add_nc_u32 v83, 1, v77
	v_dual_mov_b32 v125, v79 :: v_dual_add_nc_u32 v82, 2, v77
	;; [unrolled: 1-line block ×3, first 2 shown]
	v_mov_b32_e32 v123, v79
	v_mov_b32_e32 v121, v79
	;; [unrolled: 1-line block ×17, first 2 shown]
	s_and_not1_b32 vcc_lo, exec_lo, s20
	s_cbranch_vccnz .LBB156_60
; %bb.14:                               ;   in Loop: Header=BB156_13 Depth=1
	v_min_u32_e32 v5, s22, v77
	v_min_u32_e32 v6, s22, v83
	;; [unrolled: 1-line block ×4, first 2 shown]
	s_waitcnt lgkmcnt(0)
	v_dual_mov_b32 v10, v79 :: v_dual_mov_b32 v113, 0
	v_mul_lo_u32 v78, v5, s9
	v_mul_lo_u32 v5, v6, s9
	;; [unrolled: 1-line block ×4, first 2 shown]
	v_dual_mov_b32 v6, v79 :: v_dual_mov_b32 v117, 0
	v_dual_mov_b32 v8, v79 :: v_dual_mov_b32 v115, 0
	v_lshlrev_b64 v[84:85], 1, v[78:79]
	s_delay_alu instid0(VALU_DEP_3) | instskip(SKIP_1) | instid1(VALU_DEP_4)
	v_lshlrev_b64 v[86:87], 1, v[5:6]
	v_dual_mov_b32 v116, 0 :: v_dual_mov_b32 v111, 0
	v_lshlrev_b64 v[88:89], 1, v[7:8]
	v_lshlrev_b64 v[90:91], 1, v[9:10]
	v_dual_mov_b32 v126, v100 :: v_dual_mov_b32 v109, 0
	v_dual_mov_b32 v114, 0 :: v_dual_mov_b32 v107, 0
	;; [unrolled: 1-line block ×6, first 2 shown]
	v_mov_b32_e32 v118, 0
	v_mov_b32_e32 v120, 0
	;; [unrolled: 1-line block ×4, first 2 shown]
	s_mov_b32 s1, 0
	s_branch .LBB156_18
.LBB156_15:                             ;   in Loop: Header=BB156_18 Depth=2
	s_or_b32 exec_lo, exec_lo, s4
.LBB156_16:                             ;   in Loop: Header=BB156_18 Depth=2
	s_delay_alu instid0(SALU_CYCLE_1)
	s_or_b32 exec_lo, exec_lo, s3
.LBB156_17:                             ;   in Loop: Header=BB156_18 Depth=2
	s_delay_alu instid0(SALU_CYCLE_1)
	s_or_b32 exec_lo, exec_lo, s2
	s_waitcnt vmcnt(0) lgkmcnt(0)
	;;#ASMSTART
	v_dot2_f32_f16 v125, v53, v25, v125
	;;#ASMEND
	;;#ASMSTART
	v_dot2_f32_f16 v124, v53, v21, v124
	;;#ASMEND
	;; [unrolled: 3-line block ×60, first 2 shown]
	v_add_nc_u32_e32 v126, 0x800, v126
	;;#ASMSTART
	v_dot2_f32_f16 v125, v56, v28, v125
	;;#ASMEND
	;;#ASMSTART
	v_dot2_f32_f16 v124, v56, v24, v124
	;;#ASMEND
	;;#ASMSTART
	v_dot2_f32_f16 v123, v56, v36, v123
	;;#ASMEND
	;;#ASMSTART
	v_dot2_f32_f16 v122, v56, v32, v122
	;;#ASMEND
	;;#ASMSTART
	v_dot2_f32_f16 v121, v52, v28, v121
	;;#ASMEND
	;;#ASMSTART
	v_dot2_f32_f16 v120, v52, v24, v120
	;;#ASMEND
	;;#ASMSTART
	v_dot2_f32_f16 v119, v52, v36, v119
	;;#ASMEND
	;;#ASMSTART
	v_dot2_f32_f16 v118, v52, v32, v118
	;;#ASMEND
	;;#ASMSTART
	v_dot2_f32_f16 v116, v48, v28, v116
	;;#ASMEND
	;;#ASMSTART
	v_dot2_f32_f16 v117, v48, v24, v117
	;;#ASMEND
	;;#ASMSTART
	v_dot2_f32_f16 v115, v48, v36, v115
	;;#ASMEND
	;;#ASMSTART
	v_dot2_f32_f16 v114, v48, v32, v114
	;;#ASMEND
	;;#ASMSTART
	v_dot2_f32_f16 v113, v44, v28, v113
	;;#ASMEND
	;;#ASMSTART
	v_dot2_f32_f16 v112, v44, v24, v112
	;;#ASMEND
	;;#ASMSTART
	v_dot2_f32_f16 v111, v44, v36, v111
	;;#ASMEND
	;;#ASMSTART
	v_dot2_f32_f16 v110, v44, v32, v110
	;;#ASMEND
	;;#ASMSTART
	v_dot2_f32_f16 v109, v40, v28, v109
	;;#ASMEND
	;;#ASMSTART
	v_dot2_f32_f16 v108, v40, v24, v108
	;;#ASMEND
	;;#ASMSTART
	v_dot2_f32_f16 v107, v40, v36, v107
	;;#ASMEND
	;;#ASMSTART
	v_dot2_f32_f16 v106, v40, v32, v106
	;;#ASMEND
	s_addk_i32 s1, 0x400
	;;#ASMSTART
	v_dot2_f32_f16 v125, v73, v17, v125
	;;#ASMEND
	;;#ASMSTART
	v_dot2_f32_f16 v124, v73, v13, v124
	;;#ASMEND
	;; [unrolled: 3-line block ×40, first 2 shown]
	s_cmp_ge_u32 s1, s8
	;;#ASMSTART
	v_dot2_f32_f16 v125, v75, v19, v125
	;;#ASMEND
	;;#ASMSTART
	v_dot2_f32_f16 v124, v75, v15, v124
	;;#ASMEND
	;; [unrolled: 3-line block ×40, first 2 shown]
	s_cbranch_scc1 .LBB156_60
.LBB156_18:                             ;   Parent Loop BB156_13 Depth=1
                                        ; =>  This Inner Loop Header: Depth=2
	s_waitcnt vmcnt(16)
	v_dual_mov_b32 v60, 0 :: v_dual_add_nc_u32 v93, s1, v0
	s_waitcnt vmcnt(9)
	v_dual_mov_b32 v58, 0 :: v_dual_mov_b32 v57, 0
	v_dual_mov_b32 v64, 0 :: v_dual_mov_b32 v63, 0
	s_delay_alu instid0(VALU_DEP_3) | instskip(SKIP_2) | instid1(VALU_DEP_3)
	v_min_u32_e32 v78, s21, v93
	v_dual_mov_b32 v59, 0 :: v_dual_add_nc_u32 v92, 0x200, v93
	v_dual_mov_b32 v62, 0 :: v_dual_mov_b32 v61, 0
	v_lshlrev_b64 v[5:6], 1, v[78:79]
	s_delay_alu instid0(VALU_DEP_3) | instskip(SKIP_3) | instid1(VALU_DEP_4)
	v_min_u32_e32 v78, s21, v92
	v_dual_mov_b32 v44, 0 :: v_dual_mov_b32 v43, 0
	v_dual_mov_b32 v42, 0 :: v_dual_mov_b32 v41, 0
	s_waitcnt lgkmcnt(0)
	v_add_co_u32 v13, vcc_lo, s14, v5
	v_add_co_ci_u32_e32 v14, vcc_lo, s15, v6, vcc_lo
	v_lshlrev_b64 v[5:6], 1, v[78:79]
	s_delay_alu instid0(VALU_DEP_3) | instskip(NEXT) | instid1(VALU_DEP_3)
	v_add_co_u32 v7, vcc_lo, v13, v84
	v_add_co_ci_u32_e32 v8, vcc_lo, v14, v85, vcc_lo
	v_add_co_u32 v9, vcc_lo, v13, v86
	v_add_co_ci_u32_e32 v10, vcc_lo, v14, v87, vcc_lo
	;; [unrolled: 2-line block ×5, first 2 shown]
	s_clause 0x1
	global_load_b128 v[25:28], v[7:8], off slc dlc
	global_load_b128 v[21:24], v[9:10], off slc dlc
	v_add_co_u32 v7, vcc_lo, v15, v84
	v_add_co_ci_u32_e32 v8, vcc_lo, v16, v85, vcc_lo
	v_add_co_u32 v9, vcc_lo, v15, v86
	v_add_co_ci_u32_e32 v10, vcc_lo, v16, v87, vcc_lo
	;; [unrolled: 2-line block ×4, first 2 shown]
	s_clause 0x5
	global_load_b128 v[33:36], v[11:12], off slc dlc
	global_load_b128 v[29:32], v[5:6], off slc dlc
	;; [unrolled: 1-line block ×6, first 2 shown]
	v_cmp_gt_u32_e32 vcc_lo, s8, v93
	v_dual_mov_b32 v40, 0 :: v_dual_mov_b32 v39, 0
	v_dual_mov_b32 v38, 0 :: v_dual_mov_b32 v37, 0
	;; [unrolled: 1-line block ×4, first 2 shown]
	s_waitcnt vmcnt(10)
	v_dual_mov_b32 v48, 0 :: v_dual_mov_b32 v47, 0
	s_waitcnt vmcnt(8)
	v_dual_mov_b32 v46, 0 :: v_dual_mov_b32 v45, 0
	v_dual_mov_b32 v72, 0 :: v_dual_mov_b32 v71, 0
	;; [unrolled: 1-line block ×9, first 2 shown]
	s_and_saveexec_b32 s2, vcc_lo
	s_cbranch_execz .LBB156_17
; %bb.19:                               ;   in Loop: Header=BB156_18 Depth=2
	s_mov_b32 s3, exec_lo
                                        ; implicit-def: $vgpr56
	v_cmpx_lt_u32_e32 0x7fff, v93
	s_xor_b32 s3, exec_lo, s3
	s_cbranch_execz .LBB156_21
; %bb.20:                               ;   in Loop: Header=BB156_18 Depth=2
	v_mov_b32_e32 v94, v79
	s_delay_alu instid0(VALU_DEP_1) | instskip(NEXT) | instid1(VALU_DEP_1)
	v_lshlrev_b64 v[37:38], 1, v[93:94]
	v_add_co_u32 v37, vcc_lo, s12, v37
	s_delay_alu instid0(VALU_DEP_2)
	v_add_co_ci_u32_e32 v38, vcc_lo, s13, v38, vcc_lo
	global_load_b128 v[53:56], v[37:38], off
.LBB156_21:                             ;   in Loop: Header=BB156_18 Depth=2
	s_and_not1_saveexec_b32 s3, s3
	s_cbranch_execz .LBB156_23
; %bb.22:                               ;   in Loop: Header=BB156_18 Depth=2
	s_waitcnt vmcnt(0)
	ds_load_b128 v[53:56], v126
.LBB156_23:                             ;   in Loop: Header=BB156_18 Depth=2
	s_or_b32 exec_lo, exec_lo, s3
	v_add_nc_u32_e32 v78, s1, v101
	s_mov_b32 s3, exec_lo
                                        ; implicit-def: $vgpr52
	s_delay_alu instid0(VALU_DEP_1)
	v_cmpx_lt_u32_e32 0x7fff, v78
	s_xor_b32 s3, exec_lo, s3
	s_cbranch_execz .LBB156_25
; %bb.24:                               ;   in Loop: Header=BB156_18 Depth=2
	v_lshlrev_b64 v[37:38], 1, v[78:79]
	s_delay_alu instid0(VALU_DEP_1) | instskip(NEXT) | instid1(VALU_DEP_2)
	v_add_co_u32 v37, vcc_lo, s12, v37
	v_add_co_ci_u32_e32 v38, vcc_lo, s13, v38, vcc_lo
	global_load_b128 v[49:52], v[37:38], off
.LBB156_25:                             ;   in Loop: Header=BB156_18 Depth=2
	s_and_not1_saveexec_b32 s3, s3
	s_cbranch_execz .LBB156_27
; %bb.26:                               ;   in Loop: Header=BB156_18 Depth=2
	v_add_nc_u32_e32 v37, s25, v126
	s_waitcnt vmcnt(0)
	ds_load_b128 v[49:52], v37
.LBB156_27:                             ;   in Loop: Header=BB156_18 Depth=2
	s_or_b32 exec_lo, exec_lo, s3
	v_add_nc_u32_e32 v98, s1, v102
	s_mov_b32 s3, exec_lo
                                        ; implicit-def: $vgpr48
	s_delay_alu instid0(VALU_DEP_1)
	v_cmpx_lt_u32_e32 0x7fff, v98
	s_xor_b32 s3, exec_lo, s3
	s_cbranch_execz .LBB156_29
; %bb.28:                               ;   in Loop: Header=BB156_18 Depth=2
	v_mov_b32_e32 v99, v79
	s_delay_alu instid0(VALU_DEP_1) | instskip(NEXT) | instid1(VALU_DEP_1)
	v_lshlrev_b64 v[37:38], 1, v[98:99]
	v_add_co_u32 v37, vcc_lo, s12, v37
	s_delay_alu instid0(VALU_DEP_2)
	v_add_co_ci_u32_e32 v38, vcc_lo, s13, v38, vcc_lo
	global_load_b128 v[45:48], v[37:38], off
.LBB156_29:                             ;   in Loop: Header=BB156_18 Depth=2
	s_and_not1_saveexec_b32 s3, s3
	s_cbranch_execz .LBB156_31
; %bb.30:                               ;   in Loop: Header=BB156_18 Depth=2
	v_add_nc_u32_e32 v37, s29, v126
	s_waitcnt vmcnt(0)
	ds_load_2addr_b32 v[45:46], v37 offset1:1
	ds_load_2addr_b32 v[47:48], v37 offset0:2 offset1:3
.LBB156_31:                             ;   in Loop: Header=BB156_18 Depth=2
	s_or_b32 exec_lo, exec_lo, s3
	v_add_nc_u32_e32 v96, s1, v80
	s_mov_b32 s3, exec_lo
                                        ; implicit-def: $vgpr44
	s_delay_alu instid0(VALU_DEP_1)
	v_cmpx_lt_u32_e32 0x7fff, v96
	s_xor_b32 s3, exec_lo, s3
	s_cbranch_execz .LBB156_33
; %bb.32:                               ;   in Loop: Header=BB156_18 Depth=2
	v_mov_b32_e32 v97, v79
	s_delay_alu instid0(VALU_DEP_1) | instskip(NEXT) | instid1(VALU_DEP_1)
	v_lshlrev_b64 v[37:38], 1, v[96:97]
	v_add_co_u32 v37, vcc_lo, s12, v37
	s_delay_alu instid0(VALU_DEP_2)
	v_add_co_ci_u32_e32 v38, vcc_lo, s13, v38, vcc_lo
	global_load_b128 v[41:44], v[37:38], off
.LBB156_33:                             ;   in Loop: Header=BB156_18 Depth=2
	s_and_not1_saveexec_b32 s3, s3
	s_cbranch_execz .LBB156_35
; %bb.34:                               ;   in Loop: Header=BB156_18 Depth=2
	v_add_nc_u32_e32 v37, s33, v126
	s_waitcnt vmcnt(0)
	ds_load_b128 v[41:44], v37
.LBB156_35:                             ;   in Loop: Header=BB156_18 Depth=2
	s_or_b32 exec_lo, exec_lo, s3
	v_add_nc_u32_e32 v94, s1, v104
	s_mov_b32 s3, exec_lo
                                        ; implicit-def: $vgpr40
	s_delay_alu instid0(VALU_DEP_1)
	v_cmpx_lt_u32_e32 0x7fff, v94
	s_xor_b32 s3, exec_lo, s3
	s_cbranch_execz .LBB156_37
; %bb.36:                               ;   in Loop: Header=BB156_18 Depth=2
	v_mov_b32_e32 v95, v79
	s_delay_alu instid0(VALU_DEP_1) | instskip(NEXT) | instid1(VALU_DEP_1)
	v_lshlrev_b64 v[37:38], 1, v[94:95]
	v_add_co_u32 v37, vcc_lo, s12, v37
	s_delay_alu instid0(VALU_DEP_2)
	v_add_co_ci_u32_e32 v38, vcc_lo, s13, v38, vcc_lo
	global_load_b128 v[37:40], v[37:38], off
.LBB156_37:                             ;   in Loop: Header=BB156_18 Depth=2
	s_and_not1_saveexec_b32 s3, s3
	s_cbranch_execz .LBB156_39
; %bb.38:                               ;   in Loop: Header=BB156_18 Depth=2
	s_waitcnt vmcnt(0)
	v_add_nc_u32_e32 v37, s10, v126
	ds_load_2addr_b64 v[37:40], v37 offset1:1
.LBB156_39:                             ;   in Loop: Header=BB156_18 Depth=2
	s_or_b32 exec_lo, exec_lo, s3
	v_cmp_gt_u32_e32 vcc_lo, s8, v92
	v_dual_mov_b32 v60, 0 :: v_dual_mov_b32 v59, 0
	v_dual_mov_b32 v58, 0 :: v_dual_mov_b32 v57, 0
	;; [unrolled: 1-line block ×10, first 2 shown]
	s_and_saveexec_b32 s3, vcc_lo
	s_cbranch_execz .LBB156_16
; %bb.40:                               ;   in Loop: Header=BB156_18 Depth=2
	s_mov_b32 s4, exec_lo
                                        ; implicit-def: $vgpr76
	v_cmpx_lt_u32_e32 0x7fff, v92
	s_xor_b32 s4, exec_lo, s4
	s_cbranch_execz .LBB156_42
; %bb.41:                               ;   in Loop: Header=BB156_18 Depth=2
	v_mov_b32_e32 v93, v79
	s_delay_alu instid0(VALU_DEP_1) | instskip(NEXT) | instid1(VALU_DEP_1)
	v_lshlrev_b64 v[57:58], 1, v[92:93]
	v_add_co_u32 v57, vcc_lo, s12, v57
	s_delay_alu instid0(VALU_DEP_2)
	v_add_co_ci_u32_e32 v58, vcc_lo, s13, v58, vcc_lo
	global_load_b128 v[73:76], v[57:58], off
.LBB156_42:                             ;   in Loop: Header=BB156_18 Depth=2
	s_and_not1_saveexec_b32 s4, s4
	s_cbranch_execz .LBB156_44
; %bb.43:                               ;   in Loop: Header=BB156_18 Depth=2
	s_waitcnt vmcnt(0)
	ds_load_b128 v[73:76], v126 offset:1024
.LBB156_44:                             ;   in Loop: Header=BB156_18 Depth=2
	s_or_b32 exec_lo, exec_lo, s4
	v_add_nc_u32_e32 v78, 0x200, v78
	s_mov_b32 s4, exec_lo
                                        ; implicit-def: $vgpr72
	s_delay_alu instid0(VALU_DEP_1)
	v_cmpx_lt_u32_e32 0x7fff, v78
	s_xor_b32 s4, exec_lo, s4
	s_cbranch_execz .LBB156_46
; %bb.45:                               ;   in Loop: Header=BB156_18 Depth=2
	v_lshlrev_b64 v[57:58], 1, v[78:79]
	s_delay_alu instid0(VALU_DEP_1) | instskip(NEXT) | instid1(VALU_DEP_2)
	v_add_co_u32 v57, vcc_lo, s12, v57
	v_add_co_ci_u32_e32 v58, vcc_lo, s13, v58, vcc_lo
	global_load_b128 v[69:72], v[57:58], off
.LBB156_46:                             ;   in Loop: Header=BB156_18 Depth=2
	s_and_not1_saveexec_b32 s4, s4
	s_cbranch_execz .LBB156_48
; %bb.47:                               ;   in Loop: Header=BB156_18 Depth=2
	v_add_nc_u32_e32 v57, s25, v126
	s_waitcnt vmcnt(0)
	ds_load_b128 v[69:72], v57 offset:1024
.LBB156_48:                             ;   in Loop: Header=BB156_18 Depth=2
	s_or_b32 exec_lo, exec_lo, s4
	v_add_nc_u32_e32 v78, 0x200, v98
	s_mov_b32 s4, exec_lo
                                        ; implicit-def: $vgpr68
	s_delay_alu instid0(VALU_DEP_1)
	v_cmpx_lt_u32_e32 0x7fff, v78
	s_xor_b32 s4, exec_lo, s4
	s_cbranch_execz .LBB156_50
; %bb.49:                               ;   in Loop: Header=BB156_18 Depth=2
	v_lshlrev_b64 v[57:58], 1, v[78:79]
	s_delay_alu instid0(VALU_DEP_1) | instskip(NEXT) | instid1(VALU_DEP_2)
	v_add_co_u32 v57, vcc_lo, s12, v57
	v_add_co_ci_u32_e32 v58, vcc_lo, s13, v58, vcc_lo
	global_load_b128 v[65:68], v[57:58], off
.LBB156_50:                             ;   in Loop: Header=BB156_18 Depth=2
	s_and_not1_saveexec_b32 s4, s4
	s_cbranch_execz .LBB156_52
; %bb.51:                               ;   in Loop: Header=BB156_18 Depth=2
	v_add_nc_u32_e32 v57, s29, v126
	s_delay_alu instid0(VALU_DEP_1)
	v_add_nc_u32_e32 v58, 0x400, v57
	v_add_nc_u32_e32 v57, 0x408, v57
	s_waitcnt vmcnt(0)
	ds_load_2addr_b32 v[65:66], v58 offset1:1
	ds_load_2addr_b32 v[67:68], v57 offset1:1
.LBB156_52:                             ;   in Loop: Header=BB156_18 Depth=2
	s_or_b32 exec_lo, exec_lo, s4
	v_add_nc_u32_e32 v78, 0x200, v96
	s_mov_b32 s4, exec_lo
                                        ; implicit-def: $vgpr64
	s_delay_alu instid0(VALU_DEP_1)
	v_cmpx_lt_u32_e32 0x7fff, v78
	s_xor_b32 s4, exec_lo, s4
	s_cbranch_execz .LBB156_54
; %bb.53:                               ;   in Loop: Header=BB156_18 Depth=2
	v_lshlrev_b64 v[57:58], 1, v[78:79]
	s_delay_alu instid0(VALU_DEP_1) | instskip(NEXT) | instid1(VALU_DEP_2)
	v_add_co_u32 v57, vcc_lo, s12, v57
	v_add_co_ci_u32_e32 v58, vcc_lo, s13, v58, vcc_lo
	global_load_b128 v[61:64], v[57:58], off
.LBB156_54:                             ;   in Loop: Header=BB156_18 Depth=2
	s_and_not1_saveexec_b32 s4, s4
	s_cbranch_execz .LBB156_56
; %bb.55:                               ;   in Loop: Header=BB156_18 Depth=2
	v_add_nc_u32_e32 v57, s33, v126
	s_waitcnt vmcnt(0)
	ds_load_b128 v[61:64], v57 offset:1024
.LBB156_56:                             ;   in Loop: Header=BB156_18 Depth=2
	s_or_b32 exec_lo, exec_lo, s4
	v_add_nc_u32_e32 v78, 0x200, v94
	s_mov_b32 s4, exec_lo
                                        ; implicit-def: $vgpr60
	s_delay_alu instid0(VALU_DEP_1)
	v_cmpx_lt_u32_e32 0x7fff, v78
	s_xor_b32 s4, exec_lo, s4
	s_cbranch_execz .LBB156_58
; %bb.57:                               ;   in Loop: Header=BB156_18 Depth=2
	v_lshlrev_b64 v[57:58], 1, v[78:79]
	s_delay_alu instid0(VALU_DEP_1) | instskip(NEXT) | instid1(VALU_DEP_2)
	v_add_co_u32 v57, vcc_lo, s12, v57
	v_add_co_ci_u32_e32 v58, vcc_lo, s13, v58, vcc_lo
	global_load_b128 v[57:60], v[57:58], off
.LBB156_58:                             ;   in Loop: Header=BB156_18 Depth=2
	s_and_not1_saveexec_b32 s4, s4
	s_cbranch_execz .LBB156_15
; %bb.59:                               ;   in Loop: Header=BB156_18 Depth=2
	s_waitcnt vmcnt(0)
	v_add_nc_u32_e32 v57, s10, v126
	ds_load_2addr_b64 v[57:60], v57 offset0:128 offset1:129
	s_branch .LBB156_15
.LBB156_60:                             ;   in Loop: Header=BB156_13 Depth=1
	v_xor_b32_e32 v5, 16, v105
	v_cvt_i32_f32_e32 v6, v125
	v_cvt_i32_f32_e32 v7, v124
	;; [unrolled: 1-line block ×3, first 2 shown]
	s_waitcnt lgkmcnt(0)
	v_cvt_i32_f32_e32 v10, v122
	v_cmp_gt_i32_e32 vcc_lo, 32, v5
	v_cvt_f32_i32_dpp v6, v6 row_shr:8 row_mask:0xf bank_mask:0xf bound_ctrl:1
	v_cvt_i32_f32_e32 v11, v121
	v_cvt_f32_i32_dpp v7, v7 row_shr:8 row_mask:0xf bank_mask:0xf bound_ctrl:1
	v_cvt_i32_f32_e32 v26, v106
	v_cndmask_b32_e32 v5, v105, v5, vcc_lo
	v_add_f32_e32 v6, v125, v6
	s_delay_alu instid0(VALU_DEP_3) | instskip(NEXT) | instid1(VALU_DEP_3)
	v_cvt_f32_i32_dpp v26, v26 row_shr:8 row_mask:0xf bank_mask:0xf bound_ctrl:1
	v_lshlrev_b32_e32 v9, 2, v5
	v_cvt_f32_i32_dpp v5, v8 row_shr:8 row_mask:0xf bank_mask:0xf bound_ctrl:1
	v_cvt_f32_i32_dpp v8, v10 row_shr:8 row_mask:0xf bank_mask:0xf bound_ctrl:1
	v_cvt_f32_i32_dpp v10, v11 row_shr:8 row_mask:0xf bank_mask:0xf bound_ctrl:1
	v_add_f32_e32 v7, v124, v7
	v_cvt_i32_f32_e32 v11, v6
	v_add_f32_e32 v26, v106, v26
	v_add_f32_e32 v8, v122, v8
	;; [unrolled: 1-line block ×3, first 2 shown]
	v_cvt_i32_f32_e32 v12, v7
	v_cvt_f32_i32_dpp v11, v11 row_shr:4 row_mask:0xf bank_mask:0xf bound_ctrl:1
	v_add_f32_e32 v5, v123, v5
	v_cvt_i32_f32_e32 v14, v8
	v_cvt_i32_f32_e32 v15, v10
	v_cvt_f32_i32_dpp v12, v12 row_shr:4 row_mask:0xf bank_mask:0xf bound_ctrl:1
	v_add_f32_e32 v6, v6, v11
	v_cvt_i32_f32_e32 v13, v5
	v_cvt_f32_i32_dpp v14, v14 row_shr:4 row_mask:0xf bank_mask:0xf bound_ctrl:1
	v_cvt_f32_i32_dpp v15, v15 row_shr:4 row_mask:0xf bank_mask:0xf bound_ctrl:1
	v_add_f32_e32 v7, v7, v12
	v_cvt_i32_f32_e32 v11, v6
	v_cvt_f32_i32_dpp v13, v13 row_shr:4 row_mask:0xf bank_mask:0xf bound_ctrl:1
	v_add_f32_e32 v8, v8, v14
	v_add_f32_e32 v10, v10, v15
	v_cvt_i32_f32_e32 v12, v7
	v_cvt_f32_i32_dpp v11, v11 row_shr:2 row_mask:0xf bank_mask:0xf bound_ctrl:1
	v_add_f32_e32 v5, v5, v13
	v_cvt_i32_f32_e32 v14, v8
	v_cvt_i32_f32_e32 v15, v10
	v_cvt_f32_i32_dpp v12, v12 row_shr:2 row_mask:0xf bank_mask:0xf bound_ctrl:1
	v_add_f32_e32 v6, v6, v11
	v_cvt_i32_f32_e32 v13, v5
	v_cvt_f32_i32_dpp v14, v14 row_shr:2 row_mask:0xf bank_mask:0xf bound_ctrl:1
	v_cvt_f32_i32_dpp v15, v15 row_shr:2 row_mask:0xf bank_mask:0xf bound_ctrl:1
	v_add_f32_e32 v7, v7, v12
	v_cvt_i32_f32_e32 v11, v6
	v_cvt_f32_i32_dpp v13, v13 row_shr:2 row_mask:0xf bank_mask:0xf bound_ctrl:1
	v_add_f32_e32 v8, v8, v14
	s_waitcnt vmcnt(0)
	v_cvt_i32_f32_e32 v45, v26
	v_cvt_i32_f32_e32 v12, v7
	v_cvt_f32_i32_dpp v11, v11 row_shr:1 row_mask:0xf bank_mask:0xf bound_ctrl:1
	v_add_f32_e32 v5, v5, v13
	v_cvt_i32_f32_e32 v14, v8
	v_cvt_f32_i32_dpp v45, v45 row_shr:4 row_mask:0xf bank_mask:0xf bound_ctrl:1
	v_cvt_f32_i32_dpp v12, v12 row_shr:1 row_mask:0xf bank_mask:0xf bound_ctrl:1
	v_add_f32_e32 v10, v10, v15
	v_cvt_i32_f32_e32 v13, v5
	v_cvt_f32_i32_dpp v14, v14 row_shr:1 row_mask:0xf bank_mask:0xf bound_ctrl:1
	s_delay_alu instid0(VALU_DEP_4) | instskip(NEXT) | instid1(VALU_DEP_4)
	v_dual_add_f32 v26, v26, v45 :: v_dual_add_f32 v31, v7, v12
	v_cvt_i32_f32_e32 v15, v10
	s_delay_alu instid0(VALU_DEP_4)
	v_cvt_f32_i32_dpp v13, v13 row_shr:1 row_mask:0xf bank_mask:0xf bound_ctrl:1
	v_cvt_i32_f32_e32 v7, v119
	v_cvt_i32_f32_e32 v12, v117
	ds_bpermute_b32 v35, v9, v31
	v_cvt_f32_i32_dpp v16, v15 row_shr:1 row_mask:0xf bank_mask:0xf bound_ctrl:1
	v_add_f32_e32 v15, v8, v14
	v_cvt_i32_f32_e32 v8, v118
	v_add_f32_e32 v23, v5, v13
	v_cvt_f32_i32_dpp v7, v7 row_shr:8 row_mask:0xf bank_mask:0xf bound_ctrl:1
	v_cvt_f32_i32_dpp v12, v12 row_shr:8 row_mask:0xf bank_mask:0xf bound_ctrl:1
	v_add_f32_e32 v39, v6, v11
	v_cvt_f32_i32_dpp v8, v8 row_shr:8 row_mask:0xf bank_mask:0xf bound_ctrl:1
	v_add_f32_e32 v6, v10, v16
	v_cvt_i32_f32_e32 v5, v120
	v_add_f32_e32 v12, v117, v12
	v_cvt_i32_f32_e32 v11, v116
	v_add_f32_e32 v8, v118, v8
	ds_bpermute_b32 v43, v9, v39
	v_cvt_f32_i32_dpp v5, v5 row_shr:8 row_mask:0xf bank_mask:0xf bound_ctrl:1
	v_cvt_i32_f32_e32 v18, v12
	v_cvt_f32_i32_dpp v11, v11 row_shr:8 row_mask:0xf bank_mask:0xf bound_ctrl:1
	v_cvt_i32_f32_e32 v16, v8
	ds_bpermute_b32 v27, v9, v23
	ds_bpermute_b32 v19, v9, v15
	v_cvt_f32_i32_dpp v18, v18 row_shr:4 row_mask:0xf bank_mask:0xf bound_ctrl:1
	ds_bpermute_b32 v10, v9, v6
	v_cvt_f32_i32_dpp v16, v16 row_shr:4 row_mask:0xf bank_mask:0xf bound_ctrl:1
	v_add_f32_e32 v7, v119, v7
	v_cvt_i32_f32_e32 v45, v26
	v_add_f32_e32 v12, v12, v18
	s_delay_alu instid0(VALU_DEP_4) | instskip(NEXT) | instid1(VALU_DEP_4)
	v_add_f32_e32 v8, v8, v16
	v_cvt_i32_f32_e32 v14, v7
	s_delay_alu instid0(VALU_DEP_4) | instskip(NEXT) | instid1(VALU_DEP_4)
	v_cvt_f32_i32_dpp v45, v45 row_shr:2 row_mask:0xf bank_mask:0xf bound_ctrl:1
	v_cvt_i32_f32_e32 v18, v12
	s_delay_alu instid0(VALU_DEP_4) | instskip(NEXT) | instid1(VALU_DEP_4)
	v_cvt_i32_f32_e32 v16, v8
	v_cvt_f32_i32_dpp v14, v14 row_shr:4 row_mask:0xf bank_mask:0xf bound_ctrl:1
	s_delay_alu instid0(VALU_DEP_4) | instskip(NEXT) | instid1(VALU_DEP_4)
	v_add_f32_e32 v26, v26, v45
	v_cvt_f32_i32_dpp v18, v18 row_shr:2 row_mask:0xf bank_mask:0xf bound_ctrl:1
	s_delay_alu instid0(VALU_DEP_4) | instskip(NEXT) | instid1(VALU_DEP_4)
	v_cvt_f32_i32_dpp v16, v16 row_shr:2 row_mask:0xf bank_mask:0xf bound_ctrl:1
	v_add_f32_e32 v7, v7, v14
	s_delay_alu instid0(VALU_DEP_4) | instskip(NEXT) | instid1(VALU_DEP_4)
	v_cvt_i32_f32_e32 v45, v26
	v_add_f32_e32 v12, v12, v18
	s_delay_alu instid0(VALU_DEP_4) | instskip(NEXT) | instid1(VALU_DEP_4)
	v_add_f32_e32 v8, v8, v16
	v_cvt_i32_f32_e32 v14, v7
	s_delay_alu instid0(VALU_DEP_4) | instskip(NEXT) | instid1(VALU_DEP_4)
	v_cvt_f32_i32_dpp v45, v45 row_shr:1 row_mask:0xf bank_mask:0xf bound_ctrl:1
	v_cvt_i32_f32_e32 v18, v12
	s_delay_alu instid0(VALU_DEP_4) | instskip(NEXT) | instid1(VALU_DEP_4)
	v_cvt_i32_f32_e32 v16, v8
	v_cvt_f32_i32_dpp v14, v14 row_shr:2 row_mask:0xf bank_mask:0xf bound_ctrl:1
	s_delay_alu instid0(VALU_DEP_3) | instskip(NEXT) | instid1(VALU_DEP_3)
	v_cvt_f32_i32_dpp v18, v18 row_shr:1 row_mask:0xf bank_mask:0xf bound_ctrl:1
	v_cvt_f32_i32_dpp v16, v16 row_shr:1 row_mask:0xf bank_mask:0xf bound_ctrl:1
	s_delay_alu instid0(VALU_DEP_1) | instskip(NEXT) | instid1(VALU_DEP_1)
	v_dual_add_f32 v7, v7, v14 :: v_dual_add_f32 v24, v8, v16
	v_cvt_i32_f32_e32 v14, v7
	s_delay_alu instid0(VALU_DEP_4)
	v_add_f32_e32 v8, v12, v18
	v_cvt_i32_f32_e32 v16, v111
	ds_bpermute_b32 v28, v9, v24
	v_cvt_f32_i32_dpp v14, v14 row_shr:1 row_mask:0xf bank_mask:0xf bound_ctrl:1
	v_add_f32_e32 v5, v120, v5
	v_cvt_f32_i32_dpp v16, v16 row_shr:8 row_mask:0xf bank_mask:0xf bound_ctrl:1
	ds_bpermute_b32 v12, v9, v8
	v_add_f32_e32 v32, v7, v14
	v_cvt_i32_f32_e32 v13, v5
	v_cvt_i32_f32_e32 v7, v114
	;; [unrolled: 1-line block ×3, first 2 shown]
	v_add_f32_e32 v16, v111, v16
	ds_bpermute_b32 v36, v9, v32
	v_cvt_f32_i32_dpp v13, v13 row_shr:4 row_mask:0xf bank_mask:0xf bound_ctrl:1
	v_cvt_f32_i32_dpp v7, v7 row_shr:8 row_mask:0xf bank_mask:0xf bound_ctrl:1
	;; [unrolled: 1-line block ×3, first 2 shown]
	v_cvt_i32_f32_e32 v25, v16
	s_delay_alu instid0(VALU_DEP_4) | instskip(NEXT) | instid1(VALU_DEP_3)
	v_add_f32_e32 v5, v5, v13
	v_dual_add_f32 v7, v114, v7 :: v_dual_add_f32 v14, v112, v14
	s_delay_alu instid0(VALU_DEP_3) | instskip(NEXT) | instid1(VALU_DEP_3)
	v_cvt_f32_i32_dpp v25, v25 row_shr:4 row_mask:0xf bank_mask:0xf bound_ctrl:1
	v_cvt_i32_f32_e32 v13, v5
	s_delay_alu instid0(VALU_DEP_3) | instskip(NEXT) | instid1(VALU_DEP_4)
	v_cvt_i32_f32_e32 v20, v7
	v_cvt_i32_f32_e32 v22, v14
	s_delay_alu instid0(VALU_DEP_4) | instskip(NEXT) | instid1(VALU_DEP_4)
	v_add_f32_e32 v16, v16, v25
	v_cvt_f32_i32_dpp v13, v13 row_shr:2 row_mask:0xf bank_mask:0xf bound_ctrl:1
	s_delay_alu instid0(VALU_DEP_4) | instskip(NEXT) | instid1(VALU_DEP_4)
	v_cvt_f32_i32_dpp v20, v20 row_shr:4 row_mask:0xf bank_mask:0xf bound_ctrl:1
	v_cvt_f32_i32_dpp v22, v22 row_shr:4 row_mask:0xf bank_mask:0xf bound_ctrl:1
	s_delay_alu instid0(VALU_DEP_4) | instskip(NEXT) | instid1(VALU_DEP_2)
	v_cvt_i32_f32_e32 v25, v16
	v_dual_add_f32 v5, v5, v13 :: v_dual_add_f32 v14, v14, v22
	s_delay_alu instid0(VALU_DEP_2) | instskip(NEXT) | instid1(VALU_DEP_2)
	v_cvt_f32_i32_dpp v25, v25 row_shr:2 row_mask:0xf bank_mask:0xf bound_ctrl:1
	v_cvt_i32_f32_e32 v13, v5
	s_delay_alu instid0(VALU_DEP_3) | instskip(NEXT) | instid1(VALU_DEP_2)
	v_cvt_i32_f32_e32 v22, v14
	v_cvt_f32_i32_dpp v13, v13 row_shr:1 row_mask:0xf bank_mask:0xf bound_ctrl:1
	v_add_f32_e32 v11, v116, v11
	s_delay_alu instid0(VALU_DEP_3) | instskip(NEXT) | instid1(VALU_DEP_3)
	v_cvt_f32_i32_dpp v22, v22 row_shr:2 row_mask:0xf bank_mask:0xf bound_ctrl:1
	v_add_f32_e32 v40, v5, v13
	s_delay_alu instid0(VALU_DEP_3) | instskip(SKIP_1) | instid1(VALU_DEP_4)
	v_cvt_i32_f32_e32 v17, v11
	v_cvt_i32_f32_e32 v5, v115
	v_add_f32_e32 v14, v14, v22
	ds_bpermute_b32 v44, v9, v40
	v_cvt_f32_i32_dpp v17, v17 row_shr:4 row_mask:0xf bank_mask:0xf bound_ctrl:1
	v_cvt_f32_i32_dpp v5, v5 row_shr:8 row_mask:0xf bank_mask:0xf bound_ctrl:1
	v_cvt_i32_f32_e32 v22, v14
	s_delay_alu instid0(VALU_DEP_3) | instskip(NEXT) | instid1(VALU_DEP_3)
	v_add_f32_e32 v11, v11, v17
	v_add_f32_e32 v5, v115, v5
	s_delay_alu instid0(VALU_DEP_3) | instskip(SKIP_1) | instid1(VALU_DEP_4)
	v_cvt_f32_i32_dpp v22, v22 row_shr:1 row_mask:0xf bank_mask:0xf bound_ctrl:1
	v_add_f32_e32 v7, v7, v20
	v_cvt_i32_f32_e32 v17, v11
	s_delay_alu instid0(VALU_DEP_4) | instskip(NEXT) | instid1(VALU_DEP_2)
	v_cvt_i32_f32_e32 v18, v5
	v_cvt_f32_i32_dpp v17, v17 row_shr:2 row_mask:0xf bank_mask:0xf bound_ctrl:1
	s_delay_alu instid0(VALU_DEP_2) | instskip(NEXT) | instid1(VALU_DEP_2)
	v_cvt_f32_i32_dpp v18, v18 row_shr:4 row_mask:0xf bank_mask:0xf bound_ctrl:1
	v_add_f32_e32 v11, v11, v17
	s_delay_alu instid0(VALU_DEP_2) | instskip(NEXT) | instid1(VALU_DEP_2)
	v_add_f32_e32 v5, v5, v18
	v_cvt_i32_f32_e32 v17, v11
	s_delay_alu instid0(VALU_DEP_2) | instskip(NEXT) | instid1(VALU_DEP_2)
	v_cvt_i32_f32_e32 v18, v5
	v_cvt_f32_i32_dpp v17, v17 row_shr:1 row_mask:0xf bank_mask:0xf bound_ctrl:1
	s_delay_alu instid0(VALU_DEP_2) | instskip(NEXT) | instid1(VALU_DEP_2)
	v_cvt_f32_i32_dpp v18, v18 row_shr:2 row_mask:0xf bank_mask:0xf bound_ctrl:1
	v_add_f32_e32 v13, v11, v17
	v_cvt_i32_f32_e32 v11, v113
	s_delay_alu instid0(VALU_DEP_3) | instskip(SKIP_4) | instid1(VALU_DEP_3)
	v_dual_add_f32 v5, v5, v18 :: v_dual_add_f32 v18, v16, v25
	ds_bpermute_b32 v17, v9, v13
	v_cvt_f32_i32_dpp v11, v11 row_shr:8 row_mask:0xf bank_mask:0xf bound_ctrl:1
	v_cvt_i32_f32_e32 v16, v5
	v_cvt_i32_f32_e32 v25, v18
	v_add_f32_e32 v11, v113, v11
	s_delay_alu instid0(VALU_DEP_3) | instskip(NEXT) | instid1(VALU_DEP_3)
	v_cvt_f32_i32_dpp v16, v16 row_shr:1 row_mask:0xf bank_mask:0xf bound_ctrl:1
	v_cvt_f32_i32_dpp v25, v25 row_shr:1 row_mask:0xf bank_mask:0xf bound_ctrl:1
	s_delay_alu instid0(VALU_DEP_3) | instskip(NEXT) | instid1(VALU_DEP_3)
	v_cvt_i32_f32_e32 v21, v11
	v_add_f32_e32 v38, v5, v16
	v_add_f32_e32 v16, v14, v22
	v_cvt_i32_f32_e32 v20, v7
	v_cvt_i32_f32_e32 v14, v109
	v_cvt_f32_i32_dpp v21, v21 row_shr:4 row_mask:0xf bank_mask:0xf bound_ctrl:1
	v_cvt_i32_f32_e32 v22, v107
	v_cvt_i32_f32_e32 v5, v110
	v_cvt_f32_i32_dpp v20, v20 row_shr:2 row_mask:0xf bank_mask:0xf bound_ctrl:1
	v_cvt_f32_i32_dpp v14, v14 row_shr:8 row_mask:0xf bank_mask:0xf bound_ctrl:1
	v_add_f32_e32 v11, v11, v21
	v_cvt_f32_i32_dpp v22, v22 row_shr:8 row_mask:0xf bank_mask:0xf bound_ctrl:1
	v_cvt_f32_i32_dpp v5, v5 row_shr:8 row_mask:0xf bank_mask:0xf bound_ctrl:1
	s_delay_alu instid0(VALU_DEP_4) | instskip(NEXT) | instid1(VALU_DEP_4)
	v_dual_add_f32 v7, v7, v20 :: v_dual_add_f32 v14, v109, v14
	v_cvt_i32_f32_e32 v21, v11
	s_delay_alu instid0(VALU_DEP_3) | instskip(NEXT) | instid1(VALU_DEP_3)
	v_dual_add_f32 v22, v107, v22 :: v_dual_add_f32 v5, v110, v5
	v_cvt_i32_f32_e32 v20, v7
	s_delay_alu instid0(VALU_DEP_4) | instskip(NEXT) | instid1(VALU_DEP_4)
	v_cvt_i32_f32_e32 v33, v14
	v_cvt_f32_i32_dpp v21, v21 row_shr:2 row_mask:0xf bank_mask:0xf bound_ctrl:1
	s_delay_alu instid0(VALU_DEP_4)
	v_cvt_i32_f32_e32 v41, v22
	v_cvt_i32_f32_e32 v29, v5
	v_cvt_f32_i32_dpp v20, v20 row_shr:1 row_mask:0xf bank_mask:0xf bound_ctrl:1
	v_cvt_f32_i32_dpp v33, v33 row_shr:4 row_mask:0xf bank_mask:0xf bound_ctrl:1
	ds_bpermute_b32 v42, v9, v38
	v_cvt_f32_i32_dpp v41, v41 row_shr:4 row_mask:0xf bank_mask:0xf bound_ctrl:1
	v_cvt_f32_i32_dpp v29, v29 row_shr:4 row_mask:0xf bank_mask:0xf bound_ctrl:1
	v_dual_add_f32 v30, v7, v20 :: v_dual_add_f32 v7, v18, v25
	v_cvt_i32_f32_e32 v18, v108
	s_delay_alu instid0(VALU_DEP_4)
	v_add_f32_e32 v22, v22, v41
	ds_bpermute_b32 v20, v9, v16
	ds_bpermute_b32 v34, v9, v30
	v_cvt_f32_i32_dpp v18, v18 row_shr:8 row_mask:0xf bank_mask:0xf bound_ctrl:1
	v_add_f32_e32 v11, v11, v21
	v_cvt_i32_f32_e32 v41, v22
	s_delay_alu instid0(VALU_DEP_3) | instskip(NEXT) | instid1(VALU_DEP_3)
	v_add_f32_e32 v18, v108, v18
	v_cvt_i32_f32_e32 v21, v11
	s_delay_alu instid0(VALU_DEP_3) | instskip(NEXT) | instid1(VALU_DEP_3)
	v_cvt_f32_i32_dpp v41, v41 row_shr:2 row_mask:0xf bank_mask:0xf bound_ctrl:1
	v_cvt_i32_f32_e32 v37, v18
	s_delay_alu instid0(VALU_DEP_3) | instskip(NEXT) | instid1(VALU_DEP_2)
	v_cvt_f32_i32_dpp v21, v21 row_shr:1 row_mask:0xf bank_mask:0xf bound_ctrl:1
	v_cvt_f32_i32_dpp v37, v37 row_shr:4 row_mask:0xf bank_mask:0xf bound_ctrl:1
	s_delay_alu instid0(VALU_DEP_2) | instskip(SKIP_4) | instid1(VALU_DEP_1)
	v_add_f32_e32 v21, v11, v21
	ds_bpermute_b32 v11, v9, v7
	v_add_f32_e32 v18, v18, v37
	ds_bpermute_b32 v25, v9, v21
	v_cvt_i32_f32_e32 v37, v18
	v_cvt_f32_i32_dpp v37, v37 row_shr:2 row_mask:0xf bank_mask:0xf bound_ctrl:1
	s_delay_alu instid0(VALU_DEP_1) | instskip(NEXT) | instid1(VALU_DEP_1)
	v_add_f32_e32 v18, v18, v37
	v_cvt_i32_f32_e32 v37, v18
	s_delay_alu instid0(VALU_DEP_1) | instskip(SKIP_1) | instid1(VALU_DEP_1)
	v_cvt_f32_i32_dpp v46, v37 row_shr:1 row_mask:0xf bank_mask:0xf bound_ctrl:1
	v_add_f32_e32 v5, v5, v29
	v_cvt_i32_f32_e32 v29, v5
	s_delay_alu instid0(VALU_DEP_1) | instskip(NEXT) | instid1(VALU_DEP_1)
	v_cvt_f32_i32_dpp v29, v29 row_shr:2 row_mask:0xf bank_mask:0xf bound_ctrl:1
	v_add_f32_e32 v5, v5, v29
	v_add_f32_e32 v14, v14, v33
	s_delay_alu instid0(VALU_DEP_1) | instskip(NEXT) | instid1(VALU_DEP_1)
	v_cvt_i32_f32_e32 v33, v14
	v_cvt_f32_i32_dpp v33, v33 row_shr:2 row_mask:0xf bank_mask:0xf bound_ctrl:1
	s_delay_alu instid0(VALU_DEP_1) | instskip(SKIP_2) | instid1(VALU_DEP_3)
	v_add_f32_e32 v14, v14, v33
	v_add_f32_e32 v33, v22, v41
	v_cvt_i32_f32_e32 v22, v5
	v_cvt_i32_f32_e32 v29, v14
	s_delay_alu instid0(VALU_DEP_3) | instskip(NEXT) | instid1(VALU_DEP_3)
	v_cvt_i32_f32_e32 v41, v33
	v_cvt_f32_i32_dpp v22, v22 row_shr:1 row_mask:0xf bank_mask:0xf bound_ctrl:1
	s_delay_alu instid0(VALU_DEP_3) | instskip(NEXT) | instid1(VALU_DEP_3)
	v_cvt_f32_i32_dpp v29, v29 row_shr:1 row_mask:0xf bank_mask:0xf bound_ctrl:1
	v_cvt_f32_i32_dpp v41, v41 row_shr:1 row_mask:0xf bank_mask:0xf bound_ctrl:1
	s_delay_alu instid0(VALU_DEP_3)
	v_add_f32_e32 v37, v5, v22
	v_add_f32_e32 v22, v18, v46
	;; [unrolled: 1-line block ×5, first 2 shown]
	ds_bpermute_b32 v41, v9, v37
	ds_bpermute_b32 v26, v9, v22
	;; [unrolled: 1-line block ×5, first 2 shown]
	s_and_saveexec_b32 s5, s0
	s_cbranch_execz .LBB156_84
; %bb.61:                               ;   in Loop: Header=BB156_13 Depth=1
	v_dual_mov_b32 v64, 0 :: v_dual_mov_b32 v63, 0
	v_dual_mov_b32 v62, 0 :: v_dual_mov_b32 v61, 0
	;; [unrolled: 1-line block ×10, first 2 shown]
	s_and_not1_b32 vcc_lo, exec_lo, s23
	s_cbranch_vccnz .LBB156_63
; %bb.62:                               ;   in Loop: Header=BB156_13 Depth=1
	v_mul_hi_u32 v45, v77, v103
	v_mul_hi_u32 v46, v83, v103
	;; [unrolled: 1-line block ×4, first 2 shown]
	v_mov_b32_e32 v60, v79
	v_mov_b32_e32 v64, v79
	;; [unrolled: 1-line block ×4, first 2 shown]
	v_mul_lo_u32 v45, v45, s16
	v_mul_lo_u32 v49, v46, s16
	;; [unrolled: 1-line block ×4, first 2 shown]
	s_delay_alu instid0(VALU_DEP_4) | instskip(NEXT) | instid1(VALU_DEP_4)
	v_sub_nc_u32_e32 v45, v77, v45
	v_sub_nc_u32_e32 v49, v83, v49
	s_delay_alu instid0(VALU_DEP_4) | instskip(NEXT) | instid1(VALU_DEP_4)
	v_sub_nc_u32_e32 v47, v82, v47
	v_sub_nc_u32_e32 v50, v81, v48
	s_delay_alu instid0(VALU_DEP_4)
	v_subrev_nc_u32_e32 v51, s16, v45
	v_cmp_le_u32_e32 vcc_lo, s16, v45
	v_mov_b32_e32 v46, v79
	v_subrev_nc_u32_e32 v52, s16, v49
	v_subrev_nc_u32_e32 v53, s16, v47
	;; [unrolled: 1-line block ×3, first 2 shown]
	v_cndmask_b32_e32 v45, v45, v51, vcc_lo
	v_cmp_le_u32_e32 vcc_lo, s16, v49
	v_mov_b32_e32 v48, v79
	s_delay_alu instid0(VALU_DEP_3) | instskip(SKIP_2) | instid1(VALU_DEP_2)
	v_subrev_nc_u32_e32 v51, s16, v45
	v_cndmask_b32_e32 v49, v49, v52, vcc_lo
	v_cmp_le_u32_e32 vcc_lo, s16, v47
	v_subrev_nc_u32_e32 v52, s16, v49
	v_cndmask_b32_e32 v47, v47, v53, vcc_lo
	v_cmp_le_u32_e32 vcc_lo, s16, v50
	v_dual_cndmask_b32 v53, v50, v54 :: v_dual_mov_b32 v50, v79
	v_cmp_le_u32_e32 vcc_lo, s16, v45
	s_delay_alu instid0(VALU_DEP_2) | instskip(SKIP_4) | instid1(VALU_DEP_4)
	v_subrev_nc_u32_e32 v55, s16, v53
	v_cndmask_b32_e32 v78, v45, v51, vcc_lo
	v_cmp_le_u32_e32 vcc_lo, s16, v49
	v_subrev_nc_u32_e32 v54, s16, v47
	v_mov_b32_e32 v85, v79
	v_add_nc_u32_e32 v59, s27, v78
	v_cndmask_b32_e32 v45, v49, v52, vcc_lo
	v_cmp_le_u32_e32 vcc_lo, s16, v47
	v_lshlrev_b64 v[51:52], 1, v[78:79]
	s_delay_alu instid0(VALU_DEP_4) | instskip(NEXT) | instid1(VALU_DEP_4)
	v_lshlrev_b64 v[59:60], 1, v[59:60]
	v_add_nc_u32_e32 v61, s27, v45
	v_cndmask_b32_e32 v47, v47, v54, vcc_lo
	v_cmp_le_u32_e32 vcc_lo, s16, v53
	v_add_nc_u32_e32 v75, s28, v45
	s_delay_alu instid0(VALU_DEP_4) | instskip(SKIP_4) | instid1(VALU_DEP_4)
	v_lshlrev_b64 v[61:62], 1, v[61:62]
	v_cndmask_b32_e32 v49, v53, v55, vcc_lo
	v_lshlrev_b64 v[53:54], 1, v[45:46]
	v_add_co_u32 v51, vcc_lo, s6, v51
	v_add_co_ci_u32_e32 v52, vcc_lo, s7, v52, vcc_lo
	v_add_nc_u32_e32 v84, s30, v49
	v_lshlrev_b64 v[55:56], 1, v[47:48]
	v_add_co_u32 v53, vcc_lo, s6, v53
	v_lshlrev_b64 v[57:58], 1, v[49:50]
	v_add_co_ci_u32_e32 v54, vcc_lo, s7, v54, vcc_lo
	s_delay_alu instid0(VALU_DEP_4) | instskip(SKIP_1) | instid1(VALU_DEP_4)
	v_add_co_u32 v55, vcc_lo, s6, v55
	v_add_co_ci_u32_e32 v56, vcc_lo, s7, v56, vcc_lo
	v_add_co_u32 v57, vcc_lo, s6, v57
	v_add_nc_u32_e32 v63, s27, v47
	v_add_co_ci_u32_e32 v58, vcc_lo, s7, v58, vcc_lo
	v_add_co_u32 v65, vcc_lo, s6, v59
	v_add_co_ci_u32_e32 v66, vcc_lo, s7, v60, vcc_lo
	s_delay_alu instid0(VALU_DEP_4) | instskip(SKIP_3) | instid1(VALU_DEP_4)
	v_lshlrev_b64 v[59:60], 1, v[63:64]
	v_add_nc_u32_e32 v63, s27, v49
	v_add_co_u32 v67, vcc_lo, s6, v61
	v_add_co_ci_u32_e32 v68, vcc_lo, s7, v62, vcc_lo
	v_add_co_u32 v69, vcc_lo, s6, v59
	s_delay_alu instid0(VALU_DEP_4) | instskip(SKIP_2) | instid1(VALU_DEP_3)
	v_lshlrev_b64 v[61:62], 1, v[63:64]
	v_add_co_ci_u32_e32 v70, vcc_lo, s7, v60, vcc_lo
	v_dual_mov_b32 v60, v79 :: v_dual_add_nc_u32 v59, s28, v78
	v_add_co_u32 v71, vcc_lo, s6, v61
	s_delay_alu instid0(VALU_DEP_4) | instskip(NEXT) | instid1(VALU_DEP_3)
	v_add_co_ci_u32_e32 v72, vcc_lo, s7, v62, vcc_lo
	v_lshlrev_b64 v[73:74], 1, v[59:60]
	s_clause 0x7
	global_load_u16 v64, v[51:52], off
	global_load_u16 v63, v[53:54], off
	;; [unrolled: 1-line block ×8, first 2 shown]
	v_dual_mov_b32 v70, v79 :: v_dual_add_nc_u32 v65, s28, v47
	v_mov_b32_e32 v66, v79
	v_mov_b32_e32 v72, v79
	v_lshlrev_b64 v[50:51], 1, v[75:76]
	v_add_co_u32 v67, vcc_lo, s6, v73
	v_add_nc_u32_e32 v69, s28, v49
	v_add_co_ci_u32_e32 v68, vcc_lo, s7, v74, vcc_lo
	v_mov_b32_e32 v74, v79
	v_lshlrev_b64 v[65:66], 1, v[65:66]
	v_add_nc_u32_e32 v71, s30, v78
	v_add_co_u32 v50, vcc_lo, s6, v50
	v_lshlrev_b64 v[69:70], 1, v[69:70]
	v_add_nc_u32_e32 v73, s30, v45
	v_add_co_ci_u32_e32 v51, vcc_lo, s7, v51, vcc_lo
	v_add_co_u32 v65, vcc_lo, s6, v65
	v_lshlrev_b64 v[71:72], 1, v[71:72]
	v_add_nc_u32_e32 v75, s30, v47
	v_add_co_ci_u32_e32 v66, vcc_lo, s7, v66, vcc_lo
	v_add_co_u32 v69, vcc_lo, s6, v69
	v_lshlrev_b64 v[73:74], 1, v[73:74]
	v_add_co_ci_u32_e32 v70, vcc_lo, s7, v70, vcc_lo
	v_add_co_u32 v71, vcc_lo, s6, v71
	v_lshlrev_b64 v[75:76], 1, v[75:76]
	v_add_nc_u32_e32 v78, s31, v78
	v_add_co_ci_u32_e32 v72, vcc_lo, s7, v72, vcc_lo
	v_add_co_u32 v73, vcc_lo, s6, v73
	v_lshlrev_b64 v[84:85], 1, v[84:85]
	v_add_co_ci_u32_e32 v74, vcc_lo, s7, v74, vcc_lo
	v_add_co_u32 v75, vcc_lo, s6, v75
	v_lshlrev_b64 v[86:87], 1, v[78:79]
	v_add_nc_u32_e32 v78, s31, v45
	v_add_co_ci_u32_e32 v76, vcc_lo, s7, v76, vcc_lo
	v_add_co_u32 v45, vcc_lo, s6, v84
	v_add_co_ci_u32_e32 v46, vcc_lo, s7, v85, vcc_lo
	s_delay_alu instid0(VALU_DEP_4) | instskip(SKIP_3) | instid1(VALU_DEP_3)
	v_lshlrev_b64 v[84:85], 1, v[78:79]
	v_add_nc_u32_e32 v78, s31, v47
	v_add_co_u32 v47, vcc_lo, s6, v86
	v_add_co_ci_u32_e32 v48, vcc_lo, s7, v87, vcc_lo
	v_lshlrev_b64 v[86:87], 1, v[78:79]
	v_add_nc_u32_e32 v78, s31, v49
	v_add_co_u32 v84, vcc_lo, s6, v84
	v_add_co_ci_u32_e32 v85, vcc_lo, s7, v85, vcc_lo
	s_delay_alu instid0(VALU_DEP_3) | instskip(SKIP_2) | instid1(VALU_DEP_3)
	v_lshlrev_b64 v[88:89], 1, v[78:79]
	v_add_co_u32 v86, vcc_lo, s6, v86
	v_add_co_ci_u32_e32 v87, vcc_lo, s7, v87, vcc_lo
	v_add_co_u32 v88, vcc_lo, s6, v88
	s_delay_alu instid0(VALU_DEP_4)
	v_add_co_ci_u32_e32 v89, vcc_lo, s7, v89, vcc_lo
	s_clause 0xb
	global_load_u16 v61, v[67:68], off
	global_load_u16 v59, v[50:51], off
	;; [unrolled: 1-line block ×12, first 2 shown]
.LBB156_63:                             ;   in Loop: Header=BB156_13 Depth=1
	v_cmp_ne_u32_e32 vcc_lo, 0, v1
	s_and_saveexec_b32 s2, vcc_lo
	s_cbranch_execnz .LBB156_89
; %bb.64:                               ;   in Loop: Header=BB156_13 Depth=1
	s_or_b32 exec_lo, exec_lo, s2
	v_cmp_ne_u32_e64 s1, 0, v2
	s_delay_alu instid0(VALU_DEP_1)
	s_and_saveexec_b32 s3, s1
	s_cbranch_execnz .LBB156_90
.LBB156_65:                             ;   in Loop: Header=BB156_13 Depth=1
	s_or_b32 exec_lo, exec_lo, s3
	v_cmp_ne_u32_e64 s2, 0, v3
	s_delay_alu instid0(VALU_DEP_1)
	s_and_saveexec_b32 s4, s2
	s_cbranch_execnz .LBB156_91
.LBB156_66:                             ;   in Loop: Header=BB156_13 Depth=1
	s_or_b32 exec_lo, exec_lo, s4
	v_cmp_ne_u32_e64 s3, 0, v4
	s_delay_alu instid0(VALU_DEP_1)
	s_and_saveexec_b32 s34, s3
	s_cbranch_execnz .LBB156_92
.LBB156_67:                             ;   in Loop: Header=BB156_13 Depth=1
	s_or_b32 exec_lo, exec_lo, s34
	v_add_nc_u32_e32 v78, s11, v77
	s_and_saveexec_b32 s34, vcc_lo
	s_cbranch_execnz .LBB156_93
.LBB156_68:                             ;   in Loop: Header=BB156_13 Depth=1
	s_or_b32 exec_lo, exec_lo, s34
	s_and_saveexec_b32 s34, s1
	s_cbranch_execnz .LBB156_94
.LBB156_69:                             ;   in Loop: Header=BB156_13 Depth=1
	s_or_b32 exec_lo, exec_lo, s34
	s_and_saveexec_b32 s34, s2
	s_cbranch_execnz .LBB156_95
.LBB156_70:                             ;   in Loop: Header=BB156_13 Depth=1
	s_or_b32 exec_lo, exec_lo, s34
	s_and_saveexec_b32 s34, s3
	s_cbranch_execnz .LBB156_96
.LBB156_71:                             ;   in Loop: Header=BB156_13 Depth=1
	s_or_b32 exec_lo, exec_lo, s34
	v_add_nc_u32_e32 v78, s11, v78
	s_and_saveexec_b32 s34, vcc_lo
	s_cbranch_execnz .LBB156_97
.LBB156_72:                             ;   in Loop: Header=BB156_13 Depth=1
	s_or_b32 exec_lo, exec_lo, s34
	s_and_saveexec_b32 s34, s1
	s_cbranch_execnz .LBB156_98
.LBB156_73:                             ;   in Loop: Header=BB156_13 Depth=1
	s_or_b32 exec_lo, exec_lo, s34
	s_and_saveexec_b32 s34, s2
	s_cbranch_execnz .LBB156_99
.LBB156_74:                             ;   in Loop: Header=BB156_13 Depth=1
	s_or_b32 exec_lo, exec_lo, s34
	s_and_saveexec_b32 s34, s3
	s_cbranch_execnz .LBB156_100
.LBB156_75:                             ;   in Loop: Header=BB156_13 Depth=1
	s_or_b32 exec_lo, exec_lo, s34
	v_add_nc_u32_e32 v78, s11, v78
	s_and_saveexec_b32 s34, vcc_lo
	s_cbranch_execnz .LBB156_101
.LBB156_76:                             ;   in Loop: Header=BB156_13 Depth=1
	s_or_b32 exec_lo, exec_lo, s34
	s_and_saveexec_b32 s34, s1
	s_cbranch_execnz .LBB156_102
.LBB156_77:                             ;   in Loop: Header=BB156_13 Depth=1
	s_or_b32 exec_lo, exec_lo, s34
	s_and_saveexec_b32 s34, s2
	s_cbranch_execnz .LBB156_103
.LBB156_78:                             ;   in Loop: Header=BB156_13 Depth=1
	s_or_b32 exec_lo, exec_lo, s34
	s_and_saveexec_b32 s34, s3
	s_cbranch_execnz .LBB156_104
.LBB156_79:                             ;   in Loop: Header=BB156_13 Depth=1
	s_or_b32 exec_lo, exec_lo, s34
	v_add_nc_u32_e32 v78, s11, v78
	s_and_saveexec_b32 s4, vcc_lo
	s_cbranch_execnz .LBB156_105
.LBB156_80:                             ;   in Loop: Header=BB156_13 Depth=1
	s_or_b32 exec_lo, exec_lo, s4
	s_and_saveexec_b32 s4, s1
	s_cbranch_execnz .LBB156_106
.LBB156_81:                             ;   in Loop: Header=BB156_13 Depth=1
	s_or_b32 exec_lo, exec_lo, s4
	s_and_saveexec_b32 s1, s2
	s_cbranch_execnz .LBB156_107
.LBB156_82:                             ;   in Loop: Header=BB156_13 Depth=1
	s_or_b32 exec_lo, exec_lo, s1
	s_delay_alu instid0(SALU_CYCLE_1)
	s_and_b32 exec_lo, exec_lo, s3
	s_cbranch_execz .LBB156_84
.LBB156_83:                             ;   in Loop: Header=BB156_13 Depth=1
	s_waitcnt lgkmcnt(0)
	v_dual_add_f32 v5, v5, v9 :: v_dual_add_nc_u32 v78, 3, v78
	s_waitcnt vmcnt(0)
	v_cvt_f32_f16_e32 v6, v45
	s_delay_alu instid0(VALU_DEP_1) | instskip(NEXT) | instid1(VALU_DEP_3)
	v_add_f32_e32 v7, v5, v6
	v_lshlrev_b64 v[5:6], 1, v[78:79]
	s_delay_alu instid0(VALU_DEP_2) | instskip(NEXT) | instid1(VALU_DEP_2)
	v_cvt_f16_f32_e32 v7, v7
	v_add_co_u32 v5, vcc_lo, s18, v5
	s_delay_alu instid0(VALU_DEP_3)
	v_add_co_ci_u32_e32 v6, vcc_lo, s19, v6, vcc_lo
	global_store_b16 v[5:6], v7, off
.LBB156_84:                             ;   in Loop: Header=BB156_13 Depth=1
	s_or_b32 exec_lo, exec_lo, s5
	v_add_nc_u32_e32 v77, s17, v77
	s_delay_alu instid0(VALU_DEP_1) | instskip(SKIP_1) | instid1(VALU_DEP_2)
	v_add_nc_u32_e32 v5, 4, v77
	v_cmp_gt_u32_e32 vcc_lo, s11, v77
	v_cmp_le_u32_e64 s1, s11, v5
	s_delay_alu instid0(VALU_DEP_1) | instskip(NEXT) | instid1(SALU_CYCLE_1)
	s_and_b32 s1, vcc_lo, s1
	s_and_saveexec_b32 s34, s1
	s_cbranch_execz .LBB156_12
; %bb.85:                               ;   in Loop: Header=BB156_13 Depth=1
	s_mov_b32 s35, exec_lo
	v_cmpx_ne_u32_e64 s24, v77
	s_cbranch_execz .LBB156_11
; %bb.86:                               ;   in Loop: Header=BB156_13 Depth=1
	v_subrev_nc_u32_e32 v5, s24, v77
	s_mov_b32 s36, 0
	s_mov_b64 s[4:5], 0
	s_delay_alu instid0(VALU_DEP_1)
	v_cmp_lt_u32_e32 vcc_lo, 1, v5
	v_cndmask_b32_e32 v5, 1, v5, vcc_lo
	.p2align	6
.LBB156_87:                             ;   Parent Loop BB156_13 Depth=1
                                        ; =>  This Inner Loop Header: Depth=2
	s_cmp_lg_u32 s4, 3
	s_cselect_b32 vcc_lo, -1, 0
	s_cmp_lg_u32 s4, 2
	v_cndmask_b32_e32 v4, 0, v4, vcc_lo
	s_cselect_b32 s1, -1, 0
	s_cmp_lg_u32 s4, 1
	v_cndmask_b32_e64 v3, 0, v3, s1
	s_cselect_b32 s2, -1, 0
	s_cmp_lg_u32 s4, 0
	v_cndmask_b32_e64 v2, 0, v2, s2
	s_cselect_b32 s3, -1, 0
	s_add_u32 s4, s4, 1
	v_cndmask_b32_e64 v1, 0, v1, s3
	v_cmp_eq_u32_e32 vcc_lo, s4, v5
	s_addc_u32 s5, s5, 0
	s_or_b32 s36, vcc_lo, s36
	s_delay_alu instid0(SALU_CYCLE_1)
	s_and_not1_b32 exec_lo, exec_lo, s36
	s_cbranch_execnz .LBB156_87
; %bb.88:                               ;   in Loop: Header=BB156_13 Depth=1
	s_or_b32 exec_lo, exec_lo, s36
	s_branch .LBB156_11
.LBB156_89:                             ;   in Loop: Header=BB156_13 Depth=1
	v_mov_b32_e32 v78, v79
	s_waitcnt lgkmcnt(0)
	v_add_f32_e32 v39, v39, v43
	s_waitcnt vmcnt(19)
	v_cvt_f32_f16_e32 v43, v64
	v_lshlrev_b64 v[64:65], 1, v[77:78]
	s_delay_alu instid0(VALU_DEP_2) | instskip(NEXT) | instid1(VALU_DEP_2)
	v_add_f32_e32 v39, v39, v43
	v_add_co_u32 v64, s1, s18, v64
	s_delay_alu instid0(VALU_DEP_2) | instskip(NEXT) | instid1(VALU_DEP_4)
	v_cvt_f16_f32_e32 v39, v39
	v_add_co_ci_u32_e64 v65, s1, s19, v65, s1
	global_store_b16 v[64:65], v39, off
	s_or_b32 exec_lo, exec_lo, s2
	v_cmp_ne_u32_e64 s1, 0, v2
	s_delay_alu instid0(VALU_DEP_1)
	s_and_saveexec_b32 s3, s1
	s_cbranch_execz .LBB156_65
.LBB156_90:                             ;   in Loop: Header=BB156_13 Depth=1
	v_mov_b32_e32 v84, v79
	s_waitcnt lgkmcnt(0)
	v_add_f32_e32 v31, v31, v35
	s_waitcnt vmcnt(18)
	v_cvt_f32_f16_e32 v35, v63
	v_lshlrev_b64 v[63:64], 1, v[83:84]
	s_delay_alu instid0(VALU_DEP_2) | instskip(NEXT) | instid1(VALU_DEP_2)
	v_add_f32_e32 v31, v31, v35
	v_add_co_u32 v63, s2, s18, v63
	s_delay_alu instid0(VALU_DEP_2) | instskip(NEXT) | instid1(VALU_DEP_4)
	v_cvt_f16_f32_e32 v31, v31
	v_add_co_ci_u32_e64 v64, s2, s19, v64, s2
	global_store_b16 v[63:64], v31, off
	s_or_b32 exec_lo, exec_lo, s3
	v_cmp_ne_u32_e64 s2, 0, v3
	s_delay_alu instid0(VALU_DEP_1)
	s_and_saveexec_b32 s4, s2
	s_cbranch_execz .LBB156_66
.LBB156_91:                             ;   in Loop: Header=BB156_13 Depth=1
	v_mov_b32_e32 v83, v79
	s_waitcnt lgkmcnt(0)
	v_add_f32_e32 v23, v23, v27
	s_waitcnt vmcnt(17)
	v_cvt_f32_f16_e32 v27, v62
	v_lshlrev_b64 v[62:63], 1, v[82:83]
	s_delay_alu instid0(VALU_DEP_2) | instskip(NEXT) | instid1(VALU_DEP_2)
	v_add_f32_e32 v23, v23, v27
	v_add_co_u32 v62, s3, s18, v62
	s_delay_alu instid0(VALU_DEP_2) | instskip(NEXT) | instid1(VALU_DEP_4)
	v_cvt_f16_f32_e32 v23, v23
	v_add_co_ci_u32_e64 v63, s3, s19, v63, s3
	global_store_b16 v[62:63], v23, off
	s_or_b32 exec_lo, exec_lo, s4
	v_cmp_ne_u32_e64 s3, 0, v4
	s_delay_alu instid0(VALU_DEP_1)
	s_and_saveexec_b32 s34, s3
	s_cbranch_execz .LBB156_67
.LBB156_92:                             ;   in Loop: Header=BB156_13 Depth=1
	v_mov_b32_e32 v82, v79
	s_waitcnt lgkmcnt(0)
	v_add_f32_e32 v15, v15, v19
	s_waitcnt vmcnt(16)
	v_cvt_f32_f16_e32 v19, v60
	v_lshlrev_b64 v[62:63], 1, v[81:82]
	s_delay_alu instid0(VALU_DEP_2) | instskip(NEXT) | instid1(VALU_DEP_2)
	v_add_f32_e32 v15, v15, v19
	v_add_co_u32 v62, s4, s18, v62
	s_delay_alu instid0(VALU_DEP_2) | instskip(NEXT) | instid1(VALU_DEP_4)
	v_cvt_f16_f32_e32 v15, v15
	v_add_co_ci_u32_e64 v63, s4, s19, v63, s4
	global_store_b16 v[62:63], v15, off
	s_or_b32 exec_lo, exec_lo, s34
	v_add_nc_u32_e32 v78, s11, v77
	s_and_saveexec_b32 s34, vcc_lo
	s_cbranch_execz .LBB156_68
.LBB156_93:                             ;   in Loop: Header=BB156_13 Depth=1
	s_waitcnt lgkmcnt(0)
	v_add_f32_e32 v6, v6, v10
	s_waitcnt vmcnt(15)
	v_cvt_f32_f16_e32 v10, v58
	v_lshlrev_b64 v[62:63], 1, v[78:79]
	s_delay_alu instid0(VALU_DEP_2) | instskip(NEXT) | instid1(VALU_DEP_2)
	v_add_f32_e32 v6, v6, v10
	v_add_co_u32 v62, s4, s18, v62
	s_delay_alu instid0(VALU_DEP_1) | instskip(NEXT) | instid1(VALU_DEP_3)
	v_add_co_ci_u32_e64 v63, s4, s19, v63, s4
	v_cvt_f16_f32_e32 v6, v6
	global_store_b16 v[62:63], v6, off
	s_or_b32 exec_lo, exec_lo, s34
	s_and_saveexec_b32 s34, s1
	s_cbranch_execz .LBB156_69
.LBB156_94:                             ;   in Loop: Header=BB156_13 Depth=1
	s_waitcnt lgkmcnt(0)
	v_dual_add_f32 v6, v40, v44 :: v_dual_add_nc_u32 v39, 1, v78
	v_mov_b32_e32 v40, v79
	s_waitcnt vmcnt(14)
	v_cvt_f32_f16_e32 v10, v56
	s_delay_alu instid0(VALU_DEP_2) | instskip(NEXT) | instid1(VALU_DEP_2)
	v_lshlrev_b64 v[39:40], 1, v[39:40]
	v_add_f32_e32 v6, v6, v10
	s_delay_alu instid0(VALU_DEP_1) | instskip(NEXT) | instid1(VALU_DEP_3)
	v_cvt_f16_f32_e32 v6, v6
	v_add_co_u32 v39, s4, s18, v39
	s_delay_alu instid0(VALU_DEP_1)
	v_add_co_ci_u32_e64 v40, s4, s19, v40, s4
	global_store_b16 v[39:40], v6, off
	s_or_b32 exec_lo, exec_lo, s34
	s_and_saveexec_b32 s34, s2
	s_cbranch_execz .LBB156_70
.LBB156_95:                             ;   in Loop: Header=BB156_13 Depth=1
	s_waitcnt lgkmcnt(0)
	v_dual_add_f32 v6, v32, v36 :: v_dual_add_nc_u32 v31, 2, v78
	v_mov_b32_e32 v32, v79
	s_waitcnt vmcnt(13)
	v_cvt_f32_f16_e32 v10, v54
	s_delay_alu instid0(VALU_DEP_2) | instskip(NEXT) | instid1(VALU_DEP_2)
	v_lshlrev_b64 v[31:32], 1, v[31:32]
	v_add_f32_e32 v6, v6, v10
	s_delay_alu instid0(VALU_DEP_1) | instskip(NEXT) | instid1(VALU_DEP_3)
	v_cvt_f16_f32_e32 v6, v6
	v_add_co_u32 v31, s4, s18, v31
	s_delay_alu instid0(VALU_DEP_1)
	v_add_co_ci_u32_e64 v32, s4, s19, v32, s4
	global_store_b16 v[31:32], v6, off
	s_or_b32 exec_lo, exec_lo, s34
	s_and_saveexec_b32 s34, s3
	s_cbranch_execz .LBB156_71
.LBB156_96:                             ;   in Loop: Header=BB156_13 Depth=1
	s_waitcnt lgkmcnt(0)
	v_dual_add_f32 v6, v24, v28 :: v_dual_add_nc_u32 v23, 3, v78
	v_mov_b32_e32 v24, v79
	s_waitcnt vmcnt(12)
	v_cvt_f32_f16_e32 v10, v52
	s_delay_alu instid0(VALU_DEP_2) | instskip(NEXT) | instid1(VALU_DEP_2)
	v_lshlrev_b64 v[23:24], 1, v[23:24]
	v_add_f32_e32 v6, v6, v10
	s_delay_alu instid0(VALU_DEP_1) | instskip(NEXT) | instid1(VALU_DEP_3)
	v_cvt_f16_f32_e32 v6, v6
	v_add_co_u32 v23, s4, s18, v23
	s_delay_alu instid0(VALU_DEP_1)
	v_add_co_ci_u32_e64 v24, s4, s19, v24, s4
	global_store_b16 v[23:24], v6, off
	s_or_b32 exec_lo, exec_lo, s34
	v_add_nc_u32_e32 v78, s11, v78
	s_and_saveexec_b32 s34, vcc_lo
	s_cbranch_execz .LBB156_72
.LBB156_97:                             ;   in Loop: Header=BB156_13 Depth=1
	s_waitcnt lgkmcnt(0)
	v_add_f32_e32 v6, v13, v17
	s_waitcnt vmcnt(11)
	v_cvt_f32_f16_e32 v10, v61
	v_lshlrev_b64 v[23:24], 1, v[78:79]
	s_delay_alu instid0(VALU_DEP_2) | instskip(NEXT) | instid1(VALU_DEP_2)
	v_add_f32_e32 v6, v6, v10
	v_add_co_u32 v23, s4, s18, v23
	s_delay_alu instid0(VALU_DEP_1) | instskip(NEXT) | instid1(VALU_DEP_3)
	v_add_co_ci_u32_e64 v24, s4, s19, v24, s4
	v_cvt_f16_f32_e32 v6, v6
	global_store_b16 v[23:24], v6, off
	s_or_b32 exec_lo, exec_lo, s34
	s_and_saveexec_b32 s34, s1
	s_cbranch_execz .LBB156_73
.LBB156_98:                             ;   in Loop: Header=BB156_13 Depth=1
	s_waitcnt lgkmcnt(0)
	v_dual_add_f32 v6, v8, v12 :: v_dual_mov_b32 v13, v79
	v_add_nc_u32_e32 v12, 1, v78
	s_waitcnt vmcnt(10)
	v_cvt_f32_f16_e32 v8, v59
	s_delay_alu instid0(VALU_DEP_2) | instskip(NEXT) | instid1(VALU_DEP_2)
	v_lshlrev_b64 v[12:13], 1, v[12:13]
	v_add_f32_e32 v6, v6, v8
	s_delay_alu instid0(VALU_DEP_1) | instskip(NEXT) | instid1(VALU_DEP_3)
	v_cvt_f16_f32_e32 v6, v6
	v_add_co_u32 v12, s4, s18, v12
	s_delay_alu instid0(VALU_DEP_1)
	v_add_co_ci_u32_e64 v13, s4, s19, v13, s4
	global_store_b16 v[12:13], v6, off
	s_or_b32 exec_lo, exec_lo, s34
	s_and_saveexec_b32 s34, s2
	s_cbranch_execz .LBB156_74
.LBB156_99:                             ;   in Loop: Header=BB156_13 Depth=1
	s_waitcnt lgkmcnt(0)
	v_dual_add_f32 v6, v38, v42 :: v_dual_mov_b32 v13, v79
	v_add_nc_u32_e32 v12, 2, v78
	s_waitcnt vmcnt(9)
	v_cvt_f32_f16_e32 v8, v57
	s_delay_alu instid0(VALU_DEP_2) | instskip(NEXT) | instid1(VALU_DEP_2)
	v_lshlrev_b64 v[12:13], 1, v[12:13]
	v_add_f32_e32 v6, v6, v8
	s_delay_alu instid0(VALU_DEP_1) | instskip(NEXT) | instid1(VALU_DEP_3)
	v_cvt_f16_f32_e32 v6, v6
	v_add_co_u32 v12, s4, s18, v12
	s_delay_alu instid0(VALU_DEP_1)
	v_add_co_ci_u32_e64 v13, s4, s19, v13, s4
	global_store_b16 v[12:13], v6, off
	s_or_b32 exec_lo, exec_lo, s34
	s_and_saveexec_b32 s34, s3
	s_cbranch_execz .LBB156_75
.LBB156_100:                            ;   in Loop: Header=BB156_13 Depth=1
	s_waitcnt lgkmcnt(0)
	v_dual_add_f32 v6, v30, v34 :: v_dual_mov_b32 v13, v79
	v_add_nc_u32_e32 v12, 3, v78
	s_waitcnt vmcnt(8)
	v_cvt_f32_f16_e32 v8, v55
	s_delay_alu instid0(VALU_DEP_2) | instskip(NEXT) | instid1(VALU_DEP_2)
	v_lshlrev_b64 v[12:13], 1, v[12:13]
	v_add_f32_e32 v6, v6, v8
	s_delay_alu instid0(VALU_DEP_1) | instskip(NEXT) | instid1(VALU_DEP_3)
	v_cvt_f16_f32_e32 v6, v6
	v_add_co_u32 v12, s4, s18, v12
	s_delay_alu instid0(VALU_DEP_1)
	v_add_co_ci_u32_e64 v13, s4, s19, v13, s4
	global_store_b16 v[12:13], v6, off
	s_or_b32 exec_lo, exec_lo, s34
	v_add_nc_u32_e32 v78, s11, v78
	s_and_saveexec_b32 s34, vcc_lo
	s_cbranch_execz .LBB156_76
.LBB156_101:                            ;   in Loop: Header=BB156_13 Depth=1
	s_waitcnt lgkmcnt(0)
	v_add_f32_e32 v6, v21, v25
	s_waitcnt vmcnt(7)
	v_cvt_f32_f16_e32 v8, v53
	v_lshlrev_b64 v[12:13], 1, v[78:79]
	s_delay_alu instid0(VALU_DEP_2) | instskip(NEXT) | instid1(VALU_DEP_2)
	v_add_f32_e32 v6, v6, v8
	v_add_co_u32 v12, s4, s18, v12
	s_delay_alu instid0(VALU_DEP_1) | instskip(NEXT) | instid1(VALU_DEP_3)
	v_add_co_ci_u32_e64 v13, s4, s19, v13, s4
	v_cvt_f16_f32_e32 v6, v6
	global_store_b16 v[12:13], v6, off
	s_or_b32 exec_lo, exec_lo, s34
	s_and_saveexec_b32 s34, s1
	s_cbranch_execz .LBB156_77
.LBB156_102:                            ;   in Loop: Header=BB156_13 Depth=1
	s_waitcnt lgkmcnt(0)
	v_dual_add_f32 v6, v16, v20 :: v_dual_mov_b32 v13, v79
	v_add_nc_u32_e32 v12, 1, v78
	s_waitcnt vmcnt(6)
	v_cvt_f32_f16_e32 v8, v51
	s_delay_alu instid0(VALU_DEP_2) | instskip(NEXT) | instid1(VALU_DEP_2)
	v_lshlrev_b64 v[12:13], 1, v[12:13]
	v_add_f32_e32 v6, v6, v8
	s_delay_alu instid0(VALU_DEP_1) | instskip(NEXT) | instid1(VALU_DEP_3)
	v_cvt_f16_f32_e32 v6, v6
	v_add_co_u32 v12, s4, s18, v12
	s_delay_alu instid0(VALU_DEP_1)
	v_add_co_ci_u32_e64 v13, s4, s19, v13, s4
	global_store_b16 v[12:13], v6, off
	s_or_b32 exec_lo, exec_lo, s34
	s_and_saveexec_b32 s34, s2
	s_cbranch_execz .LBB156_78
.LBB156_103:                            ;   in Loop: Header=BB156_13 Depth=1
	s_waitcnt lgkmcnt(0)
	v_add_f32_e32 v8, v7, v11
	v_dual_mov_b32 v7, v79 :: v_dual_add_nc_u32 v6, 2, v78
	s_waitcnt vmcnt(5)
	v_cvt_f32_f16_e32 v10, v50
	s_delay_alu instid0(VALU_DEP_2) | instskip(NEXT) | instid1(VALU_DEP_2)
	v_lshlrev_b64 v[6:7], 1, v[6:7]
	v_add_f32_e32 v8, v8, v10
	s_delay_alu instid0(VALU_DEP_1) | instskip(NEXT) | instid1(VALU_DEP_3)
	v_cvt_f16_f32_e32 v8, v8
	v_add_co_u32 v6, s4, s18, v6
	s_delay_alu instid0(VALU_DEP_1)
	v_add_co_ci_u32_e64 v7, s4, s19, v7, s4
	global_store_b16 v[6:7], v8, off
	s_or_b32 exec_lo, exec_lo, s34
	s_and_saveexec_b32 s34, s3
	s_cbranch_execz .LBB156_79
.LBB156_104:                            ;   in Loop: Header=BB156_13 Depth=1
	s_waitcnt lgkmcnt(0)
	v_dual_add_f32 v8, v37, v41 :: v_dual_mov_b32 v7, v79
	v_add_nc_u32_e32 v6, 3, v78
	s_waitcnt vmcnt(4)
	v_cvt_f32_f16_e32 v10, v49
	s_delay_alu instid0(VALU_DEP_2) | instskip(NEXT) | instid1(VALU_DEP_2)
	v_lshlrev_b64 v[6:7], 1, v[6:7]
	v_add_f32_e32 v8, v8, v10
	s_delay_alu instid0(VALU_DEP_1) | instskip(NEXT) | instid1(VALU_DEP_3)
	v_cvt_f16_f32_e32 v8, v8
	v_add_co_u32 v6, s4, s18, v6
	s_delay_alu instid0(VALU_DEP_1)
	v_add_co_ci_u32_e64 v7, s4, s19, v7, s4
	global_store_b16 v[6:7], v8, off
	s_or_b32 exec_lo, exec_lo, s34
	v_add_nc_u32_e32 v78, s11, v78
	s_and_saveexec_b32 s4, vcc_lo
	s_cbranch_execz .LBB156_80
.LBB156_105:                            ;   in Loop: Header=BB156_13 Depth=1
	s_waitcnt lgkmcnt(0)
	v_add_f32_e32 v6, v29, v33
	s_waitcnt vmcnt(3)
	v_cvt_f32_f16_e32 v7, v48
	s_delay_alu instid0(VALU_DEP_1) | instskip(SKIP_1) | instid1(VALU_DEP_2)
	v_add_f32_e32 v8, v6, v7
	v_lshlrev_b64 v[6:7], 1, v[78:79]
	v_cvt_f16_f32_e32 v8, v8
	s_delay_alu instid0(VALU_DEP_2) | instskip(NEXT) | instid1(VALU_DEP_3)
	v_add_co_u32 v6, vcc_lo, s18, v6
	v_add_co_ci_u32_e32 v7, vcc_lo, s19, v7, vcc_lo
	global_store_b16 v[6:7], v8, off
	s_or_b32 exec_lo, exec_lo, s4
	s_and_saveexec_b32 s4, s1
	s_cbranch_execz .LBB156_81
.LBB156_106:                            ;   in Loop: Header=BB156_13 Depth=1
	s_waitcnt lgkmcnt(0)
	v_dual_add_f32 v8, v22, v26 :: v_dual_mov_b32 v7, v79
	v_add_nc_u32_e32 v6, 1, v78
	s_waitcnt vmcnt(2)
	v_cvt_f32_f16_e32 v10, v47
	s_delay_alu instid0(VALU_DEP_2) | instskip(NEXT) | instid1(VALU_DEP_2)
	v_lshlrev_b64 v[6:7], 1, v[6:7]
	v_add_f32_e32 v8, v8, v10
	s_delay_alu instid0(VALU_DEP_1) | instskip(NEXT) | instid1(VALU_DEP_3)
	v_cvt_f16_f32_e32 v8, v8
	v_add_co_u32 v6, vcc_lo, s18, v6
	s_delay_alu instid0(VALU_DEP_4)
	v_add_co_ci_u32_e32 v7, vcc_lo, s19, v7, vcc_lo
	global_store_b16 v[6:7], v8, off
	s_or_b32 exec_lo, exec_lo, s4
	s_and_saveexec_b32 s1, s2
	s_cbranch_execz .LBB156_82
.LBB156_107:                            ;   in Loop: Header=BB156_13 Depth=1
	s_waitcnt lgkmcnt(0)
	v_dual_add_f32 v8, v14, v18 :: v_dual_mov_b32 v7, v79
	v_add_nc_u32_e32 v6, 2, v78
	s_waitcnt vmcnt(1)
	v_cvt_f32_f16_e32 v10, v46
	s_delay_alu instid0(VALU_DEP_2) | instskip(NEXT) | instid1(VALU_DEP_2)
	v_lshlrev_b64 v[6:7], 1, v[6:7]
	v_add_f32_e32 v8, v8, v10
	s_delay_alu instid0(VALU_DEP_1) | instskip(NEXT) | instid1(VALU_DEP_3)
	v_cvt_f16_f32_e32 v8, v8
	v_add_co_u32 v6, vcc_lo, s18, v6
	s_delay_alu instid0(VALU_DEP_4) | instskip(SKIP_2) | instid1(SALU_CYCLE_1)
	v_add_co_ci_u32_e32 v7, vcc_lo, s19, v7, vcc_lo
	global_store_b16 v[6:7], v8, off
	s_or_b32 exec_lo, exec_lo, s1
	s_and_b32 exec_lo, exec_lo, s3
	s_cbranch_execnz .LBB156_83
	s_branch .LBB156_84
.LBB156_108:
	s_nop 0
	s_sendmsg sendmsg(MSG_DEALLOC_VGPRS)
	s_endpgm
	.section	.rodata,"a",@progbits
	.p2align	6, 0x0
	.amdhsa_kernel _Z12wvSplitK_hf_I6__halfLi64ELi4ELi16ELi8ELi2ELi5EEviiiiiiPKT_S3_S3_PS1_ii
		.amdhsa_group_segment_fixed_size 65536
		.amdhsa_private_segment_fixed_size 0
		.amdhsa_kernarg_size 64
		.amdhsa_user_sgpr_count 15
		.amdhsa_user_sgpr_dispatch_ptr 0
		.amdhsa_user_sgpr_queue_ptr 0
		.amdhsa_user_sgpr_kernarg_segment_ptr 1
		.amdhsa_user_sgpr_dispatch_id 0
		.amdhsa_user_sgpr_private_segment_size 0
		.amdhsa_wavefront_size32 1
		.amdhsa_uses_dynamic_stack 0
		.amdhsa_enable_private_segment 0
		.amdhsa_system_sgpr_workgroup_id_x 1
		.amdhsa_system_sgpr_workgroup_id_y 0
		.amdhsa_system_sgpr_workgroup_id_z 0
		.amdhsa_system_sgpr_workgroup_info 0
		.amdhsa_system_vgpr_workitem_id 1
		.amdhsa_next_free_vgpr 127
		.amdhsa_next_free_sgpr 37
		.amdhsa_reserve_vcc 1
		.amdhsa_float_round_mode_32 0
		.amdhsa_float_round_mode_16_64 0
		.amdhsa_float_denorm_mode_32 3
		.amdhsa_float_denorm_mode_16_64 3
		.amdhsa_dx10_clamp 1
		.amdhsa_ieee_mode 1
		.amdhsa_fp16_overflow 0
		.amdhsa_workgroup_processor_mode 1
		.amdhsa_memory_ordered 1
		.amdhsa_forward_progress 0
		.amdhsa_shared_vgpr_count 0
		.amdhsa_exception_fp_ieee_invalid_op 0
		.amdhsa_exception_fp_denorm_src 0
		.amdhsa_exception_fp_ieee_div_zero 0
		.amdhsa_exception_fp_ieee_overflow 0
		.amdhsa_exception_fp_ieee_underflow 0
		.amdhsa_exception_fp_ieee_inexact 0
		.amdhsa_exception_int_div_zero 0
	.end_amdhsa_kernel
	.section	.text._Z12wvSplitK_hf_I6__halfLi64ELi4ELi16ELi8ELi2ELi5EEviiiiiiPKT_S3_S3_PS1_ii,"axG",@progbits,_Z12wvSplitK_hf_I6__halfLi64ELi4ELi16ELi8ELi2ELi5EEviiiiiiPKT_S3_S3_PS1_ii,comdat
.Lfunc_end156:
	.size	_Z12wvSplitK_hf_I6__halfLi64ELi4ELi16ELi8ELi2ELi5EEviiiiiiPKT_S3_S3_PS1_ii, .Lfunc_end156-_Z12wvSplitK_hf_I6__halfLi64ELi4ELi16ELi8ELi2ELi5EEviiiiiiPKT_S3_S3_PS1_ii
                                        ; -- End function
	.section	.AMDGPU.csdata,"",@progbits
; Kernel info:
; codeLenInByte = 10852
; NumSgprs: 39
; NumVgprs: 127
; ScratchSize: 0
; MemoryBound: 0
; FloatMode: 240
; IeeeMode: 1
; LDSByteSize: 65536 bytes/workgroup (compile time only)
; SGPRBlocks: 4
; VGPRBlocks: 15
; NumSGPRsForWavesPerEU: 39
; NumVGPRsForWavesPerEU: 127
; Occupancy: 10
; WaveLimiterHint : 0
; COMPUTE_PGM_RSRC2:SCRATCH_EN: 0
; COMPUTE_PGM_RSRC2:USER_SGPR: 15
; COMPUTE_PGM_RSRC2:TRAP_HANDLER: 0
; COMPUTE_PGM_RSRC2:TGID_X_EN: 1
; COMPUTE_PGM_RSRC2:TGID_Y_EN: 0
; COMPUTE_PGM_RSRC2:TGID_Z_EN: 0
; COMPUTE_PGM_RSRC2:TIDIG_COMP_CNT: 1
	.section	.text._Z16wvSplitK_hf_big_I6__halfLi64ELi4ELi16ELi8ELi2ELi5EEviiiiiiPKT_S3_S3_PS1_ii,"axG",@progbits,_Z16wvSplitK_hf_big_I6__halfLi64ELi4ELi16ELi8ELi2ELi5EEviiiiiiPKT_S3_S3_PS1_ii,comdat
	.protected	_Z16wvSplitK_hf_big_I6__halfLi64ELi4ELi16ELi8ELi2ELi5EEviiiiiiPKT_S3_S3_PS1_ii ; -- Begin function _Z16wvSplitK_hf_big_I6__halfLi64ELi4ELi16ELi8ELi2ELi5EEviiiiiiPKT_S3_S3_PS1_ii
	.globl	_Z16wvSplitK_hf_big_I6__halfLi64ELi4ELi16ELi8ELi2ELi5EEviiiiiiPKT_S3_S3_PS1_ii
	.p2align	8
	.type	_Z16wvSplitK_hf_big_I6__halfLi64ELi4ELi16ELi8ELi2ELi5EEviiiiiiPKT_S3_S3_PS1_ii,@function
_Z16wvSplitK_hf_big_I6__halfLi64ELi4ELi16ELi8ELi2ELi5EEviiiiiiPKT_S3_S3_PS1_ii: ; @_Z16wvSplitK_hf_big_I6__halfLi64ELi4ELi16ELi8ELi2ELi5EEviiiiiiPKT_S3_S3_PS1_ii
; %bb.0:
	s_load_b64 s[20:21], s[0:1], 0x38
	v_bfe_u32 v5, v0, 10, 10
	s_mov_b32 s2, exec_lo
	s_waitcnt lgkmcnt(0)
	s_delay_alu instid0(VALU_DEP_1)
	v_cmpx_gt_u32_e64 s20, v5
	s_cbranch_execz .LBB157_80
; %bb.1:
	s_load_b128 s[16:19], s[0:1], 0x0
	s_mul_i32 s15, s15, s20
	s_mov_b32 s4, 1
	v_add_lshl_u32 v76, s15, v5, 2
	s_mov_b32 s5, s4
	s_mov_b32 s6, s4
	;; [unrolled: 1-line block ×3, first 2 shown]
	s_delay_alu instid0(VALU_DEP_1) | instskip(SKIP_2) | instid1(VALU_DEP_2)
	v_add_nc_u32_e32 v1, 4, v76
	s_waitcnt lgkmcnt(0)
	v_cmp_gt_u32_e32 vcc_lo, s19, v76
	v_cmp_le_u32_e64 s2, s19, v1
	v_dual_mov_b32 v1, s4 :: v_dual_mov_b32 v4, s7
	v_dual_mov_b32 v2, s5 :: v_dual_mov_b32 v3, s6
	s_delay_alu instid0(VALU_DEP_3) | instskip(NEXT) | instid1(SALU_CYCLE_1)
	s_and_b32 s2, vcc_lo, s2
	s_and_saveexec_b32 s8, s2
	s_cbranch_execz .LBB157_7
; %bb.2:
	v_dual_mov_b32 v1, s4 :: v_dual_mov_b32 v2, s5
	v_dual_mov_b32 v3, s6 :: v_dual_mov_b32 v4, s7
	s_add_i32 s9, s19, -4
	s_mov_b32 s10, exec_lo
	v_cmpx_ne_u32_e64 s9, v76
	s_cbranch_execz .LBB157_6
; %bb.3:
	v_subrev_nc_u32_e32 v1, s9, v76
	s_mov_b32 s11, 0
	s_mov_b64 s[2:3], 0
	s_mov_b32 s5, s4
	s_mov_b32 s6, s4
	v_cmp_lt_u32_e32 vcc_lo, 1, v1
	s_mov_b32 s7, s4
	v_cndmask_b32_e32 v6, 1, v1, vcc_lo
	.p2align	6
.LBB157_4:                              ; =>This Inner Loop Header: Depth=1
	s_cmp_lg_u32 s2, 3
	s_cselect_b32 s7, s7, 0
	s_cmp_lg_u32 s2, 2
	s_cselect_b32 s6, s6, 0
	;; [unrolled: 2-line block ×4, first 2 shown]
	s_add_u32 s2, s2, 1
	v_dual_mov_b32 v1, s4 :: v_dual_mov_b32 v2, s5
	v_cmp_eq_u32_e32 vcc_lo, s2, v6
	v_dual_mov_b32 v3, s6 :: v_dual_mov_b32 v4, s7
	s_addc_u32 s3, s3, 0
	s_or_b32 s11, vcc_lo, s11
	s_delay_alu instid0(SALU_CYCLE_1)
	s_and_not1_b32 exec_lo, exec_lo, s11
	s_cbranch_execnz .LBB157_4
; %bb.5:
	s_or_b32 exec_lo, exec_lo, s11
	v_mov_b32_e32 v76, s9
.LBB157_6:
	s_or_b32 exec_lo, exec_lo, s10
.LBB157_7:
	s_delay_alu instid0(SALU_CYCLE_1)
	s_or_b32 exec_lo, exec_lo, s8
	s_lshl_b32 s2, s20, 2
	s_abs_i32 s6, s19
	s_abs_i32 s3, s2
	s_mov_b32 s23, 0
	v_cvt_f32_u32_e32 v6, s3
	s_sub_i32 s5, 0, s3
	s_delay_alu instid0(VALU_DEP_1) | instskip(SKIP_2) | instid1(VALU_DEP_1)
	v_rcp_iflag_f32_e32 v6, v6
	s_waitcnt_depctr 0xfff
	v_mul_f32_e32 v6, 0x4f7ffffe, v6
	v_cvt_u32_f32_e32 v6, v6
	s_delay_alu instid0(VALU_DEP_1) | instskip(NEXT) | instid1(VALU_DEP_1)
	v_readfirstlane_b32 s4, v6
	s_mul_i32 s5, s5, s4
	s_delay_alu instid0(SALU_CYCLE_1) | instskip(NEXT) | instid1(SALU_CYCLE_1)
	s_mul_hi_u32 s5, s4, s5
	s_add_i32 s4, s4, s5
	s_ashr_i32 s5, s19, 31
	s_mul_hi_u32 s4, s6, s4
	s_delay_alu instid0(SALU_CYCLE_1) | instskip(NEXT) | instid1(SALU_CYCLE_1)
	s_mul_i32 s4, s4, s3
	s_sub_i32 s4, s6, s4
	s_delay_alu instid0(SALU_CYCLE_1) | instskip(SKIP_2) | instid1(SALU_CYCLE_1)
	s_sub_i32 s6, s4, s3
	s_cmp_ge_u32 s4, s3
	s_cselect_b32 s4, s6, s4
	s_sub_i32 s6, s4, s3
	s_cmp_ge_u32 s4, s3
	s_cselect_b32 s3, s6, s4
	s_add_i32 s2, s2, s19
	s_xor_b32 s3, s3, s5
	s_delay_alu instid0(SALU_CYCLE_1) | instskip(NEXT) | instid1(SALU_CYCLE_1)
	s_sub_i32 s3, s3, s5
	s_sub_i32 s2, s2, s3
	s_cmp_eq_u32 s3, 0
	s_cselect_b32 s22, s19, s2
	s_delay_alu instid0(SALU_CYCLE_1)
	v_cmp_gt_u32_e32 vcc_lo, s22, v76
	s_and_b32 exec_lo, exec_lo, vcc_lo
	s_cbranch_execz .LBB157_80
; %bb.8:
	s_load_b256 s[8:15], s[0:1], 0x10
	s_min_u32 s24, s18, 0x1800
	s_cmp_lg_u32 s16, 0
	s_mul_i32 s2, s21, s20
	s_cselect_b32 s25, -1, 0
	s_cmp_lg_u32 s18, 0
	v_and_b32_e32 v0, 0x3ff, v0
	s_cselect_b32 s21, -1, 0
	s_lshl_b32 s26, s20, 9
	s_add_i32 s27, s16, -8
	s_add_i32 s28, s19, -1
	s_lshl_b32 s29, s2, 2
	s_load_b64 s[6:7], s[0:1], 0x30
	v_dual_mov_b32 v78, 0 :: v_dual_lshlrev_b32 v7, 4, v0
	v_mbcnt_lo_u32_b32 v88, -1, 0
	v_lshlrev_b32_e32 v89, 3, v0
	s_delay_alu instid0(VALU_DEP_3)
	v_lshl_add_u32 v90, v5, 10, v7
	s_waitcnt lgkmcnt(0)
	s_cmp_lg_u64 s[14:15], 0
	s_cselect_b32 s30, -1, 0
	s_abs_i32 s2, s9
	s_add_i32 s31, s19, -4
	v_cvt_f32_u32_e32 v6, s2
	s_sub_i32 s1, 0, s2
	s_sub_i32 s3, 0, s8
	s_sub_i32 s4, 1, s2
	s_mul_i32 s9, s24, 6
	v_rcp_iflag_f32_e32 v6, v6
	s_waitcnt_depctr 0xfff
	v_mul_f32_e32 v6, 0x4f7ffffe, v6
	s_delay_alu instid0(VALU_DEP_1) | instskip(NEXT) | instid1(VALU_DEP_1)
	v_cvt_u32_f32_e32 v6, v6
	v_readfirstlane_b32 s0, v6
	v_cvt_f32_u32_e32 v6, s8
	s_delay_alu instid0(VALU_DEP_2) | instskip(NEXT) | instid1(VALU_DEP_1)
	s_mul_i32 s1, s1, s0
	v_rcp_iflag_f32_e32 v6, v6
	s_mul_hi_u32 s1, s0, s1
	s_delay_alu instid0(SALU_CYCLE_1) | instskip(SKIP_3) | instid1(SALU_CYCLE_1)
	s_add_i32 s1, s0, s1
	s_cmp_lt_u32 s2, 2
	v_cmp_eq_u32_e64 s0, 63, v0
	s_cselect_b32 s4, s4, 1
	s_sub_i32 s5, s4, s2
	s_cmp_ge_u32 s4, s2
	s_waitcnt_depctr 0xfff
	v_mul_f32_e32 v0, 0x4f7ffffe, v6
	s_cselect_b32 s33, s5, s4
	s_lshr_b32 s4, s1, 31
	s_mul_i32 s33, s33, s8
	s_mul_i32 s4, s4, s2
	v_cvt_u32_f32_e32 v6, v0
	s_sub_i32 s4, 2, s4
	v_lshl_add_u32 v0, v5, 9, v89
	s_sub_i32 s5, s4, s2
	s_cmp_ge_u32 s4, s2
	v_mul_lo_u32 v8, s3, v6
	s_cselect_b32 s3, s5, s4
	s_mul_hi_u32 s4, s1, 3
	s_sub_i32 s5, s3, s2
	s_cmp_ge_u32 s3, s2
	s_mul_i32 s4, s4, s2
	s_cselect_b32 s34, s5, s3
	s_sub_i32 s3, 3, s4
	v_mul_hi_u32 v5, v6, v8
	s_sub_i32 s4, s3, s2
	s_cmp_ge_u32 s3, s2
	v_mad_u64_u32 v[79:80], null, s18, 3, v[0:1]
	s_cselect_b32 s3, s4, s3
	v_lshl_add_u32 v91, s18, 1, v0
	s_sub_i32 s4, s3, s2
	s_cmp_ge_u32 s3, s2
	v_lshl_add_u32 v92, s18, 2, v0
	s_cselect_b32 s35, s4, s3
	s_lshr_b32 s1, s1, 30
	v_add_nc_u32_e32 v93, s18, v0
	s_mul_i32 s1, s1, s2
	v_add_nc_u32_e32 v94, v6, v5
	s_sub_i32 s1, 4, s1
	s_mul_i32 s34, s34, s8
	s_sub_i32 s3, s1, s2
	s_cmp_ge_u32 s1, s2
	s_mul_i32 s35, s35, s8
	s_cselect_b32 s1, s3, s1
	s_delay_alu instid0(SALU_CYCLE_1)
	s_sub_i32 s3, s1, s2
	s_cmp_ge_u32 s1, s2
	s_cselect_b32 s40, s3, s1
	s_add_u32 s36, s6, 2
	s_addc_u32 s37, s7, 0
	s_lshl_b32 s38, s24, 3
	s_lshl_b32 s20, s20, 10
	;; [unrolled: 1-line block ×3, first 2 shown]
	s_mul_i32 s40, s40, s8
	s_lshl_b32 s41, s24, 1
	s_branch .LBB157_12
.LBB157_9:                              ;   in Loop: Header=BB157_12 Depth=1
	s_or_b32 exec_lo, exec_lo, s44
	v_mov_b32_e32 v76, s31
.LBB157_10:                             ;   in Loop: Header=BB157_12 Depth=1
	s_or_b32 exec_lo, exec_lo, s43
.LBB157_11:                             ;   in Loop: Header=BB157_12 Depth=1
	s_delay_alu instid0(SALU_CYCLE_1) | instskip(NEXT) | instid1(VALU_DEP_1)
	s_or_b32 exec_lo, exec_lo, s42
	v_cmp_le_u32_e32 vcc_lo, s22, v76
	s_or_b32 s23, vcc_lo, s23
	s_delay_alu instid0(SALU_CYCLE_1)
	s_and_not1_b32 exec_lo, exec_lo, s23
	s_cbranch_execz .LBB157_80
.LBB157_12:                             ; =>This Loop Header: Depth=1
                                        ;     Child Loop BB157_17 Depth 2
                                        ;       Child Loop BB157_22 Depth 3
                                        ;     Child Loop BB157_59 Depth 2
	v_mov_b32_e32 v114, v78
	v_mov_b32_e32 v113, v78
	;; [unrolled: 1-line block ×20, first 2 shown]
	s_and_not1_b32 vcc_lo, exec_lo, s25
	s_mov_b32 s3, 0
	s_cbranch_vccnz .LBB157_29
; %bb.13:                               ;   in Loop: Header=BB157_12 Depth=1
	v_dual_mov_b32 v109, 0 :: v_dual_add_nc_u32 v6, 2, v76
	v_add_nc_u32_e32 v5, 1, v76
	v_add_nc_u32_e32 v7, 3, v76
	v_min_u32_e32 v8, s28, v76
	s_delay_alu instid0(VALU_DEP_4) | instskip(SKIP_2) | instid1(VALU_DEP_4)
	v_min_u32_e32 v6, s28, v6
	v_dual_mov_b32 v10, v78 :: v_dual_mov_b32 v103, 0
	v_cmp_gt_u32_e64 s1, s19, v76
	v_mul_lo_u32 v77, v8, s17
	v_mov_b32_e32 v8, v78
	v_min_u32_e32 v9, s28, v7
	v_mul_lo_u32 v7, v6, s17
	v_mov_b32_e32 v6, v78
	v_min_u32_e32 v5, s28, v5
	v_dual_mov_b32 v108, 0 :: v_dual_mov_b32 v101, 0
	v_mul_lo_u32 v9, v9, s17
	v_lshlrev_b64 v[80:81], 1, v[77:78]
	s_delay_alu instid0(VALU_DEP_4)
	v_mul_lo_u32 v5, v5, s17
	v_lshlrev_b64 v[84:85], 1, v[7:8]
	v_dual_mov_b32 v104, 0 :: v_dual_mov_b32 v99, 0
	v_dual_mov_b32 v102, 0 :: v_dual_mov_b32 v97, 0
	v_lshlrev_b64 v[86:87], 1, v[9:10]
	v_dual_mov_b32 v100, 0 :: v_dual_mov_b32 v95, 0
	v_lshlrev_b64 v[82:83], 1, v[5:6]
	v_dual_mov_b32 v98, 0 :: v_dual_mov_b32 v105, 0
	v_dual_mov_b32 v96, 0 :: v_dual_mov_b32 v107, 0
	;; [unrolled: 1-line block ×4, first 2 shown]
	v_mov_b32_e32 v112, 0
	v_mov_b32_e32 v114, 0
	s_mov_b32 s4, 0
	s_branch .LBB157_17
.LBB157_14:                             ;   in Loop: Header=BB157_17 Depth=2
	s_or_b32 exec_lo, exec_lo, s42
.LBB157_15:                             ;   in Loop: Header=BB157_17 Depth=2
	s_delay_alu instid0(SALU_CYCLE_1)
	s_or_b32 exec_lo, exec_lo, s5
	s_waitcnt vmcnt(7) lgkmcnt(4)
	;;#ASMSTART
	v_dot2_f32_f16 v114, v69, v49, v114
	;;#ASMEND
	s_waitcnt vmcnt(6)
	;;#ASMSTART
	v_dot2_f32_f16 v113, v69, v41, v113
	;;#ASMEND
	s_waitcnt vmcnt(5)
	;; [unrolled: 4-line block ×3, first 2 shown]
	;;#ASMSTART
	v_dot2_f32_f16 v111, v69, v37, v111
	;;#ASMEND
	s_waitcnt lgkmcnt(3)
	;;#ASMSTART
	v_dot2_f32_f16 v110, v65, v49, v110
	;;#ASMEND
	;;#ASMSTART
	v_dot2_f32_f16 v107, v65, v41, v107
	;;#ASMEND
	;;#ASMSTART
	v_dot2_f32_f16 v106, v65, v45, v106
	;;#ASMEND
	;;#ASMSTART
	v_dot2_f32_f16 v105, v65, v37, v105
	;;#ASMEND
	s_waitcnt lgkmcnt(2)
	;;#ASMSTART
	v_dot2_f32_f16 v108, v61, v49, v108
	;;#ASMEND
	;;#ASMSTART
	v_dot2_f32_f16 v109, v61, v41, v109
	;;#ASMEND
	;;#ASMSTART
	v_dot2_f32_f16 v104, v61, v45, v104
	;;#ASMEND
	;;#ASMSTART
	v_dot2_f32_f16 v103, v61, v37, v103
	;;#ASMEND
	s_waitcnt lgkmcnt(1)
	;;#ASMSTART
	v_dot2_f32_f16 v102, v57, v49, v102
	;;#ASMEND
	;;#ASMSTART
	v_dot2_f32_f16 v101, v57, v41, v101
	;;#ASMEND
	;;#ASMSTART
	v_dot2_f32_f16 v100, v57, v45, v100
	;;#ASMEND
	;;#ASMSTART
	v_dot2_f32_f16 v99, v57, v37, v99
	;;#ASMEND
	s_waitcnt lgkmcnt(0)
	;;#ASMSTART
	v_dot2_f32_f16 v98, v53, v49, v98
	;;#ASMEND
	;;#ASMSTART
	v_dot2_f32_f16 v97, v53, v41, v97
	;;#ASMEND
	;;#ASMSTART
	v_dot2_f32_f16 v96, v53, v45, v96
	;;#ASMEND
	;;#ASMSTART
	v_dot2_f32_f16 v95, v53, v37, v95
	;;#ASMEND
	;;#ASMSTART
	v_dot2_f32_f16 v114, v70, v50, v114
	;;#ASMEND
	;; [unrolled: 3-line block ×61, first 2 shown]
	s_waitcnt vmcnt(3)
	;;#ASMSTART
	v_dot2_f32_f16 v114, v33, v17, v114
	;;#ASMEND
	s_waitcnt vmcnt(2)
	;;#ASMSTART
	v_dot2_f32_f16 v113, v33, v13, v113
	;;#ASMEND
	;; [unrolled: 4-line block ×4, first 2 shown]
	;;#ASMSTART
	v_dot2_f32_f16 v110, v29, v17, v110
	;;#ASMEND
	;;#ASMSTART
	v_dot2_f32_f16 v107, v29, v13, v107
	;;#ASMEND
	;; [unrolled: 3-line block ×76, first 2 shown]
.LBB157_16:                             ;   in Loop: Header=BB157_17 Depth=2
	s_or_b32 exec_lo, exec_lo, s2
	s_addk_i32 s4, 0x400
	s_delay_alu instid0(SALU_CYCLE_1)
	s_cmp_ge_u32 s4, s16
	s_cbranch_scc1 .LBB157_29
.LBB157_17:                             ;   Parent Loop BB157_12 Depth=1
                                        ; =>  This Loop Header: Depth=2
                                        ;       Child Loop BB157_22 Depth 3
	s_cmp_eq_u32 s4, 0
	s_cselect_b32 s5, -1, 0
	s_add_i32 s2, s3, s24
	s_delay_alu instid0(SALU_CYCLE_1) | instskip(SKIP_1) | instid1(SALU_CYCLE_1)
	s_cmp_eq_u32 s4, s2
	s_cselect_b32 s42, -1, 0
	s_or_b32 s42, s5, s42
	s_delay_alu instid0(SALU_CYCLE_1)
	s_and_not1_b32 vcc_lo, exec_lo, s42
	s_cbranch_vccz .LBB157_19
; %bb.18:                               ;   in Loop: Header=BB157_17 Depth=2
	s_and_saveexec_b32 s2, s1
	s_cbranch_execz .LBB157_16
	s_branch .LBB157_26
.LBB157_19:                             ;   in Loop: Header=BB157_17 Depth=2
	s_and_b32 s5, s5, exec_lo
	s_cselect_b32 s3, s3, s2
	s_and_not1_b32 vcc_lo, exec_lo, s21
	s_waitcnt vmcnt(0) lgkmcnt(0)
	s_waitcnt_vscnt null, 0x0
	s_barrier
	buffer_gl0_inv
	s_cbranch_vccnz .LBB157_25
; %bb.20:                               ;   in Loop: Header=BB157_17 Depth=2
	v_dual_mov_b32 v10, v90 :: v_dual_add_nc_u32 v5, s3, v91
	v_add_nc_u32_e32 v6, s3, v79
	v_add_nc_u32_e32 v7, s3, v92
	;; [unrolled: 1-line block ×4, first 2 shown]
	s_mov_b32 s5, 0
	s_mov_b32 s42, 0
                                        ; implicit-def: $sgpr43
	s_branch .LBB157_22
.LBB157_21:                             ;   in Loop: Header=BB157_22 Depth=3
	s_or_b32 exec_lo, exec_lo, s2
	s_delay_alu instid0(SALU_CYCLE_1) | instskip(NEXT) | instid1(SALU_CYCLE_1)
	s_and_b32 s2, exec_lo, s43
	s_or_b32 s5, s2, s5
	s_delay_alu instid0(SALU_CYCLE_1)
	s_and_not1_b32 exec_lo, exec_lo, s5
	s_cbranch_execz .LBB157_24
.LBB157_22:                             ;   Parent Loop BB157_12 Depth=1
                                        ;     Parent Loop BB157_17 Depth=2
                                        ; =>    This Inner Loop Header: Depth=3
	s_delay_alu instid0(VALU_DEP_1) | instskip(SKIP_2) | instid1(VALU_DEP_2)
	v_add_nc_u32_e32 v77, s42, v9
	v_add_nc_u32_e32 v11, s42, v0
	s_or_b32 s43, s43, exec_lo
	v_cmp_gt_u32_e32 vcc_lo, s18, v77
	s_delay_alu instid0(VALU_DEP_2) | instskip(NEXT) | instid1(VALU_DEP_1)
	v_cmp_gt_u32_e64 s2, s24, v11
	s_and_b32 s44, s2, vcc_lo
	s_delay_alu instid0(SALU_CYCLE_1)
	s_and_saveexec_b32 s2, s44
	s_cbranch_execz .LBB157_21
; %bb.23:                               ;   in Loop: Header=BB157_22 Depth=3
	v_lshlrev_b64 v[11:12], 1, v[77:78]
	v_add_nc_u32_e32 v77, s42, v8
	v_add_nc_u32_e32 v31, s41, v10
	;; [unrolled: 1-line block ×3, first 2 shown]
	s_delay_alu instid0(VALU_DEP_3) | instskip(SKIP_3) | instid1(VALU_DEP_3)
	v_lshlrev_b64 v[13:14], 1, v[77:78]
	v_add_nc_u32_e32 v77, s42, v5
	v_add_co_u32 v11, vcc_lo, s12, v11
	v_add_co_ci_u32_e32 v12, vcc_lo, s13, v12, vcc_lo
	v_lshlrev_b64 v[15:16], 1, v[77:78]
	v_add_nc_u32_e32 v77, s42, v6
	v_add_co_u32 v17, vcc_lo, s12, v13
	v_add_co_ci_u32_e32 v18, vcc_lo, s13, v14, vcc_lo
	s_delay_alu instid0(VALU_DEP_3) | instskip(SKIP_3) | instid1(VALU_DEP_3)
	v_lshlrev_b64 v[23:24], 1, v[77:78]
	v_add_nc_u32_e32 v77, s42, v7
	v_add_co_u32 v19, vcc_lo, s12, v15
	v_add_co_ci_u32_e32 v20, vcc_lo, s13, v16, vcc_lo
	v_lshlrev_b64 v[25:26], 1, v[77:78]
	v_add_co_u32 v23, vcc_lo, s12, v23
	v_add_co_ci_u32_e32 v24, vcc_lo, s13, v24, vcc_lo
	s_clause 0x2
	global_load_b128 v[11:14], v[11:12], off
	global_load_b128 v[15:18], v[17:18], off
	;; [unrolled: 1-line block ×3, first 2 shown]
	v_add_co_u32 v27, vcc_lo, s12, v25
	v_add_co_ci_u32_e32 v28, vcc_lo, s13, v26, vcc_lo
	s_clause 0x1
	global_load_b128 v[23:26], v[23:24], off
	global_load_b128 v[27:30], v[27:28], off
	s_add_i32 s42, s42, s26
	s_waitcnt vmcnt(4)
	ds_store_b128 v10, v[11:14]
	s_waitcnt vmcnt(3)
	ds_store_2addr_b64 v31, v[15:16], v[17:18] offset1:1
	s_waitcnt vmcnt(2)
	ds_store_2addr_b32 v32, v19, v20 offset1:1
	ds_store_2addr_b32 v32, v21, v22 offset0:2 offset1:3
	s_cmp_ge_u32 s42, s24
	v_add_nc_u32_e32 v11, s9, v10
	s_cselect_b32 s44, -1, 0
	v_add_nc_u32_e32 v12, s38, v10
	v_add_nc_u32_e32 v10, s20, v10
	s_and_not1_b32 s43, s43, exec_lo
	s_and_b32 s44, s44, exec_lo
	s_waitcnt vmcnt(1)
	ds_store_2addr_b64 v11, v[23:24], v[25:26] offset1:1
	s_or_b32 s43, s43, s44
	s_waitcnt vmcnt(0)
	ds_store_2addr_b64 v12, v[27:28], v[29:30] offset1:1
	s_branch .LBB157_21
.LBB157_24:                             ;   in Loop: Header=BB157_17 Depth=2
	s_or_b32 exec_lo, exec_lo, s5
.LBB157_25:                             ;   in Loop: Header=BB157_17 Depth=2
	s_waitcnt lgkmcnt(0)
	s_barrier
	buffer_gl0_inv
	s_and_saveexec_b32 s2, s1
	s_cbranch_execz .LBB157_16
.LBB157_26:                             ;   in Loop: Header=BB157_17 Depth=2
	v_dual_mov_b32 v70, 0 :: v_dual_add_nc_u32 v115, s4, v89
	v_dual_mov_b32 v71, 0 :: v_dual_mov_b32 v72, 0
	v_dual_mov_b32 v33, 0 :: v_dual_mov_b32 v34, 0
	s_delay_alu instid0(VALU_DEP_3) | instskip(SKIP_3) | instid1(VALU_DEP_3)
	v_min_u32_e32 v77, s27, v115
	v_dual_mov_b32 v69, 0 :: v_dual_add_nc_u32 v116, 0x200, v115
	s_waitcnt lgkmcnt(2)
	v_dual_mov_b32 v35, 0 :: v_dual_mov_b32 v36, 0
	v_lshlrev_b64 v[5:6], 1, v[77:78]
	s_delay_alu instid0(VALU_DEP_3) | instskip(SKIP_3) | instid1(VALU_DEP_4)
	v_min_u32_e32 v77, s27, v116
	s_waitcnt vmcnt(18)
	v_dual_mov_b32 v65, 0 :: v_dual_mov_b32 v66, 0
	v_dual_mov_b32 v67, 0 :: v_dual_mov_b32 v68, 0
	v_add_co_u32 v13, vcc_lo, s10, v5
	v_add_co_ci_u32_e32 v14, vcc_lo, s11, v6, vcc_lo
	v_lshlrev_b64 v[5:6], 1, v[77:78]
	s_delay_alu instid0(VALU_DEP_3) | instskip(NEXT) | instid1(VALU_DEP_3)
	v_add_co_u32 v7, vcc_lo, v13, v80
	v_add_co_ci_u32_e32 v8, vcc_lo, v14, v81, vcc_lo
	v_add_co_u32 v9, vcc_lo, v13, v82
	v_add_co_ci_u32_e32 v10, vcc_lo, v14, v83, vcc_lo
	v_add_co_u32 v11, vcc_lo, v13, v84
	s_waitcnt lgkmcnt(0)
	v_add_co_ci_u32_e32 v12, vcc_lo, v14, v85, vcc_lo
	v_add_co_u32 v15, vcc_lo, s10, v5
	v_add_co_ci_u32_e32 v16, vcc_lo, s11, v6, vcc_lo
	v_add_co_u32 v5, vcc_lo, v13, v86
	v_add_co_ci_u32_e32 v6, vcc_lo, v14, v87, vcc_lo
	s_clause 0x1
	global_load_b128 v[49:52], v[7:8], off slc dlc
	global_load_b128 v[41:44], v[9:10], off slc dlc
	v_add_co_u32 v7, vcc_lo, v15, v80
	v_add_co_ci_u32_e32 v8, vcc_lo, v16, v81, vcc_lo
	v_add_co_u32 v9, vcc_lo, v15, v82
	v_add_co_ci_u32_e32 v10, vcc_lo, v16, v83, vcc_lo
	;; [unrolled: 2-line block ×4, first 2 shown]
	s_clause 0x5
	global_load_b128 v[45:48], v[11:12], off slc dlc
	global_load_b128 v[37:40], v[5:6], off slc dlc
	;; [unrolled: 1-line block ×6, first 2 shown]
	v_cmp_gt_u32_e32 vcc_lo, s16, v115
	v_dual_mov_b32 v29, 0 :: v_dual_mov_b32 v30, 0
	v_dual_mov_b32 v31, 0 :: v_dual_mov_b32 v32, 0
	s_waitcnt vmcnt(18)
	v_dual_mov_b32 v61, 0 :: v_dual_mov_b32 v62, 0
	v_dual_mov_b32 v63, 0 :: v_dual_mov_b32 v64, 0
	v_dual_mov_b32 v25, 0 :: v_dual_mov_b32 v26, 0
	v_dual_mov_b32 v27, 0 :: v_dual_mov_b32 v28, 0
	s_waitcnt vmcnt(16)
	v_dual_mov_b32 v57, 0 :: v_dual_mov_b32 v58, 0
	v_dual_mov_b32 v59, 0 :: v_dual_mov_b32 v60, 0
	;; [unrolled: 5-line block ×3, first 2 shown]
	v_dual_mov_b32 v77, 0 :: v_dual_mov_b32 v74, 0
	v_mov_b32_e32 v73, 0
	v_mov_b32_e32 v75, 0
	s_and_saveexec_b32 s5, vcc_lo
	s_cbranch_execz .LBB157_15
; %bb.27:                               ;   in Loop: Header=BB157_17 Depth=2
	v_subrev_nc_u32_e32 v21, s3, v115
	v_cmp_gt_u32_e32 vcc_lo, s16, v116
	v_dual_mov_b32 v77, 0 :: v_dual_mov_b32 v22, 0
	v_dual_mov_b32 v23, 0 :: v_dual_mov_b32 v26, 0
	s_delay_alu instid0(VALU_DEP_4) | instskip(SKIP_1) | instid1(VALU_DEP_2)
	v_dual_mov_b32 v74, 0 :: v_dual_lshlrev_b32 v119, 1, v21
	v_dual_mov_b32 v21, 0 :: v_dual_mov_b32 v32, 0
	v_dual_mov_b32 v75, 0 :: v_dual_add_nc_u32 v118, s41, v119
	v_dual_mov_b32 v27, 0 :: v_dual_mov_b32 v30, 0
	v_dual_mov_b32 v25, 0 :: v_dual_mov_b32 v36, 0
	s_delay_alu instid0(VALU_DEP_3) | instskip(SKIP_1) | instid1(VALU_DEP_2)
	v_dual_mov_b32 v24, 0 :: v_dual_add_nc_u32 v115, s41, v118
	v_dual_mov_b32 v31, 0 :: v_dual_mov_b32 v34, 0
	v_dual_mov_b32 v73, 0 :: v_dual_add_nc_u32 v116, s41, v115
	v_mov_b32_e32 v29, 0
	v_mov_b32_e32 v35, 0
	v_dual_mov_b32 v33, 0 :: v_dual_mov_b32 v28, 0
	s_delay_alu instid0(VALU_DEP_4)
	v_add_nc_u32_e32 v117, s41, v116
	ds_load_b128 v[69:72], v119
	ds_load_b128 v[65:68], v118
	;; [unrolled: 1-line block ×5, first 2 shown]
	s_and_saveexec_b32 s42, vcc_lo
	s_cbranch_execz .LBB157_14
; %bb.28:                               ;   in Loop: Header=BB157_17 Depth=2
	ds_load_b128 v[33:36], v119 offset:1024
	ds_load_b128 v[29:32], v118 offset:1024
	;; [unrolled: 1-line block ×4, first 2 shown]
	ds_load_b32 v77, v117 offset:1024
	ds_load_b96 v[73:75], v117 offset:1028
	s_branch .LBB157_14
.LBB157_29:                             ;   in Loop: Header=BB157_12 Depth=1
	s_mov_b32 s1, exec_lo
	v_cmpx_le_u32_e64 s19, v76
	s_xor_b32 s1, exec_lo, s1
; %bb.30:                               ;   in Loop: Header=BB157_12 Depth=1
	v_add_nc_u32_e32 v76, s29, v76
                                        ; implicit-def: $vgpr114
                                        ; implicit-def: $vgpr113
                                        ; implicit-def: $vgpr112
                                        ; implicit-def: $vgpr111
                                        ; implicit-def: $vgpr110
                                        ; implicit-def: $vgpr107
                                        ; implicit-def: $vgpr106
                                        ; implicit-def: $vgpr105
                                        ; implicit-def: $vgpr95
                                        ; implicit-def: $vgpr96
                                        ; implicit-def: $vgpr97
                                        ; implicit-def: $vgpr98
                                        ; implicit-def: $vgpr99
                                        ; implicit-def: $vgpr100
                                        ; implicit-def: $vgpr101
                                        ; implicit-def: $vgpr102
                                        ; implicit-def: $vgpr103
                                        ; implicit-def: $vgpr104
                                        ; implicit-def: $vgpr109
                                        ; implicit-def: $vgpr108
; %bb.31:                               ;   in Loop: Header=BB157_12 Depth=1
	s_and_not1_saveexec_b32 s42, s1
	s_cbranch_execz .LBB157_11
; %bb.32:                               ;   in Loop: Header=BB157_12 Depth=1
	v_xor_b32_e32 v5, 16, v88
	v_cvt_i32_f32_e32 v6, v114
	v_cvt_i32_f32_e32 v7, v113
	;; [unrolled: 1-line block ×4, first 2 shown]
	v_cmp_gt_i32_e32 vcc_lo, 32, v5
	v_cvt_f32_i32_dpp v6, v6 row_shr:8 row_mask:0xf bank_mask:0xf bound_ctrl:1
	v_cvt_i32_f32_e32 v10, v110
	v_cvt_f32_i32_dpp v7, v7 row_shr:8 row_mask:0xf bank_mask:0xf bound_ctrl:1
	v_cvt_f32_i32_dpp v8, v8 row_shr:8 row_mask:0xf bank_mask:0xf bound_ctrl:1
	s_delay_alu instid0(VALU_DEP_4) | instskip(SKIP_3) | instid1(VALU_DEP_4)
	v_dual_cndmask_b32 v5, v88, v5 :: v_dual_add_f32 v6, v114, v6
	v_cvt_f32_i32_dpp v9, v9 row_shr:8 row_mask:0xf bank_mask:0xf bound_ctrl:1
	v_cvt_f32_i32_dpp v10, v10 row_shr:8 row_mask:0xf bank_mask:0xf bound_ctrl:1
	v_add_f32_e32 v7, v113, v7
	v_dual_add_f32 v8, v112, v8 :: v_dual_lshlrev_b32 v5, 2, v5
	v_cvt_i32_f32_e32 v11, v6
	s_delay_alu instid0(VALU_DEP_4)
	v_add_f32_e32 v10, v110, v10
	s_waitcnt lgkmcnt(0)
	v_cvt_i32_f32_e32 v12, v7
	v_cvt_i32_f32_e32 v13, v8
	v_cvt_f32_i32_dpp v11, v11 row_shr:4 row_mask:0xf bank_mask:0xf bound_ctrl:1
	v_add_f32_e32 v9, v111, v9
	v_cvt_i32_f32_e32 v15, v10
	v_cvt_f32_i32_dpp v12, v12 row_shr:4 row_mask:0xf bank_mask:0xf bound_ctrl:1
	v_cvt_f32_i32_dpp v13, v13 row_shr:4 row_mask:0xf bank_mask:0xf bound_ctrl:1
	v_add_f32_e32 v6, v6, v11
	v_cvt_i32_f32_e32 v14, v9
	v_cvt_f32_i32_dpp v15, v15 row_shr:4 row_mask:0xf bank_mask:0xf bound_ctrl:1
	s_delay_alu instid0(VALU_DEP_4) | instskip(NEXT) | instid1(VALU_DEP_4)
	v_dual_add_f32 v7, v7, v12 :: v_dual_add_f32 v8, v8, v13
	v_cvt_i32_f32_e32 v11, v6
	s_delay_alu instid0(VALU_DEP_4) | instskip(NEXT) | instid1(VALU_DEP_4)
	v_cvt_f32_i32_dpp v14, v14 row_shr:4 row_mask:0xf bank_mask:0xf bound_ctrl:1
	v_add_f32_e32 v10, v10, v15
	s_delay_alu instid0(VALU_DEP_4)
	v_cvt_i32_f32_e32 v12, v7
	v_cvt_i32_f32_e32 v13, v8
	v_cvt_f32_i32_dpp v11, v11 row_shr:2 row_mask:0xf bank_mask:0xf bound_ctrl:1
	v_add_f32_e32 v9, v9, v14
	v_cvt_i32_f32_e32 v15, v10
	v_cvt_f32_i32_dpp v12, v12 row_shr:2 row_mask:0xf bank_mask:0xf bound_ctrl:1
	v_cvt_f32_i32_dpp v13, v13 row_shr:2 row_mask:0xf bank_mask:0xf bound_ctrl:1
	v_add_f32_e32 v6, v6, v11
	v_cvt_i32_f32_e32 v14, v9
	v_cvt_f32_i32_dpp v15, v15 row_shr:2 row_mask:0xf bank_mask:0xf bound_ctrl:1
	v_add_f32_e32 v7, v7, v12
	s_delay_alu instid0(VALU_DEP_4) | instskip(NEXT) | instid1(VALU_DEP_4)
	v_cvt_i32_f32_e32 v11, v6
	v_cvt_f32_i32_dpp v14, v14 row_shr:2 row_mask:0xf bank_mask:0xf bound_ctrl:1
	v_add_f32_e32 v8, v8, v13
	s_delay_alu instid0(VALU_DEP_4) | instskip(NEXT) | instid1(VALU_DEP_4)
	v_cvt_i32_f32_e32 v12, v7
	v_cvt_f32_i32_dpp v11, v11 row_shr:1 row_mask:0xf bank_mask:0xf bound_ctrl:1
	s_delay_alu instid0(VALU_DEP_4) | instskip(NEXT) | instid1(VALU_DEP_4)
	v_add_f32_e32 v9, v9, v14
	v_cvt_i32_f32_e32 v13, v8
	s_delay_alu instid0(VALU_DEP_4) | instskip(SKIP_1) | instid1(VALU_DEP_4)
	v_cvt_f32_i32_dpp v12, v12 row_shr:1 row_mask:0xf bank_mask:0xf bound_ctrl:1
	v_add_f32_e32 v10, v10, v15
	v_cvt_i32_f32_e32 v14, v9
	s_delay_alu instid0(VALU_DEP_4) | instskip(NEXT) | instid1(VALU_DEP_4)
	v_cvt_f32_i32_dpp v13, v13 row_shr:1 row_mask:0xf bank_mask:0xf bound_ctrl:1
	v_add_f32_e32 v33, v7, v12
	v_cvt_i32_f32_e32 v12, v109
	v_cvt_i32_f32_e32 v15, v10
	v_cvt_f32_i32_dpp v14, v14 row_shr:1 row_mask:0xf bank_mask:0xf bound_ctrl:1
	v_add_f32_e32 v41, v6, v11
	v_cvt_i32_f32_e32 v6, v107
	v_cvt_i32_f32_e32 v11, v108
	v_cvt_f32_i32_dpp v12, v12 row_shr:8 row_mask:0xf bank_mask:0xf bound_ctrl:1
	v_add_f32_e32 v18, v9, v14
	v_cvt_f32_i32_dpp v15, v15 row_shr:1 row_mask:0xf bank_mask:0xf bound_ctrl:1
	v_cvt_f32_i32_dpp v6, v6 row_shr:8 row_mask:0xf bank_mask:0xf bound_ctrl:1
	v_add_f32_e32 v7, v8, v13
	v_cvt_i32_f32_e32 v8, v106
	v_cvt_f32_i32_dpp v11, v11 row_shr:8 row_mask:0xf bank_mask:0xf bound_ctrl:1
	v_add_f32_e32 v9, v10, v15
	v_cvt_i32_f32_e32 v10, v105
	v_add_f32_e32 v6, v107, v6
	v_cvt_f32_i32_dpp v8, v8 row_shr:8 row_mask:0xf bank_mask:0xf bound_ctrl:1
	v_add_f32_e32 v11, v108, v11
	ds_bpermute_b32 v45, v5, v41
	v_cvt_f32_i32_dpp v10, v10 row_shr:8 row_mask:0xf bank_mask:0xf bound_ctrl:1
	v_cvt_i32_f32_e32 v14, v6
	v_add_f32_e32 v8, v106, v8
	v_cvt_i32_f32_e32 v17, v11
	ds_bpermute_b32 v37, v5, v33
	v_add_f32_e32 v10, v105, v10
	v_cvt_f32_i32_dpp v14, v14 row_shr:4 row_mask:0xf bank_mask:0xf bound_ctrl:1
	v_cvt_i32_f32_e32 v15, v8
	v_cvt_f32_i32_dpp v17, v17 row_shr:4 row_mask:0xf bank_mask:0xf bound_ctrl:1
	v_add_f32_e32 v12, v109, v12
	v_cvt_i32_f32_e32 v16, v10
	ds_bpermute_b32 v29, v5, v7
	v_cvt_f32_i32_dpp v15, v15 row_shr:4 row_mask:0xf bank_mask:0xf bound_ctrl:1
	v_add_f32_e32 v11, v11, v17
	v_cvt_i32_f32_e32 v19, v12
	v_cvt_f32_i32_dpp v16, v16 row_shr:4 row_mask:0xf bank_mask:0xf bound_ctrl:1
	ds_bpermute_b32 v22, v5, v18
	ds_bpermute_b32 v13, v5, v9
	v_cvt_i32_f32_e32 v17, v11
	v_cvt_f32_i32_dpp v19, v19 row_shr:4 row_mask:0xf bank_mask:0xf bound_ctrl:1
	s_delay_alu instid0(VALU_DEP_2) | instskip(NEXT) | instid1(VALU_DEP_2)
	v_cvt_f32_i32_dpp v17, v17 row_shr:2 row_mask:0xf bank_mask:0xf bound_ctrl:1
	v_add_f32_e32 v12, v12, v19
	s_delay_alu instid0(VALU_DEP_2) | instskip(NEXT) | instid1(VALU_DEP_2)
	v_dual_add_f32 v6, v6, v14 :: v_dual_add_f32 v11, v11, v17
	v_cvt_i32_f32_e32 v19, v12
	s_delay_alu instid0(VALU_DEP_2) | instskip(NEXT) | instid1(VALU_DEP_3)
	v_cvt_i32_f32_e32 v14, v6
	v_cvt_i32_f32_e32 v17, v11
	s_delay_alu instid0(VALU_DEP_3) | instskip(NEXT) | instid1(VALU_DEP_3)
	v_cvt_f32_i32_dpp v19, v19 row_shr:2 row_mask:0xf bank_mask:0xf bound_ctrl:1
	v_cvt_f32_i32_dpp v14, v14 row_shr:2 row_mask:0xf bank_mask:0xf bound_ctrl:1
	s_delay_alu instid0(VALU_DEP_3) | instskip(NEXT) | instid1(VALU_DEP_3)
	v_cvt_f32_i32_dpp v17, v17 row_shr:1 row_mask:0xf bank_mask:0xf bound_ctrl:1
	v_add_f32_e32 v12, v12, v19
	s_delay_alu instid0(VALU_DEP_1) | instskip(NEXT) | instid1(VALU_DEP_1)
	v_cvt_i32_f32_e32 v19, v12
	v_cvt_f32_i32_dpp v19, v19 row_shr:1 row_mask:0xf bank_mask:0xf bound_ctrl:1
	v_add_f32_e32 v10, v10, v16
	s_delay_alu instid0(VALU_DEP_1) | instskip(NEXT) | instid1(VALU_DEP_1)
	v_cvt_i32_f32_e32 v16, v10
	v_cvt_f32_i32_dpp v16, v16 row_shr:2 row_mask:0xf bank_mask:0xf bound_ctrl:1
	s_delay_alu instid0(VALU_DEP_1) | instskip(NEXT) | instid1(VALU_DEP_1)
	v_add_f32_e32 v10, v10, v16
	v_cvt_i32_f32_e32 v16, v10
	s_delay_alu instid0(VALU_DEP_1) | instskip(NEXT) | instid1(VALU_DEP_1)
	v_cvt_f32_i32_dpp v16, v16 row_shr:1 row_mask:0xf bank_mask:0xf bound_ctrl:1
	v_add_f32_e32 v26, v10, v16
	v_dual_add_f32 v16, v11, v17 :: v_dual_add_f32 v11, v12, v19
	v_cvt_i32_f32_e32 v12, v101
	v_cvt_i32_f32_e32 v10, v102
	s_delay_alu instid0(VALU_DEP_2) | instskip(NEXT) | instid1(VALU_DEP_2)
	v_cvt_f32_i32_dpp v12, v12 row_shr:8 row_mask:0xf bank_mask:0xf bound_ctrl:1
	v_cvt_f32_i32_dpp v10, v10 row_shr:8 row_mask:0xf bank_mask:0xf bound_ctrl:1
	s_delay_alu instid0(VALU_DEP_2) | instskip(NEXT) | instid1(VALU_DEP_2)
	v_add_f32_e32 v12, v101, v12
	v_add_f32_e32 v10, v102, v10
	s_delay_alu instid0(VALU_DEP_2) | instskip(NEXT) | instid1(VALU_DEP_2)
	v_cvt_i32_f32_e32 v23, v12
	v_cvt_i32_f32_e32 v21, v10
	s_delay_alu instid0(VALU_DEP_2) | instskip(NEXT) | instid1(VALU_DEP_2)
	v_cvt_f32_i32_dpp v23, v23 row_shr:4 row_mask:0xf bank_mask:0xf bound_ctrl:1
	v_cvt_f32_i32_dpp v21, v21 row_shr:4 row_mask:0xf bank_mask:0xf bound_ctrl:1
	s_delay_alu instid0(VALU_DEP_2) | instskip(NEXT) | instid1(VALU_DEP_2)
	v_add_f32_e32 v12, v12, v23
	v_add_f32_e32 v10, v10, v21
	s_delay_alu instid0(VALU_DEP_2) | instskip(NEXT) | instid1(VALU_DEP_2)
	;; [unrolled: 9-line block ×3, first 2 shown]
	v_cvt_i32_f32_e32 v23, v12
	v_cvt_i32_f32_e32 v21, v10
	s_delay_alu instid0(VALU_DEP_2) | instskip(SKIP_1) | instid1(VALU_DEP_3)
	v_cvt_f32_i32_dpp v23, v23 row_shr:1 row_mask:0xf bank_mask:0xf bound_ctrl:1
	v_add_f32_e32 v6, v6, v14
	v_cvt_f32_i32_dpp v21, v21 row_shr:1 row_mask:0xf bank_mask:0xf bound_ctrl:1
	s_delay_alu instid0(VALU_DEP_2) | instskip(NEXT) | instid1(VALU_DEP_1)
	v_cvt_i32_f32_e32 v14, v6
	v_cvt_f32_i32_dpp v14, v14 row_shr:1 row_mask:0xf bank_mask:0xf bound_ctrl:1
	s_delay_alu instid0(VALU_DEP_1) | instskip(SKIP_2) | instid1(VALU_DEP_2)
	v_add_f32_e32 v42, v6, v14
	v_cvt_i32_f32_e32 v14, v100
	v_cvt_i32_f32_e32 v6, v104
	v_cvt_f32_i32_dpp v14, v14 row_shr:8 row_mask:0xf bank_mask:0xf bound_ctrl:1
	s_delay_alu instid0(VALU_DEP_2) | instskip(NEXT) | instid1(VALU_DEP_2)
	v_cvt_f32_i32_dpp v6, v6 row_shr:8 row_mask:0xf bank_mask:0xf bound_ctrl:1
	v_add_f32_e32 v14, v100, v14
	s_delay_alu instid0(VALU_DEP_1) | instskip(NEXT) | instid1(VALU_DEP_1)
	v_cvt_i32_f32_e32 v24, v14
	v_cvt_f32_i32_dpp v24, v24 row_shr:4 row_mask:0xf bank_mask:0xf bound_ctrl:1
	s_delay_alu instid0(VALU_DEP_1) | instskip(NEXT) | instid1(VALU_DEP_1)
	v_add_f32_e32 v14, v14, v24
	v_cvt_i32_f32_e32 v24, v14
	s_delay_alu instid0(VALU_DEP_1) | instskip(NEXT) | instid1(VALU_DEP_1)
	v_cvt_f32_i32_dpp v24, v24 row_shr:2 row_mask:0xf bank_mask:0xf bound_ctrl:1
	v_add_f32_e32 v14, v14, v24
	s_delay_alu instid0(VALU_DEP_1) | instskip(NEXT) | instid1(VALU_DEP_1)
	v_cvt_i32_f32_e32 v24, v14
	v_cvt_f32_i32_dpp v25, v24 row_shr:1 row_mask:0xf bank_mask:0xf bound_ctrl:1
	v_add_f32_e32 v24, v10, v21
	v_cvt_i32_f32_e32 v21, v95
	s_delay_alu instid0(VALU_DEP_3)
	v_add_f32_e32 v10, v14, v25
	ds_bpermute_b32 v27, v5, v24
	v_cvt_f32_i32_dpp v21, v21 row_shr:8 row_mask:0xf bank_mask:0xf bound_ctrl:1
	v_add_f32_e32 v8, v8, v15
	ds_bpermute_b32 v14, v5, v10
	v_add_f32_e32 v21, v95, v21
	v_cvt_i32_f32_e32 v15, v8
	s_delay_alu instid0(VALU_DEP_2) | instskip(NEXT) | instid1(VALU_DEP_2)
	v_cvt_i32_f32_e32 v39, v21
	v_cvt_f32_i32_dpp v15, v15 row_shr:2 row_mask:0xf bank_mask:0xf bound_ctrl:1
	s_delay_alu instid0(VALU_DEP_2) | instskip(NEXT) | instid1(VALU_DEP_2)
	v_cvt_f32_i32_dpp v39, v39 row_shr:4 row_mask:0xf bank_mask:0xf bound_ctrl:1
	v_add_f32_e32 v8, v8, v15
	s_delay_alu instid0(VALU_DEP_2) | instskip(NEXT) | instid1(VALU_DEP_2)
	v_add_f32_e32 v21, v21, v39
	v_cvt_i32_f32_e32 v15, v8
	ds_bpermute_b32 v30, v5, v26
	v_cvt_i32_f32_e32 v39, v21
	v_cvt_f32_i32_dpp v15, v15 row_shr:1 row_mask:0xf bank_mask:0xf bound_ctrl:1
	s_delay_alu instid0(VALU_DEP_2) | instskip(NEXT) | instid1(VALU_DEP_2)
	v_cvt_f32_i32_dpp v39, v39 row_shr:2 row_mask:0xf bank_mask:0xf bound_ctrl:1
	v_add_f32_e32 v34, v8, v15
	v_cvt_i32_f32_e32 v8, v103
	v_add_f32_e32 v6, v104, v6
	ds_bpermute_b32 v15, v5, v11
	v_add_f32_e32 v21, v21, v39
	ds_bpermute_b32 v38, v5, v34
	v_cvt_f32_i32_dpp v8, v8 row_shr:8 row_mask:0xf bank_mask:0xf bound_ctrl:1
	v_cvt_i32_f32_e32 v17, v6
	v_cvt_i32_f32_e32 v39, v21
	s_delay_alu instid0(VALU_DEP_3) | instskip(NEXT) | instid1(VALU_DEP_3)
	v_add_f32_e32 v8, v103, v8
	v_cvt_f32_i32_dpp v17, v17 row_shr:4 row_mask:0xf bank_mask:0xf bound_ctrl:1
	s_waitcnt vmcnt(0)
	s_delay_alu instid0(VALU_DEP_3) | instskip(NEXT) | instid1(VALU_DEP_3)
	v_cvt_f32_i32_dpp v47, v39 row_shr:1 row_mask:0xf bank_mask:0xf bound_ctrl:1
	v_cvt_i32_f32_e32 v19, v8
	s_delay_alu instid0(VALU_DEP_3) | instskip(NEXT) | instid1(VALU_DEP_2)
	v_add_f32_e32 v6, v6, v17
	v_cvt_f32_i32_dpp v19, v19 row_shr:4 row_mask:0xf bank_mask:0xf bound_ctrl:1
	s_delay_alu instid0(VALU_DEP_2) | instskip(NEXT) | instid1(VALU_DEP_2)
	v_cvt_i32_f32_e32 v17, v6
	v_add_f32_e32 v8, v8, v19
	s_delay_alu instid0(VALU_DEP_2) | instskip(NEXT) | instid1(VALU_DEP_2)
	v_cvt_f32_i32_dpp v17, v17 row_shr:2 row_mask:0xf bank_mask:0xf bound_ctrl:1
	v_cvt_i32_f32_e32 v19, v8
	s_delay_alu instid0(VALU_DEP_2) | instskip(NEXT) | instid1(VALU_DEP_2)
	v_add_f32_e32 v6, v6, v17
	v_cvt_f32_i32_dpp v19, v19 row_shr:2 row_mask:0xf bank_mask:0xf bound_ctrl:1
	s_delay_alu instid0(VALU_DEP_2) | instskip(NEXT) | instid1(VALU_DEP_2)
	v_cvt_i32_f32_e32 v17, v6
	v_add_f32_e32 v8, v8, v19
	s_delay_alu instid0(VALU_DEP_2) | instskip(NEXT) | instid1(VALU_DEP_2)
	v_cvt_f32_i32_dpp v17, v17 row_shr:1 row_mask:0xf bank_mask:0xf bound_ctrl:1
	v_cvt_i32_f32_e32 v19, v8
	s_delay_alu instid0(VALU_DEP_2) | instskip(SKIP_2) | instid1(VALU_DEP_4)
	v_add_f32_e32 v40, v6, v17
	v_cvt_i32_f32_e32 v6, v99
	v_cvt_i32_f32_e32 v17, v96
	v_cvt_f32_i32_dpp v19, v19 row_shr:1 row_mask:0xf bank_mask:0xf bound_ctrl:1
	ds_bpermute_b32 v44, v5, v40
	v_cvt_f32_i32_dpp v6, v6 row_shr:8 row_mask:0xf bank_mask:0xf bound_ctrl:1
	v_cvt_f32_i32_dpp v17, v17 row_shr:8 row_mask:0xf bank_mask:0xf bound_ctrl:1
	v_add_f32_e32 v32, v8, v19
	v_add_f32_e32 v19, v12, v23
	v_cvt_i32_f32_e32 v8, v98
	v_cvt_i32_f32_e32 v12, v97
	v_dual_add_f32 v6, v99, v6 :: v_dual_add_f32 v17, v96, v17
	ds_bpermute_b32 v36, v5, v32
	v_cvt_f32_i32_dpp v8, v8 row_shr:8 row_mask:0xf bank_mask:0xf bound_ctrl:1
	v_cvt_f32_i32_dpp v12, v12 row_shr:8 row_mask:0xf bank_mask:0xf bound_ctrl:1
	v_cvt_i32_f32_e32 v25, v6
	v_cvt_i32_f32_e32 v35, v17
	ds_bpermute_b32 v23, v5, v19
	v_add_f32_e32 v8, v98, v8
	v_add_f32_e32 v12, v97, v12
	v_cvt_f32_i32_dpp v25, v25 row_shr:4 row_mask:0xf bank_mask:0xf bound_ctrl:1
	v_cvt_f32_i32_dpp v35, v35 row_shr:4 row_mask:0xf bank_mask:0xf bound_ctrl:1
	s_delay_alu instid0(VALU_DEP_4) | instskip(NEXT) | instid1(VALU_DEP_4)
	v_cvt_i32_f32_e32 v28, v8
	v_cvt_i32_f32_e32 v31, v12
	s_delay_alu instid0(VALU_DEP_3)
	v_dual_add_f32 v6, v6, v25 :: v_dual_add_f32 v17, v17, v35
	ds_bpermute_b32 v46, v5, v42
	v_cvt_f32_i32_dpp v28, v28 row_shr:4 row_mask:0xf bank_mask:0xf bound_ctrl:1
	v_cvt_f32_i32_dpp v31, v31 row_shr:4 row_mask:0xf bank_mask:0xf bound_ctrl:1
	v_cvt_i32_f32_e32 v25, v6
	v_cvt_i32_f32_e32 v35, v17
	s_delay_alu instid0(VALU_DEP_4) | instskip(NEXT) | instid1(VALU_DEP_4)
	v_add_f32_e32 v8, v8, v28
	v_add_f32_e32 v12, v12, v31
	s_delay_alu instid0(VALU_DEP_4) | instskip(NEXT) | instid1(VALU_DEP_4)
	v_cvt_f32_i32_dpp v25, v25 row_shr:2 row_mask:0xf bank_mask:0xf bound_ctrl:1
	v_cvt_f32_i32_dpp v35, v35 row_shr:2 row_mask:0xf bank_mask:0xf bound_ctrl:1
	s_delay_alu instid0(VALU_DEP_4) | instskip(NEXT) | instid1(VALU_DEP_4)
	v_cvt_i32_f32_e32 v28, v8
	v_cvt_i32_f32_e32 v31, v12
	s_delay_alu instid0(VALU_DEP_3)
	v_dual_add_f32 v6, v6, v25 :: v_dual_add_f32 v17, v17, v35
	ds_bpermute_b32 v20, v5, v16
	v_cvt_f32_i32_dpp v28, v28 row_shr:2 row_mask:0xf bank_mask:0xf bound_ctrl:1
	v_cvt_f32_i32_dpp v31, v31 row_shr:2 row_mask:0xf bank_mask:0xf bound_ctrl:1
	v_cvt_i32_f32_e32 v25, v6
	v_cvt_i32_f32_e32 v35, v17
	s_delay_alu instid0(VALU_DEP_4) | instskip(NEXT) | instid1(VALU_DEP_4)
	v_add_f32_e32 v8, v8, v28
	v_add_f32_e32 v12, v12, v31
	s_delay_alu instid0(VALU_DEP_4) | instskip(NEXT) | instid1(VALU_DEP_4)
	v_cvt_f32_i32_dpp v25, v25 row_shr:1 row_mask:0xf bank_mask:0xf bound_ctrl:1
	v_cvt_f32_i32_dpp v35, v35 row_shr:1 row_mask:0xf bank_mask:0xf bound_ctrl:1
	s_delay_alu instid0(VALU_DEP_4) | instskip(NEXT) | instid1(VALU_DEP_4)
	v_cvt_i32_f32_e32 v28, v8
	v_cvt_i32_f32_e32 v31, v12
	s_delay_alu instid0(VALU_DEP_4) | instskip(NEXT) | instid1(VALU_DEP_4)
	v_add_f32_e32 v39, v6, v25
	v_add_f32_e32 v17, v17, v35
	s_delay_alu instid0(VALU_DEP_4) | instskip(NEXT) | instid1(VALU_DEP_4)
	v_cvt_f32_i32_dpp v28, v28 row_shr:1 row_mask:0xf bank_mask:0xf bound_ctrl:1
	v_cvt_f32_i32_dpp v43, v31 row_shr:1 row_mask:0xf bank_mask:0xf bound_ctrl:1
	s_delay_alu instid0(VALU_DEP_2) | instskip(NEXT) | instid1(VALU_DEP_2)
	v_add_f32_e32 v31, v8, v28
	v_add_f32_e32 v25, v12, v43
	;; [unrolled: 1-line block ×3, first 2 shown]
	ds_bpermute_b32 v43, v5, v39
	ds_bpermute_b32 v21, v5, v17
	;; [unrolled: 1-line block ×5, first 2 shown]
	s_and_saveexec_b32 s5, s0
	s_cbranch_execz .LBB157_56
; %bb.33:                               ;   in Loop: Header=BB157_12 Depth=1
	v_dual_mov_b32 v66, 0 :: v_dual_add_nc_u32 v5, 3, v76
	v_dual_mov_b32 v65, 0 :: v_dual_add_nc_u32 v6, 2, v76
	v_dual_mov_b32 v64, 0 :: v_dual_mov_b32 v63, 0
	v_dual_mov_b32 v62, 0 :: v_dual_mov_b32 v61, 0
	;; [unrolled: 1-line block ×9, first 2 shown]
	s_and_not1_b32 vcc_lo, exec_lo, s30
	s_cbranch_vccnz .LBB157_35
; %bb.34:                               ;   in Loop: Header=BB157_12 Depth=1
	v_mul_hi_u32 v47, v76, v94
	v_mul_hi_u32 v48, v6, v94
	v_add_nc_u32_e32 v49, 1, v76
	v_mul_hi_u32 v50, v5, v94
	v_mov_b32_e32 v64, v78
	v_mov_b32_e32 v66, v78
	;; [unrolled: 1-line block ×4, first 2 shown]
	v_mul_lo_u32 v47, v47, s8
	v_mul_lo_u32 v52, v48, s8
	v_mov_b32_e32 v48, v78
	v_mul_hi_u32 v51, v49, v94
	v_mul_lo_u32 v53, v50, s8
	v_mov_b32_e32 v85, v78
	v_sub_nc_u32_e32 v47, v76, v47
	v_sub_nc_u32_e32 v54, v6, v52
	v_mul_lo_u32 v51, v51, s8
	v_sub_nc_u32_e32 v53, v5, v53
	s_delay_alu instid0(VALU_DEP_4) | instskip(SKIP_2) | instid1(VALU_DEP_4)
	v_subrev_nc_u32_e32 v55, s8, v47
	v_cmp_le_u32_e32 vcc_lo, s8, v47
	v_mov_b32_e32 v50, v78
	v_subrev_nc_u32_e32 v56, s8, v53
	s_delay_alu instid0(VALU_DEP_4) | instskip(SKIP_3) | instid1(VALU_DEP_3)
	v_cndmask_b32_e32 v47, v47, v55, vcc_lo
	v_sub_nc_u32_e32 v49, v49, v51
	v_subrev_nc_u32_e32 v51, s8, v54
	v_cmp_le_u32_e32 vcc_lo, s8, v54
	v_subrev_nc_u32_e32 v55, s8, v49
	s_delay_alu instid0(VALU_DEP_3)
	v_cndmask_b32_e32 v51, v54, v51, vcc_lo
	v_cmp_le_u32_e32 vcc_lo, s8, v53
	v_mov_b32_e32 v52, v78
	v_subrev_nc_u32_e32 v54, s8, v47
	v_cndmask_b32_e32 v53, v53, v56, vcc_lo
	v_cmp_le_u32_e32 vcc_lo, s8, v49
	s_delay_alu instid0(VALU_DEP_2)
	v_subrev_nc_u32_e32 v56, s8, v53
	v_cndmask_b32_e32 v55, v49, v55, vcc_lo
	v_cmp_le_u32_e32 vcc_lo, s8, v47
	v_subrev_nc_u32_e32 v49, s8, v51
	v_cndmask_b32_e32 v77, v47, v54, vcc_lo
	v_cmp_le_u32_e32 vcc_lo, s8, v51
	v_subrev_nc_u32_e32 v47, s8, v55
	s_delay_alu instid0(VALU_DEP_4) | instskip(SKIP_1) | instid1(VALU_DEP_2)
	v_cndmask_b32_e32 v49, v51, v49, vcc_lo
	v_cmp_le_u32_e32 vcc_lo, s8, v53
	v_add_nc_u32_e32 v65, s33, v49
	v_cndmask_b32_e32 v51, v53, v56, vcc_lo
	v_cmp_le_u32_e32 vcc_lo, s8, v55
	v_lshlrev_b64 v[53:54], 1, v[77:78]
	v_add_nc_u32_e32 v82, s35, v49
	v_lshlrev_b64 v[65:66], 1, v[65:66]
	v_lshlrev_b64 v[57:58], 1, v[51:52]
	v_cndmask_b32_e32 v47, v55, v47, vcc_lo
	v_lshlrev_b64 v[55:56], 1, v[49:50]
	v_add_co_u32 v61, vcc_lo, s14, v53
	v_add_nc_u32_e32 v52, s33, v77
	s_delay_alu instid0(VALU_DEP_4)
	v_lshlrev_b64 v[59:60], 1, v[47:48]
	v_mov_b32_e32 v53, v78
	v_add_co_ci_u32_e32 v62, vcc_lo, s15, v54, vcc_lo
	v_add_nc_u32_e32 v63, s33, v47
	v_add_nc_u32_e32 v67, s33, v51
	v_add_co_u32 v59, vcc_lo, s14, v59
	v_add_co_ci_u32_e32 v60, vcc_lo, s15, v60, vcc_lo
	v_add_co_u32 v54, vcc_lo, s14, v55
	v_lshlrev_b64 v[52:53], 1, v[52:53]
	v_add_co_ci_u32_e32 v55, vcc_lo, s15, v56, vcc_lo
	v_add_co_u32 v56, vcc_lo, s14, v57
	v_lshlrev_b64 v[63:64], 1, v[63:64]
	v_add_co_ci_u32_e32 v57, vcc_lo, s15, v58, vcc_lo
	v_add_co_u32 v52, vcc_lo, s14, v52
	v_add_co_ci_u32_e32 v53, vcc_lo, s15, v53, vcc_lo
	s_delay_alu instid0(VALU_DEP_4)
	v_add_co_u32 v69, vcc_lo, s14, v63
	v_add_co_ci_u32_e32 v70, vcc_lo, s15, v64, vcc_lo
	v_lshlrev_b64 v[63:64], 1, v[67:68]
	v_add_co_u32 v67, vcc_lo, s14, v65
	v_add_co_ci_u32_e32 v68, vcc_lo, s15, v66, vcc_lo
	v_dual_mov_b32 v66, v78 :: v_dual_add_nc_u32 v65, s34, v77
	s_delay_alu instid0(VALU_DEP_4) | instskip(SKIP_1) | instid1(VALU_DEP_3)
	v_add_co_u32 v71, vcc_lo, s14, v63
	v_add_co_ci_u32_e32 v72, vcc_lo, s15, v64, vcc_lo
	v_lshlrev_b64 v[73:74], 1, v[65:66]
	s_clause 0x7
	global_load_u16 v66, v[61:62], off
	global_load_u16 v65, v[59:60], off
	;; [unrolled: 1-line block ×8, first 2 shown]
	v_mov_b32_e32 v72, v78
	v_mov_b32_e32 v68, v78
	v_dual_mov_b32 v81, v78 :: v_dual_add_nc_u32 v80, s34, v47
	v_add_nc_u32_e32 v67, s34, v49
	v_add_nc_u32_e32 v71, s34, v51
	v_add_co_u32 v69, vcc_lo, s14, v73
	s_delay_alu instid0(VALU_DEP_4)
	v_lshlrev_b64 v[52:53], 1, v[80:81]
	v_add_nc_u32_e32 v80, s35, v47
	v_lshlrev_b64 v[67:68], 1, v[67:68]
	v_add_co_ci_u32_e32 v70, vcc_lo, s15, v74, vcc_lo
	v_dual_mov_b32 v74, v78 :: v_dual_add_nc_u32 v73, s35, v77
	v_add_co_u32 v52, vcc_lo, s14, v52
	v_lshlrev_b64 v[71:72], 1, v[71:72]
	v_add_co_ci_u32_e32 v53, vcc_lo, s15, v53, vcc_lo
	v_add_co_u32 v67, vcc_lo, s14, v67
	v_lshlrev_b64 v[73:74], 1, v[73:74]
	v_add_co_ci_u32_e32 v68, vcc_lo, s15, v68, vcc_lo
	v_add_co_u32 v71, vcc_lo, s14, v71
	v_lshlrev_b64 v[80:81], 1, v[80:81]
	v_add_nc_u32_e32 v84, s35, v51
	v_add_co_ci_u32_e32 v72, vcc_lo, s15, v72, vcc_lo
	v_add_co_u32 v73, vcc_lo, s14, v73
	v_lshlrev_b64 v[82:83], 1, v[82:83]
	v_add_nc_u32_e32 v77, s40, v77
	v_add_co_ci_u32_e32 v74, vcc_lo, s15, v74, vcc_lo
	v_add_co_u32 v80, vcc_lo, s14, v80
	v_lshlrev_b64 v[84:85], 1, v[84:85]
	v_add_co_ci_u32_e32 v81, vcc_lo, s15, v81, vcc_lo
	v_add_co_u32 v82, vcc_lo, s14, v82
	v_lshlrev_b64 v[86:87], 1, v[77:78]
	v_add_nc_u32_e32 v77, s40, v47
	v_add_co_ci_u32_e32 v83, vcc_lo, s15, v83, vcc_lo
	v_add_co_u32 v47, vcc_lo, s14, v84
	v_add_co_ci_u32_e32 v48, vcc_lo, s15, v85, vcc_lo
	s_delay_alu instid0(VALU_DEP_4) | instskip(SKIP_3) | instid1(VALU_DEP_3)
	v_lshlrev_b64 v[84:85], 1, v[77:78]
	v_add_nc_u32_e32 v77, s40, v49
	v_add_co_u32 v49, vcc_lo, s14, v86
	v_add_co_ci_u32_e32 v50, vcc_lo, s15, v87, vcc_lo
	v_lshlrev_b64 v[86:87], 1, v[77:78]
	v_add_nc_u32_e32 v77, s40, v51
	v_add_co_u32 v84, vcc_lo, s14, v84
	v_add_co_ci_u32_e32 v85, vcc_lo, s15, v85, vcc_lo
	s_delay_alu instid0(VALU_DEP_3) | instskip(SKIP_2) | instid1(VALU_DEP_3)
	v_lshlrev_b64 v[95:96], 1, v[77:78]
	v_add_co_u32 v86, vcc_lo, s14, v86
	v_add_co_ci_u32_e32 v87, vcc_lo, s15, v87, vcc_lo
	v_add_co_u32 v95, vcc_lo, s14, v95
	s_delay_alu instid0(VALU_DEP_4)
	v_add_co_ci_u32_e32 v96, vcc_lo, s15, v96, vcc_lo
	s_clause 0xb
	global_load_u16 v63, v[69:70], off
	global_load_u16 v61, v[52:53], off
	;; [unrolled: 1-line block ×12, first 2 shown]
.LBB157_35:                             ;   in Loop: Header=BB157_12 Depth=1
	v_cmp_ne_u32_e32 vcc_lo, 0, v1
	s_and_saveexec_b32 s2, vcc_lo
	s_cbranch_execnz .LBB157_61
; %bb.36:                               ;   in Loop: Header=BB157_12 Depth=1
	s_or_b32 exec_lo, exec_lo, s2
	v_cmp_ne_u32_e64 s1, 0, v2
	s_delay_alu instid0(VALU_DEP_1)
	s_and_saveexec_b32 s3, s1
	s_cbranch_execnz .LBB157_62
.LBB157_37:                             ;   in Loop: Header=BB157_12 Depth=1
	s_or_b32 exec_lo, exec_lo, s3
	v_cmp_ne_u32_e64 s2, 0, v3
	s_delay_alu instid0(VALU_DEP_1)
	s_and_saveexec_b32 s4, s2
	s_cbranch_execnz .LBB157_63
.LBB157_38:                             ;   in Loop: Header=BB157_12 Depth=1
	s_or_b32 exec_lo, exec_lo, s4
	v_cmp_ne_u32_e64 s3, 0, v4
	s_delay_alu instid0(VALU_DEP_1)
	s_and_saveexec_b32 s43, s3
	s_cbranch_execnz .LBB157_64
.LBB157_39:                             ;   in Loop: Header=BB157_12 Depth=1
	s_or_b32 exec_lo, exec_lo, s43
	v_add_nc_u32_e32 v77, s19, v76
	s_and_saveexec_b32 s43, vcc_lo
	s_cbranch_execnz .LBB157_65
.LBB157_40:                             ;   in Loop: Header=BB157_12 Depth=1
	s_or_b32 exec_lo, exec_lo, s43
	s_and_saveexec_b32 s43, s1
	s_cbranch_execnz .LBB157_66
.LBB157_41:                             ;   in Loop: Header=BB157_12 Depth=1
	s_or_b32 exec_lo, exec_lo, s43
	s_and_saveexec_b32 s43, s2
	s_cbranch_execnz .LBB157_67
.LBB157_42:                             ;   in Loop: Header=BB157_12 Depth=1
	s_or_b32 exec_lo, exec_lo, s43
	s_and_saveexec_b32 s43, s3
	s_cbranch_execnz .LBB157_68
.LBB157_43:                             ;   in Loop: Header=BB157_12 Depth=1
	s_or_b32 exec_lo, exec_lo, s43
	v_add_nc_u32_e32 v77, s19, v77
	s_and_saveexec_b32 s43, vcc_lo
	s_cbranch_execnz .LBB157_69
.LBB157_44:                             ;   in Loop: Header=BB157_12 Depth=1
	s_or_b32 exec_lo, exec_lo, s43
	s_and_saveexec_b32 s43, s1
	s_cbranch_execnz .LBB157_70
.LBB157_45:                             ;   in Loop: Header=BB157_12 Depth=1
	s_or_b32 exec_lo, exec_lo, s43
	s_and_saveexec_b32 s43, s2
	s_cbranch_execnz .LBB157_71
.LBB157_46:                             ;   in Loop: Header=BB157_12 Depth=1
	s_or_b32 exec_lo, exec_lo, s43
	s_and_saveexec_b32 s43, s3
	s_cbranch_execnz .LBB157_72
.LBB157_47:                             ;   in Loop: Header=BB157_12 Depth=1
	s_or_b32 exec_lo, exec_lo, s43
	v_add_nc_u32_e32 v77, s19, v77
	s_and_saveexec_b32 s43, vcc_lo
	s_cbranch_execnz .LBB157_73
.LBB157_48:                             ;   in Loop: Header=BB157_12 Depth=1
	s_or_b32 exec_lo, exec_lo, s43
	s_and_saveexec_b32 s43, s1
	s_cbranch_execnz .LBB157_74
.LBB157_49:                             ;   in Loop: Header=BB157_12 Depth=1
	s_or_b32 exec_lo, exec_lo, s43
	s_and_saveexec_b32 s43, s2
	s_cbranch_execnz .LBB157_75
.LBB157_50:                             ;   in Loop: Header=BB157_12 Depth=1
	s_or_b32 exec_lo, exec_lo, s43
	s_and_saveexec_b32 s43, s3
	s_cbranch_execnz .LBB157_76
.LBB157_51:                             ;   in Loop: Header=BB157_12 Depth=1
	s_or_b32 exec_lo, exec_lo, s43
	v_add_nc_u32_e32 v77, s19, v77
	s_and_saveexec_b32 s4, vcc_lo
	s_cbranch_execnz .LBB157_77
.LBB157_52:                             ;   in Loop: Header=BB157_12 Depth=1
	s_or_b32 exec_lo, exec_lo, s4
	s_and_saveexec_b32 s4, s1
	s_cbranch_execnz .LBB157_78
.LBB157_53:                             ;   in Loop: Header=BB157_12 Depth=1
	s_or_b32 exec_lo, exec_lo, s4
	s_and_saveexec_b32 s1, s2
	s_cbranch_execnz .LBB157_79
.LBB157_54:                             ;   in Loop: Header=BB157_12 Depth=1
	s_or_b32 exec_lo, exec_lo, s1
	s_delay_alu instid0(SALU_CYCLE_1)
	s_and_b32 exec_lo, exec_lo, s3
	s_cbranch_execz .LBB157_56
.LBB157_55:                             ;   in Loop: Header=BB157_12 Depth=1
	s_waitcnt lgkmcnt(0)
	v_add_f32_e32 v5, v8, v12
	s_waitcnt vmcnt(0)
	v_cvt_f32_f16_e32 v6, v47
	v_add_nc_u32_e32 v77, 3, v77
	s_delay_alu instid0(VALU_DEP_2) | instskip(NEXT) | instid1(VALU_DEP_2)
	v_add_f32_e32 v7, v5, v6
	v_lshlrev_b64 v[5:6], 1, v[77:78]
	s_delay_alu instid0(VALU_DEP_2) | instskip(NEXT) | instid1(VALU_DEP_2)
	v_cvt_f16_f32_e32 v7, v7
	v_add_co_u32 v5, vcc_lo, s6, v5
	s_delay_alu instid0(VALU_DEP_3)
	v_add_co_ci_u32_e32 v6, vcc_lo, s7, v6, vcc_lo
	global_store_b16 v[5:6], v7, off
.LBB157_56:                             ;   in Loop: Header=BB157_12 Depth=1
	s_or_b32 exec_lo, exec_lo, s5
	v_add_nc_u32_e32 v76, s29, v76
	s_delay_alu instid0(VALU_DEP_1) | instskip(SKIP_1) | instid1(VALU_DEP_2)
	v_add_nc_u32_e32 v5, 4, v76
	v_cmp_gt_u32_e32 vcc_lo, s19, v76
	v_cmp_le_u32_e64 s1, s19, v5
	s_delay_alu instid0(VALU_DEP_1) | instskip(NEXT) | instid1(SALU_CYCLE_1)
	s_and_b32 s1, vcc_lo, s1
	s_and_saveexec_b32 s43, s1
	s_cbranch_execz .LBB157_10
; %bb.57:                               ;   in Loop: Header=BB157_12 Depth=1
	s_mov_b32 s44, exec_lo
	v_cmpx_ne_u32_e64 s31, v76
	s_cbranch_execz .LBB157_9
; %bb.58:                               ;   in Loop: Header=BB157_12 Depth=1
	v_subrev_nc_u32_e32 v5, s31, v76
	s_mov_b32 s45, 0
	s_mov_b64 s[4:5], 0
	s_delay_alu instid0(VALU_DEP_1)
	v_cmp_lt_u32_e32 vcc_lo, 1, v5
	v_cndmask_b32_e32 v5, 1, v5, vcc_lo
	.p2align	6
.LBB157_59:                             ;   Parent Loop BB157_12 Depth=1
                                        ; =>  This Inner Loop Header: Depth=2
	s_cmp_lg_u32 s4, 3
	s_cselect_b32 vcc_lo, -1, 0
	s_cmp_lg_u32 s4, 2
	v_cndmask_b32_e32 v4, 0, v4, vcc_lo
	s_cselect_b32 s1, -1, 0
	s_cmp_lg_u32 s4, 1
	v_cndmask_b32_e64 v3, 0, v3, s1
	s_cselect_b32 s2, -1, 0
	s_cmp_lg_u32 s4, 0
	v_cndmask_b32_e64 v2, 0, v2, s2
	s_cselect_b32 s3, -1, 0
	s_add_u32 s4, s4, 1
	v_cndmask_b32_e64 v1, 0, v1, s3
	v_cmp_eq_u32_e32 vcc_lo, s4, v5
	s_addc_u32 s5, s5, 0
	s_or_b32 s45, vcc_lo, s45
	s_delay_alu instid0(SALU_CYCLE_1)
	s_and_not1_b32 exec_lo, exec_lo, s45
	s_cbranch_execnz .LBB157_59
; %bb.60:                               ;   in Loop: Header=BB157_12 Depth=1
	s_or_b32 exec_lo, exec_lo, s45
	s_branch .LBB157_9
.LBB157_61:                             ;   in Loop: Header=BB157_12 Depth=1
	v_mov_b32_e32 v77, v78
	s_waitcnt lgkmcnt(19)
	v_add_f32_e32 v41, v41, v45
	s_waitcnt vmcnt(19)
	v_cvt_f32_f16_e32 v45, v66
	v_lshlrev_b64 v[66:67], 1, v[76:77]
	s_delay_alu instid0(VALU_DEP_2) | instskip(NEXT) | instid1(VALU_DEP_2)
	v_add_f32_e32 v41, v41, v45
	v_add_co_u32 v66, s1, s6, v66
	s_delay_alu instid0(VALU_DEP_2) | instskip(NEXT) | instid1(VALU_DEP_4)
	v_cvt_f16_f32_e32 v41, v41
	v_add_co_ci_u32_e64 v67, s1, s7, v67, s1
	global_store_b16 v[66:67], v41, off
	s_or_b32 exec_lo, exec_lo, s2
	v_cmp_ne_u32_e64 s1, 0, v2
	s_delay_alu instid0(VALU_DEP_1)
	s_and_saveexec_b32 s3, s1
	s_cbranch_execz .LBB157_37
.LBB157_62:                             ;   in Loop: Header=BB157_12 Depth=1
	v_mov_b32_e32 v77, v78
	s_waitcnt lgkmcnt(18)
	v_add_f32_e32 v33, v33, v37
	s_waitcnt vmcnt(18)
	v_cvt_f32_f16_e32 v37, v65
	v_lshlrev_b64 v[65:66], 1, v[76:77]
	s_delay_alu instid0(VALU_DEP_2) | instskip(NEXT) | instid1(VALU_DEP_2)
	v_add_f32_e32 v33, v33, v37
	v_add_co_u32 v65, s2, s36, v65
	s_delay_alu instid0(VALU_DEP_2) | instskip(NEXT) | instid1(VALU_DEP_4)
	v_cvt_f16_f32_e32 v33, v33
	v_add_co_ci_u32_e64 v66, s2, s37, v66, s2
	global_store_b16 v[65:66], v33, off
	s_or_b32 exec_lo, exec_lo, s3
	v_cmp_ne_u32_e64 s2, 0, v3
	s_delay_alu instid0(VALU_DEP_1)
	s_and_saveexec_b32 s4, s2
	s_cbranch_execz .LBB157_38
.LBB157_63:                             ;   in Loop: Header=BB157_12 Depth=1
	s_waitcnt lgkmcnt(17)
	v_add_f32_e32 v29, v7, v29
	v_mov_b32_e32 v7, v78
	s_waitcnt vmcnt(17)
	v_cvt_f32_f16_e32 v33, v64
	s_delay_alu instid0(VALU_DEP_2) | instskip(NEXT) | instid1(VALU_DEP_2)
	v_lshlrev_b64 v[6:7], 1, v[6:7]
	v_add_f32_e32 v29, v29, v33
	s_delay_alu instid0(VALU_DEP_1) | instskip(NEXT) | instid1(VALU_DEP_3)
	v_cvt_f16_f32_e32 v29, v29
	v_add_co_u32 v6, s3, s6, v6
	s_delay_alu instid0(VALU_DEP_1) | instskip(SKIP_3) | instid1(VALU_DEP_1)
	v_add_co_ci_u32_e64 v7, s3, s7, v7, s3
	global_store_b16 v[6:7], v29, off
	s_or_b32 exec_lo, exec_lo, s4
	v_cmp_ne_u32_e64 s3, 0, v4
	s_and_saveexec_b32 s43, s3
	s_cbranch_execz .LBB157_39
.LBB157_64:                             ;   in Loop: Header=BB157_12 Depth=1
	s_waitcnt lgkmcnt(16)
	v_add_f32_e32 v7, v18, v22
	s_waitcnt vmcnt(16)
	v_cvt_f32_f16_e32 v18, v62
	s_delay_alu instid0(VALU_DEP_1) | instskip(NEXT) | instid1(VALU_DEP_1)
	v_dual_mov_b32 v6, v78 :: v_dual_add_f32 v7, v7, v18
	v_lshlrev_b64 v[5:6], 1, v[5:6]
	s_delay_alu instid0(VALU_DEP_2) | instskip(NEXT) | instid1(VALU_DEP_2)
	v_cvt_f16_f32_e32 v7, v7
	v_add_co_u32 v5, s4, s6, v5
	s_delay_alu instid0(VALU_DEP_1)
	v_add_co_ci_u32_e64 v6, s4, s7, v6, s4
	global_store_b16 v[5:6], v7, off
	s_or_b32 exec_lo, exec_lo, s43
	v_add_nc_u32_e32 v77, s19, v76
	s_and_saveexec_b32 s43, vcc_lo
	s_cbranch_execz .LBB157_40
.LBB157_65:                             ;   in Loop: Header=BB157_12 Depth=1
	s_waitcnt lgkmcnt(15)
	v_add_f32_e32 v5, v9, v13
	s_waitcnt vmcnt(15)
	v_cvt_f32_f16_e32 v6, v60
	s_delay_alu instid0(VALU_DEP_1) | instskip(SKIP_1) | instid1(VALU_DEP_2)
	v_add_f32_e32 v7, v5, v6
	v_lshlrev_b64 v[5:6], 1, v[77:78]
	v_cvt_f16_f32_e32 v7, v7
	s_delay_alu instid0(VALU_DEP_2) | instskip(NEXT) | instid1(VALU_DEP_1)
	v_add_co_u32 v5, s4, s6, v5
	v_add_co_ci_u32_e64 v6, s4, s7, v6, s4
	global_store_b16 v[5:6], v7, off
	s_or_b32 exec_lo, exec_lo, s43
	s_and_saveexec_b32 s43, s1
	s_cbranch_execz .LBB157_41
.LBB157_66:                             ;   in Loop: Header=BB157_12 Depth=1
	v_dual_mov_b32 v6, v78 :: v_dual_add_nc_u32 v5, 1, v77
	s_waitcnt lgkmcnt(6)
	v_add_f32_e32 v7, v42, v46
	s_waitcnt vmcnt(14)
	v_cvt_f32_f16_e32 v9, v58
	v_lshlrev_b64 v[5:6], 1, v[5:6]
	s_delay_alu instid0(VALU_DEP_2) | instskip(NEXT) | instid1(VALU_DEP_2)
	v_add_f32_e32 v7, v7, v9
	v_add_co_u32 v5, s4, s6, v5
	s_delay_alu instid0(VALU_DEP_2) | instskip(NEXT) | instid1(VALU_DEP_4)
	v_cvt_f16_f32_e32 v7, v7
	v_add_co_ci_u32_e64 v6, s4, s7, v6, s4
	global_store_b16 v[5:6], v7, off
	s_or_b32 exec_lo, exec_lo, s43
	s_and_saveexec_b32 s43, s2
	s_cbranch_execz .LBB157_42
.LBB157_67:                             ;   in Loop: Header=BB157_12 Depth=1
	v_dual_mov_b32 v6, v78 :: v_dual_add_nc_u32 v5, 2, v77
	s_waitcnt lgkmcnt(10)
	v_add_f32_e32 v7, v34, v38
	s_waitcnt vmcnt(13)
	v_cvt_f32_f16_e32 v9, v56
	v_lshlrev_b64 v[5:6], 1, v[5:6]
	s_delay_alu instid0(VALU_DEP_2) | instskip(NEXT) | instid1(VALU_DEP_2)
	v_add_f32_e32 v7, v7, v9
	v_add_co_u32 v5, s4, s6, v5
	s_delay_alu instid0(VALU_DEP_2) | instskip(NEXT) | instid1(VALU_DEP_4)
	v_cvt_f16_f32_e32 v7, v7
	v_add_co_ci_u32_e64 v6, s4, s7, v6, s4
	global_store_b16 v[5:6], v7, off
	s_or_b32 exec_lo, exec_lo, s43
	s_and_saveexec_b32 s43, s3
	s_cbranch_execz .LBB157_43
.LBB157_68:                             ;   in Loop: Header=BB157_12 Depth=1
	v_dual_mov_b32 v6, v78 :: v_dual_add_nc_u32 v5, 3, v77
	s_waitcnt lgkmcnt(12)
	v_add_f32_e32 v7, v26, v30
	s_waitcnt vmcnt(12)
	v_cvt_f32_f16_e32 v9, v54
	v_lshlrev_b64 v[5:6], 1, v[5:6]
	s_delay_alu instid0(VALU_DEP_2) | instskip(NEXT) | instid1(VALU_DEP_2)
	v_add_f32_e32 v7, v7, v9
	v_add_co_u32 v5, s4, s6, v5
	s_delay_alu instid0(VALU_DEP_2) | instskip(NEXT) | instid1(VALU_DEP_4)
	v_cvt_f16_f32_e32 v7, v7
	v_add_co_ci_u32_e64 v6, s4, s7, v6, s4
	global_store_b16 v[5:6], v7, off
	s_or_b32 exec_lo, exec_lo, s43
	v_add_nc_u32_e32 v77, s19, v77
	s_and_saveexec_b32 s43, vcc_lo
	s_cbranch_execz .LBB157_44
.LBB157_69:                             ;   in Loop: Header=BB157_12 Depth=1
	s_waitcnt lgkmcnt(5)
	v_add_f32_e32 v5, v16, v20
	s_waitcnt vmcnt(11)
	v_cvt_f32_f16_e32 v6, v63
	s_delay_alu instid0(VALU_DEP_1) | instskip(SKIP_1) | instid1(VALU_DEP_2)
	v_add_f32_e32 v7, v5, v6
	v_lshlrev_b64 v[5:6], 1, v[77:78]
	v_cvt_f16_f32_e32 v7, v7
	s_delay_alu instid0(VALU_DEP_2) | instskip(NEXT) | instid1(VALU_DEP_1)
	v_add_co_u32 v5, s4, s6, v5
	v_add_co_ci_u32_e64 v6, s4, s7, v6, s4
	global_store_b16 v[5:6], v7, off
	s_or_b32 exec_lo, exec_lo, s43
	s_and_saveexec_b32 s43, s1
	s_cbranch_execz .LBB157_45
.LBB157_70:                             ;   in Loop: Header=BB157_12 Depth=1
	s_waitcnt lgkmcnt(11)
	v_dual_add_f32 v7, v11, v15 :: v_dual_mov_b32 v6, v78
	v_add_nc_u32_e32 v5, 1, v77
	s_waitcnt vmcnt(10)
	v_cvt_f32_f16_e32 v9, v61
	s_delay_alu instid0(VALU_DEP_2) | instskip(NEXT) | instid1(VALU_DEP_2)
	v_lshlrev_b64 v[5:6], 1, v[5:6]
	v_add_f32_e32 v7, v7, v9
	s_delay_alu instid0(VALU_DEP_1) | instskip(NEXT) | instid1(VALU_DEP_3)
	v_cvt_f16_f32_e32 v7, v7
	v_add_co_u32 v5, s4, s6, v5
	s_delay_alu instid0(VALU_DEP_1)
	v_add_co_ci_u32_e64 v6, s4, s7, v6, s4
	global_store_b16 v[5:6], v7, off
	s_or_b32 exec_lo, exec_lo, s43
	s_and_saveexec_b32 s43, s2
	s_cbranch_execz .LBB157_46
.LBB157_71:                             ;   in Loop: Header=BB157_12 Depth=1
	s_waitcnt lgkmcnt(9)
	v_dual_add_f32 v7, v40, v44 :: v_dual_mov_b32 v6, v78
	v_add_nc_u32_e32 v5, 2, v77
	s_waitcnt vmcnt(9)
	v_cvt_f32_f16_e32 v9, v59
	s_delay_alu instid0(VALU_DEP_2) | instskip(NEXT) | instid1(VALU_DEP_2)
	v_lshlrev_b64 v[5:6], 1, v[5:6]
	v_add_f32_e32 v7, v7, v9
	s_delay_alu instid0(VALU_DEP_1) | instskip(NEXT) | instid1(VALU_DEP_3)
	v_cvt_f16_f32_e32 v7, v7
	v_add_co_u32 v5, s4, s6, v5
	s_delay_alu instid0(VALU_DEP_1)
	v_add_co_ci_u32_e64 v6, s4, s7, v6, s4
	global_store_b16 v[5:6], v7, off
	s_or_b32 exec_lo, exec_lo, s43
	s_and_saveexec_b32 s43, s3
	s_cbranch_execz .LBB157_47
.LBB157_72:                             ;   in Loop: Header=BB157_12 Depth=1
	s_waitcnt lgkmcnt(8)
	v_dual_add_f32 v7, v32, v36 :: v_dual_mov_b32 v6, v78
	v_add_nc_u32_e32 v5, 3, v77
	s_waitcnt vmcnt(8)
	v_cvt_f32_f16_e32 v9, v57
	s_delay_alu instid0(VALU_DEP_2) | instskip(NEXT) | instid1(VALU_DEP_2)
	v_lshlrev_b64 v[5:6], 1, v[5:6]
	v_add_f32_e32 v7, v7, v9
	s_delay_alu instid0(VALU_DEP_1) | instskip(NEXT) | instid1(VALU_DEP_3)
	v_cvt_f16_f32_e32 v7, v7
	v_add_co_u32 v5, s4, s6, v5
	s_delay_alu instid0(VALU_DEP_1)
	v_add_co_ci_u32_e64 v6, s4, s7, v6, s4
	global_store_b16 v[5:6], v7, off
	s_or_b32 exec_lo, exec_lo, s43
	v_add_nc_u32_e32 v77, s19, v77
	s_and_saveexec_b32 s43, vcc_lo
	s_cbranch_execz .LBB157_48
.LBB157_73:                             ;   in Loop: Header=BB157_12 Depth=1
	s_waitcnt lgkmcnt(14)
	v_add_f32_e32 v5, v24, v27
	s_waitcnt vmcnt(7)
	v_cvt_f32_f16_e32 v6, v55
	s_delay_alu instid0(VALU_DEP_1) | instskip(SKIP_1) | instid1(VALU_DEP_2)
	v_add_f32_e32 v7, v5, v6
	v_lshlrev_b64 v[5:6], 1, v[77:78]
	v_cvt_f16_f32_e32 v7, v7
	s_delay_alu instid0(VALU_DEP_2) | instskip(NEXT) | instid1(VALU_DEP_1)
	v_add_co_u32 v5, s4, s6, v5
	v_add_co_ci_u32_e64 v6, s4, s7, v6, s4
	global_store_b16 v[5:6], v7, off
	s_or_b32 exec_lo, exec_lo, s43
	s_and_saveexec_b32 s43, s1
	s_cbranch_execz .LBB157_49
.LBB157_74:                             ;   in Loop: Header=BB157_12 Depth=1
	s_waitcnt lgkmcnt(7)
	v_dual_add_f32 v7, v19, v23 :: v_dual_mov_b32 v6, v78
	v_add_nc_u32_e32 v5, 1, v77
	s_waitcnt vmcnt(6)
	v_cvt_f32_f16_e32 v9, v53
	s_delay_alu instid0(VALU_DEP_2) | instskip(NEXT) | instid1(VALU_DEP_2)
	v_lshlrev_b64 v[5:6], 1, v[5:6]
	v_add_f32_e32 v7, v7, v9
	s_delay_alu instid0(VALU_DEP_1) | instskip(NEXT) | instid1(VALU_DEP_3)
	v_cvt_f16_f32_e32 v7, v7
	v_add_co_u32 v5, s4, s6, v5
	s_delay_alu instid0(VALU_DEP_1)
	v_add_co_ci_u32_e64 v6, s4, s7, v6, s4
	global_store_b16 v[5:6], v7, off
	s_or_b32 exec_lo, exec_lo, s43
	s_and_saveexec_b32 s43, s2
	s_cbranch_execz .LBB157_50
.LBB157_75:                             ;   in Loop: Header=BB157_12 Depth=1
	v_dual_mov_b32 v6, v78 :: v_dual_add_nc_u32 v5, 2, v77
	s_waitcnt lgkmcnt(13)
	v_add_f32_e32 v7, v10, v14
	s_waitcnt vmcnt(5)
	v_cvt_f32_f16_e32 v9, v52
	v_lshlrev_b64 v[5:6], 1, v[5:6]
	s_delay_alu instid0(VALU_DEP_2) | instskip(NEXT) | instid1(VALU_DEP_2)
	v_add_f32_e32 v7, v7, v9
	v_add_co_u32 v5, s4, s6, v5
	s_delay_alu instid0(VALU_DEP_2) | instskip(NEXT) | instid1(VALU_DEP_4)
	v_cvt_f16_f32_e32 v7, v7
	v_add_co_ci_u32_e64 v6, s4, s7, v6, s4
	global_store_b16 v[5:6], v7, off
	s_or_b32 exec_lo, exec_lo, s43
	s_and_saveexec_b32 s43, s3
	s_cbranch_execz .LBB157_51
.LBB157_76:                             ;   in Loop: Header=BB157_12 Depth=1
	s_waitcnt lgkmcnt(4)
	v_dual_add_f32 v7, v39, v43 :: v_dual_mov_b32 v6, v78
	v_add_nc_u32_e32 v5, 3, v77
	s_waitcnt vmcnt(4)
	v_cvt_f32_f16_e32 v9, v51
	s_delay_alu instid0(VALU_DEP_2) | instskip(NEXT) | instid1(VALU_DEP_2)
	v_lshlrev_b64 v[5:6], 1, v[5:6]
	v_add_f32_e32 v7, v7, v9
	s_delay_alu instid0(VALU_DEP_1) | instskip(NEXT) | instid1(VALU_DEP_3)
	v_cvt_f16_f32_e32 v7, v7
	v_add_co_u32 v5, s4, s6, v5
	s_delay_alu instid0(VALU_DEP_1)
	v_add_co_ci_u32_e64 v6, s4, s7, v6, s4
	global_store_b16 v[5:6], v7, off
	s_or_b32 exec_lo, exec_lo, s43
	v_add_nc_u32_e32 v77, s19, v77
	s_and_saveexec_b32 s4, vcc_lo
	s_cbranch_execz .LBB157_52
.LBB157_77:                             ;   in Loop: Header=BB157_12 Depth=1
	s_waitcnt lgkmcnt(2)
	v_add_f32_e32 v5, v31, v35
	s_waitcnt vmcnt(3)
	v_cvt_f32_f16_e32 v6, v50
	s_delay_alu instid0(VALU_DEP_1) | instskip(SKIP_1) | instid1(VALU_DEP_2)
	v_add_f32_e32 v7, v5, v6
	v_lshlrev_b64 v[5:6], 1, v[77:78]
	v_cvt_f16_f32_e32 v7, v7
	s_delay_alu instid0(VALU_DEP_2) | instskip(NEXT) | instid1(VALU_DEP_3)
	v_add_co_u32 v5, vcc_lo, s6, v5
	v_add_co_ci_u32_e32 v6, vcc_lo, s7, v6, vcc_lo
	global_store_b16 v[5:6], v7, off
	s_or_b32 exec_lo, exec_lo, s4
	s_and_saveexec_b32 s4, s1
	s_cbranch_execz .LBB157_53
.LBB157_78:                             ;   in Loop: Header=BB157_12 Depth=1
	s_waitcnt lgkmcnt(1)
	v_dual_add_f32 v7, v25, v28 :: v_dual_mov_b32 v6, v78
	v_add_nc_u32_e32 v5, 1, v77
	s_waitcnt vmcnt(2)
	v_cvt_f32_f16_e32 v9, v49
	s_delay_alu instid0(VALU_DEP_2) | instskip(NEXT) | instid1(VALU_DEP_2)
	v_lshlrev_b64 v[5:6], 1, v[5:6]
	v_add_f32_e32 v7, v7, v9
	s_delay_alu instid0(VALU_DEP_1) | instskip(NEXT) | instid1(VALU_DEP_3)
	v_cvt_f16_f32_e32 v7, v7
	v_add_co_u32 v5, vcc_lo, s6, v5
	s_delay_alu instid0(VALU_DEP_4)
	v_add_co_ci_u32_e32 v6, vcc_lo, s7, v6, vcc_lo
	global_store_b16 v[5:6], v7, off
	s_or_b32 exec_lo, exec_lo, s4
	s_and_saveexec_b32 s1, s2
	s_cbranch_execz .LBB157_54
.LBB157_79:                             ;   in Loop: Header=BB157_12 Depth=1
	s_waitcnt lgkmcnt(3)
	v_dual_add_f32 v7, v17, v21 :: v_dual_mov_b32 v6, v78
	v_add_nc_u32_e32 v5, 2, v77
	s_waitcnt vmcnt(1)
	v_cvt_f32_f16_e32 v9, v48
	s_delay_alu instid0(VALU_DEP_2) | instskip(NEXT) | instid1(VALU_DEP_2)
	v_lshlrev_b64 v[5:6], 1, v[5:6]
	v_add_f32_e32 v7, v7, v9
	s_delay_alu instid0(VALU_DEP_1) | instskip(NEXT) | instid1(VALU_DEP_3)
	v_cvt_f16_f32_e32 v7, v7
	v_add_co_u32 v5, vcc_lo, s6, v5
	s_delay_alu instid0(VALU_DEP_4) | instskip(SKIP_2) | instid1(SALU_CYCLE_1)
	v_add_co_ci_u32_e32 v6, vcc_lo, s7, v6, vcc_lo
	global_store_b16 v[5:6], v7, off
	s_or_b32 exec_lo, exec_lo, s1
	s_and_b32 exec_lo, exec_lo, s3
	s_cbranch_execnz .LBB157_55
	s_branch .LBB157_56
.LBB157_80:
	s_nop 0
	s_sendmsg sendmsg(MSG_DEALLOC_VGPRS)
	s_endpgm
	.section	.rodata,"a",@progbits
	.p2align	6, 0x0
	.amdhsa_kernel _Z16wvSplitK_hf_big_I6__halfLi64ELi4ELi16ELi8ELi2ELi5EEviiiiiiPKT_S3_S3_PS1_ii
		.amdhsa_group_segment_fixed_size 65536
		.amdhsa_private_segment_fixed_size 0
		.amdhsa_kernarg_size 64
		.amdhsa_user_sgpr_count 15
		.amdhsa_user_sgpr_dispatch_ptr 0
		.amdhsa_user_sgpr_queue_ptr 0
		.amdhsa_user_sgpr_kernarg_segment_ptr 1
		.amdhsa_user_sgpr_dispatch_id 0
		.amdhsa_user_sgpr_private_segment_size 0
		.amdhsa_wavefront_size32 1
		.amdhsa_uses_dynamic_stack 0
		.amdhsa_enable_private_segment 0
		.amdhsa_system_sgpr_workgroup_id_x 1
		.amdhsa_system_sgpr_workgroup_id_y 0
		.amdhsa_system_sgpr_workgroup_id_z 0
		.amdhsa_system_sgpr_workgroup_info 0
		.amdhsa_system_vgpr_workitem_id 1
		.amdhsa_next_free_vgpr 120
		.amdhsa_next_free_sgpr 46
		.amdhsa_reserve_vcc 1
		.amdhsa_float_round_mode_32 0
		.amdhsa_float_round_mode_16_64 0
		.amdhsa_float_denorm_mode_32 3
		.amdhsa_float_denorm_mode_16_64 3
		.amdhsa_dx10_clamp 1
		.amdhsa_ieee_mode 1
		.amdhsa_fp16_overflow 0
		.amdhsa_workgroup_processor_mode 1
		.amdhsa_memory_ordered 1
		.amdhsa_forward_progress 0
		.amdhsa_shared_vgpr_count 0
		.amdhsa_exception_fp_ieee_invalid_op 0
		.amdhsa_exception_fp_denorm_src 0
		.amdhsa_exception_fp_ieee_div_zero 0
		.amdhsa_exception_fp_ieee_overflow 0
		.amdhsa_exception_fp_ieee_underflow 0
		.amdhsa_exception_fp_ieee_inexact 0
		.amdhsa_exception_int_div_zero 0
	.end_amdhsa_kernel
	.section	.text._Z16wvSplitK_hf_big_I6__halfLi64ELi4ELi16ELi8ELi2ELi5EEviiiiiiPKT_S3_S3_PS1_ii,"axG",@progbits,_Z16wvSplitK_hf_big_I6__halfLi64ELi4ELi16ELi8ELi2ELi5EEviiiiiiPKT_S3_S3_PS1_ii,comdat
.Lfunc_end157:
	.size	_Z16wvSplitK_hf_big_I6__halfLi64ELi4ELi16ELi8ELi2ELi5EEviiiiiiPKT_S3_S3_PS1_ii, .Lfunc_end157-_Z16wvSplitK_hf_big_I6__halfLi64ELi4ELi16ELi8ELi2ELi5EEviiiiiiPKT_S3_S3_PS1_ii
                                        ; -- End function
	.section	.AMDGPU.csdata,"",@progbits
; Kernel info:
; codeLenInByte = 10644
; NumSgprs: 48
; NumVgprs: 120
; ScratchSize: 0
; MemoryBound: 0
; FloatMode: 240
; IeeeMode: 1
; LDSByteSize: 65536 bytes/workgroup (compile time only)
; SGPRBlocks: 5
; VGPRBlocks: 14
; NumSGPRsForWavesPerEU: 48
; NumVGPRsForWavesPerEU: 120
; Occupancy: 12
; WaveLimiterHint : 0
; COMPUTE_PGM_RSRC2:SCRATCH_EN: 0
; COMPUTE_PGM_RSRC2:USER_SGPR: 15
; COMPUTE_PGM_RSRC2:TRAP_HANDLER: 0
; COMPUTE_PGM_RSRC2:TGID_X_EN: 1
; COMPUTE_PGM_RSRC2:TGID_Y_EN: 0
; COMPUTE_PGM_RSRC2:TGID_Z_EN: 0
; COMPUTE_PGM_RSRC2:TIDIG_COMP_CNT: 1
	.section	.text._Z16wvSplitK_hf_sml_I14__hip_bfloat16Li32ELi1ELi16ELi8ELi4ELi1EEviiiiiiPKT_S3_S3_PS1_ii,"axG",@progbits,_Z16wvSplitK_hf_sml_I14__hip_bfloat16Li32ELi1ELi16ELi8ELi4ELi1EEviiiiiiPKT_S3_S3_PS1_ii,comdat
	.protected	_Z16wvSplitK_hf_sml_I14__hip_bfloat16Li32ELi1ELi16ELi8ELi4ELi1EEviiiiiiPKT_S3_S3_PS1_ii ; -- Begin function _Z16wvSplitK_hf_sml_I14__hip_bfloat16Li32ELi1ELi16ELi8ELi4ELi1EEviiiiiiPKT_S3_S3_PS1_ii
	.globl	_Z16wvSplitK_hf_sml_I14__hip_bfloat16Li32ELi1ELi16ELi8ELi4ELi1EEviiiiiiPKT_S3_S3_PS1_ii
	.p2align	8
	.type	_Z16wvSplitK_hf_sml_I14__hip_bfloat16Li32ELi1ELi16ELi8ELi4ELi1EEviiiiiiPKT_S3_S3_PS1_ii,@function
_Z16wvSplitK_hf_sml_I14__hip_bfloat16Li32ELi1ELi16ELi8ELi4ELi1EEviiiiiiPKT_S3_S3_PS1_ii: ; @_Z16wvSplitK_hf_sml_I14__hip_bfloat16Li32ELi1ELi16ELi8ELi4ELi1EEviiiiiiPKT_S3_S3_PS1_ii
; %bb.0:
	s_load_b128 s[4:7], s[0:1], 0x0
	v_and_b32_e32 v1, 0x3ff, v0
	v_bfe_u32 v0, v0, 10, 10
	s_delay_alu instid0(VALU_DEP_2) | instskip(NEXT) | instid1(VALU_DEP_1)
	v_lshlrev_b32_e32 v35, 3, v1
	v_lshl_add_u32 v3, v0, 8, v35
	s_waitcnt lgkmcnt(0)
	s_min_u32 s8, s6, 0x8000
	s_mov_b32 s6, exec_lo
	s_delay_alu instid0(VALU_DEP_1)
	v_cmpx_gt_u32_e64 s8, v3
	s_cbranch_execz .LBB158_9
; %bb.1:
	s_load_b64 s[2:3], s[0:1], 0x20
	v_lshlrev_b32_e32 v2, 1, v3
	v_add_nc_u32_e32 v8, 0x1000, v3
	s_mov_b32 s9, exec_lo
	s_waitcnt lgkmcnt(0)
	global_load_b128 v[4:7], v2, s[2:3]
	s_waitcnt vmcnt(0)
	ds_store_b128 v2, v[4:7]
	v_cmpx_gt_u32_e64 s8, v8
	s_xor_b32 s9, exec_lo, s9
	s_cbranch_execz .LBB158_9
; %bb.2:
	v_add_co_u32 v4, s2, s2, v2
	s_delay_alu instid0(VALU_DEP_1) | instskip(SKIP_1) | instid1(VALU_DEP_3)
	v_add_co_ci_u32_e64 v5, null, s3, 0, s2
	v_add_nc_u32_e32 v10, 0x2000, v3
	v_add_co_u32 v6, vcc_lo, 0x2000, v4
	s_delay_alu instid0(VALU_DEP_3)
	v_add_co_ci_u32_e32 v7, vcc_lo, 0, v5, vcc_lo
	s_mov_b32 s2, exec_lo
	global_load_b128 v[6:9], v[6:7], off
	s_waitcnt vmcnt(0)
	ds_store_b128 v2, v[6:9] offset:8192
	v_cmpx_gt_u32_e64 s8, v10
	s_xor_b32 s2, exec_lo, s2
	s_cbranch_execz .LBB158_9
; %bb.3:
	v_add_co_u32 v6, vcc_lo, 0x4000, v4
	v_add_co_ci_u32_e32 v7, vcc_lo, 0, v5, vcc_lo
	v_add_nc_u32_e32 v10, 0x3000, v3
	s_mov_b32 s2, exec_lo
	global_load_b128 v[6:9], v[6:7], off
	s_waitcnt vmcnt(0)
	ds_store_b128 v2, v[6:9] offset:16384
	v_cmpx_gt_u32_e64 s8, v10
	s_xor_b32 s2, exec_lo, s2
	s_cbranch_execz .LBB158_9
; %bb.4:
	v_add_co_u32 v6, vcc_lo, 0x6000, v4
	v_add_co_ci_u32_e32 v7, vcc_lo, 0, v5, vcc_lo
	v_add_nc_u32_e32 v10, 0x4000, v3
	;; [unrolled: 11-line block ×5, first 2 shown]
	s_mov_b32 s2, exec_lo
	global_load_b128 v[6:9], v[6:7], off
	s_waitcnt vmcnt(0)
	ds_store_b128 v2, v[6:9] offset:49152
	v_cmpx_gt_u32_e64 s8, v3
	s_xor_b32 s2, exec_lo, s2
	s_cbranch_execz .LBB158_9
; %bb.8:
	v_add_co_u32 v3, vcc_lo, 0xe000, v4
	v_add_co_ci_u32_e32 v4, vcc_lo, 0, v5, vcc_lo
	global_load_b128 v[3:6], v[3:4], off
	s_waitcnt vmcnt(0)
	ds_store_b128 v2, v[3:6] offset:57344
.LBB158_9:
	s_or_b32 exec_lo, exec_lo, s6
	s_load_b64 s[12:13], s[0:1], 0x38
	s_waitcnt lgkmcnt(0)
	s_barrier
	buffer_gl0_inv
	s_mov_b32 s2, exec_lo
	v_cmpx_gt_u32_e64 s12, v0
	s_cbranch_execz .LBB158_33
; %bb.10:
	s_load_b32 s6, s[0:1], 0x10
	v_mad_u64_u32 v[32:33], null, s15, s12, v[0:1]
	s_delay_alu instid0(VALU_DEP_1)
	v_cmp_gt_u32_e32 vcc_lo, s7, v32
	s_and_b32 exec_lo, exec_lo, vcc_lo
	s_cbranch_execz .LBB158_33
; %bb.11:
	s_waitcnt lgkmcnt(0)
	v_cvt_f32_u32_e32 v0, s6
	v_mbcnt_lo_u32_b32 v2, -1, 0
	s_clause 0x1
	s_load_b128 s[8:11], s[0:1], 0x28
	s_load_b64 s[2:3], s[0:1], 0x18
	s_cmp_lg_u32 s4, 0
	v_rcp_iflag_f32_e32 v0, v0
	v_xor_b32_e32 v4, 16, v2
	s_cselect_b32 s1, -1, 0
	s_add_i32 s14, s4, -8
	s_add_i32 s15, s7, -1
	v_mov_b32_e32 v34, 0
	v_cmp_gt_i32_e32 vcc_lo, 32, v4
	v_lshlrev_b32_e32 v36, 4, v1
	s_mov_b32 s17, 0
	s_mul_i32 s12, s13, s12
	v_cndmask_b32_e32 v2, v2, v4, vcc_lo
	s_waitcnt_depctr 0xfff
	v_dual_mul_f32 v0, 0x4f7ffffe, v0 :: v_dual_lshlrev_b32 v37, 2, v2
	s_delay_alu instid0(VALU_DEP_1) | instskip(SKIP_4) | instid1(SALU_CYCLE_1)
	v_cvt_u32_f32_e32 v0, v0
	s_waitcnt lgkmcnt(0)
	s_cmp_lg_u64 s[8:9], 0
	s_cselect_b32 s16, -1, 0
	s_sub_i32 s0, 0, s6
	v_mul_lo_u32 v3, s0, v0
	v_cmp_eq_u32_e64 s0, 31, v1
	s_delay_alu instid0(VALU_DEP_2) | instskip(NEXT) | instid1(VALU_DEP_1)
	v_mul_hi_u32 v3, v0, v3
	v_add_nc_u32_e32 v38, v0, v3
	s_branch .LBB158_14
.LBB158_12:                             ;   in Loop: Header=BB158_14 Depth=1
	s_or_b32 exec_lo, exec_lo, s18
	v_mov_b32_e32 v33, v34
	s_delay_alu instid0(VALU_DEP_1) | instskip(NEXT) | instid1(VALU_DEP_1)
	v_lshlrev_b64 v[1:2], 1, v[32:33]
	v_add_co_u32 v1, vcc_lo, s10, v1
	s_delay_alu instid0(VALU_DEP_2)
	v_add_co_ci_u32_e32 v2, vcc_lo, s11, v2, vcc_lo
	global_store_d16_hi_b16 v[1:2], v0, off
.LBB158_13:                             ;   in Loop: Header=BB158_14 Depth=1
	s_or_b32 exec_lo, exec_lo, s13
	v_add_nc_u32_e32 v32, s12, v32
	s_delay_alu instid0(VALU_DEP_1) | instskip(SKIP_1) | instid1(SALU_CYCLE_1)
	v_cmp_le_u32_e32 vcc_lo, s7, v32
	s_or_b32 s17, vcc_lo, s17
	s_and_not1_b32 exec_lo, exec_lo, s17
	s_cbranch_execz .LBB158_33
.LBB158_14:                             ; =>This Loop Header: Depth=1
                                        ;     Child Loop BB158_20 Depth 2
	v_mov_b32_e32 v42, v34
	s_and_not1_b32 vcc_lo, exec_lo, s1
	s_cbranch_vccnz .LBB158_25
; %bb.15:                               ;   in Loop: Header=BB158_14 Depth=1
	v_min_u32_e32 v0, s15, v32
	v_dual_mov_b32 v42, 0 :: v_dual_mov_b32 v41, v36
	s_mov_b32 s13, 0
	s_delay_alu instid0(VALU_DEP_2) | instskip(SKIP_1) | instid1(VALU_DEP_1)
	v_mul_lo_u32 v33, v0, s5
	s_waitcnt lgkmcnt(0)
	v_lshlrev_b64 v[0:1], 1, v[33:34]
	s_delay_alu instid0(VALU_DEP_1) | instskip(NEXT) | instid1(VALU_DEP_2)
	v_add_co_u32 v39, vcc_lo, s2, v0
	v_add_co_ci_u32_e32 v40, vcc_lo, s3, v1, vcc_lo
	s_branch .LBB158_20
.LBB158_16:                             ;   in Loop: Header=BB158_20 Depth=2
	s_or_b32 exec_lo, exec_lo, s21
.LBB158_17:                             ;   in Loop: Header=BB158_20 Depth=2
	s_delay_alu instid0(SALU_CYCLE_1)
	s_or_b32 exec_lo, exec_lo, s20
.LBB158_18:                             ;   in Loop: Header=BB158_20 Depth=2
	s_delay_alu instid0(SALU_CYCLE_1)
	s_or_b32 exec_lo, exec_lo, s19
.LBB158_19:                             ;   in Loop: Header=BB158_20 Depth=2
	s_delay_alu instid0(SALU_CYCLE_1)
	s_or_b32 exec_lo, exec_lo, s18
	s_waitcnt lgkmcnt(0)
	v_and_b32_e32 v33, 0xffff0000, v28
	s_waitcnt vmcnt(3)
	v_and_b32_e32 v43, 0xffff0000, v24
	v_lshlrev_b32_e32 v28, 16, v28
	v_and_b32_e32 v45, 0xffff0000, v25
	s_addk_i32 s13, 0x400
	v_add_nc_u32_e32 v41, 0x800, v41
	v_dual_mul_f32 v33, v33, v43 :: v_dual_and_b32 v44, 0xffff0000, v29
	v_lshlrev_b32_e32 v24, 16, v24
	s_cmp_ge_u32 s13, s4
	s_delay_alu instid0(VALU_DEP_2) | instskip(NEXT) | instid1(VALU_DEP_2)
	v_mul_f32_e32 v43, v44, v45
	v_dual_fmac_f32 v33, v28, v24 :: v_dual_and_b32 v24, 0xffff0000, v30
	v_and_b32_e32 v28, 0xffff0000, v26
	v_lshlrev_b32_e32 v30, 16, v30
	v_lshlrev_b32_e32 v26, 16, v26
	s_delay_alu instid0(VALU_DEP_3) | instskip(NEXT) | instid1(VALU_DEP_1)
	v_mul_f32_e32 v24, v24, v28
	v_dual_fmac_f32 v24, v30, v26 :: v_dual_lshlrev_b32 v29, 16, v29
	v_lshlrev_b32_e32 v26, 16, v31
	v_lshlrev_b32_e32 v25, 16, v25
	s_waitcnt vmcnt(2)
	v_and_b32_e32 v30, 0xffff0000, v16
	v_and_b32_e32 v28, 0xffff0000, v31
	s_delay_alu instid0(VALU_DEP_3) | instskip(SKIP_1) | instid1(VALU_DEP_1)
	v_dual_fmac_f32 v43, v29, v25 :: v_dual_lshlrev_b32 v16, 16, v16
	v_add_f32_e32 v25, v42, v33
	v_add_f32_e32 v25, v25, v43
	s_delay_alu instid0(VALU_DEP_1) | instskip(NEXT) | instid1(VALU_DEP_1)
	v_dual_add_f32 v24, v25, v24 :: v_dual_and_b32 v29, 0xffff0000, v27
	v_dual_mul_f32 v28, v28, v29 :: v_dual_and_b32 v29, 0xffff0000, v20
	s_delay_alu instid0(VALU_DEP_1) | instskip(NEXT) | instid1(VALU_DEP_1)
	v_dual_mul_f32 v25, v29, v30 :: v_dual_lshlrev_b32 v20, 16, v20
	v_fmac_f32_e32 v25, v20, v16
	v_lshlrev_b32_e32 v27, 16, v27
	v_lshlrev_b32_e32 v16, 16, v21
	s_delay_alu instid0(VALU_DEP_2) | instskip(SKIP_2) | instid1(VALU_DEP_3)
	v_fmac_f32_e32 v28, v26, v27
	v_and_b32_e32 v26, 0xffff0000, v21
	v_and_b32_e32 v21, 0xffff0000, v22
	v_dual_add_f32 v24, v24, v28 :: v_dual_and_b32 v27, 0xffff0000, v17
	s_delay_alu instid0(VALU_DEP_1) | instskip(SKIP_1) | instid1(VALU_DEP_3)
	v_mul_f32_e32 v20, v26, v27
	v_and_b32_e32 v26, 0xffff0000, v18
	v_add_f32_e32 v24, v24, v25
	v_lshlrev_b32_e32 v17, 16, v17
	s_delay_alu instid0(VALU_DEP_1)
	v_fmac_f32_e32 v20, v16, v17
	v_lshlrev_b32_e32 v16, 16, v22
	v_lshlrev_b32_e32 v17, 16, v18
	v_dual_mul_f32 v18, v21, v26 :: v_dual_and_b32 v21, 0xffff0000, v23
	v_and_b32_e32 v22, 0xffff0000, v19
	v_add_f32_e32 v20, v24, v20
	s_delay_alu instid0(VALU_DEP_3)
	v_fmac_f32_e32 v18, v16, v17
	v_lshlrev_b32_e32 v16, 16, v23
	v_lshlrev_b32_e32 v17, 16, v19
	s_waitcnt vmcnt(1)
	v_dual_mul_f32 v19, v21, v22 :: v_dual_and_b32 v22, 0xffff0000, v8
	v_add_f32_e32 v18, v20, v18
	v_and_b32_e32 v20, 0xffff0000, v9
	v_lshlrev_b32_e32 v9, 16, v9
	v_and_b32_e32 v21, 0xffff0000, v12
	v_dual_fmac_f32 v19, v16, v17 :: v_dual_lshlrev_b32 v12, 16, v12
	v_lshlrev_b32_e32 v8, 16, v8
	s_delay_alu instid0(VALU_DEP_3) | instskip(NEXT) | instid1(VALU_DEP_3)
	v_dual_mul_f32 v16, v21, v22 :: v_dual_and_b32 v17, 0xffff0000, v13
	v_add_f32_e32 v18, v18, v19
	s_delay_alu instid0(VALU_DEP_2) | instskip(SKIP_1) | instid1(VALU_DEP_4)
	v_fmac_f32_e32 v16, v12, v8
	v_lshlrev_b32_e32 v8, 16, v13
	v_dual_mul_f32 v12, v17, v20 :: v_dual_and_b32 v13, 0xffff0000, v14
	s_delay_alu instid0(VALU_DEP_3) | instskip(NEXT) | instid1(VALU_DEP_2)
	v_dual_add_f32 v16, v18, v16 :: v_dual_and_b32 v17, 0xffff0000, v10
	v_fmac_f32_e32 v12, v8, v9
	v_lshlrev_b32_e32 v8, 16, v14
	s_delay_alu instid0(VALU_DEP_3) | instskip(NEXT) | instid1(VALU_DEP_3)
	v_dual_mul_f32 v10, v13, v17 :: v_dual_lshlrev_b32 v9, 16, v10
	v_dual_add_f32 v12, v16, v12 :: v_dual_and_b32 v13, 0xffff0000, v15
	v_and_b32_e32 v14, 0xffff0000, v11
	s_delay_alu instid0(VALU_DEP_3) | instskip(NEXT) | instid1(VALU_DEP_2)
	v_dual_fmac_f32 v10, v8, v9 :: v_dual_lshlrev_b32 v9, 16, v11
	v_dual_mul_f32 v11, v13, v14 :: v_dual_lshlrev_b32 v8, 16, v15
	s_delay_alu instid0(VALU_DEP_2) | instskip(SKIP_2) | instid1(VALU_DEP_3)
	v_dual_add_f32 v10, v12, v10 :: v_dual_and_b32 v13, 0xffff0000, v4
	s_waitcnt vmcnt(0)
	v_and_b32_e32 v14, 0xffff0000, v0
	v_dual_fmac_f32 v11, v8, v9 :: v_dual_lshlrev_b32 v4, 16, v4
	v_lshlrev_b32_e32 v0, 16, v0
	s_delay_alu instid0(VALU_DEP_3) | instskip(SKIP_1) | instid1(VALU_DEP_4)
	v_dual_mul_f32 v8, v13, v14 :: v_dual_and_b32 v9, 0xffff0000, v5
	v_and_b32_e32 v12, 0xffff0000, v1
	v_dual_add_f32 v10, v10, v11 :: v_dual_lshlrev_b32 v1, 16, v1
	s_delay_alu instid0(VALU_DEP_3) | instskip(SKIP_1) | instid1(VALU_DEP_4)
	v_fmac_f32_e32 v8, v4, v0
	v_lshlrev_b32_e32 v0, 16, v5
	v_dual_mul_f32 v4, v9, v12 :: v_dual_and_b32 v5, 0xffff0000, v6
	s_delay_alu instid0(VALU_DEP_3) | instskip(NEXT) | instid1(VALU_DEP_2)
	v_dual_add_f32 v8, v10, v8 :: v_dual_and_b32 v9, 0xffff0000, v2
	v_fmac_f32_e32 v4, v0, v1
	v_lshlrev_b32_e32 v0, 16, v6
	s_delay_alu instid0(VALU_DEP_3) | instskip(SKIP_3) | instid1(VALU_DEP_4)
	v_dual_mul_f32 v2, v5, v9 :: v_dual_lshlrev_b32 v1, 16, v2
	v_and_b32_e32 v5, 0xffff0000, v7
	v_and_b32_e32 v6, 0xffff0000, v3
	v_add_f32_e32 v4, v8, v4
	v_fmac_f32_e32 v2, v0, v1
	v_lshlrev_b32_e32 v0, 16, v7
	v_lshlrev_b32_e32 v1, 16, v3
	v_mul_f32_e32 v3, v5, v6
	s_delay_alu instid0(VALU_DEP_4) | instskip(NEXT) | instid1(VALU_DEP_2)
	v_add_f32_e32 v2, v4, v2
	v_fmac_f32_e32 v3, v0, v1
	s_delay_alu instid0(VALU_DEP_1)
	v_add_f32_e32 v42, v2, v3
	s_cbranch_scc1 .LBB158_25
.LBB158_20:                             ;   Parent Loop BB158_14 Depth=1
                                        ; =>  This Inner Loop Header: Depth=2
	v_dual_mov_b32 v15, 0 :: v_dual_add_nc_u32 v12, s13, v35
	v_dual_mov_b32 v14, 0 :: v_dual_mov_b32 v13, 0
	v_dual_mov_b32 v23, 0 :: v_dual_mov_b32 v22, 0
	s_delay_alu instid0(VALU_DEP_3)
	v_min_u32_e32 v33, s14, v12
	v_add_nc_u32_e32 v45, 0x100, v12
	v_add_nc_u32_e32 v44, 0x200, v12
	;; [unrolled: 1-line block ×3, first 2 shown]
	v_dual_mov_b32 v21, 0 :: v_dual_mov_b32 v20, 0
	v_lshlrev_b64 v[0:1], 1, v[33:34]
	v_min_u32_e32 v33, s14, v45
	v_dual_mov_b32 v31, 0 :: v_dual_mov_b32 v30, 0
	v_dual_mov_b32 v29, 0 :: v_dual_mov_b32 v28, 0
	s_delay_alu instid0(VALU_DEP_3) | instskip(SKIP_3) | instid1(VALU_DEP_3)
	v_lshlrev_b64 v[2:3], 1, v[33:34]
	v_min_u32_e32 v33, s14, v44
	v_add_co_u32 v0, vcc_lo, v39, v0
	v_add_co_ci_u32_e32 v1, vcc_lo, v40, v1, vcc_lo
	v_lshlrev_b64 v[4:5], 1, v[33:34]
	v_min_u32_e32 v33, s14, v43
	v_add_co_u32 v2, vcc_lo, v39, v2
	v_add_co_ci_u32_e32 v3, vcc_lo, v40, v3, vcc_lo
	s_delay_alu instid0(VALU_DEP_3) | instskip(SKIP_2) | instid1(VALU_DEP_3)
	v_lshlrev_b64 v[6:7], 1, v[33:34]
	v_add_co_u32 v4, vcc_lo, v39, v4
	v_add_co_ci_u32_e32 v5, vcc_lo, v40, v5, vcc_lo
	v_add_co_u32 v6, vcc_lo, v39, v6
	s_delay_alu instid0(VALU_DEP_4)
	v_add_co_ci_u32_e32 v7, vcc_lo, v40, v7, vcc_lo
	s_clause 0x3
	global_load_b128 v[24:27], v[0:1], off slc dlc
	global_load_b128 v[16:19], v[2:3], off slc dlc
	;; [unrolled: 1-line block ×4, first 2 shown]
	v_mov_b32_e32 v7, 0
	v_cmp_gt_u32_e32 vcc_lo, s4, v12
	v_dual_mov_b32 v6, 0 :: v_dual_mov_b32 v5, 0
	v_mov_b32_e32 v4, 0
	v_mov_b32_e32 v12, 0
	s_and_saveexec_b32 s18, vcc_lo
	s_cbranch_execz .LBB158_19
; %bb.21:                               ;   in Loop: Header=BB158_20 Depth=2
	ds_load_b128 v[28:31], v41
	v_dual_mov_b32 v20, 0 :: v_dual_mov_b32 v21, 0
	v_dual_mov_b32 v22, 0 :: v_dual_mov_b32 v23, 0
	;; [unrolled: 1-line block ×6, first 2 shown]
	s_mov_b32 s19, exec_lo
	v_cmpx_gt_u32_e64 s4, v45
	s_cbranch_execz .LBB158_18
; %bb.22:                               ;   in Loop: Header=BB158_20 Depth=2
	ds_load_b128 v[20:23], v41 offset:512
	v_dual_mov_b32 v12, 0 :: v_dual_mov_b32 v13, 0
	v_dual_mov_b32 v14, 0 :: v_dual_mov_b32 v15, 0
	;; [unrolled: 1-line block ×4, first 2 shown]
	s_mov_b32 s20, exec_lo
	v_cmpx_gt_u32_e64 s4, v44
	s_cbranch_execz .LBB158_17
; %bb.23:                               ;   in Loop: Header=BB158_20 Depth=2
	ds_load_b128 v[12:15], v41 offset:1024
	v_dual_mov_b32 v4, 0 :: v_dual_mov_b32 v5, 0
	v_dual_mov_b32 v6, 0 :: v_dual_mov_b32 v7, 0
	s_mov_b32 s21, exec_lo
	v_cmpx_gt_u32_e64 s4, v43
	s_cbranch_execz .LBB158_16
; %bb.24:                               ;   in Loop: Header=BB158_20 Depth=2
	ds_load_b128 v[4:7], v41 offset:1536
	s_branch .LBB158_16
.LBB158_25:                             ;   in Loop: Header=BB158_14 Depth=1
	; sched_barrier mask(0x00000000)
	s_delay_alu instid0(VALU_DEP_1) | instskip(NEXT) | instid1(VALU_DEP_1)
	v_cvt_i32_f32_e32 v0, v42
	v_cvt_f32_i32_dpp v0, v0 row_shr:8 row_mask:0xf bank_mask:0xf bound_ctrl:1
	s_delay_alu instid0(VALU_DEP_1) | instskip(SKIP_1) | instid1(VALU_DEP_1)
	v_add_f32_e32 v0, v42, v0
	s_waitcnt lgkmcnt(0)
	v_cvt_i32_f32_e32 v1, v0
	s_delay_alu instid0(VALU_DEP_1) | instskip(NEXT) | instid1(VALU_DEP_1)
	v_cvt_f32_i32_dpp v1, v1 row_shr:4 row_mask:0xf bank_mask:0xf bound_ctrl:1
	v_add_f32_e32 v0, v0, v1
	s_delay_alu instid0(VALU_DEP_1) | instskip(NEXT) | instid1(VALU_DEP_1)
	v_cvt_i32_f32_e32 v1, v0
	v_cvt_f32_i32_dpp v1, v1 row_shr:2 row_mask:0xf bank_mask:0xf bound_ctrl:1
	s_delay_alu instid0(VALU_DEP_1) | instskip(NEXT) | instid1(VALU_DEP_1)
	v_add_f32_e32 v0, v0, v1
	v_cvt_i32_f32_e32 v1, v0
	s_delay_alu instid0(VALU_DEP_1) | instskip(NEXT) | instid1(VALU_DEP_1)
	v_cvt_f32_i32_dpp v1, v1 row_shr:1 row_mask:0xf bank_mask:0xf bound_ctrl:1
	v_add_f32_e32 v0, v0, v1
	ds_bpermute_b32 v1, v37, v0
	s_and_saveexec_b32 s13, s0
	s_cbranch_execz .LBB158_13
; %bb.26:                               ;   in Loop: Header=BB158_14 Depth=1
	s_and_not1_b32 vcc_lo, exec_lo, s16
	s_cbranch_vccnz .LBB158_28
; %bb.27:                               ;   in Loop: Header=BB158_14 Depth=1
	v_mul_hi_u32 v2, v32, v38
	s_delay_alu instid0(VALU_DEP_1) | instskip(NEXT) | instid1(VALU_DEP_1)
	v_mul_lo_u32 v2, v2, s6
	v_sub_nc_u32_e32 v2, v32, v2
	s_delay_alu instid0(VALU_DEP_1) | instskip(SKIP_1) | instid1(VALU_DEP_2)
	v_subrev_nc_u32_e32 v3, s6, v2
	v_cmp_le_u32_e32 vcc_lo, s6, v2
	v_cndmask_b32_e32 v2, v2, v3, vcc_lo
	s_delay_alu instid0(VALU_DEP_1) | instskip(SKIP_1) | instid1(VALU_DEP_2)
	v_subrev_nc_u32_e32 v3, s6, v2
	v_cmp_le_u32_e32 vcc_lo, s6, v2
	v_cndmask_b32_e32 v33, v2, v3, vcc_lo
	s_delay_alu instid0(VALU_DEP_1) | instskip(NEXT) | instid1(VALU_DEP_1)
	v_lshlrev_b64 v[2:3], 1, v[33:34]
	v_add_co_u32 v2, vcc_lo, s8, v2
	s_delay_alu instid0(VALU_DEP_2)
	v_add_co_ci_u32_e32 v3, vcc_lo, s9, v3, vcc_lo
	global_load_u16 v2, v[2:3], off
	s_branch .LBB158_29
.LBB158_28:                             ;   in Loop: Header=BB158_14 Depth=1
	v_mov_b32_e32 v2, 0
.LBB158_29:                             ;   in Loop: Header=BB158_14 Depth=1
	s_waitcnt vmcnt(0) lgkmcnt(0)
	s_delay_alu instid0(VALU_DEP_1) | instskip(NEXT) | instid1(VALU_DEP_1)
	v_dual_add_f32 v0, v0, v1 :: v_dual_lshlrev_b32 v1, 16, v2
	v_add_f32_e32 v1, v0, v1
	s_delay_alu instid0(VALU_DEP_1) | instskip(NEXT) | instid1(VALU_DEP_1)
	v_and_b32_e32 v0, 0x7f800000, v1
	v_cmp_ne_u32_e32 vcc_lo, 0x7f800000, v0
                                        ; implicit-def: $vgpr0
	s_and_saveexec_b32 s18, vcc_lo
	s_delay_alu instid0(SALU_CYCLE_1)
	s_xor_b32 s18, exec_lo, s18
; %bb.30:                               ;   in Loop: Header=BB158_14 Depth=1
	v_bfe_u32 v0, v1, 16, 1
	s_delay_alu instid0(VALU_DEP_1)
	v_add3_u32 v0, v1, v0, 0x7fff
                                        ; implicit-def: $vgpr1
; %bb.31:                               ;   in Loop: Header=BB158_14 Depth=1
	s_and_not1_saveexec_b32 s18, s18
	s_cbranch_execz .LBB158_12
; %bb.32:                               ;   in Loop: Header=BB158_14 Depth=1
	v_and_b32_e32 v0, 0xffff, v1
	v_or_b32_e32 v2, 0x10000, v1
	s_delay_alu instid0(VALU_DEP_2) | instskip(NEXT) | instid1(VALU_DEP_2)
	v_cmp_eq_u32_e32 vcc_lo, 0, v0
	v_cndmask_b32_e32 v0, v2, v1, vcc_lo
	s_branch .LBB158_12
.LBB158_33:
	s_nop 0
	s_sendmsg sendmsg(MSG_DEALLOC_VGPRS)
	s_endpgm
	.section	.rodata,"a",@progbits
	.p2align	6, 0x0
	.amdhsa_kernel _Z16wvSplitK_hf_sml_I14__hip_bfloat16Li32ELi1ELi16ELi8ELi4ELi1EEviiiiiiPKT_S3_S3_PS1_ii
		.amdhsa_group_segment_fixed_size 65536
		.amdhsa_private_segment_fixed_size 0
		.amdhsa_kernarg_size 64
		.amdhsa_user_sgpr_count 15
		.amdhsa_user_sgpr_dispatch_ptr 0
		.amdhsa_user_sgpr_queue_ptr 0
		.amdhsa_user_sgpr_kernarg_segment_ptr 1
		.amdhsa_user_sgpr_dispatch_id 0
		.amdhsa_user_sgpr_private_segment_size 0
		.amdhsa_wavefront_size32 1
		.amdhsa_uses_dynamic_stack 0
		.amdhsa_enable_private_segment 0
		.amdhsa_system_sgpr_workgroup_id_x 1
		.amdhsa_system_sgpr_workgroup_id_y 0
		.amdhsa_system_sgpr_workgroup_id_z 0
		.amdhsa_system_sgpr_workgroup_info 0
		.amdhsa_system_vgpr_workitem_id 1
		.amdhsa_next_free_vgpr 46
		.amdhsa_next_free_sgpr 22
		.amdhsa_reserve_vcc 1
		.amdhsa_float_round_mode_32 0
		.amdhsa_float_round_mode_16_64 0
		.amdhsa_float_denorm_mode_32 3
		.amdhsa_float_denorm_mode_16_64 3
		.amdhsa_dx10_clamp 1
		.amdhsa_ieee_mode 1
		.amdhsa_fp16_overflow 0
		.amdhsa_workgroup_processor_mode 1
		.amdhsa_memory_ordered 1
		.amdhsa_forward_progress 0
		.amdhsa_shared_vgpr_count 0
		.amdhsa_exception_fp_ieee_invalid_op 0
		.amdhsa_exception_fp_denorm_src 0
		.amdhsa_exception_fp_ieee_div_zero 0
		.amdhsa_exception_fp_ieee_overflow 0
		.amdhsa_exception_fp_ieee_underflow 0
		.amdhsa_exception_fp_ieee_inexact 0
		.amdhsa_exception_int_div_zero 0
	.end_amdhsa_kernel
	.section	.text._Z16wvSplitK_hf_sml_I14__hip_bfloat16Li32ELi1ELi16ELi8ELi4ELi1EEviiiiiiPKT_S3_S3_PS1_ii,"axG",@progbits,_Z16wvSplitK_hf_sml_I14__hip_bfloat16Li32ELi1ELi16ELi8ELi4ELi1EEviiiiiiPKT_S3_S3_PS1_ii,comdat
.Lfunc_end158:
	.size	_Z16wvSplitK_hf_sml_I14__hip_bfloat16Li32ELi1ELi16ELi8ELi4ELi1EEviiiiiiPKT_S3_S3_PS1_ii, .Lfunc_end158-_Z16wvSplitK_hf_sml_I14__hip_bfloat16Li32ELi1ELi16ELi8ELi4ELi1EEviiiiiiPKT_S3_S3_PS1_ii
                                        ; -- End function
	.section	.AMDGPU.csdata,"",@progbits
; Kernel info:
; codeLenInByte = 2464
; NumSgprs: 24
; NumVgprs: 46
; ScratchSize: 0
; MemoryBound: 0
; FloatMode: 240
; IeeeMode: 1
; LDSByteSize: 65536 bytes/workgroup (compile time only)
; SGPRBlocks: 2
; VGPRBlocks: 5
; NumSGPRsForWavesPerEU: 24
; NumVGPRsForWavesPerEU: 46
; Occupancy: 8
; WaveLimiterHint : 0
; COMPUTE_PGM_RSRC2:SCRATCH_EN: 0
; COMPUTE_PGM_RSRC2:USER_SGPR: 15
; COMPUTE_PGM_RSRC2:TRAP_HANDLER: 0
; COMPUTE_PGM_RSRC2:TGID_X_EN: 1
; COMPUTE_PGM_RSRC2:TGID_Y_EN: 0
; COMPUTE_PGM_RSRC2:TGID_Z_EN: 0
; COMPUTE_PGM_RSRC2:TIDIG_COMP_CNT: 1
	.section	.text._Z12wvSplitK_hf_I14__hip_bfloat16Li32ELi1ELi16ELi8ELi4ELi1EEviiiiiiPKT_S3_S3_PS1_ii,"axG",@progbits,_Z12wvSplitK_hf_I14__hip_bfloat16Li32ELi1ELi16ELi8ELi4ELi1EEviiiiiiPKT_S3_S3_PS1_ii,comdat
	.protected	_Z12wvSplitK_hf_I14__hip_bfloat16Li32ELi1ELi16ELi8ELi4ELi1EEviiiiiiPKT_S3_S3_PS1_ii ; -- Begin function _Z12wvSplitK_hf_I14__hip_bfloat16Li32ELi1ELi16ELi8ELi4ELi1EEviiiiiiPKT_S3_S3_PS1_ii
	.globl	_Z12wvSplitK_hf_I14__hip_bfloat16Li32ELi1ELi16ELi8ELi4ELi1EEviiiiiiPKT_S3_S3_PS1_ii
	.p2align	8
	.type	_Z12wvSplitK_hf_I14__hip_bfloat16Li32ELi1ELi16ELi8ELi4ELi1EEviiiiiiPKT_S3_S3_PS1_ii,@function
_Z12wvSplitK_hf_I14__hip_bfloat16Li32ELi1ELi16ELi8ELi4ELi1EEviiiiiiPKT_S3_S3_PS1_ii: ; @_Z12wvSplitK_hf_I14__hip_bfloat16Li32ELi1ELi16ELi8ELi4ELi1EEviiiiiiPKT_S3_S3_PS1_ii
; %bb.0:
	s_clause 0x1
	s_load_b64 s[16:17], s[0:1], 0x38
	s_load_b128 s[4:7], s[0:1], 0x0
	v_bfe_u32 v1, v0, 10, 10
	s_clause 0x1
	s_load_b64 s[12:13], s[0:1], 0x20
	s_load_b32 s3, s[0:1], 0x10
	v_mov_b32_e32 v40, 1
	s_waitcnt lgkmcnt(0)
	v_mad_u64_u32 v[32:33], null, s15, s16, v[1:2]
	s_delay_alu instid0(VALU_DEP_1) | instskip(SKIP_1) | instid1(VALU_DEP_2)
	v_add_nc_u32_e32 v2, 1, v32
	v_cmp_gt_u32_e32 vcc_lo, s7, v32
	v_cmp_le_u32_e64 s2, s7, v2
	s_delay_alu instid0(VALU_DEP_1) | instskip(NEXT) | instid1(SALU_CYCLE_1)
	s_and_b32 s8, vcc_lo, s2
	s_and_saveexec_b32 s2, s8
; %bb.1:
	v_subrev_nc_u32_e32 v2, s7, v32
	s_add_i32 s8, s7, -1
	s_delay_alu instid0(SALU_CYCLE_1) | instskip(NEXT) | instid1(VALU_DEP_2)
	v_mov_b32_e32 v32, s8
	v_cmp_eq_u32_e32 vcc_lo, -1, v2
	v_cndmask_b32_e64 v40, 0, 1, vcc_lo
; %bb.2:
	s_or_b32 exec_lo, exec_lo, s2
	v_and_b32_e32 v0, 0x3ff, v0
	s_min_u32 s6, s6, 0x8000
	s_mov_b32 s2, exec_lo
	s_delay_alu instid0(VALU_DEP_1) | instskip(NEXT) | instid1(VALU_DEP_1)
	v_lshlrev_b32_e32 v41, 3, v0
	v_lshl_add_u32 v3, v1, 8, v41
	s_delay_alu instid0(VALU_DEP_1)
	v_cmpx_gt_u32_e64 s6, v3
	s_cbranch_execz .LBB159_11
; %bb.3:
	v_lshlrev_b32_e32 v2, 1, v3
	v_add_nc_u32_e32 v8, 0x1000, v3
	s_mov_b32 s8, exec_lo
	global_load_b128 v[4:7], v2, s[12:13]
	s_waitcnt vmcnt(0)
	ds_store_b128 v2, v[4:7]
	v_cmpx_gt_u32_e64 s6, v8
	s_xor_b32 s8, exec_lo, s8
	s_cbranch_execz .LBB159_11
; %bb.4:
	v_add_co_u32 v4, s8, s12, v2
	s_delay_alu instid0(VALU_DEP_1) | instskip(SKIP_1) | instid1(VALU_DEP_3)
	v_add_co_ci_u32_e64 v5, null, s13, 0, s8
	v_add_nc_u32_e32 v10, 0x2000, v3
	v_add_co_u32 v6, vcc_lo, 0x2000, v4
	s_delay_alu instid0(VALU_DEP_3)
	v_add_co_ci_u32_e32 v7, vcc_lo, 0, v5, vcc_lo
	s_mov_b32 s8, exec_lo
	global_load_b128 v[6:9], v[6:7], off
	s_waitcnt vmcnt(0)
	ds_store_b128 v2, v[6:9] offset:8192
	v_cmpx_gt_u32_e64 s6, v10
	s_xor_b32 s8, exec_lo, s8
	s_cbranch_execz .LBB159_11
; %bb.5:
	v_add_co_u32 v6, vcc_lo, 0x4000, v4
	v_add_co_ci_u32_e32 v7, vcc_lo, 0, v5, vcc_lo
	v_add_nc_u32_e32 v10, 0x3000, v3
	s_mov_b32 s8, exec_lo
	global_load_b128 v[6:9], v[6:7], off
	s_waitcnt vmcnt(0)
	ds_store_b128 v2, v[6:9] offset:16384
	v_cmpx_gt_u32_e64 s6, v10
	s_xor_b32 s8, exec_lo, s8
	s_cbranch_execz .LBB159_11
; %bb.6:
	v_add_co_u32 v6, vcc_lo, 0x6000, v4
	v_add_co_ci_u32_e32 v7, vcc_lo, 0, v5, vcc_lo
	v_add_nc_u32_e32 v10, 0x4000, v3
	;; [unrolled: 11-line block ×5, first 2 shown]
	global_load_b128 v[6:9], v[6:7], off
	v_cmp_gt_u32_e32 vcc_lo, s6, v3
	s_waitcnt vmcnt(0)
	ds_store_b128 v2, v[6:9] offset:49152
	s_and_saveexec_b32 s6, vcc_lo
	s_delay_alu instid0(SALU_CYCLE_1)
	s_xor_b32 s6, exec_lo, s6
	s_cbranch_execz .LBB159_11
; %bb.10:
	v_add_co_u32 v3, vcc_lo, 0xe000, v4
	v_add_co_ci_u32_e32 v4, vcc_lo, 0, v5, vcc_lo
	global_load_b128 v[3:6], v[3:4], off
	s_waitcnt vmcnt(0)
	ds_store_b128 v2, v[3:6] offset:57344
.LBB159_11:
	s_or_b32 exec_lo, exec_lo, s2
	v_cmp_gt_u32_e32 vcc_lo, s16, v1
	v_cmp_gt_u32_e64 s2, s7, v32
	s_waitcnt lgkmcnt(0)
	s_barrier
	buffer_gl0_inv
	s_and_b32 s2, vcc_lo, s2
	s_delay_alu instid0(SALU_CYCLE_1)
	s_and_saveexec_b32 s6, s2
	s_cbranch_execz .LBB159_50
; %bb.12:
	v_cvt_f32_u32_e32 v1, s3
	s_clause 0x1
	s_load_b128 s[8:11], s[0:1], 0x28
	s_load_b64 s[14:15], s[0:1], 0x18
	v_mbcnt_lo_u32_b32 v2, -1, 0
	s_cmp_lg_u32 s4, 0
	v_rcp_iflag_f32_e32 v1, v1
	s_cselect_b32 s6, -1, 0
	s_add_i32 s18, s4, -8
	v_xor_b32_e32 v4, 16, v2
	s_add_i32 s19, s7, -1
	s_mul_i32 s16, s17, s16
	v_lshlrev_b32_e32 v42, 4, v0
	s_mov_b32 s17, 0
	v_cmp_gt_i32_e32 vcc_lo, 32, v4
	s_waitcnt_depctr 0xfff
	v_dual_mul_f32 v1, 0x4f7ffffe, v1 :: v_dual_cndmask_b32 v2, v2, v4
	v_mov_b32_e32 v34, 0
	s_delay_alu instid0(VALU_DEP_2)
	v_cvt_u32_f32_e32 v1, v1
	s_waitcnt lgkmcnt(0)
	s_cmp_lg_u64 s[8:9], 0
	v_lshlrev_b32_e32 v43, 2, v2
	s_cselect_b32 s20, -1, 0
	s_sub_i32 s0, 0, s3
	s_sub_i32 s21, s16, s7
	v_mul_lo_u32 v3, s0, v1
	v_cmp_eq_u32_e64 s0, 31, v0
	s_add_i32 s21, s21, 2
	s_delay_alu instid0(VALU_DEP_2) | instskip(NEXT) | instid1(VALU_DEP_1)
	v_mul_hi_u32 v3, v1, v3
	v_add_nc_u32_e32 v44, v1, v3
	s_branch .LBB159_15
.LBB159_13:                             ;   in Loop: Header=BB159_15 Depth=1
	s_or_b32 exec_lo, exec_lo, s2
	v_mov_b32_e32 v33, v34
	s_delay_alu instid0(VALU_DEP_1) | instskip(NEXT) | instid1(VALU_DEP_1)
	v_lshlrev_b64 v[1:2], 1, v[32:33]
	v_add_co_u32 v1, vcc_lo, s10, v1
	s_delay_alu instid0(VALU_DEP_2)
	v_add_co_ci_u32_e32 v2, vcc_lo, s11, v2, vcc_lo
	global_store_d16_hi_b16 v[1:2], v0, off
.LBB159_14:                             ;   in Loop: Header=BB159_15 Depth=1
	s_or_b32 exec_lo, exec_lo, s1
	v_add_nc_u32_e32 v0, s16, v32
	s_waitcnt lgkmcnt(0)
	s_delay_alu instid0(VALU_DEP_1) | instskip(SKIP_1) | instid1(VALU_DEP_2)
	v_add_nc_u32_e32 v1, 1, v0
	v_cmp_le_u32_e32 vcc_lo, s7, v0
	v_cmp_gt_u32_e64 s1, s7, v1
	v_add_nc_u32_e32 v1, s21, v32
	s_delay_alu instid0(VALU_DEP_2) | instskip(NEXT) | instid1(VALU_DEP_1)
	s_or_b32 vcc_lo, vcc_lo, s1
	v_cmp_eq_u32_e64 s1, 1, v1
	v_cndmask_b32_e32 v32, s19, v0, vcc_lo
	s_delay_alu instid0(VALU_DEP_2) | instskip(NEXT) | instid1(VALU_DEP_1)
	s_or_b32 vcc_lo, vcc_lo, s1
	v_cmp_le_u32_e64 s2, s7, v32
	v_cndmask_b32_e32 v40, 0, v40, vcc_lo
	s_delay_alu instid0(VALU_DEP_2) | instskip(NEXT) | instid1(SALU_CYCLE_1)
	s_or_b32 s17, s2, s17
	s_and_not1_b32 exec_lo, exec_lo, s17
	s_cbranch_execz .LBB159_50
.LBB159_15:                             ; =>This Loop Header: Depth=1
                                        ;     Child Loop BB159_22 Depth 2
	v_mov_b32_e32 v48, v34
	s_and_not1_b32 vcc_lo, exec_lo, s6
	s_cbranch_vccnz .LBB159_42
; %bb.16:                               ;   in Loop: Header=BB159_15 Depth=1
	v_min_u32_e32 v0, s19, v32
	v_dual_mov_b32 v48, 0 :: v_dual_mov_b32 v47, v42
	s_mov_b32 s1, 0
	s_delay_alu instid0(VALU_DEP_2) | instskip(NEXT) | instid1(VALU_DEP_1)
	v_mul_lo_u32 v33, v0, s5
	v_lshlrev_b64 v[0:1], 1, v[33:34]
	s_delay_alu instid0(VALU_DEP_1) | instskip(NEXT) | instid1(VALU_DEP_2)
	v_add_co_u32 v45, vcc_lo, s14, v0
	v_add_co_ci_u32_e32 v46, vcc_lo, s15, v1, vcc_lo
	s_branch .LBB159_22
.LBB159_17:                             ;   in Loop: Header=BB159_22 Depth=2
	s_or_b32 exec_lo, exec_lo, s25
.LBB159_18:                             ;   in Loop: Header=BB159_22 Depth=2
	s_delay_alu instid0(SALU_CYCLE_1)
	s_or_b32 exec_lo, exec_lo, s24
.LBB159_19:                             ;   in Loop: Header=BB159_22 Depth=2
	s_delay_alu instid0(SALU_CYCLE_1)
	s_or_b32 exec_lo, exec_lo, s23
.LBB159_20:                             ;   in Loop: Header=BB159_22 Depth=2
	s_delay_alu instid0(SALU_CYCLE_1)
	s_or_b32 exec_lo, exec_lo, s22
.LBB159_21:                             ;   in Loop: Header=BB159_22 Depth=2
	s_delay_alu instid0(SALU_CYCLE_1)
	s_or_b32 exec_lo, exec_lo, s2
	s_waitcnt vmcnt(0) lgkmcnt(0)
	v_and_b32_e32 v33, 0xffff0000, v16
	v_and_b32_e32 v35, 0xffff0000, v12
	v_lshlrev_b32_e32 v16, 16, v16
	v_and_b32_e32 v37, 0xffff0000, v13
	v_add_nc_u32_e32 v47, 0x800, v47
	s_addk_i32 s1, 0x400
	v_dual_mul_f32 v33, v33, v35 :: v_dual_and_b32 v36, 0xffff0000, v17
	v_lshlrev_b32_e32 v12, 16, v12
	s_cmp_lt_u32 s1, s4
	s_delay_alu instid0(VALU_DEP_2) | instskip(NEXT) | instid1(VALU_DEP_2)
	v_mul_f32_e32 v35, v36, v37
	v_dual_fmac_f32 v33, v16, v12 :: v_dual_and_b32 v12, 0xffff0000, v18
	v_and_b32_e32 v16, 0xffff0000, v14
	v_lshlrev_b32_e32 v18, 16, v18
	v_lshlrev_b32_e32 v14, 16, v14
	s_delay_alu instid0(VALU_DEP_3) | instskip(SKIP_1) | instid1(VALU_DEP_2)
	v_mul_f32_e32 v12, v12, v16
	v_and_b32_e32 v16, 0xffff0000, v19
	v_dual_fmac_f32 v12, v18, v14 :: v_dual_lshlrev_b32 v17, 16, v17
	v_lshlrev_b32_e32 v14, 16, v19
	v_lshlrev_b32_e32 v13, 16, v13
	v_and_b32_e32 v18, 0xffff0000, v8
	s_delay_alu instid0(VALU_DEP_2) | instskip(SKIP_1) | instid1(VALU_DEP_1)
	v_dual_fmac_f32 v35, v17, v13 :: v_dual_lshlrev_b32 v8, 16, v8
	v_add_f32_e32 v13, v48, v33
	v_add_f32_e32 v13, v13, v35
	s_delay_alu instid0(VALU_DEP_1) | instskip(NEXT) | instid1(VALU_DEP_1)
	v_dual_add_f32 v12, v13, v12 :: v_dual_and_b32 v17, 0xffff0000, v15
	v_dual_mul_f32 v16, v16, v17 :: v_dual_lshlrev_b32 v13, 16, v20
	v_and_b32_e32 v17, 0xffff0000, v20
	v_lshlrev_b32_e32 v15, 16, v15
	s_delay_alu instid0(VALU_DEP_1) | instskip(NEXT) | instid1(VALU_DEP_3)
	v_fmac_f32_e32 v16, v14, v15
	v_dual_mul_f32 v14, v17, v18 :: v_dual_and_b32 v15, 0xffff0000, v21
	s_delay_alu instid0(VALU_DEP_2) | instskip(NEXT) | instid1(VALU_DEP_2)
	v_add_f32_e32 v12, v12, v16
	v_fmac_f32_e32 v14, v13, v8
	v_and_b32_e32 v16, 0xffff0000, v10
	v_and_b32_e32 v17, 0xffff0000, v9
	v_lshlrev_b32_e32 v8, 16, v21
	s_delay_alu instid0(VALU_DEP_4) | instskip(NEXT) | instid1(VALU_DEP_3)
	v_dual_add_f32 v12, v12, v14 :: v_dual_lshlrev_b32 v9, 16, v9
	v_dual_mul_f32 v13, v15, v17 :: v_dual_and_b32 v14, 0xffff0000, v23
	s_delay_alu instid0(VALU_DEP_1) | instskip(SKIP_2) | instid1(VALU_DEP_3)
	v_fmac_f32_e32 v13, v8, v9
	v_and_b32_e32 v15, 0xffff0000, v22
	v_lshlrev_b32_e32 v8, 16, v22
	v_dual_add_f32 v12, v12, v13 :: v_dual_lshlrev_b32 v9, 16, v10
	s_delay_alu instid0(VALU_DEP_3) | instskip(NEXT) | instid1(VALU_DEP_1)
	v_mul_f32_e32 v10, v15, v16
	v_dual_fmac_f32 v10, v8, v9 :: v_dual_and_b32 v13, 0xffff0000, v24
	v_lshlrev_b32_e32 v8, 16, v23
	s_delay_alu instid0(VALU_DEP_2) | instskip(SKIP_2) | instid1(VALU_DEP_1)
	v_dual_add_f32 v10, v12, v10 :: v_dual_lshlrev_b32 v9, 16, v11
	v_and_b32_e32 v12, 0xffff0000, v25
	v_and_b32_e32 v15, 0xffff0000, v11
	v_dual_mul_f32 v11, v14, v15 :: v_dual_and_b32 v14, 0xffff0000, v4
	s_delay_alu instid0(VALU_DEP_1) | instskip(NEXT) | instid1(VALU_DEP_2)
	v_dual_fmac_f32 v11, v8, v9 :: v_dual_lshlrev_b32 v4, 16, v4
	v_dual_mul_f32 v9, v13, v14 :: v_dual_lshlrev_b32 v8, 16, v24
	s_delay_alu instid0(VALU_DEP_2) | instskip(SKIP_1) | instid1(VALU_DEP_3)
	v_dual_add_f32 v10, v10, v11 :: v_dual_and_b32 v11, 0xffff0000, v26
	v_and_b32_e32 v13, 0xffff0000, v5
	v_dual_fmac_f32 v9, v8, v4 :: v_dual_lshlrev_b32 v4, 16, v25
	s_delay_alu instid0(VALU_DEP_2) | instskip(NEXT) | instid1(VALU_DEP_2)
	v_mul_f32_e32 v8, v12, v13
	v_dual_add_f32 v9, v10, v9 :: v_dual_and_b32 v12, 0xffff0000, v6
	v_lshlrev_b32_e32 v5, 16, v5
	v_and_b32_e32 v10, 0xffff0000, v27
	s_delay_alu instid0(VALU_DEP_2) | instskip(SKIP_2) | instid1(VALU_DEP_3)
	v_fmac_f32_e32 v8, v4, v5
	v_lshlrev_b32_e32 v4, 16, v26
	v_dual_mul_f32 v6, v11, v12 :: v_dual_lshlrev_b32 v5, 16, v6
	v_add_f32_e32 v8, v9, v8
	s_delay_alu instid0(VALU_DEP_2) | instskip(SKIP_2) | instid1(VALU_DEP_3)
	v_dual_fmac_f32 v6, v4, v5 :: v_dual_and_b32 v9, 0xffff0000, v28
	v_and_b32_e32 v11, 0xffff0000, v7
	v_lshlrev_b32_e32 v4, 16, v27
	v_dual_add_f32 v6, v8, v6 :: v_dual_lshlrev_b32 v5, 16, v7
	s_delay_alu instid0(VALU_DEP_3) | instskip(SKIP_2) | instid1(VALU_DEP_3)
	v_dual_mul_f32 v7, v10, v11 :: v_dual_and_b32 v10, 0xffff0000, v0
	v_lshlrev_b32_e32 v0, 16, v0
	v_and_b32_e32 v8, 0xffff0000, v29
	v_dual_fmac_f32 v7, v4, v5 :: v_dual_lshlrev_b32 v4, 16, v28
	s_delay_alu instid0(VALU_DEP_1) | instskip(SKIP_2) | instid1(VALU_DEP_3)
	v_dual_mul_f32 v5, v9, v10 :: v_dual_add_f32 v6, v6, v7
	v_and_b32_e32 v7, 0xffff0000, v30
	v_and_b32_e32 v9, 0xffff0000, v1
	v_dual_fmac_f32 v5, v4, v0 :: v_dual_lshlrev_b32 v0, 16, v29
	s_delay_alu instid0(VALU_DEP_2) | instskip(NEXT) | instid1(VALU_DEP_2)
	v_mul_f32_e32 v4, v8, v9
	v_dual_add_f32 v5, v6, v5 :: v_dual_and_b32 v8, 0xffff0000, v2
	v_lshlrev_b32_e32 v1, 16, v1
	v_and_b32_e32 v6, 0xffff0000, v31
	s_delay_alu instid0(VALU_DEP_2) | instskip(SKIP_2) | instid1(VALU_DEP_3)
	v_fmac_f32_e32 v4, v0, v1
	v_lshlrev_b32_e32 v0, 16, v30
	v_dual_mul_f32 v2, v7, v8 :: v_dual_lshlrev_b32 v1, 16, v2
	v_add_f32_e32 v4, v5, v4
	s_delay_alu instid0(VALU_DEP_2) | instskip(SKIP_1) | instid1(VALU_DEP_2)
	v_dual_fmac_f32 v2, v0, v1 :: v_dual_and_b32 v7, 0xffff0000, v3
	v_lshlrev_b32_e32 v0, 16, v31
	v_dual_add_f32 v2, v4, v2 :: v_dual_lshlrev_b32 v1, 16, v3
	s_delay_alu instid0(VALU_DEP_3) | instskip(NEXT) | instid1(VALU_DEP_1)
	v_mul_f32_e32 v3, v6, v7
	v_fmac_f32_e32 v3, v0, v1
	s_delay_alu instid0(VALU_DEP_1)
	v_add_f32_e32 v48, v2, v3
	s_cbranch_scc0 .LBB159_42
.LBB159_22:                             ;   Parent Loop BB159_15 Depth=1
                                        ; =>  This Inner Loop Header: Depth=2
	v_dual_mov_b32 v31, 0 :: v_dual_add_nc_u32 v38, s1, v41
	v_dual_mov_b32 v27, 0 :: v_dual_mov_b32 v26, 0
	v_dual_mov_b32 v25, 0 :: v_dual_mov_b32 v24, 0
	s_delay_alu instid0(VALU_DEP_3) | instskip(SKIP_2) | instid1(VALU_DEP_3)
	v_min_u32_e32 v33, s18, v38
	v_dual_mov_b32 v30, 0 :: v_dual_add_nc_u32 v37, 0x100, v38
	v_dual_mov_b32 v29, 0 :: v_dual_add_nc_u32 v36, 0x200, v38
	v_lshlrev_b64 v[0:1], 1, v[33:34]
	s_delay_alu instid0(VALU_DEP_3) | instskip(SKIP_3) | instid1(VALU_DEP_3)
	v_min_u32_e32 v33, s18, v37
	v_dual_mov_b32 v28, 0 :: v_dual_add_nc_u32 v35, 0x300, v38
	v_dual_mov_b32 v23, 0 :: v_dual_mov_b32 v22, 0
	s_waitcnt vmcnt(0)
	v_lshlrev_b64 v[2:3], 1, v[33:34]
	v_min_u32_e32 v33, s18, v36
	v_add_co_u32 v0, vcc_lo, v45, v0
	v_add_co_ci_u32_e32 v1, vcc_lo, v46, v1, vcc_lo
	s_delay_alu instid0(VALU_DEP_3) | instskip(SKIP_3) | instid1(VALU_DEP_3)
	v_lshlrev_b64 v[4:5], 1, v[33:34]
	v_min_u32_e32 v33, s18, v35
	v_add_co_u32 v2, vcc_lo, v45, v2
	v_add_co_ci_u32_e32 v3, vcc_lo, v46, v3, vcc_lo
	v_lshlrev_b64 v[6:7], 1, v[33:34]
	v_add_co_u32 v4, vcc_lo, v45, v4
	v_add_co_ci_u32_e32 v5, vcc_lo, v46, v5, vcc_lo
	v_dual_mov_b32 v21, 0 :: v_dual_mov_b32 v20, 0
	s_delay_alu instid0(VALU_DEP_4)
	v_add_co_u32 v16, vcc_lo, v45, v6
	v_add_co_ci_u32_e32 v17, vcc_lo, v46, v7, vcc_lo
	s_clause 0x3
	global_load_b128 v[12:15], v[0:1], off slc dlc
	global_load_b128 v[8:11], v[2:3], off slc dlc
	;; [unrolled: 1-line block ×4, first 2 shown]
	v_dual_mov_b32 v19, 0 :: v_dual_mov_b32 v18, 0
	v_dual_mov_b32 v17, 0 :: v_dual_mov_b32 v16, 0
	s_mov_b32 s2, exec_lo
	v_cmpx_gt_u32_e64 s4, v38
	s_cbranch_execz .LBB159_21
; %bb.23:                               ;   in Loop: Header=BB159_22 Depth=2
	s_mov_b32 s22, exec_lo
                                        ; implicit-def: $vgpr19
	v_cmpx_lt_u32_e32 0x7fff, v38
	s_xor_b32 s22, exec_lo, s22
	s_cbranch_execz .LBB159_25
; %bb.24:                               ;   in Loop: Header=BB159_22 Depth=2
	v_mov_b32_e32 v39, v34
	s_delay_alu instid0(VALU_DEP_1) | instskip(NEXT) | instid1(VALU_DEP_1)
	v_lshlrev_b64 v[16:17], 1, v[38:39]
	v_add_co_u32 v16, vcc_lo, s12, v16
	s_delay_alu instid0(VALU_DEP_2)
	v_add_co_ci_u32_e32 v17, vcc_lo, s13, v17, vcc_lo
	global_load_b128 v[16:19], v[16:17], off
.LBB159_25:                             ;   in Loop: Header=BB159_22 Depth=2
	s_and_not1_saveexec_b32 s22, s22
	s_cbranch_execz .LBB159_27
; %bb.26:                               ;   in Loop: Header=BB159_22 Depth=2
	s_waitcnt vmcnt(0)
	ds_load_b128 v[16:19], v47
.LBB159_27:                             ;   in Loop: Header=BB159_22 Depth=2
	s_or_b32 exec_lo, exec_lo, s22
	v_dual_mov_b32 v31, 0 :: v_dual_mov_b32 v30, 0
	v_dual_mov_b32 v29, 0 :: v_dual_mov_b32 v28, 0
	;; [unrolled: 1-line block ×6, first 2 shown]
	s_mov_b32 s22, exec_lo
	v_cmpx_gt_u32_e64 s4, v37
	s_cbranch_execz .LBB159_20
; %bb.28:                               ;   in Loop: Header=BB159_22 Depth=2
	s_mov_b32 s23, exec_lo
                                        ; implicit-def: $vgpr23
	v_cmpx_lt_u32_e32 0x7fff, v37
	s_xor_b32 s23, exec_lo, s23
	s_cbranch_execz .LBB159_30
; %bb.29:                               ;   in Loop: Header=BB159_22 Depth=2
	v_mov_b32_e32 v38, v34
	s_delay_alu instid0(VALU_DEP_1) | instskip(NEXT) | instid1(VALU_DEP_1)
	v_lshlrev_b64 v[20:21], 1, v[37:38]
	v_add_co_u32 v20, vcc_lo, s12, v20
	s_delay_alu instid0(VALU_DEP_2)
	v_add_co_ci_u32_e32 v21, vcc_lo, s13, v21, vcc_lo
	global_load_b128 v[20:23], v[20:21], off
.LBB159_30:                             ;   in Loop: Header=BB159_22 Depth=2
	s_and_not1_saveexec_b32 s23, s23
	s_cbranch_execz .LBB159_32
; %bb.31:                               ;   in Loop: Header=BB159_22 Depth=2
	s_waitcnt vmcnt(0)
	ds_load_b128 v[20:23], v47 offset:512
.LBB159_32:                             ;   in Loop: Header=BB159_22 Depth=2
	s_or_b32 exec_lo, exec_lo, s23
	v_dual_mov_b32 v31, 0 :: v_dual_mov_b32 v30, 0
	v_dual_mov_b32 v29, 0 :: v_dual_mov_b32 v28, 0
	;; [unrolled: 1-line block ×4, first 2 shown]
	s_mov_b32 s23, exec_lo
	v_cmpx_gt_u32_e64 s4, v36
	s_cbranch_execz .LBB159_19
; %bb.33:                               ;   in Loop: Header=BB159_22 Depth=2
	s_mov_b32 s24, exec_lo
                                        ; implicit-def: $vgpr27
	v_cmpx_lt_u32_e32 0x7fff, v36
	s_xor_b32 s24, exec_lo, s24
	s_cbranch_execz .LBB159_35
; %bb.34:                               ;   in Loop: Header=BB159_22 Depth=2
	v_mov_b32_e32 v37, v34
	s_delay_alu instid0(VALU_DEP_1) | instskip(NEXT) | instid1(VALU_DEP_1)
	v_lshlrev_b64 v[24:25], 1, v[36:37]
	v_add_co_u32 v24, vcc_lo, s12, v24
	s_delay_alu instid0(VALU_DEP_2)
	v_add_co_ci_u32_e32 v25, vcc_lo, s13, v25, vcc_lo
	global_load_b128 v[24:27], v[24:25], off
.LBB159_35:                             ;   in Loop: Header=BB159_22 Depth=2
	s_and_not1_saveexec_b32 s24, s24
	s_cbranch_execz .LBB159_37
; %bb.36:                               ;   in Loop: Header=BB159_22 Depth=2
	s_waitcnt vmcnt(0)
	ds_load_b128 v[24:27], v47 offset:1024
.LBB159_37:                             ;   in Loop: Header=BB159_22 Depth=2
	s_or_b32 exec_lo, exec_lo, s24
	v_dual_mov_b32 v31, 0 :: v_dual_mov_b32 v30, 0
	v_dual_mov_b32 v29, 0 :: v_dual_mov_b32 v28, 0
	s_mov_b32 s24, exec_lo
	v_cmpx_gt_u32_e64 s4, v35
	s_cbranch_execz .LBB159_18
; %bb.38:                               ;   in Loop: Header=BB159_22 Depth=2
	s_mov_b32 s25, exec_lo
                                        ; implicit-def: $vgpr31
	v_cmpx_lt_u32_e32 0x7fff, v35
	s_xor_b32 s25, exec_lo, s25
	s_cbranch_execz .LBB159_40
; %bb.39:                               ;   in Loop: Header=BB159_22 Depth=2
	v_mov_b32_e32 v36, v34
	s_delay_alu instid0(VALU_DEP_1) | instskip(NEXT) | instid1(VALU_DEP_1)
	v_lshlrev_b64 v[28:29], 1, v[35:36]
	v_add_co_u32 v28, vcc_lo, s12, v28
	s_delay_alu instid0(VALU_DEP_2)
	v_add_co_ci_u32_e32 v29, vcc_lo, s13, v29, vcc_lo
	global_load_b128 v[28:31], v[28:29], off
.LBB159_40:                             ;   in Loop: Header=BB159_22 Depth=2
	s_and_not1_saveexec_b32 s25, s25
	s_cbranch_execz .LBB159_17
; %bb.41:                               ;   in Loop: Header=BB159_22 Depth=2
	s_waitcnt vmcnt(0)
	ds_load_b128 v[28:31], v47 offset:1536
	s_branch .LBB159_17
.LBB159_42:                             ;   in Loop: Header=BB159_15 Depth=1
	s_delay_alu instid0(VALU_DEP_1) | instskip(NEXT) | instid1(VALU_DEP_1)
	v_cvt_i32_f32_e32 v0, v48
	v_cvt_f32_i32_dpp v0, v0 row_shr:8 row_mask:0xf bank_mask:0xf bound_ctrl:1
	s_delay_alu instid0(VALU_DEP_1) | instskip(NEXT) | instid1(VALU_DEP_1)
	v_add_f32_e32 v0, v48, v0
	v_cvt_i32_f32_e32 v1, v0
	s_delay_alu instid0(VALU_DEP_1) | instskip(NEXT) | instid1(VALU_DEP_1)
	v_cvt_f32_i32_dpp v1, v1 row_shr:4 row_mask:0xf bank_mask:0xf bound_ctrl:1
	v_add_f32_e32 v0, v0, v1
	s_delay_alu instid0(VALU_DEP_1) | instskip(NEXT) | instid1(VALU_DEP_1)
	v_cvt_i32_f32_e32 v1, v0
	v_cvt_f32_i32_dpp v1, v1 row_shr:2 row_mask:0xf bank_mask:0xf bound_ctrl:1
	s_delay_alu instid0(VALU_DEP_1) | instskip(NEXT) | instid1(VALU_DEP_1)
	v_add_f32_e32 v0, v0, v1
	v_cvt_i32_f32_e32 v1, v0
	s_delay_alu instid0(VALU_DEP_1) | instskip(NEXT) | instid1(VALU_DEP_1)
	v_cvt_f32_i32_dpp v1, v1 row_shr:1 row_mask:0xf bank_mask:0xf bound_ctrl:1
	v_add_f32_e32 v0, v0, v1
	ds_bpermute_b32 v1, v43, v0
	s_and_saveexec_b32 s1, s0
	s_cbranch_execz .LBB159_14
; %bb.43:                               ;   in Loop: Header=BB159_15 Depth=1
	s_and_not1_b32 vcc_lo, exec_lo, s20
	s_cbranch_vccnz .LBB159_45
; %bb.44:                               ;   in Loop: Header=BB159_15 Depth=1
	s_waitcnt vmcnt(0)
	v_mul_hi_u32 v2, v32, v44
	s_delay_alu instid0(VALU_DEP_1) | instskip(NEXT) | instid1(VALU_DEP_1)
	v_mul_lo_u32 v2, v2, s3
	v_sub_nc_u32_e32 v2, v32, v2
	s_delay_alu instid0(VALU_DEP_1) | instskip(SKIP_1) | instid1(VALU_DEP_2)
	v_subrev_nc_u32_e32 v3, s3, v2
	v_cmp_le_u32_e32 vcc_lo, s3, v2
	v_cndmask_b32_e32 v2, v2, v3, vcc_lo
	s_delay_alu instid0(VALU_DEP_1) | instskip(SKIP_1) | instid1(VALU_DEP_2)
	v_subrev_nc_u32_e32 v3, s3, v2
	v_cmp_le_u32_e32 vcc_lo, s3, v2
	v_cndmask_b32_e32 v33, v2, v3, vcc_lo
	s_delay_alu instid0(VALU_DEP_1) | instskip(NEXT) | instid1(VALU_DEP_1)
	v_lshlrev_b64 v[2:3], 1, v[33:34]
	v_add_co_u32 v2, vcc_lo, s8, v2
	s_delay_alu instid0(VALU_DEP_2)
	v_add_co_ci_u32_e32 v3, vcc_lo, s9, v3, vcc_lo
	global_load_u16 v2, v[2:3], off
	v_cmp_ne_u32_e32 vcc_lo, 0, v40
	s_and_b32 exec_lo, exec_lo, vcc_lo
	s_cbranch_execz .LBB159_14
	s_branch .LBB159_46
.LBB159_45:                             ;   in Loop: Header=BB159_15 Depth=1
	s_waitcnt vmcnt(0)
	v_mov_b32_e32 v2, 0
	v_cmp_ne_u32_e32 vcc_lo, 0, v40
	s_and_b32 exec_lo, exec_lo, vcc_lo
	s_cbranch_execz .LBB159_14
.LBB159_46:                             ;   in Loop: Header=BB159_15 Depth=1
	s_waitcnt vmcnt(0) lgkmcnt(0)
	v_dual_add_f32 v0, v0, v1 :: v_dual_lshlrev_b32 v1, 16, v2
	s_delay_alu instid0(VALU_DEP_1) | instskip(NEXT) | instid1(VALU_DEP_1)
	v_add_f32_e32 v1, v0, v1
	v_and_b32_e32 v0, 0x7f800000, v1
	s_delay_alu instid0(VALU_DEP_1) | instskip(SKIP_1) | instid1(SALU_CYCLE_1)
	v_cmp_ne_u32_e32 vcc_lo, 0x7f800000, v0
                                        ; implicit-def: $vgpr0
	s_and_saveexec_b32 s2, vcc_lo
	s_xor_b32 s2, exec_lo, s2
; %bb.47:                               ;   in Loop: Header=BB159_15 Depth=1
	v_bfe_u32 v0, v1, 16, 1
	s_delay_alu instid0(VALU_DEP_1)
	v_add3_u32 v0, v1, v0, 0x7fff
                                        ; implicit-def: $vgpr1
; %bb.48:                               ;   in Loop: Header=BB159_15 Depth=1
	s_and_not1_saveexec_b32 s2, s2
	s_cbranch_execz .LBB159_13
; %bb.49:                               ;   in Loop: Header=BB159_15 Depth=1
	v_and_b32_e32 v0, 0xffff, v1
	v_or_b32_e32 v2, 0x10000, v1
	s_delay_alu instid0(VALU_DEP_2) | instskip(NEXT) | instid1(VALU_DEP_2)
	v_cmp_eq_u32_e32 vcc_lo, 0, v0
	v_cndmask_b32_e32 v0, v2, v1, vcc_lo
	s_branch .LBB159_13
.LBB159_50:
	s_nop 0
	s_sendmsg sendmsg(MSG_DEALLOC_VGPRS)
	s_endpgm
	.section	.rodata,"a",@progbits
	.p2align	6, 0x0
	.amdhsa_kernel _Z12wvSplitK_hf_I14__hip_bfloat16Li32ELi1ELi16ELi8ELi4ELi1EEviiiiiiPKT_S3_S3_PS1_ii
		.amdhsa_group_segment_fixed_size 65536
		.amdhsa_private_segment_fixed_size 0
		.amdhsa_kernarg_size 64
		.amdhsa_user_sgpr_count 15
		.amdhsa_user_sgpr_dispatch_ptr 0
		.amdhsa_user_sgpr_queue_ptr 0
		.amdhsa_user_sgpr_kernarg_segment_ptr 1
		.amdhsa_user_sgpr_dispatch_id 0
		.amdhsa_user_sgpr_private_segment_size 0
		.amdhsa_wavefront_size32 1
		.amdhsa_uses_dynamic_stack 0
		.amdhsa_enable_private_segment 0
		.amdhsa_system_sgpr_workgroup_id_x 1
		.amdhsa_system_sgpr_workgroup_id_y 0
		.amdhsa_system_sgpr_workgroup_id_z 0
		.amdhsa_system_sgpr_workgroup_info 0
		.amdhsa_system_vgpr_workitem_id 1
		.amdhsa_next_free_vgpr 49
		.amdhsa_next_free_sgpr 26
		.amdhsa_reserve_vcc 1
		.amdhsa_float_round_mode_32 0
		.amdhsa_float_round_mode_16_64 0
		.amdhsa_float_denorm_mode_32 3
		.amdhsa_float_denorm_mode_16_64 3
		.amdhsa_dx10_clamp 1
		.amdhsa_ieee_mode 1
		.amdhsa_fp16_overflow 0
		.amdhsa_workgroup_processor_mode 1
		.amdhsa_memory_ordered 1
		.amdhsa_forward_progress 0
		.amdhsa_shared_vgpr_count 0
		.amdhsa_exception_fp_ieee_invalid_op 0
		.amdhsa_exception_fp_denorm_src 0
		.amdhsa_exception_fp_ieee_div_zero 0
		.amdhsa_exception_fp_ieee_overflow 0
		.amdhsa_exception_fp_ieee_underflow 0
		.amdhsa_exception_fp_ieee_inexact 0
		.amdhsa_exception_int_div_zero 0
	.end_amdhsa_kernel
	.section	.text._Z12wvSplitK_hf_I14__hip_bfloat16Li32ELi1ELi16ELi8ELi4ELi1EEviiiiiiPKT_S3_S3_PS1_ii,"axG",@progbits,_Z12wvSplitK_hf_I14__hip_bfloat16Li32ELi1ELi16ELi8ELi4ELi1EEviiiiiiPKT_S3_S3_PS1_ii,comdat
.Lfunc_end159:
	.size	_Z12wvSplitK_hf_I14__hip_bfloat16Li32ELi1ELi16ELi8ELi4ELi1EEviiiiiiPKT_S3_S3_PS1_ii, .Lfunc_end159-_Z12wvSplitK_hf_I14__hip_bfloat16Li32ELi1ELi16ELi8ELi4ELi1EEviiiiiiPKT_S3_S3_PS1_ii
                                        ; -- End function
	.section	.AMDGPU.csdata,"",@progbits
; Kernel info:
; codeLenInByte = 2924
; NumSgprs: 28
; NumVgprs: 49
; ScratchSize: 0
; MemoryBound: 0
; FloatMode: 240
; IeeeMode: 1
; LDSByteSize: 65536 bytes/workgroup (compile time only)
; SGPRBlocks: 3
; VGPRBlocks: 6
; NumSGPRsForWavesPerEU: 28
; NumVGPRsForWavesPerEU: 49
; Occupancy: 8
; WaveLimiterHint : 0
; COMPUTE_PGM_RSRC2:SCRATCH_EN: 0
; COMPUTE_PGM_RSRC2:USER_SGPR: 15
; COMPUTE_PGM_RSRC2:TRAP_HANDLER: 0
; COMPUTE_PGM_RSRC2:TGID_X_EN: 1
; COMPUTE_PGM_RSRC2:TGID_Y_EN: 0
; COMPUTE_PGM_RSRC2:TGID_Z_EN: 0
; COMPUTE_PGM_RSRC2:TIDIG_COMP_CNT: 1
	.section	.text._Z16wvSplitK_hf_big_I14__hip_bfloat16Li32ELi1ELi16ELi8ELi4ELi1EEviiiiiiPKT_S3_S3_PS1_ii,"axG",@progbits,_Z16wvSplitK_hf_big_I14__hip_bfloat16Li32ELi1ELi16ELi8ELi4ELi1EEviiiiiiPKT_S3_S3_PS1_ii,comdat
	.protected	_Z16wvSplitK_hf_big_I14__hip_bfloat16Li32ELi1ELi16ELi8ELi4ELi1EEviiiiiiPKT_S3_S3_PS1_ii ; -- Begin function _Z16wvSplitK_hf_big_I14__hip_bfloat16Li32ELi1ELi16ELi8ELi4ELi1EEviiiiiiPKT_S3_S3_PS1_ii
	.globl	_Z16wvSplitK_hf_big_I14__hip_bfloat16Li32ELi1ELi16ELi8ELi4ELi1EEviiiiiiPKT_S3_S3_PS1_ii
	.p2align	8
	.type	_Z16wvSplitK_hf_big_I14__hip_bfloat16Li32ELi1ELi16ELi8ELi4ELi1EEviiiiiiPKT_S3_S3_PS1_ii,@function
_Z16wvSplitK_hf_big_I14__hip_bfloat16Li32ELi1ELi16ELi8ELi4ELi1EEviiiiiiPKT_S3_S3_PS1_ii: ; @_Z16wvSplitK_hf_big_I14__hip_bfloat16Li32ELi1ELi16ELi8ELi4ELi1EEviiiiiiPKT_S3_S3_PS1_ii
; %bb.0:
	s_load_b64 s[12:13], s[0:1], 0x38
	v_bfe_u32 v1, v0, 10, 10
	s_mov_b32 s2, exec_lo
	s_waitcnt lgkmcnt(0)
	s_delay_alu instid0(VALU_DEP_1)
	v_cmpx_gt_u32_e64 s12, v1
	s_cbranch_execz .LBB160_42
; %bb.1:
	s_load_b128 s[16:19], s[0:1], 0x0
	v_mad_u64_u32 v[32:33], null, s15, s12, v[1:2]
	s_delay_alu instid0(VALU_DEP_1) | instskip(SKIP_2) | instid1(VALU_DEP_2)
	v_dual_mov_b32 v35, 1 :: v_dual_add_nc_u32 v2, 1, v32
	s_waitcnt lgkmcnt(0)
	v_cmp_gt_u32_e32 vcc_lo, s19, v32
	v_cmp_le_u32_e64 s2, s19, v2
	s_delay_alu instid0(VALU_DEP_1) | instskip(NEXT) | instid1(SALU_CYCLE_1)
	s_and_b32 s3, vcc_lo, s2
	s_and_saveexec_b32 s2, s3
; %bb.2:
	v_subrev_nc_u32_e32 v2, s19, v32
	s_add_i32 s3, s19, -1
	s_delay_alu instid0(SALU_CYCLE_1) | instskip(NEXT) | instid1(VALU_DEP_2)
	v_mov_b32_e32 v32, s3
	v_cmp_eq_u32_e32 vcc_lo, -1, v2
	v_cndmask_b32_e64 v35, 0, 1, vcc_lo
; %bb.3:
	s_or_b32 exec_lo, exec_lo, s2
	s_abs_i32 s2, s12
	s_abs_i32 s5, s19
	v_cvt_f32_u32_e32 v2, s2
	s_sub_i32 s4, 0, s2
	s_mov_b32 s14, 0
	s_delay_alu instid0(VALU_DEP_1) | instskip(SKIP_2) | instid1(VALU_DEP_1)
	v_rcp_iflag_f32_e32 v2, v2
	s_waitcnt_depctr 0xfff
	v_mul_f32_e32 v2, 0x4f7ffffe, v2
	v_cvt_u32_f32_e32 v2, v2
	s_delay_alu instid0(VALU_DEP_1) | instskip(NEXT) | instid1(VALU_DEP_1)
	v_readfirstlane_b32 s3, v2
	s_mul_i32 s4, s4, s3
	s_delay_alu instid0(SALU_CYCLE_1) | instskip(NEXT) | instid1(SALU_CYCLE_1)
	s_mul_hi_u32 s4, s3, s4
	s_add_i32 s3, s3, s4
	s_ashr_i32 s4, s19, 31
	s_mul_hi_u32 s3, s5, s3
	s_delay_alu instid0(SALU_CYCLE_1) | instskip(NEXT) | instid1(SALU_CYCLE_1)
	s_mul_i32 s3, s3, s2
	s_sub_i32 s3, s5, s3
	s_delay_alu instid0(SALU_CYCLE_1) | instskip(SKIP_2) | instid1(SALU_CYCLE_1)
	s_sub_i32 s5, s3, s2
	s_cmp_ge_u32 s3, s2
	s_cselect_b32 s3, s5, s3
	s_sub_i32 s5, s3, s2
	s_cmp_ge_u32 s3, s2
	s_cselect_b32 s2, s5, s3
	s_add_i32 s3, s12, s19
	s_xor_b32 s2, s2, s4
	s_delay_alu instid0(SALU_CYCLE_1) | instskip(NEXT) | instid1(SALU_CYCLE_1)
	s_sub_i32 s2, s2, s4
	s_sub_i32 s3, s3, s2
	s_cmp_eq_u32 s2, 0
	s_cselect_b32 s3, s19, s3
	s_delay_alu instid0(SALU_CYCLE_1)
	v_cmp_gt_u32_e32 vcc_lo, s3, v32
	s_and_b32 exec_lo, exec_lo, vcc_lo
	s_cbranch_execz .LBB160_42
; %bb.4:
	s_clause 0x1
	s_load_b32 s15, s[0:1], 0x10
	s_load_b256 s[4:11], s[0:1], 0x18
	s_min_u32 s20, s18, 0x8000
	v_and_b32_e32 v0, 0x3ff, v0
	s_cmp_lg_u32 s16, 0
	v_mbcnt_lo_u32_b32 v36, -1, 0
	s_cselect_b32 s21, -1, 0
	s_cmp_lg_u32 s18, 0
	v_lshlrev_b32_e32 v4, 4, v0
	s_cselect_b32 s22, -1, 0
	s_lshl_b32 s23, s12, 8
	s_add_i32 s24, s16, -8
	s_add_i32 s25, s19, -1
	s_mul_i32 s13, s13, s12
	v_xor_b32_e32 v38, 16, v36
	v_lshl_add_u32 v39, v1, 9, v4
	v_lshlrev_b32_e32 v37, 3, v0
	s_waitcnt lgkmcnt(0)
	v_cvt_f32_u32_e32 v2, s15
	s_cmp_lg_u64 s[8:9], 0
	s_delay_alu instid0(VALU_DEP_2)
	v_lshl_add_u32 v40, v1, 8, v37
	s_cselect_b32 s26, -1, 0
	s_sub_i32 s0, 0, s15
	v_rcp_iflag_f32_e32 v2, v2
	s_sub_i32 s27, s13, s19
	s_lshl_b32 s12, s12, 9
	s_add_i32 s27, s27, 2
	s_waitcnt_depctr 0xfff
	v_mul_f32_e32 v2, 0x4f7ffffe, v2
	s_delay_alu instid0(VALU_DEP_1) | instskip(NEXT) | instid1(VALU_DEP_1)
	v_cvt_u32_f32_e32 v2, v2
	v_mul_lo_u32 v3, s0, v2
	v_cmp_eq_u32_e64 s0, 31, v0
	s_delay_alu instid0(VALU_DEP_2) | instskip(NEXT) | instid1(VALU_DEP_1)
	v_mul_hi_u32 v3, v2, v3
	v_dual_mov_b32 v34, 0 :: v_dual_add_nc_u32 v41, v2, v3
	s_branch .LBB160_7
.LBB160_5:                              ;   in Loop: Header=BB160_7 Depth=1
	s_or_b32 exec_lo, exec_lo, s1
.LBB160_6:                              ;   in Loop: Header=BB160_7 Depth=1
	s_delay_alu instid0(SALU_CYCLE_1) | instskip(NEXT) | instid1(VALU_DEP_1)
	s_or_b32 exec_lo, exec_lo, s2
	v_cmp_le_u32_e32 vcc_lo, s3, v0
	v_mov_b32_e32 v32, v0
	s_or_b32 s14, vcc_lo, s14
	s_delay_alu instid0(SALU_CYCLE_1)
	s_and_not1_b32 exec_lo, exec_lo, s14
	s_cbranch_execz .LBB160_42
.LBB160_7:                              ; =>This Loop Header: Depth=1
                                        ;     Child Loop BB160_14 Depth 2
                                        ;       Child Loop BB160_19 Depth 3
	s_delay_alu instid0(VALU_DEP_1)
	v_mov_b32_e32 v44, v34
	s_and_not1_b32 vcc_lo, exec_lo, s21
	s_cbranch_vccnz .LBB160_28
; %bb.8:                                ;   in Loop: Header=BB160_7 Depth=1
	v_min_u32_e32 v0, s25, v32
	v_cmp_gt_u32_e64 s1, s19, v32
	v_mov_b32_e32 v44, 0
	s_mov_b32 s28, 0
	s_mov_b32 s29, 0
	v_mul_lo_u32 v33, v0, s17
	s_delay_alu instid0(VALU_DEP_1) | instskip(NEXT) | instid1(VALU_DEP_1)
	v_lshlrev_b64 v[0:1], 1, v[33:34]
	v_add_co_u32 v42, vcc_lo, s4, v0
	s_delay_alu instid0(VALU_DEP_2)
	v_add_co_ci_u32_e32 v43, vcc_lo, s5, v1, vcc_lo
	s_branch .LBB160_14
.LBB160_9:                              ;   in Loop: Header=BB160_14 Depth=2
	s_or_b32 exec_lo, exec_lo, s34
.LBB160_10:                             ;   in Loop: Header=BB160_14 Depth=2
	s_delay_alu instid0(SALU_CYCLE_1)
	s_or_b32 exec_lo, exec_lo, s33
.LBB160_11:                             ;   in Loop: Header=BB160_14 Depth=2
	s_delay_alu instid0(SALU_CYCLE_1)
	s_or_b32 exec_lo, exec_lo, s31
.LBB160_12:                             ;   in Loop: Header=BB160_14 Depth=2
	s_delay_alu instid0(SALU_CYCLE_1)
	s_or_b32 exec_lo, exec_lo, s30
	s_waitcnt lgkmcnt(0)
	v_and_b32_e32 v33, 0xffff0000, v28
	s_waitcnt vmcnt(3)
	v_and_b32_e32 v45, 0xffff0000, v24
	v_lshlrev_b32_e32 v28, 16, v28
	v_and_b32_e32 v47, 0xffff0000, v25
	s_delay_alu instid0(VALU_DEP_3) | instskip(SKIP_1) | instid1(VALU_DEP_1)
	v_mul_f32_e32 v33, v33, v45
	v_and_b32_e32 v46, 0xffff0000, v29
	v_dual_mul_f32 v45, v46, v47 :: v_dual_lshlrev_b32 v24, 16, v24
	s_delay_alu instid0(VALU_DEP_1) | instskip(SKIP_3) | instid1(VALU_DEP_3)
	v_dual_fmac_f32 v33, v28, v24 :: v_dual_and_b32 v24, 0xffff0000, v30
	v_and_b32_e32 v28, 0xffff0000, v26
	v_lshlrev_b32_e32 v30, 16, v30
	v_lshlrev_b32_e32 v26, 16, v26
	v_mul_f32_e32 v24, v24, v28
	s_delay_alu instid0(VALU_DEP_1)
	v_dual_fmac_f32 v24, v30, v26 :: v_dual_lshlrev_b32 v29, 16, v29
	v_lshlrev_b32_e32 v26, 16, v31
	v_lshlrev_b32_e32 v25, 16, v25
	s_waitcnt vmcnt(2)
	v_and_b32_e32 v30, 0xffff0000, v16
	v_and_b32_e32 v28, 0xffff0000, v31
	s_delay_alu instid0(VALU_DEP_3) | instskip(SKIP_1) | instid1(VALU_DEP_1)
	v_dual_fmac_f32 v45, v29, v25 :: v_dual_lshlrev_b32 v16, 16, v16
	v_add_f32_e32 v25, v44, v33
	v_add_f32_e32 v25, v25, v45
	s_delay_alu instid0(VALU_DEP_1) | instskip(NEXT) | instid1(VALU_DEP_1)
	v_dual_add_f32 v24, v25, v24 :: v_dual_and_b32 v29, 0xffff0000, v27
	v_dual_mul_f32 v28, v28, v29 :: v_dual_and_b32 v29, 0xffff0000, v20
	s_delay_alu instid0(VALU_DEP_1) | instskip(NEXT) | instid1(VALU_DEP_1)
	v_dual_mul_f32 v25, v29, v30 :: v_dual_lshlrev_b32 v20, 16, v20
	v_fmac_f32_e32 v25, v20, v16
	v_lshlrev_b32_e32 v27, 16, v27
	v_lshlrev_b32_e32 v16, 16, v21
	s_delay_alu instid0(VALU_DEP_2) | instskip(SKIP_2) | instid1(VALU_DEP_3)
	v_fmac_f32_e32 v28, v26, v27
	v_and_b32_e32 v26, 0xffff0000, v21
	v_and_b32_e32 v21, 0xffff0000, v22
	v_dual_add_f32 v24, v24, v28 :: v_dual_and_b32 v27, 0xffff0000, v17
	s_delay_alu instid0(VALU_DEP_1) | instskip(SKIP_1) | instid1(VALU_DEP_3)
	v_mul_f32_e32 v20, v26, v27
	v_and_b32_e32 v26, 0xffff0000, v18
	v_add_f32_e32 v24, v24, v25
	v_lshlrev_b32_e32 v17, 16, v17
	s_delay_alu instid0(VALU_DEP_1)
	v_fmac_f32_e32 v20, v16, v17
	v_lshlrev_b32_e32 v16, 16, v22
	v_lshlrev_b32_e32 v17, 16, v18
	v_dual_mul_f32 v18, v21, v26 :: v_dual_and_b32 v21, 0xffff0000, v23
	v_and_b32_e32 v22, 0xffff0000, v19
	v_add_f32_e32 v20, v24, v20
	s_delay_alu instid0(VALU_DEP_3)
	v_fmac_f32_e32 v18, v16, v17
	v_lshlrev_b32_e32 v16, 16, v23
	v_lshlrev_b32_e32 v17, 16, v19
	s_waitcnt vmcnt(1)
	v_dual_mul_f32 v19, v21, v22 :: v_dual_and_b32 v22, 0xffff0000, v8
	v_add_f32_e32 v18, v20, v18
	v_and_b32_e32 v20, 0xffff0000, v9
	v_lshlrev_b32_e32 v9, 16, v9
	v_and_b32_e32 v21, 0xffff0000, v12
	v_dual_fmac_f32 v19, v16, v17 :: v_dual_lshlrev_b32 v12, 16, v12
	v_lshlrev_b32_e32 v8, 16, v8
	s_delay_alu instid0(VALU_DEP_3) | instskip(NEXT) | instid1(VALU_DEP_3)
	v_dual_mul_f32 v16, v21, v22 :: v_dual_and_b32 v17, 0xffff0000, v13
	v_add_f32_e32 v18, v18, v19
	s_delay_alu instid0(VALU_DEP_2) | instskip(SKIP_1) | instid1(VALU_DEP_4)
	v_fmac_f32_e32 v16, v12, v8
	v_lshlrev_b32_e32 v8, 16, v13
	v_dual_mul_f32 v12, v17, v20 :: v_dual_and_b32 v13, 0xffff0000, v14
	s_delay_alu instid0(VALU_DEP_3) | instskip(NEXT) | instid1(VALU_DEP_2)
	v_dual_add_f32 v16, v18, v16 :: v_dual_and_b32 v17, 0xffff0000, v10
	v_fmac_f32_e32 v12, v8, v9
	v_lshlrev_b32_e32 v8, 16, v14
	s_delay_alu instid0(VALU_DEP_3) | instskip(NEXT) | instid1(VALU_DEP_3)
	v_dual_mul_f32 v10, v13, v17 :: v_dual_lshlrev_b32 v9, 16, v10
	v_dual_add_f32 v12, v16, v12 :: v_dual_and_b32 v13, 0xffff0000, v15
	v_and_b32_e32 v14, 0xffff0000, v11
	s_delay_alu instid0(VALU_DEP_3) | instskip(NEXT) | instid1(VALU_DEP_2)
	v_dual_fmac_f32 v10, v8, v9 :: v_dual_lshlrev_b32 v9, 16, v11
	v_dual_mul_f32 v11, v13, v14 :: v_dual_lshlrev_b32 v8, 16, v15
	s_delay_alu instid0(VALU_DEP_2) | instskip(SKIP_2) | instid1(VALU_DEP_3)
	v_dual_add_f32 v10, v12, v10 :: v_dual_and_b32 v13, 0xffff0000, v4
	s_waitcnt vmcnt(0)
	v_and_b32_e32 v14, 0xffff0000, v0
	v_dual_fmac_f32 v11, v8, v9 :: v_dual_lshlrev_b32 v4, 16, v4
	v_lshlrev_b32_e32 v0, 16, v0
	s_delay_alu instid0(VALU_DEP_3) | instskip(SKIP_1) | instid1(VALU_DEP_4)
	v_dual_mul_f32 v8, v13, v14 :: v_dual_and_b32 v9, 0xffff0000, v5
	v_and_b32_e32 v12, 0xffff0000, v1
	v_dual_add_f32 v10, v10, v11 :: v_dual_lshlrev_b32 v1, 16, v1
	s_delay_alu instid0(VALU_DEP_3) | instskip(SKIP_1) | instid1(VALU_DEP_4)
	v_fmac_f32_e32 v8, v4, v0
	v_lshlrev_b32_e32 v0, 16, v5
	v_dual_mul_f32 v4, v9, v12 :: v_dual_and_b32 v5, 0xffff0000, v6
	s_delay_alu instid0(VALU_DEP_3) | instskip(NEXT) | instid1(VALU_DEP_2)
	v_dual_add_f32 v8, v10, v8 :: v_dual_and_b32 v9, 0xffff0000, v2
	v_fmac_f32_e32 v4, v0, v1
	v_lshlrev_b32_e32 v0, 16, v6
	s_delay_alu instid0(VALU_DEP_3) | instskip(SKIP_3) | instid1(VALU_DEP_4)
	v_dual_mul_f32 v2, v5, v9 :: v_dual_lshlrev_b32 v1, 16, v2
	v_and_b32_e32 v5, 0xffff0000, v7
	v_and_b32_e32 v6, 0xffff0000, v3
	v_add_f32_e32 v4, v8, v4
	v_dual_fmac_f32 v2, v0, v1 :: v_dual_lshlrev_b32 v1, 16, v3
	s_delay_alu instid0(VALU_DEP_3) | instskip(NEXT) | instid1(VALU_DEP_2)
	v_dual_mul_f32 v3, v5, v6 :: v_dual_lshlrev_b32 v0, 16, v7
	v_add_f32_e32 v2, v4, v2
	s_delay_alu instid0(VALU_DEP_2) | instskip(NEXT) | instid1(VALU_DEP_1)
	v_fmac_f32_e32 v3, v0, v1
	v_add_f32_e32 v44, v2, v3
.LBB160_13:                             ;   in Loop: Header=BB160_14 Depth=2
	s_or_b32 exec_lo, exec_lo, s2
	s_addk_i32 s29, 0x400
	s_delay_alu instid0(SALU_CYCLE_1)
	s_cmp_ge_u32 s29, s16
	s_cbranch_scc1 .LBB160_28
.LBB160_14:                             ;   Parent Loop BB160_7 Depth=1
                                        ; =>  This Loop Header: Depth=2
                                        ;       Child Loop BB160_19 Depth 3
	s_cmp_eq_u32 s29, 0
	s_cselect_b32 s30, -1, 0
	s_add_i32 s2, s28, s20
	s_delay_alu instid0(SALU_CYCLE_1) | instskip(SKIP_1) | instid1(SALU_CYCLE_1)
	s_cmp_eq_u32 s29, s2
	s_cselect_b32 s31, -1, 0
	s_or_b32 s31, s30, s31
	s_delay_alu instid0(SALU_CYCLE_1)
	s_and_not1_b32 vcc_lo, exec_lo, s31
	s_cbranch_vccz .LBB160_16
; %bb.15:                               ;   in Loop: Header=BB160_14 Depth=2
	s_and_saveexec_b32 s2, s1
	s_cbranch_execz .LBB160_13
	s_branch .LBB160_23
.LBB160_16:                             ;   in Loop: Header=BB160_14 Depth=2
	s_and_b32 s30, s30, exec_lo
	s_cselect_b32 s28, s28, s2
	s_and_not1_b32 vcc_lo, exec_lo, s22
	s_waitcnt vmcnt(0)
	s_waitcnt_vscnt null, 0x0
	s_barrier
	buffer_gl0_inv
	s_cbranch_vccnz .LBB160_22
; %bb.17:                               ;   in Loop: Header=BB160_14 Depth=2
	v_dual_mov_b32 v1, v39 :: v_dual_add_nc_u32 v0, s28, v40
	s_mov_b32 s30, 0
	s_mov_b32 s31, 0
                                        ; implicit-def: $sgpr33
	s_set_inst_prefetch_distance 0x1
	s_branch .LBB160_19
	.p2align	6
.LBB160_18:                             ;   in Loop: Header=BB160_19 Depth=3
	s_or_b32 exec_lo, exec_lo, s2
	s_delay_alu instid0(SALU_CYCLE_1) | instskip(NEXT) | instid1(SALU_CYCLE_1)
	s_and_b32 s2, exec_lo, s33
	s_or_b32 s30, s2, s30
	s_delay_alu instid0(SALU_CYCLE_1)
	s_and_not1_b32 exec_lo, exec_lo, s30
	s_cbranch_execz .LBB160_21
.LBB160_19:                             ;   Parent Loop BB160_7 Depth=1
                                        ;     Parent Loop BB160_14 Depth=2
                                        ; =>    This Inner Loop Header: Depth=3
	v_add_nc_u32_e32 v33, s31, v0
	v_add_nc_u32_e32 v2, s31, v40
	s_or_b32 s33, s33, exec_lo
	s_delay_alu instid0(VALU_DEP_2) | instskip(NEXT) | instid1(VALU_DEP_2)
	v_cmp_gt_u32_e32 vcc_lo, s18, v33
	v_cmp_gt_u32_e64 s2, s20, v2
	s_delay_alu instid0(VALU_DEP_1) | instskip(NEXT) | instid1(SALU_CYCLE_1)
	s_and_b32 s34, s2, vcc_lo
	s_and_saveexec_b32 s2, s34
	s_cbranch_execz .LBB160_18
; %bb.20:                               ;   in Loop: Header=BB160_19 Depth=3
	v_lshlrev_b64 v[2:3], 1, v[33:34]
	s_add_i32 s31, s31, s23
	s_delay_alu instid0(SALU_CYCLE_1) | instskip(SKIP_1) | instid1(VALU_DEP_1)
	s_cmp_ge_u32 s31, s20
	s_cselect_b32 s34, -1, 0
	v_add_co_u32 v2, vcc_lo, s6, v2
	s_delay_alu instid0(VALU_DEP_2) | instskip(SKIP_2) | instid1(SALU_CYCLE_1)
	v_add_co_ci_u32_e32 v3, vcc_lo, s7, v3, vcc_lo
	s_and_not1_b32 s33, s33, exec_lo
	s_and_b32 s34, s34, exec_lo
	s_or_b32 s33, s33, s34
	global_load_b128 v[2:5], v[2:3], off
	s_waitcnt vmcnt(0)
	ds_store_b128 v1, v[2:5]
	v_add_nc_u32_e32 v1, s12, v1
	s_branch .LBB160_18
.LBB160_21:                             ;   in Loop: Header=BB160_14 Depth=2
	s_set_inst_prefetch_distance 0x2
	s_or_b32 exec_lo, exec_lo, s30
.LBB160_22:                             ;   in Loop: Header=BB160_14 Depth=2
	s_waitcnt lgkmcnt(0)
	s_barrier
	buffer_gl0_inv
	s_and_saveexec_b32 s2, s1
	s_cbranch_execz .LBB160_13
.LBB160_23:                             ;   in Loop: Header=BB160_14 Depth=2
	v_add_nc_u32_e32 v47, s29, v37
	v_dual_mov_b32 v15, 0 :: v_dual_mov_b32 v14, 0
	v_dual_mov_b32 v13, 0 :: v_dual_mov_b32 v12, 0
	s_delay_alu instid0(VALU_DEP_3)
	v_min_u32_e32 v33, s24, v47
	v_add_nc_u32_e32 v48, 0x100, v47
	v_add_nc_u32_e32 v46, 0x200, v47
	;; [unrolled: 1-line block ×3, first 2 shown]
	v_dual_mov_b32 v23, 0 :: v_dual_mov_b32 v22, 0
	v_lshlrev_b64 v[0:1], 1, v[33:34]
	v_min_u32_e32 v33, s24, v48
	v_dual_mov_b32 v21, 0 :: v_dual_mov_b32 v20, 0
	v_dual_mov_b32 v31, 0 :: v_dual_mov_b32 v30, 0
	s_waitcnt vmcnt(0)
	s_delay_alu instid0(VALU_DEP_3) | instskip(SKIP_3) | instid1(VALU_DEP_3)
	v_lshlrev_b64 v[2:3], 1, v[33:34]
	v_min_u32_e32 v33, s24, v46
	v_add_co_u32 v0, vcc_lo, v42, v0
	v_add_co_ci_u32_e32 v1, vcc_lo, v43, v1, vcc_lo
	v_lshlrev_b64 v[4:5], 1, v[33:34]
	v_min_u32_e32 v33, s24, v45
	v_add_co_u32 v2, vcc_lo, v42, v2
	v_add_co_ci_u32_e32 v3, vcc_lo, v43, v3, vcc_lo
	s_delay_alu instid0(VALU_DEP_3) | instskip(SKIP_3) | instid1(VALU_DEP_4)
	v_lshlrev_b64 v[6:7], 1, v[33:34]
	v_add_co_u32 v4, vcc_lo, v42, v4
	v_add_co_ci_u32_e32 v5, vcc_lo, v43, v5, vcc_lo
	v_dual_mov_b32 v29, 0 :: v_dual_mov_b32 v28, 0
	v_add_co_u32 v6, vcc_lo, v42, v6
	v_add_co_ci_u32_e32 v7, vcc_lo, v43, v7, vcc_lo
	s_clause 0x3
	global_load_b128 v[24:27], v[0:1], off slc dlc
	global_load_b128 v[16:19], v[2:3], off slc dlc
	;; [unrolled: 1-line block ×4, first 2 shown]
	v_dual_mov_b32 v7, 0 :: v_dual_mov_b32 v6, 0
	v_dual_mov_b32 v5, 0 :: v_dual_mov_b32 v4, 0
	s_mov_b32 s30, exec_lo
	v_cmpx_gt_u32_e64 s16, v47
	s_cbranch_execz .LBB160_12
; %bb.24:                               ;   in Loop: Header=BB160_14 Depth=2
	v_subrev_nc_u32_e32 v4, s28, v47
	v_dual_mov_b32 v21, 0 :: v_dual_mov_b32 v22, 0
	v_dual_mov_b32 v23, 0 :: v_dual_mov_b32 v12, 0
	s_delay_alu instid0(VALU_DEP_3)
	v_dual_mov_b32 v20, 0 :: v_dual_lshlrev_b32 v33, 1, v4
	v_dual_mov_b32 v13, 0 :: v_dual_mov_b32 v14, 0
	v_dual_mov_b32 v15, 0 :: v_dual_mov_b32 v4, 0
	ds_load_b128 v[28:31], v33
	v_dual_mov_b32 v5, 0 :: v_dual_mov_b32 v6, 0
	v_mov_b32_e32 v7, 0
	s_mov_b32 s31, exec_lo
	v_cmpx_gt_u32_e64 s16, v48
	s_cbranch_execz .LBB160_11
; %bb.25:                               ;   in Loop: Header=BB160_14 Depth=2
	ds_load_b128 v[20:23], v33 offset:512
	v_dual_mov_b32 v12, 0 :: v_dual_mov_b32 v13, 0
	v_dual_mov_b32 v14, 0 :: v_dual_mov_b32 v15, 0
	;; [unrolled: 1-line block ×4, first 2 shown]
	s_mov_b32 s33, exec_lo
	v_cmpx_gt_u32_e64 s16, v46
	s_cbranch_execz .LBB160_10
; %bb.26:                               ;   in Loop: Header=BB160_14 Depth=2
	ds_load_b128 v[12:15], v33 offset:1024
	v_dual_mov_b32 v4, 0 :: v_dual_mov_b32 v5, 0
	v_dual_mov_b32 v6, 0 :: v_dual_mov_b32 v7, 0
	s_mov_b32 s34, exec_lo
	v_cmpx_gt_u32_e64 s16, v45
	s_cbranch_execz .LBB160_9
; %bb.27:                               ;   in Loop: Header=BB160_14 Depth=2
	ds_load_b128 v[4:7], v33 offset:1536
	s_branch .LBB160_9
.LBB160_28:                             ;   in Loop: Header=BB160_7 Depth=1
	s_mov_b32 s1, exec_lo
                                        ; implicit-def: $vgpr0
	v_cmpx_le_u32_e64 s19, v32
	s_xor_b32 s1, exec_lo, s1
; %bb.29:                               ;   in Loop: Header=BB160_7 Depth=1
	v_add_nc_u32_e32 v0, s13, v32
                                        ; implicit-def: $vgpr32
                                        ; implicit-def: $vgpr44
; %bb.30:                               ;   in Loop: Header=BB160_7 Depth=1
	s_and_not1_saveexec_b32 s2, s1
	s_cbranch_execz .LBB160_6
; %bb.31:                               ;   in Loop: Header=BB160_7 Depth=1
	v_cvt_i32_f32_e32 v0, v44
	v_cmp_gt_i32_e32 vcc_lo, 32, v38
	s_delay_alu instid0(VALU_DEP_2) | instskip(SKIP_2) | instid1(VALU_DEP_2)
	v_cvt_f32_i32_dpp v0, v0 row_shr:8 row_mask:0xf bank_mask:0xf bound_ctrl:1
	s_waitcnt vmcnt(0)
	v_cndmask_b32_e32 v2, v36, v38, vcc_lo
	v_add_f32_e32 v0, v44, v0
	s_delay_alu instid0(VALU_DEP_1) | instskip(NEXT) | instid1(VALU_DEP_1)
	v_cvt_i32_f32_e32 v1, v0
	v_cvt_f32_i32_dpp v1, v1 row_shr:4 row_mask:0xf bank_mask:0xf bound_ctrl:1
	s_delay_alu instid0(VALU_DEP_1) | instskip(NEXT) | instid1(VALU_DEP_1)
	v_add_f32_e32 v0, v0, v1
	v_cvt_i32_f32_e32 v1, v0
	s_delay_alu instid0(VALU_DEP_1) | instskip(NEXT) | instid1(VALU_DEP_1)
	v_cvt_f32_i32_dpp v1, v1 row_shr:2 row_mask:0xf bank_mask:0xf bound_ctrl:1
	v_add_f32_e32 v0, v0, v1
	s_delay_alu instid0(VALU_DEP_1) | instskip(NEXT) | instid1(VALU_DEP_1)
	v_cvt_i32_f32_e32 v1, v0
	v_cvt_f32_i32_dpp v1, v1 row_shr:1 row_mask:0xf bank_mask:0xf bound_ctrl:1
	s_delay_alu instid0(VALU_DEP_1)
	v_dual_add_f32 v0, v0, v1 :: v_dual_lshlrev_b32 v1, 2, v2
	ds_bpermute_b32 v1, v1, v0
	s_and_saveexec_b32 s1, s0
	s_cbranch_execz .LBB160_40
; %bb.32:                               ;   in Loop: Header=BB160_7 Depth=1
	s_and_not1_b32 vcc_lo, exec_lo, s26
	s_cbranch_vccnz .LBB160_34
; %bb.33:                               ;   in Loop: Header=BB160_7 Depth=1
	v_mul_hi_u32 v2, v32, v41
	s_delay_alu instid0(VALU_DEP_1) | instskip(NEXT) | instid1(VALU_DEP_1)
	v_mul_lo_u32 v2, v2, s15
	v_sub_nc_u32_e32 v2, v32, v2
	s_delay_alu instid0(VALU_DEP_1) | instskip(SKIP_1) | instid1(VALU_DEP_2)
	v_subrev_nc_u32_e32 v3, s15, v2
	v_cmp_le_u32_e32 vcc_lo, s15, v2
	v_cndmask_b32_e32 v2, v2, v3, vcc_lo
	s_delay_alu instid0(VALU_DEP_1) | instskip(SKIP_1) | instid1(VALU_DEP_2)
	v_subrev_nc_u32_e32 v3, s15, v2
	v_cmp_le_u32_e32 vcc_lo, s15, v2
	v_cndmask_b32_e32 v33, v2, v3, vcc_lo
	s_delay_alu instid0(VALU_DEP_1) | instskip(NEXT) | instid1(VALU_DEP_1)
	v_lshlrev_b64 v[2:3], 1, v[33:34]
	v_add_co_u32 v2, vcc_lo, s8, v2
	s_delay_alu instid0(VALU_DEP_2)
	v_add_co_ci_u32_e32 v3, vcc_lo, s9, v3, vcc_lo
	global_load_u16 v2, v[2:3], off
	v_cmp_ne_u32_e32 vcc_lo, 0, v35
	s_and_b32 exec_lo, exec_lo, vcc_lo
	s_cbranch_execnz .LBB160_35
	s_branch .LBB160_40
.LBB160_34:                             ;   in Loop: Header=BB160_7 Depth=1
	v_mov_b32_e32 v2, 0
	v_cmp_ne_u32_e32 vcc_lo, 0, v35
	s_and_b32 exec_lo, exec_lo, vcc_lo
	s_cbranch_execz .LBB160_40
.LBB160_35:                             ;   in Loop: Header=BB160_7 Depth=1
	s_waitcnt vmcnt(0) lgkmcnt(0)
	v_dual_add_f32 v0, v0, v1 :: v_dual_lshlrev_b32 v1, 16, v2
	s_delay_alu instid0(VALU_DEP_1) | instskip(NEXT) | instid1(VALU_DEP_1)
	v_add_f32_e32 v1, v0, v1
	v_and_b32_e32 v0, 0x7f800000, v1
	s_delay_alu instid0(VALU_DEP_1) | instskip(SKIP_1) | instid1(SALU_CYCLE_1)
	v_cmp_ne_u32_e32 vcc_lo, 0x7f800000, v0
                                        ; implicit-def: $vgpr0
	s_and_saveexec_b32 s28, vcc_lo
	s_xor_b32 s28, exec_lo, s28
; %bb.36:                               ;   in Loop: Header=BB160_7 Depth=1
	v_bfe_u32 v0, v1, 16, 1
	s_delay_alu instid0(VALU_DEP_1)
	v_add3_u32 v0, v1, v0, 0x7fff
                                        ; implicit-def: $vgpr1
; %bb.37:                               ;   in Loop: Header=BB160_7 Depth=1
	s_and_not1_saveexec_b32 s28, s28
; %bb.38:                               ;   in Loop: Header=BB160_7 Depth=1
	v_and_b32_e32 v0, 0xffff, v1
	v_or_b32_e32 v2, 0x10000, v1
	s_delay_alu instid0(VALU_DEP_2) | instskip(NEXT) | instid1(VALU_DEP_2)
	v_cmp_eq_u32_e32 vcc_lo, 0, v0
	v_cndmask_b32_e32 v0, v2, v1, vcc_lo
; %bb.39:                               ;   in Loop: Header=BB160_7 Depth=1
	s_or_b32 exec_lo, exec_lo, s28
	v_mov_b32_e32 v33, v34
	s_delay_alu instid0(VALU_DEP_1) | instskip(NEXT) | instid1(VALU_DEP_1)
	v_lshlrev_b64 v[1:2], 1, v[32:33]
	v_add_co_u32 v1, vcc_lo, s10, v1
	s_delay_alu instid0(VALU_DEP_2)
	v_add_co_ci_u32_e32 v2, vcc_lo, s11, v2, vcc_lo
	global_store_d16_hi_b16 v[1:2], v0, off
.LBB160_40:                             ;   in Loop: Header=BB160_7 Depth=1
	s_or_b32 exec_lo, exec_lo, s1
	v_add_nc_u32_e32 v0, s13, v32
	s_waitcnt lgkmcnt(0)
	s_delay_alu instid0(VALU_DEP_1) | instskip(SKIP_1) | instid1(VALU_DEP_2)
	v_add_nc_u32_e32 v1, 1, v0
	v_cmp_gt_u32_e32 vcc_lo, s19, v0
	v_cmp_le_u32_e64 s1, s19, v1
	s_delay_alu instid0(VALU_DEP_1) | instskip(NEXT) | instid1(SALU_CYCLE_1)
	s_and_b32 s28, vcc_lo, s1
	s_and_saveexec_b32 s1, s28
	s_cbranch_execz .LBB160_5
; %bb.41:                               ;   in Loop: Header=BB160_7 Depth=1
	v_add_nc_u32_e32 v0, s27, v32
	s_delay_alu instid0(VALU_DEP_1)
	v_cmp_eq_u32_e32 vcc_lo, 1, v0
	v_dual_mov_b32 v0, s25 :: v_dual_cndmask_b32 v35, 0, v35
	s_branch .LBB160_5
.LBB160_42:
	s_nop 0
	s_sendmsg sendmsg(MSG_DEALLOC_VGPRS)
	s_endpgm
	.section	.rodata,"a",@progbits
	.p2align	6, 0x0
	.amdhsa_kernel _Z16wvSplitK_hf_big_I14__hip_bfloat16Li32ELi1ELi16ELi8ELi4ELi1EEviiiiiiPKT_S3_S3_PS1_ii
		.amdhsa_group_segment_fixed_size 65536
		.amdhsa_private_segment_fixed_size 0
		.amdhsa_kernarg_size 64
		.amdhsa_user_sgpr_count 15
		.amdhsa_user_sgpr_dispatch_ptr 0
		.amdhsa_user_sgpr_queue_ptr 0
		.amdhsa_user_sgpr_kernarg_segment_ptr 1
		.amdhsa_user_sgpr_dispatch_id 0
		.amdhsa_user_sgpr_private_segment_size 0
		.amdhsa_wavefront_size32 1
		.amdhsa_uses_dynamic_stack 0
		.amdhsa_enable_private_segment 0
		.amdhsa_system_sgpr_workgroup_id_x 1
		.amdhsa_system_sgpr_workgroup_id_y 0
		.amdhsa_system_sgpr_workgroup_id_z 0
		.amdhsa_system_sgpr_workgroup_info 0
		.amdhsa_system_vgpr_workitem_id 1
		.amdhsa_next_free_vgpr 49
		.amdhsa_next_free_sgpr 35
		.amdhsa_reserve_vcc 1
		.amdhsa_float_round_mode_32 0
		.amdhsa_float_round_mode_16_64 0
		.amdhsa_float_denorm_mode_32 3
		.amdhsa_float_denorm_mode_16_64 3
		.amdhsa_dx10_clamp 1
		.amdhsa_ieee_mode 1
		.amdhsa_fp16_overflow 0
		.amdhsa_workgroup_processor_mode 1
		.amdhsa_memory_ordered 1
		.amdhsa_forward_progress 0
		.amdhsa_shared_vgpr_count 0
		.amdhsa_exception_fp_ieee_invalid_op 0
		.amdhsa_exception_fp_denorm_src 0
		.amdhsa_exception_fp_ieee_div_zero 0
		.amdhsa_exception_fp_ieee_overflow 0
		.amdhsa_exception_fp_ieee_underflow 0
		.amdhsa_exception_fp_ieee_inexact 0
		.amdhsa_exception_int_div_zero 0
	.end_amdhsa_kernel
	.section	.text._Z16wvSplitK_hf_big_I14__hip_bfloat16Li32ELi1ELi16ELi8ELi4ELi1EEviiiiiiPKT_S3_S3_PS1_ii,"axG",@progbits,_Z16wvSplitK_hf_big_I14__hip_bfloat16Li32ELi1ELi16ELi8ELi4ELi1EEviiiiiiPKT_S3_S3_PS1_ii,comdat
.Lfunc_end160:
	.size	_Z16wvSplitK_hf_big_I14__hip_bfloat16Li32ELi1ELi16ELi8ELi4ELi1EEviiiiiiPKT_S3_S3_PS1_ii, .Lfunc_end160-_Z16wvSplitK_hf_big_I14__hip_bfloat16Li32ELi1ELi16ELi8ELi4ELi1EEviiiiiiPKT_S3_S3_PS1_ii
                                        ; -- End function
	.section	.AMDGPU.csdata,"",@progbits
; Kernel info:
; codeLenInByte = 2596
; NumSgprs: 37
; NumVgprs: 49
; ScratchSize: 0
; MemoryBound: 0
; FloatMode: 240
; IeeeMode: 1
; LDSByteSize: 65536 bytes/workgroup (compile time only)
; SGPRBlocks: 4
; VGPRBlocks: 6
; NumSGPRsForWavesPerEU: 37
; NumVGPRsForWavesPerEU: 49
; Occupancy: 8
; WaveLimiterHint : 0
; COMPUTE_PGM_RSRC2:SCRATCH_EN: 0
; COMPUTE_PGM_RSRC2:USER_SGPR: 15
; COMPUTE_PGM_RSRC2:TRAP_HANDLER: 0
; COMPUTE_PGM_RSRC2:TGID_X_EN: 1
; COMPUTE_PGM_RSRC2:TGID_Y_EN: 0
; COMPUTE_PGM_RSRC2:TGID_Z_EN: 0
; COMPUTE_PGM_RSRC2:TIDIG_COMP_CNT: 1
	.section	.text._Z16wvSplitK_hf_sml_I14__hip_bfloat16Li32ELi2ELi16ELi8ELi2ELi1EEviiiiiiPKT_S3_S3_PS1_ii,"axG",@progbits,_Z16wvSplitK_hf_sml_I14__hip_bfloat16Li32ELi2ELi16ELi8ELi2ELi1EEviiiiiiPKT_S3_S3_PS1_ii,comdat
	.protected	_Z16wvSplitK_hf_sml_I14__hip_bfloat16Li32ELi2ELi16ELi8ELi2ELi1EEviiiiiiPKT_S3_S3_PS1_ii ; -- Begin function _Z16wvSplitK_hf_sml_I14__hip_bfloat16Li32ELi2ELi16ELi8ELi2ELi1EEviiiiiiPKT_S3_S3_PS1_ii
	.globl	_Z16wvSplitK_hf_sml_I14__hip_bfloat16Li32ELi2ELi16ELi8ELi2ELi1EEviiiiiiPKT_S3_S3_PS1_ii
	.p2align	8
	.type	_Z16wvSplitK_hf_sml_I14__hip_bfloat16Li32ELi2ELi16ELi8ELi2ELi1EEviiiiiiPKT_S3_S3_PS1_ii,@function
_Z16wvSplitK_hf_sml_I14__hip_bfloat16Li32ELi2ELi16ELi8ELi2ELi1EEviiiiiiPKT_S3_S3_PS1_ii: ; @_Z16wvSplitK_hf_sml_I14__hip_bfloat16Li32ELi2ELi16ELi8ELi2ELi1EEviiiiiiPKT_S3_S3_PS1_ii
; %bb.0:
	s_load_b128 s[4:7], s[0:1], 0x0
	v_and_b32_e32 v1, 0x3ff, v0
	v_bfe_u32 v0, v0, 10, 10
	s_delay_alu instid0(VALU_DEP_2) | instskip(NEXT) | instid1(VALU_DEP_1)
	v_lshlrev_b32_e32 v31, 3, v1
	v_lshl_add_u32 v3, v0, 8, v31
	s_waitcnt lgkmcnt(0)
	s_min_u32 s8, s6, 0x8000
	s_mov_b32 s6, exec_lo
	s_delay_alu instid0(VALU_DEP_1)
	v_cmpx_gt_u32_e64 s8, v3
	s_cbranch_execz .LBB161_9
; %bb.1:
	s_load_b64 s[2:3], s[0:1], 0x20
	v_lshlrev_b32_e32 v2, 1, v3
	v_add_nc_u32_e32 v8, 0x1000, v3
	s_mov_b32 s9, exec_lo
	s_waitcnt lgkmcnt(0)
	global_load_b128 v[4:7], v2, s[2:3]
	s_waitcnt vmcnt(0)
	ds_store_b128 v2, v[4:7]
	v_cmpx_gt_u32_e64 s8, v8
	s_xor_b32 s9, exec_lo, s9
	s_cbranch_execz .LBB161_9
; %bb.2:
	v_add_co_u32 v4, s2, s2, v2
	s_delay_alu instid0(VALU_DEP_1) | instskip(SKIP_1) | instid1(VALU_DEP_3)
	v_add_co_ci_u32_e64 v5, null, s3, 0, s2
	v_add_nc_u32_e32 v10, 0x2000, v3
	v_add_co_u32 v6, vcc_lo, 0x2000, v4
	s_delay_alu instid0(VALU_DEP_3)
	v_add_co_ci_u32_e32 v7, vcc_lo, 0, v5, vcc_lo
	s_mov_b32 s2, exec_lo
	global_load_b128 v[6:9], v[6:7], off
	s_waitcnt vmcnt(0)
	ds_store_b128 v2, v[6:9] offset:8192
	v_cmpx_gt_u32_e64 s8, v10
	s_xor_b32 s2, exec_lo, s2
	s_cbranch_execz .LBB161_9
; %bb.3:
	v_add_co_u32 v6, vcc_lo, 0x4000, v4
	v_add_co_ci_u32_e32 v7, vcc_lo, 0, v5, vcc_lo
	v_add_nc_u32_e32 v10, 0x3000, v3
	s_mov_b32 s2, exec_lo
	global_load_b128 v[6:9], v[6:7], off
	s_waitcnt vmcnt(0)
	ds_store_b128 v2, v[6:9] offset:16384
	v_cmpx_gt_u32_e64 s8, v10
	s_xor_b32 s2, exec_lo, s2
	s_cbranch_execz .LBB161_9
; %bb.4:
	v_add_co_u32 v6, vcc_lo, 0x6000, v4
	v_add_co_ci_u32_e32 v7, vcc_lo, 0, v5, vcc_lo
	v_add_nc_u32_e32 v10, 0x4000, v3
	;; [unrolled: 11-line block ×5, first 2 shown]
	s_mov_b32 s2, exec_lo
	global_load_b128 v[6:9], v[6:7], off
	s_waitcnt vmcnt(0)
	ds_store_b128 v2, v[6:9] offset:49152
	v_cmpx_gt_u32_e64 s8, v3
	s_xor_b32 s2, exec_lo, s2
	s_cbranch_execz .LBB161_9
; %bb.8:
	v_add_co_u32 v3, vcc_lo, 0xe000, v4
	v_add_co_ci_u32_e32 v4, vcc_lo, 0, v5, vcc_lo
	global_load_b128 v[3:6], v[3:4], off
	s_waitcnt vmcnt(0)
	ds_store_b128 v2, v[3:6] offset:57344
.LBB161_9:
	s_or_b32 exec_lo, exec_lo, s6
	s_load_b64 s[12:13], s[0:1], 0x38
	s_waitcnt lgkmcnt(0)
	s_barrier
	buffer_gl0_inv
	s_mov_b32 s2, exec_lo
	v_cmpx_gt_u32_e64 s12, v0
	s_cbranch_execz .LBB161_32
; %bb.10:
	s_load_b32 s6, s[0:1], 0x10
	s_mul_i32 s15, s15, s12
	s_delay_alu instid0(SALU_CYCLE_1) | instskip(NEXT) | instid1(VALU_DEP_1)
	v_add_lshl_u32 v24, s15, v0, 1
	v_cmp_gt_u32_e32 vcc_lo, s7, v24
	s_and_b32 exec_lo, exec_lo, vcc_lo
	s_cbranch_execz .LBB161_32
; %bb.11:
	s_waitcnt lgkmcnt(0)
	v_cvt_f32_u32_e32 v0, s6
	v_mbcnt_lo_u32_b32 v2, -1, 0
	s_clause 0x1
	s_load_b128 s[8:11], s[0:1], 0x28
	s_load_b64 s[2:3], s[0:1], 0x18
	s_cmp_lg_u32 s4, 0
	v_rcp_iflag_f32_e32 v0, v0
	v_xor_b32_e32 v4, 16, v2
	s_cselect_b32 s1, -1, 0
	s_add_i32 s14, s4, -8
	s_add_i32 s15, s7, -1
	v_mov_b32_e32 v26, 0
	v_cmp_gt_i32_e32 vcc_lo, 32, v4
	v_lshlrev_b32_e32 v32, 4, v1
	s_mul_i32 s13, s12, s13
	s_mov_b32 s12, 0
	v_cndmask_b32_e32 v2, v2, v4, vcc_lo
	s_waitcnt_depctr 0xfff
	v_dual_mul_f32 v0, 0x4f7ffffe, v0 :: v_dual_lshlrev_b32 v33, 2, v2
	s_delay_alu instid0(VALU_DEP_1)
	v_cvt_u32_f32_e32 v0, v0
	s_waitcnt lgkmcnt(0)
	s_cmp_lg_u64 s[8:9], 0
	s_cselect_b32 s16, -1, 0
	s_sub_i32 s0, 0, s6
	s_lshl_b32 s13, s13, 1
	v_mul_lo_u32 v3, s0, v0
	v_cmp_eq_u32_e64 s0, 31, v1
	s_delay_alu instid0(VALU_DEP_2) | instskip(NEXT) | instid1(VALU_DEP_1)
	v_mul_hi_u32 v3, v0, v3
	v_add_nc_u32_e32 v34, v0, v3
	s_branch .LBB161_14
.LBB161_12:                             ;   in Loop: Header=BB161_14 Depth=1
	s_or_b32 exec_lo, exec_lo, s18
	global_store_d16_hi_b16 v[0:1], v2, off offset:2
.LBB161_13:                             ;   in Loop: Header=BB161_14 Depth=1
	s_or_b32 exec_lo, exec_lo, s17
	v_add_nc_u32_e32 v24, s13, v24
	s_delay_alu instid0(VALU_DEP_1) | instskip(SKIP_1) | instid1(SALU_CYCLE_1)
	v_cmp_le_u32_e32 vcc_lo, s7, v24
	s_or_b32 s12, vcc_lo, s12
	s_and_not1_b32 exec_lo, exec_lo, s12
	s_cbranch_execz .LBB161_32
.LBB161_14:                             ; =>This Loop Header: Depth=1
                                        ;     Child Loop BB161_18 Depth 2
	v_mov_b32_e32 v37, v26
	v_mov_b32_e32 v36, v26
	s_and_not1_b32 vcc_lo, exec_lo, s1
	s_cbranch_vccnz .LBB161_21
; %bb.15:                               ;   in Loop: Header=BB161_14 Depth=1
	v_or_b32_e32 v0, 1, v24
	s_waitcnt lgkmcnt(0)
	v_min_u32_e32 v1, s15, v24
	v_mov_b32_e32 v35, v32
	v_mov_b32_e32 v37, 0
	s_mov_b32 s17, 0
	v_min_u32_e32 v0, s15, v0
	v_mul_lo_u32 v25, v1, s5
	v_dual_mov_b32 v1, v26 :: v_dual_mov_b32 v36, 0
	s_delay_alu instid0(VALU_DEP_3) | instskip(NEXT) | instid1(VALU_DEP_3)
	v_mul_lo_u32 v0, v0, s5
	v_lshlrev_b64 v[27:28], 1, v[25:26]
	s_delay_alu instid0(VALU_DEP_2)
	v_lshlrev_b64 v[29:30], 1, v[0:1]
	s_branch .LBB161_18
.LBB161_16:                             ;   in Loop: Header=BB161_18 Depth=2
	s_or_b32 exec_lo, exec_lo, s19
.LBB161_17:                             ;   in Loop: Header=BB161_18 Depth=2
	s_delay_alu instid0(SALU_CYCLE_1)
	s_or_b32 exec_lo, exec_lo, s18
	s_waitcnt lgkmcnt(0)
	v_and_b32_e32 v39, 0xffff0000, v21
	s_waitcnt vmcnt(3)
	v_and_b32_e32 v40, 0xffff0000, v17
	v_lshlrev_b32_e32 v21, 16, v21
	v_lshlrev_b32_e32 v17, 16, v17
	v_add_nc_u32_e32 v35, 0x400, v35
	s_addk_i32 s17, 0x200
	v_mul_f32_e32 v40, v39, v40
	v_and_b32_e32 v25, 0xffff0000, v20
	s_cmp_ge_u32 s17, s4
	s_delay_alu instid0(VALU_DEP_2) | instskip(SKIP_3) | instid1(VALU_DEP_3)
	v_fmac_f32_e32 v40, v21, v17
	v_and_b32_e32 v38, 0xffff0000, v16
	v_lshlrev_b32_e32 v16, 16, v16
	v_lshlrev_b32_e32 v17, 16, v18
	v_mul_f32_e32 v38, v25, v38
	v_lshlrev_b32_e32 v20, 16, v20
	s_delay_alu instid0(VALU_DEP_1) | instskip(SKIP_2) | instid1(VALU_DEP_3)
	v_fmac_f32_e32 v38, v20, v16
	v_lshlrev_b32_e32 v16, 16, v22
	v_and_b32_e32 v41, 0xffff0000, v22
	v_add_f32_e32 v22, v37, v38
	v_and_b32_e32 v42, 0xffff0000, v18
	s_waitcnt vmcnt(2)
	s_delay_alu instid0(VALU_DEP_1) | instskip(NEXT) | instid1(VALU_DEP_1)
	v_dual_mul_f32 v18, v41, v42 :: v_dual_and_b32 v37, 0xffff0000, v12
	v_mul_f32_e32 v25, v25, v37
	v_and_b32_e32 v37, 0xffff0000, v13
	s_delay_alu instid0(VALU_DEP_3) | instskip(NEXT) | instid1(VALU_DEP_1)
	v_dual_fmac_f32 v18, v16, v17 :: v_dual_add_f32 v17, v22, v40
	v_dual_add_f32 v17, v17, v18 :: v_dual_lshlrev_b32 v12, 16, v12
	s_delay_alu instid0(VALU_DEP_1) | instskip(SKIP_3) | instid1(VALU_DEP_2)
	v_dual_fmac_f32 v25, v20, v12 :: v_dual_and_b32 v18, 0xffff0000, v14
	v_lshlrev_b32_e32 v12, 16, v13
	v_dual_mul_f32 v13, v39, v37 :: v_dual_and_b32 v22, 0xffff0000, v23
	v_lshlrev_b32_e32 v23, 16, v23
	v_dual_fmac_f32 v13, v21, v12 :: v_dual_and_b32 v38, 0xffff0000, v19
	v_lshlrev_b32_e32 v19, 16, v19
	v_lshlrev_b32_e32 v12, 16, v14
	v_mul_f32_e32 v14, v41, v18
	s_delay_alu instid0(VALU_DEP_4) | instskip(NEXT) | instid1(VALU_DEP_1)
	v_mul_f32_e32 v38, v22, v38
	v_dual_fmac_f32 v38, v23, v19 :: v_dual_add_f32 v19, v36, v25
	s_delay_alu instid0(VALU_DEP_1) | instskip(NEXT) | instid1(VALU_DEP_2)
	v_dual_fmac_f32 v14, v16, v12 :: v_dual_add_f32 v17, v17, v38
	v_add_f32_e32 v13, v19, v13
	s_waitcnt vmcnt(1)
	v_and_b32_e32 v19, 0xffff0000, v5
	v_lshlrev_b32_e32 v5, 16, v5
	s_delay_alu instid0(VALU_DEP_3) | instskip(SKIP_4) | instid1(VALU_DEP_4)
	v_dual_add_f32 v13, v13, v14 :: v_dual_and_b32 v12, 0xffff0000, v8
	v_and_b32_e32 v16, 0xffff0000, v4
	v_lshlrev_b32_e32 v8, 16, v8
	v_lshlrev_b32_e32 v4, 16, v4
	v_and_b32_e32 v14, 0xffff0000, v9
	v_mul_f32_e32 v16, v12, v16
	s_delay_alu instid0(VALU_DEP_1) | instskip(NEXT) | instid1(VALU_DEP_3)
	v_fmac_f32_e32 v16, v8, v4
	v_dual_mul_f32 v9, v14, v19 :: v_dual_lshlrev_b32 v4, 16, v9
	v_and_b32_e32 v18, 0xffff0000, v15
	v_lshlrev_b32_e32 v15, 16, v15
	s_delay_alu instid0(VALU_DEP_2) | instskip(SKIP_3) | instid1(VALU_DEP_3)
	v_dual_fmac_f32 v9, v4, v5 :: v_dual_mul_f32 v18, v22, v18
	s_waitcnt vmcnt(0)
	v_and_b32_e32 v5, 0xffff0000, v0
	v_lshlrev_b32_e32 v0, 16, v0
	v_dual_fmac_f32 v18, v23, v15 :: v_dual_add_f32 v15, v17, v16
	v_and_b32_e32 v17, 0xffff0000, v6
	s_delay_alu instid0(VALU_DEP_2) | instskip(SKIP_3) | instid1(VALU_DEP_1)
	v_add_f32_e32 v13, v13, v18
	v_mul_f32_e32 v5, v12, v5
	v_and_b32_e32 v12, 0xffff0000, v1
	v_dual_add_f32 v9, v15, v9 :: v_dual_and_b32 v16, 0xffff0000, v10
	v_mul_f32_e32 v17, v16, v17
	s_delay_alu instid0(VALU_DEP_4) | instskip(SKIP_1) | instid1(VALU_DEP_2)
	v_dual_fmac_f32 v5, v8, v0 :: v_dual_lshlrev_b32 v10, 16, v10
	v_lshlrev_b32_e32 v0, 16, v1
	v_dual_add_f32 v5, v13, v5 :: v_dual_lshlrev_b32 v6, 16, v6
	s_delay_alu instid0(VALU_DEP_1) | instskip(SKIP_1) | instid1(VALU_DEP_1)
	v_fmac_f32_e32 v17, v10, v6
	v_dual_mul_f32 v1, v14, v12 :: v_dual_and_b32 v6, 0xffff0000, v11
	v_fmac_f32_e32 v1, v4, v0
	s_delay_alu instid0(VALU_DEP_1) | instskip(NEXT) | instid1(VALU_DEP_4)
	v_add_f32_e32 v1, v5, v1
	v_dual_add_f32 v5, v9, v17 :: v_dual_lshlrev_b32 v8, 16, v11
	v_lshlrev_b32_e32 v0, 16, v2
	v_and_b32_e32 v11, 0xffff0000, v2
	s_delay_alu instid0(VALU_DEP_1) | instskip(NEXT) | instid1(VALU_DEP_1)
	v_mul_f32_e32 v2, v16, v11
	v_fmac_f32_e32 v2, v10, v0
	s_delay_alu instid0(VALU_DEP_1) | instskip(SKIP_3) | instid1(VALU_DEP_2)
	v_dual_add_f32 v1, v1, v2 :: v_dual_lshlrev_b32 v0, 16, v3
	v_lshlrev_b32_e32 v4, 16, v7
	v_and_b32_e32 v12, 0xffff0000, v7
	v_and_b32_e32 v7, 0xffff0000, v3
	v_mul_f32_e32 v11, v6, v12
	s_delay_alu instid0(VALU_DEP_2) | instskip(NEXT) | instid1(VALU_DEP_1)
	v_mul_f32_e32 v3, v6, v7
	v_fmac_f32_e32 v3, v8, v0
	s_delay_alu instid0(VALU_DEP_1) | instskip(NEXT) | instid1(VALU_DEP_1)
	v_dual_fmac_f32 v11, v8, v4 :: v_dual_add_f32 v36, v1, v3
	v_add_f32_e32 v37, v5, v11
	s_cbranch_scc1 .LBB161_21
.LBB161_18:                             ;   Parent Loop BB161_14 Depth=1
                                        ; =>  This Inner Loop Header: Depth=2
	v_dual_mov_b32 v11, 0 :: v_dual_add_nc_u32 v10, s17, v31
	v_mov_b32_e32 v22, 0
	v_dual_mov_b32 v20, 0 :: v_dual_mov_b32 v23, 0
	s_delay_alu instid0(VALU_DEP_3) | instskip(SKIP_1) | instid1(VALU_DEP_2)
	v_min_u32_e32 v25, s14, v10
	v_dual_mov_b32 v21, 0 :: v_dual_add_nc_u32 v38, 0x100, v10
	v_lshlrev_b64 v[0:1], 1, v[25:26]
	s_delay_alu instid0(VALU_DEP_2) | instskip(NEXT) | instid1(VALU_DEP_2)
	v_min_u32_e32 v25, s14, v38
	v_add_co_u32 v4, vcc_lo, s2, v0
	s_delay_alu instid0(VALU_DEP_3) | instskip(NEXT) | instid1(VALU_DEP_3)
	v_add_co_ci_u32_e32 v5, vcc_lo, s3, v1, vcc_lo
	v_lshlrev_b64 v[0:1], 1, v[25:26]
	s_delay_alu instid0(VALU_DEP_3) | instskip(NEXT) | instid1(VALU_DEP_3)
	v_add_co_u32 v2, vcc_lo, v4, v27
	v_add_co_ci_u32_e32 v3, vcc_lo, v5, v28, vcc_lo
	s_delay_alu instid0(VALU_DEP_3) | instskip(NEXT) | instid1(VALU_DEP_4)
	v_add_co_u32 v6, vcc_lo, s2, v0
	v_add_co_ci_u32_e32 v7, vcc_lo, s3, v1, vcc_lo
	v_add_co_u32 v0, vcc_lo, v4, v29
	v_add_co_ci_u32_e32 v1, vcc_lo, v5, v30, vcc_lo
	s_delay_alu instid0(VALU_DEP_4) | instskip(NEXT) | instid1(VALU_DEP_4)
	v_add_co_u32 v4, vcc_lo, v6, v27
	v_add_co_ci_u32_e32 v5, vcc_lo, v7, v28, vcc_lo
	v_add_co_u32 v8, vcc_lo, v6, v29
	v_add_co_ci_u32_e32 v9, vcc_lo, v7, v30, vcc_lo
	s_clause 0x3
	global_load_b128 v[16:19], v[2:3], off slc dlc
	global_load_b128 v[12:15], v[0:1], off slc dlc
	global_load_b128 v[4:7], v[4:5], off slc dlc
	global_load_b128 v[0:3], v[8:9], off slc dlc
	v_mov_b32_e32 v9, 0
	v_cmp_gt_u32_e32 vcc_lo, s4, v10
	v_mov_b32_e32 v10, 0
	v_mov_b32_e32 v8, 0
	s_and_saveexec_b32 s18, vcc_lo
	s_cbranch_execz .LBB161_17
; %bb.19:                               ;   in Loop: Header=BB161_18 Depth=2
	ds_load_b128 v[20:23], v35
	v_dual_mov_b32 v8, 0 :: v_dual_mov_b32 v9, 0
	v_dual_mov_b32 v10, 0 :: v_dual_mov_b32 v11, 0
	s_mov_b32 s19, exec_lo
	v_cmpx_gt_u32_e64 s4, v38
	s_cbranch_execz .LBB161_16
; %bb.20:                               ;   in Loop: Header=BB161_18 Depth=2
	ds_load_b128 v[8:11], v35 offset:512
	s_branch .LBB161_16
.LBB161_21:                             ;   in Loop: Header=BB161_14 Depth=1
	; sched_barrier mask(0x00000000)
	s_delay_alu instid0(VALU_DEP_1) | instskip(SKIP_2) | instid1(VALU_DEP_2)
	v_cvt_i32_f32_e32 v0, v37
	s_waitcnt lgkmcnt(0)
	v_cvt_i32_f32_e32 v1, v36
	v_cvt_f32_i32_dpp v0, v0 row_shr:8 row_mask:0xf bank_mask:0xf bound_ctrl:1
	s_delay_alu instid0(VALU_DEP_2) | instskip(NEXT) | instid1(VALU_DEP_1)
	v_cvt_f32_i32_dpp v1, v1 row_shr:8 row_mask:0xf bank_mask:0xf bound_ctrl:1
	v_dual_add_f32 v0, v37, v0 :: v_dual_add_f32 v1, v36, v1
	s_delay_alu instid0(VALU_DEP_1) | instskip(NEXT) | instid1(VALU_DEP_2)
	v_cvt_i32_f32_e32 v2, v0
	v_cvt_i32_f32_e32 v3, v1
	s_delay_alu instid0(VALU_DEP_2) | instskip(NEXT) | instid1(VALU_DEP_2)
	v_cvt_f32_i32_dpp v2, v2 row_shr:4 row_mask:0xf bank_mask:0xf bound_ctrl:1
	v_cvt_f32_i32_dpp v3, v3 row_shr:4 row_mask:0xf bank_mask:0xf bound_ctrl:1
	s_delay_alu instid0(VALU_DEP_1) | instskip(NEXT) | instid1(VALU_DEP_1)
	v_dual_add_f32 v0, v0, v2 :: v_dual_add_f32 v1, v1, v3
	v_cvt_i32_f32_e32 v2, v0
	s_delay_alu instid0(VALU_DEP_2) | instskip(NEXT) | instid1(VALU_DEP_2)
	v_cvt_i32_f32_e32 v3, v1
	v_cvt_f32_i32_dpp v2, v2 row_shr:2 row_mask:0xf bank_mask:0xf bound_ctrl:1
	s_delay_alu instid0(VALU_DEP_2) | instskip(NEXT) | instid1(VALU_DEP_1)
	v_cvt_f32_i32_dpp v3, v3 row_shr:2 row_mask:0xf bank_mask:0xf bound_ctrl:1
	v_dual_add_f32 v0, v0, v2 :: v_dual_add_f32 v1, v1, v3
	s_delay_alu instid0(VALU_DEP_1) | instskip(NEXT) | instid1(VALU_DEP_2)
	v_cvt_i32_f32_e32 v2, v0
	v_cvt_i32_f32_e32 v3, v1
	s_delay_alu instid0(VALU_DEP_2) | instskip(NEXT) | instid1(VALU_DEP_2)
	v_cvt_f32_i32_dpp v2, v2 row_shr:1 row_mask:0xf bank_mask:0xf bound_ctrl:1
	v_cvt_f32_i32_dpp v3, v3 row_shr:1 row_mask:0xf bank_mask:0xf bound_ctrl:1
	s_delay_alu instid0(VALU_DEP_2) | instskip(NEXT) | instid1(VALU_DEP_2)
	v_add_f32_e32 v2, v0, v2
	v_add_f32_e32 v0, v1, v3
	ds_bpermute_b32 v3, v33, v2
	ds_bpermute_b32 v1, v33, v0
	s_and_saveexec_b32 s17, s0
	s_cbranch_execz .LBB161_13
; %bb.22:                               ;   in Loop: Header=BB161_14 Depth=1
	v_dual_mov_b32 v4, 0 :: v_dual_mov_b32 v5, 0
	s_and_not1_b32 vcc_lo, exec_lo, s16
	s_cbranch_vccnz .LBB161_24
; %bb.23:                               ;   in Loop: Header=BB161_14 Depth=1
	v_mul_hi_u32 v4, v24, v34
	v_or_b32_e32 v5, 1, v24
	s_delay_alu instid0(VALU_DEP_1) | instskip(NEXT) | instid1(VALU_DEP_3)
	v_mul_hi_u32 v6, v5, v34
	v_mul_lo_u32 v4, v4, s6
	s_delay_alu instid0(VALU_DEP_2) | instskip(NEXT) | instid1(VALU_DEP_2)
	v_mul_lo_u32 v6, v6, s6
	v_sub_nc_u32_e32 v4, v24, v4
	s_delay_alu instid0(VALU_DEP_1) | instskip(NEXT) | instid1(VALU_DEP_3)
	v_subrev_nc_u32_e32 v7, s6, v4
	v_sub_nc_u32_e32 v5, v5, v6
	v_cmp_le_u32_e32 vcc_lo, s6, v4
	s_delay_alu instid0(VALU_DEP_2) | instskip(NEXT) | instid1(VALU_DEP_4)
	v_subrev_nc_u32_e32 v6, s6, v5
	v_cndmask_b32_e32 v4, v4, v7, vcc_lo
	v_cmp_le_u32_e32 vcc_lo, s6, v5
	s_delay_alu instid0(VALU_DEP_2) | instskip(NEXT) | instid1(VALU_DEP_4)
	v_subrev_nc_u32_e32 v7, s6, v4
	v_cndmask_b32_e32 v6, v5, v6, vcc_lo
	v_cmp_le_u32_e32 vcc_lo, s6, v4
	s_delay_alu instid0(VALU_DEP_3) | instskip(NEXT) | instid1(VALU_DEP_3)
	v_cndmask_b32_e32 v25, v4, v7, vcc_lo
	v_subrev_nc_u32_e32 v7, s6, v6
	v_cmp_le_u32_e32 vcc_lo, s6, v6
	s_delay_alu instid0(VALU_DEP_3) | instskip(NEXT) | instid1(VALU_DEP_3)
	v_lshlrev_b64 v[4:5], 1, v[25:26]
	v_cndmask_b32_e32 v25, v6, v7, vcc_lo
	s_delay_alu instid0(VALU_DEP_2) | instskip(NEXT) | instid1(VALU_DEP_2)
	v_add_co_u32 v4, vcc_lo, s8, v4
	v_lshlrev_b64 v[6:7], 1, v[25:26]
	s_delay_alu instid0(VALU_DEP_4) | instskip(NEXT) | instid1(VALU_DEP_2)
	v_add_co_ci_u32_e32 v5, vcc_lo, s9, v5, vcc_lo
	v_add_co_u32 v6, vcc_lo, s8, v6
	s_delay_alu instid0(VALU_DEP_3)
	v_add_co_ci_u32_e32 v7, vcc_lo, s9, v7, vcc_lo
	s_clause 0x1
	global_load_u16 v5, v[4:5], off
	global_load_u16 v4, v[6:7], off
.LBB161_24:                             ;   in Loop: Header=BB161_14 Depth=1
	s_waitcnt vmcnt(1) lgkmcnt(1)
	s_delay_alu instid0(VALU_DEP_1) | instskip(NEXT) | instid1(VALU_DEP_1)
	v_dual_add_f32 v2, v2, v3 :: v_dual_lshlrev_b32 v3, 16, v5
	v_add_f32_e32 v3, v2, v3
	s_delay_alu instid0(VALU_DEP_1) | instskip(NEXT) | instid1(VALU_DEP_1)
	v_and_b32_e32 v2, 0x7f800000, v3
	v_cmp_ne_u32_e32 vcc_lo, 0x7f800000, v2
                                        ; implicit-def: $vgpr2
	s_and_saveexec_b32 s18, vcc_lo
	s_delay_alu instid0(SALU_CYCLE_1)
	s_xor_b32 s18, exec_lo, s18
; %bb.25:                               ;   in Loop: Header=BB161_14 Depth=1
	v_bfe_u32 v2, v3, 16, 1
	s_delay_alu instid0(VALU_DEP_1)
	v_add3_u32 v2, v3, v2, 0x7fff
                                        ; implicit-def: $vgpr3
; %bb.26:                               ;   in Loop: Header=BB161_14 Depth=1
	s_and_not1_saveexec_b32 s18, s18
; %bb.27:                               ;   in Loop: Header=BB161_14 Depth=1
	v_and_b32_e32 v2, 0xffff, v3
	v_or_b32_e32 v5, 0x10000, v3
	s_delay_alu instid0(VALU_DEP_2) | instskip(NEXT) | instid1(VALU_DEP_2)
	v_cmp_eq_u32_e32 vcc_lo, 0, v2
	v_cndmask_b32_e32 v2, v5, v3, vcc_lo
; %bb.28:                               ;   in Loop: Header=BB161_14 Depth=1
	s_or_b32 exec_lo, exec_lo, s18
	s_waitcnt vmcnt(0) lgkmcnt(0)
	v_dual_add_f32 v0, v0, v1 :: v_dual_lshlrev_b32 v1, 16, v4
	s_mov_b32 s18, exec_lo
	s_delay_alu instid0(VALU_DEP_1) | instskip(NEXT) | instid1(VALU_DEP_1)
	v_add_f32_e32 v3, v0, v1
	v_dual_mov_b32 v25, v26 :: v_dual_and_b32 v4, 0x7f800000, v3
	s_delay_alu instid0(VALU_DEP_1) | instskip(NEXT) | instid1(VALU_DEP_1)
	v_lshlrev_b64 v[0:1], 1, v[24:25]
	v_add_co_u32 v0, vcc_lo, s10, v0
	s_delay_alu instid0(VALU_DEP_2)
	v_add_co_ci_u32_e32 v1, vcc_lo, s11, v1, vcc_lo
	global_store_d16_hi_b16 v[0:1], v2, off
                                        ; implicit-def: $vgpr2
	v_cmpx_ne_u32_e32 0x7f800000, v4
	s_xor_b32 s18, exec_lo, s18
; %bb.29:                               ;   in Loop: Header=BB161_14 Depth=1
	v_bfe_u32 v2, v3, 16, 1
	s_delay_alu instid0(VALU_DEP_1)
	v_add3_u32 v2, v3, v2, 0x7fff
                                        ; implicit-def: $vgpr3
; %bb.30:                               ;   in Loop: Header=BB161_14 Depth=1
	s_and_not1_saveexec_b32 s18, s18
	s_cbranch_execz .LBB161_12
; %bb.31:                               ;   in Loop: Header=BB161_14 Depth=1
	v_and_b32_e32 v2, 0xffff, v3
	v_or_b32_e32 v4, 0x10000, v3
	s_delay_alu instid0(VALU_DEP_2) | instskip(NEXT) | instid1(VALU_DEP_2)
	v_cmp_eq_u32_e32 vcc_lo, 0, v2
	v_cndmask_b32_e32 v2, v4, v3, vcc_lo
	s_branch .LBB161_12
.LBB161_32:
	s_nop 0
	s_sendmsg sendmsg(MSG_DEALLOC_VGPRS)
	s_endpgm
	.section	.rodata,"a",@progbits
	.p2align	6, 0x0
	.amdhsa_kernel _Z16wvSplitK_hf_sml_I14__hip_bfloat16Li32ELi2ELi16ELi8ELi2ELi1EEviiiiiiPKT_S3_S3_PS1_ii
		.amdhsa_group_segment_fixed_size 65536
		.amdhsa_private_segment_fixed_size 0
		.amdhsa_kernarg_size 64
		.amdhsa_user_sgpr_count 15
		.amdhsa_user_sgpr_dispatch_ptr 0
		.amdhsa_user_sgpr_queue_ptr 0
		.amdhsa_user_sgpr_kernarg_segment_ptr 1
		.amdhsa_user_sgpr_dispatch_id 0
		.amdhsa_user_sgpr_private_segment_size 0
		.amdhsa_wavefront_size32 1
		.amdhsa_uses_dynamic_stack 0
		.amdhsa_enable_private_segment 0
		.amdhsa_system_sgpr_workgroup_id_x 1
		.amdhsa_system_sgpr_workgroup_id_y 0
		.amdhsa_system_sgpr_workgroup_id_z 0
		.amdhsa_system_sgpr_workgroup_info 0
		.amdhsa_system_vgpr_workitem_id 1
		.amdhsa_next_free_vgpr 43
		.amdhsa_next_free_sgpr 20
		.amdhsa_reserve_vcc 1
		.amdhsa_float_round_mode_32 0
		.amdhsa_float_round_mode_16_64 0
		.amdhsa_float_denorm_mode_32 3
		.amdhsa_float_denorm_mode_16_64 3
		.amdhsa_dx10_clamp 1
		.amdhsa_ieee_mode 1
		.amdhsa_fp16_overflow 0
		.amdhsa_workgroup_processor_mode 1
		.amdhsa_memory_ordered 1
		.amdhsa_forward_progress 0
		.amdhsa_shared_vgpr_count 0
		.amdhsa_exception_fp_ieee_invalid_op 0
		.amdhsa_exception_fp_denorm_src 0
		.amdhsa_exception_fp_ieee_div_zero 0
		.amdhsa_exception_fp_ieee_overflow 0
		.amdhsa_exception_fp_ieee_underflow 0
		.amdhsa_exception_fp_ieee_inexact 0
		.amdhsa_exception_int_div_zero 0
	.end_amdhsa_kernel
	.section	.text._Z16wvSplitK_hf_sml_I14__hip_bfloat16Li32ELi2ELi16ELi8ELi2ELi1EEviiiiiiPKT_S3_S3_PS1_ii,"axG",@progbits,_Z16wvSplitK_hf_sml_I14__hip_bfloat16Li32ELi2ELi16ELi8ELi2ELi1EEviiiiiiPKT_S3_S3_PS1_ii,comdat
.Lfunc_end161:
	.size	_Z16wvSplitK_hf_sml_I14__hip_bfloat16Li32ELi2ELi16ELi8ELi2ELi1EEviiiiiiPKT_S3_S3_PS1_ii, .Lfunc_end161-_Z16wvSplitK_hf_sml_I14__hip_bfloat16Li32ELi2ELi16ELi8ELi2ELi1EEviiiiiiPKT_S3_S3_PS1_ii
                                        ; -- End function
	.section	.AMDGPU.csdata,"",@progbits
; Kernel info:
; codeLenInByte = 2504
; NumSgprs: 22
; NumVgprs: 43
; ScratchSize: 0
; MemoryBound: 0
; FloatMode: 240
; IeeeMode: 1
; LDSByteSize: 65536 bytes/workgroup (compile time only)
; SGPRBlocks: 2
; VGPRBlocks: 5
; NumSGPRsForWavesPerEU: 22
; NumVGPRsForWavesPerEU: 43
; Occupancy: 8
; WaveLimiterHint : 0
; COMPUTE_PGM_RSRC2:SCRATCH_EN: 0
; COMPUTE_PGM_RSRC2:USER_SGPR: 15
; COMPUTE_PGM_RSRC2:TRAP_HANDLER: 0
; COMPUTE_PGM_RSRC2:TGID_X_EN: 1
; COMPUTE_PGM_RSRC2:TGID_Y_EN: 0
; COMPUTE_PGM_RSRC2:TGID_Z_EN: 0
; COMPUTE_PGM_RSRC2:TIDIG_COMP_CNT: 1
	.section	.text._Z12wvSplitK_hf_I14__hip_bfloat16Li32ELi2ELi16ELi8ELi2ELi1EEviiiiiiPKT_S3_S3_PS1_ii,"axG",@progbits,_Z12wvSplitK_hf_I14__hip_bfloat16Li32ELi2ELi16ELi8ELi2ELi1EEviiiiiiPKT_S3_S3_PS1_ii,comdat
	.protected	_Z12wvSplitK_hf_I14__hip_bfloat16Li32ELi2ELi16ELi8ELi2ELi1EEviiiiiiPKT_S3_S3_PS1_ii ; -- Begin function _Z12wvSplitK_hf_I14__hip_bfloat16Li32ELi2ELi16ELi8ELi2ELi1EEviiiiiiPKT_S3_S3_PS1_ii
	.globl	_Z12wvSplitK_hf_I14__hip_bfloat16Li32ELi2ELi16ELi8ELi2ELi1EEviiiiiiPKT_S3_S3_PS1_ii
	.p2align	8
	.type	_Z12wvSplitK_hf_I14__hip_bfloat16Li32ELi2ELi16ELi8ELi2ELi1EEviiiiiiPKT_S3_S3_PS1_ii,@function
_Z12wvSplitK_hf_I14__hip_bfloat16Li32ELi2ELi16ELi8ELi2ELi1EEviiiiiiPKT_S3_S3_PS1_ii: ; @_Z12wvSplitK_hf_I14__hip_bfloat16Li32ELi2ELi16ELi8ELi2ELi1EEviiiiiiPKT_S3_S3_PS1_ii
; %bb.0:
	s_clause 0x1
	s_load_b64 s[16:17], s[0:1], 0x38
	s_load_b128 s[4:7], s[0:1], 0x0
	v_bfe_u32 v1, v0, 10, 10
	s_clause 0x1
	s_load_b64 s[12:13], s[0:1], 0x20
	s_load_b32 s18, s[0:1], 0x10
	s_mov_b32 s8, 1
	s_delay_alu instid0(SALU_CYCLE_1) | instskip(NEXT) | instid1(SALU_CYCLE_1)
	s_mov_b32 s9, s8
	v_dual_mov_b32 v25, s9 :: v_dual_mov_b32 v24, s8
	s_waitcnt lgkmcnt(0)
	s_mul_i32 s15, s15, s16
	s_delay_alu instid0(SALU_CYCLE_1) | instskip(NEXT) | instid1(VALU_DEP_1)
	v_add_lshl_u32 v26, s15, v1, 1
	v_add_nc_u32_e32 v2, 2, v26
	v_cmp_gt_u32_e32 vcc_lo, s7, v26
	s_delay_alu instid0(VALU_DEP_2) | instskip(NEXT) | instid1(VALU_DEP_1)
	v_cmp_le_u32_e64 s2, s7, v2
	s_and_b32 s2, vcc_lo, s2
	s_delay_alu instid0(SALU_CYCLE_1)
	s_and_saveexec_b32 s10, s2
	s_cbranch_execz .LBB162_6
; %bb.1:
	v_dual_mov_b32 v25, s9 :: v_dual_mov_b32 v24, s8
	s_add_i32 s11, s7, -2
	s_mov_b32 s14, exec_lo
	v_cmpx_ne_u32_e64 s11, v26
	s_cbranch_execz .LBB162_5
; %bb.2:
	v_subrev_nc_u32_e32 v2, s11, v26
	s_mov_b32 s2, 1
	s_mov_b32 s15, 0
	s_mov_b64 s[8:9], 0
	s_mov_b32 s3, s2
	v_cmp_lt_u32_e32 vcc_lo, 1, v2
	v_cndmask_b32_e32 v2, 1, v2, vcc_lo
.LBB162_3:                              ; =>This Inner Loop Header: Depth=1
	s_cmp_lg_u32 s8, 1
	s_cselect_b32 s3, s3, 0
	s_cmp_lg_u32 s8, 0
	s_cselect_b32 s2, s2, 0
	s_add_u32 s8, s8, 1
	v_dual_mov_b32 v25, s3 :: v_dual_mov_b32 v24, s2
	v_cmp_eq_u32_e32 vcc_lo, s8, v2
	s_addc_u32 s9, s9, 0
	s_or_b32 s15, vcc_lo, s15
	s_delay_alu instid0(SALU_CYCLE_1)
	s_and_not1_b32 exec_lo, exec_lo, s15
	s_cbranch_execnz .LBB162_3
; %bb.4:
	s_or_b32 exec_lo, exec_lo, s15
	v_mov_b32_e32 v26, s11
.LBB162_5:
	s_or_b32 exec_lo, exec_lo, s14
.LBB162_6:
	s_delay_alu instid0(SALU_CYCLE_1) | instskip(SKIP_3) | instid1(VALU_DEP_1)
	s_or_b32 exec_lo, exec_lo, s10
	v_and_b32_e32 v0, 0x3ff, v0
	s_min_u32 s3, s6, 0x8000
	s_mov_b32 s2, exec_lo
	v_lshlrev_b32_e32 v37, 3, v0
	s_delay_alu instid0(VALU_DEP_1) | instskip(NEXT) | instid1(VALU_DEP_1)
	v_lshl_add_u32 v3, v1, 8, v37
	v_cmpx_gt_u32_e64 s3, v3
	s_cbranch_execz .LBB162_15
; %bb.7:
	v_lshlrev_b32_e32 v2, 1, v3
	v_add_nc_u32_e32 v8, 0x1000, v3
	s_mov_b32 s6, exec_lo
	global_load_b128 v[4:7], v2, s[12:13]
	s_waitcnt vmcnt(0)
	ds_store_b128 v2, v[4:7]
	v_cmpx_gt_u32_e64 s3, v8
	s_xor_b32 s6, exec_lo, s6
	s_cbranch_execz .LBB162_15
; %bb.8:
	v_add_co_u32 v4, s6, s12, v2
	s_delay_alu instid0(VALU_DEP_1) | instskip(SKIP_1) | instid1(VALU_DEP_3)
	v_add_co_ci_u32_e64 v5, null, s13, 0, s6
	v_add_nc_u32_e32 v10, 0x2000, v3
	v_add_co_u32 v6, vcc_lo, 0x2000, v4
	s_delay_alu instid0(VALU_DEP_3)
	v_add_co_ci_u32_e32 v7, vcc_lo, 0, v5, vcc_lo
	s_mov_b32 s6, exec_lo
	global_load_b128 v[6:9], v[6:7], off
	s_waitcnt vmcnt(0)
	ds_store_b128 v2, v[6:9] offset:8192
	v_cmpx_gt_u32_e64 s3, v10
	s_xor_b32 s6, exec_lo, s6
	s_cbranch_execz .LBB162_15
; %bb.9:
	v_add_co_u32 v6, vcc_lo, 0x4000, v4
	v_add_co_ci_u32_e32 v7, vcc_lo, 0, v5, vcc_lo
	v_add_nc_u32_e32 v10, 0x3000, v3
	s_mov_b32 s6, exec_lo
	global_load_b128 v[6:9], v[6:7], off
	s_waitcnt vmcnt(0)
	ds_store_b128 v2, v[6:9] offset:16384
	v_cmpx_gt_u32_e64 s3, v10
	s_xor_b32 s6, exec_lo, s6
	s_cbranch_execz .LBB162_15
; %bb.10:
	v_add_co_u32 v6, vcc_lo, 0x6000, v4
	v_add_co_ci_u32_e32 v7, vcc_lo, 0, v5, vcc_lo
	v_add_nc_u32_e32 v10, 0x4000, v3
	;; [unrolled: 11-line block ×5, first 2 shown]
	global_load_b128 v[6:9], v[6:7], off
	v_cmp_gt_u32_e32 vcc_lo, s3, v3
	s_waitcnt vmcnt(0)
	ds_store_b128 v2, v[6:9] offset:49152
	s_and_saveexec_b32 s3, vcc_lo
	s_delay_alu instid0(SALU_CYCLE_1)
	s_xor_b32 s3, exec_lo, s3
	s_cbranch_execz .LBB162_15
; %bb.14:
	v_add_co_u32 v3, vcc_lo, 0xe000, v4
	v_add_co_ci_u32_e32 v4, vcc_lo, 0, v5, vcc_lo
	global_load_b128 v[3:6], v[3:4], off
	s_waitcnt vmcnt(0)
	ds_store_b128 v2, v[3:6] offset:57344
.LBB162_15:
	s_or_b32 exec_lo, exec_lo, s2
	v_cmp_gt_u32_e32 vcc_lo, s16, v1
	v_cmp_gt_u32_e64 s2, s7, v26
	s_waitcnt lgkmcnt(0)
	s_barrier
	buffer_gl0_inv
	s_and_b32 s2, vcc_lo, s2
	s_delay_alu instid0(SALU_CYCLE_1)
	s_and_saveexec_b32 s3, s2
	s_cbranch_execz .LBB162_54
; %bb.16:
	v_cvt_f32_u32_e32 v1, s18
	s_clause 0x1
	s_load_b128 s[8:11], s[0:1], 0x28
	s_load_b64 s[14:15], s[0:1], 0x18
	v_mbcnt_lo_u32_b32 v2, -1, 0
	s_cmp_lg_u32 s4, 0
	v_rcp_iflag_f32_e32 v1, v1
	s_cselect_b32 s3, -1, 0
	s_add_i32 s6, s4, -8
	v_xor_b32_e32 v4, 16, v2
	s_add_i32 s19, s7, -1
	v_lshlrev_b32_e32 v38, 4, v0
	s_mul_i32 s1, s16, s17
	s_mov_b32 s21, 0
	v_cmp_gt_i32_e32 vcc_lo, 32, v4
	s_waitcnt_depctr 0xfff
	v_dual_mul_f32 v1, 0x4f7ffffe, v1 :: v_dual_cndmask_b32 v2, v2, v4
	v_mov_b32_e32 v28, 0
	s_delay_alu instid0(VALU_DEP_2)
	v_cvt_u32_f32_e32 v1, v1
	s_waitcnt lgkmcnt(0)
	s_cmp_lg_u64 s[8:9], 0
	v_lshlrev_b32_e32 v39, 2, v2
	s_cselect_b32 s20, -1, 0
	s_sub_i32 s0, 0, s18
	s_lshl_b32 s22, s1, 1
	v_mul_lo_u32 v3, s0, v1
	v_cmp_eq_u32_e64 s0, 31, v0
	s_add_i32 s23, s7, -2
	s_delay_alu instid0(VALU_DEP_2) | instskip(NEXT) | instid1(VALU_DEP_1)
	v_mul_hi_u32 v3, v1, v3
	v_add_nc_u32_e32 v40, v1, v3
	s_branch .LBB162_19
.LBB162_17:                             ;   in Loop: Header=BB162_19 Depth=1
	s_or_b32 exec_lo, exec_lo, s25
	v_mov_b32_e32 v26, s23
.LBB162_18:                             ;   in Loop: Header=BB162_19 Depth=1
	s_or_b32 exec_lo, exec_lo, s24
	s_delay_alu instid0(VALU_DEP_1) | instskip(SKIP_1) | instid1(SALU_CYCLE_1)
	v_cmp_le_u32_e32 vcc_lo, s7, v26
	s_or_b32 s21, vcc_lo, s21
	s_and_not1_b32 exec_lo, exec_lo, s21
	s_cbranch_execz .LBB162_54
.LBB162_19:                             ; =>This Loop Header: Depth=1
                                        ;     Child Loop BB162_24 Depth 2
                                        ;     Child Loop BB162_52 Depth 2
	v_dual_mov_b32 v42, v28 :: v_dual_add_nc_u32 v29, 1, v26
	v_mov_b32_e32 v43, v28
	s_and_not1_b32 vcc_lo, exec_lo, s3
	s_cbranch_vccnz .LBB162_34
; %bb.20:                               ;   in Loop: Header=BB162_19 Depth=1
	v_min_u32_e32 v0, s19, v26
	s_waitcnt lgkmcnt(0)
	v_min_u32_e32 v1, s19, v29
	v_mov_b32_e32 v41, v38
	v_mov_b32_e32 v43, 0
	s_mov_b32 s1, 0
	v_mul_lo_u32 v27, v0, s5
	v_mul_lo_u32 v0, v1, s5
	v_dual_mov_b32 v1, v28 :: v_dual_mov_b32 v42, 0
	s_delay_alu instid0(VALU_DEP_3) | instskip(NEXT) | instid1(VALU_DEP_2)
	v_lshlrev_b64 v[30:31], 1, v[27:28]
	v_lshlrev_b64 v[32:33], 1, v[0:1]
	s_branch .LBB162_24
.LBB162_21:                             ;   in Loop: Header=BB162_24 Depth=2
	s_or_b32 exec_lo, exec_lo, s17
.LBB162_22:                             ;   in Loop: Header=BB162_24 Depth=2
	s_delay_alu instid0(SALU_CYCLE_1)
	s_or_b32 exec_lo, exec_lo, s16
.LBB162_23:                             ;   in Loop: Header=BB162_24 Depth=2
	s_delay_alu instid0(SALU_CYCLE_1)
	s_or_b32 exec_lo, exec_lo, s2
	s_waitcnt vmcnt(3)
	v_and_b32_e32 v34, 0xffff0000, v16
	s_waitcnt vmcnt(0) lgkmcnt(0)
	v_and_b32_e32 v35, 0xffff0000, v21
	v_and_b32_e32 v36, 0xffff0000, v17
	v_lshlrev_b32_e32 v21, 16, v21
	v_lshlrev_b32_e32 v17, 16, v17
	s_addk_i32 s1, 0x200
	s_delay_alu instid0(VALU_DEP_3) | instskip(SKIP_2) | instid1(VALU_DEP_2)
	v_dual_mul_f32 v36, v35, v36 :: v_dual_add_nc_u32 v41, 0x400, v41
	v_and_b32_e32 v27, 0xffff0000, v20
	s_cmp_ge_u32 s1, s4
	v_fmac_f32_e32 v36, v21, v17
	v_lshlrev_b32_e32 v20, 16, v20
	s_delay_alu instid0(VALU_DEP_3) | instskip(SKIP_2) | instid1(VALU_DEP_2)
	v_mul_f32_e32 v34, v27, v34
	v_lshlrev_b32_e32 v16, 16, v16
	v_and_b32_e32 v44, 0xffff0000, v22
	v_dual_fmac_f32 v34, v20, v16 :: v_dual_lshlrev_b32 v17, 16, v18
	v_lshlrev_b32_e32 v16, 16, v22
	v_and_b32_e32 v45, 0xffff0000, v18
	s_delay_alu instid0(VALU_DEP_3) | instskip(SKIP_1) | instid1(VALU_DEP_3)
	v_add_f32_e32 v22, v43, v34
	v_and_b32_e32 v34, 0xffff0000, v8
	v_mul_f32_e32 v18, v44, v45
	s_delay_alu instid0(VALU_DEP_2) | instskip(NEXT) | instid1(VALU_DEP_2)
	v_dual_mul_f32 v27, v27, v34 :: v_dual_lshlrev_b32 v8, 16, v8
	v_dual_fmac_f32 v18, v16, v17 :: v_dual_add_f32 v17, v22, v36
	s_delay_alu instid0(VALU_DEP_2) | instskip(NEXT) | instid1(VALU_DEP_2)
	v_dual_fmac_f32 v27, v20, v8 :: v_dual_and_b32 v36, 0xffff0000, v19
	v_dual_add_f32 v17, v17, v18 :: v_dual_lshlrev_b32 v8, 16, v9
	v_and_b32_e32 v34, 0xffff0000, v9
	s_delay_alu instid0(VALU_DEP_1) | instskip(SKIP_1) | instid1(VALU_DEP_2)
	v_dual_mul_f32 v9, v35, v34 :: v_dual_and_b32 v22, 0xffff0000, v23
	v_lshlrev_b32_e32 v23, 16, v23
	v_fmac_f32_e32 v9, v21, v8
	s_delay_alu instid0(VALU_DEP_3) | instskip(NEXT) | instid1(VALU_DEP_1)
	v_dual_mul_f32 v36, v22, v36 :: v_dual_lshlrev_b32 v19, 16, v19
	v_fmac_f32_e32 v36, v23, v19
	v_add_f32_e32 v19, v42, v27
	s_delay_alu instid0(VALU_DEP_1) | instskip(SKIP_1) | instid1(VALU_DEP_4)
	v_add_f32_e32 v9, v19, v9
	v_and_b32_e32 v19, 0xffff0000, v5
	v_dual_add_f32 v17, v17, v36 :: v_dual_and_b32 v18, 0xffff0000, v10
	v_lshlrev_b32_e32 v5, 16, v5
	v_lshlrev_b32_e32 v8, 16, v10
	s_delay_alu instid0(VALU_DEP_3) | instskip(SKIP_1) | instid1(VALU_DEP_2)
	v_mul_f32_e32 v10, v44, v18
	v_and_b32_e32 v18, 0xffff0000, v11
	v_dual_fmac_f32 v10, v16, v8 :: v_dual_lshlrev_b32 v11, 16, v11
	v_and_b32_e32 v8, 0xffff0000, v12
	v_and_b32_e32 v16, 0xffff0000, v4
	s_delay_alu instid0(VALU_DEP_3) | instskip(SKIP_2) | instid1(VALU_DEP_4)
	v_dual_add_f32 v9, v9, v10 :: v_dual_lshlrev_b32 v4, 16, v4
	v_and_b32_e32 v10, 0xffff0000, v13
	v_lshlrev_b32_e32 v12, 16, v12
	v_mul_f32_e32 v16, v8, v16
	s_delay_alu instid0(VALU_DEP_1) | instskip(NEXT) | instid1(VALU_DEP_1)
	v_fmac_f32_e32 v16, v12, v4
	v_dual_add_f32 v13, v17, v16 :: v_dual_lshlrev_b32 v4, 16, v13
	v_and_b32_e32 v16, 0xffff0000, v14
	v_and_b32_e32 v17, 0xffff0000, v6
	v_lshlrev_b32_e32 v14, 16, v14
	s_delay_alu instid0(VALU_DEP_2) | instskip(SKIP_1) | instid1(VALU_DEP_1)
	v_dual_mul_f32 v17, v16, v17 :: v_dual_lshlrev_b32 v6, 16, v6
	v_mul_f32_e32 v18, v22, v18
	v_dual_fmac_f32 v17, v14, v6 :: v_dual_fmac_f32 v18, v23, v11
	v_mul_f32_e32 v11, v10, v19
	s_delay_alu instid0(VALU_DEP_1) | instskip(SKIP_1) | instid1(VALU_DEP_1)
	v_dual_fmac_f32 v11, v4, v5 :: v_dual_and_b32 v6, 0xffff0000, v15
	v_and_b32_e32 v5, 0xffff0000, v0
	v_dual_mul_f32 v5, v8, v5 :: v_dual_lshlrev_b32 v0, 16, v0
	s_delay_alu instid0(VALU_DEP_3) | instskip(NEXT) | instid1(VALU_DEP_2)
	v_dual_add_f32 v8, v13, v11 :: v_dual_and_b32 v11, 0xffff0000, v1
	v_dual_fmac_f32 v5, v12, v0 :: v_dual_lshlrev_b32 v0, 16, v1
	s_delay_alu instid0(VALU_DEP_2) | instskip(SKIP_2) | instid1(VALU_DEP_1)
	v_mul_f32_e32 v1, v10, v11
	v_and_b32_e32 v11, 0xffff0000, v2
	v_dual_add_f32 v9, v9, v18 :: v_dual_and_b32 v12, 0xffff0000, v7
	v_add_f32_e32 v5, v9, v5
	s_delay_alu instid0(VALU_DEP_2) | instskip(SKIP_4) | instid1(VALU_DEP_4)
	v_mul_f32_e32 v9, v6, v12
	v_dual_fmac_f32 v1, v4, v0 :: v_dual_lshlrev_b32 v0, 16, v2
	v_mul_f32_e32 v2, v16, v11
	v_lshlrev_b32_e32 v4, 16, v7
	v_and_b32_e32 v7, 0xffff0000, v3
	v_add_f32_e32 v1, v5, v1
	v_dual_add_f32 v5, v8, v17 :: v_dual_lshlrev_b32 v10, 16, v15
	v_fmac_f32_e32 v2, v14, v0
	s_delay_alu instid0(VALU_DEP_2) | instskip(SKIP_1) | instid1(VALU_DEP_3)
	v_dual_fmac_f32 v9, v10, v4 :: v_dual_lshlrev_b32 v0, 16, v3
	v_mul_f32_e32 v3, v6, v7
	v_add_f32_e32 v1, v1, v2
	s_delay_alu instid0(VALU_DEP_3) | instskip(NEXT) | instid1(VALU_DEP_3)
	v_add_f32_e32 v43, v5, v9
	v_fmac_f32_e32 v3, v10, v0
	s_delay_alu instid0(VALU_DEP_1)
	v_add_f32_e32 v42, v1, v3
	s_cbranch_scc1 .LBB162_34
.LBB162_24:                             ;   Parent Loop BB162_19 Depth=1
                                        ; =>  This Inner Loop Header: Depth=2
	v_dual_mov_b32 v14, 0 :: v_dual_add_nc_u32 v35, s1, v37
	v_dual_mov_b32 v23, 0 :: v_dual_mov_b32 v22, 0
	v_dual_mov_b32 v21, 0 :: v_dual_mov_b32 v20, 0
	s_delay_alu instid0(VALU_DEP_3) | instskip(SKIP_2) | instid1(VALU_DEP_2)
	v_min_u32_e32 v27, s6, v35
	v_dual_mov_b32 v15, 0 :: v_dual_add_nc_u32 v34, 0x100, v35
	s_mov_b32 s2, exec_lo
	v_lshlrev_b64 v[0:1], 1, v[27:28]
	s_delay_alu instid0(VALU_DEP_2) | instskip(NEXT) | instid1(VALU_DEP_2)
	v_min_u32_e32 v27, s6, v34
	v_add_co_u32 v4, vcc_lo, s14, v0
	s_waitcnt vmcnt(1)
	s_delay_alu instid0(VALU_DEP_3) | instskip(NEXT) | instid1(VALU_DEP_3)
	v_add_co_ci_u32_e32 v5, vcc_lo, s15, v1, vcc_lo
	v_lshlrev_b64 v[0:1], 1, v[27:28]
	s_delay_alu instid0(VALU_DEP_3) | instskip(SKIP_1) | instid1(VALU_DEP_3)
	v_add_co_u32 v2, vcc_lo, v4, v30
	s_waitcnt vmcnt(0)
	v_add_co_ci_u32_e32 v3, vcc_lo, v5, v31, vcc_lo
	s_delay_alu instid0(VALU_DEP_3) | instskip(NEXT) | instid1(VALU_DEP_4)
	v_add_co_u32 v6, vcc_lo, s14, v0
	v_add_co_ci_u32_e32 v7, vcc_lo, s15, v1, vcc_lo
	v_add_co_u32 v0, vcc_lo, v4, v32
	v_add_co_ci_u32_e32 v1, vcc_lo, v5, v33, vcc_lo
	s_delay_alu instid0(VALU_DEP_4) | instskip(NEXT) | instid1(VALU_DEP_4)
	v_add_co_u32 v4, vcc_lo, v6, v30
	v_add_co_ci_u32_e32 v5, vcc_lo, v7, v31, vcc_lo
	v_add_co_u32 v12, vcc_lo, v6, v32
	v_add_co_ci_u32_e32 v13, vcc_lo, v7, v33, vcc_lo
	s_clause 0x3
	global_load_b128 v[16:19], v[2:3], off slc dlc
	global_load_b128 v[8:11], v[0:1], off slc dlc
	;; [unrolled: 1-line block ×4, first 2 shown]
	v_dual_mov_b32 v13, 0 :: v_dual_mov_b32 v12, 0
	v_cmpx_gt_u32_e64 s4, v35
	s_cbranch_execz .LBB162_23
; %bb.25:                               ;   in Loop: Header=BB162_24 Depth=2
	s_mov_b32 s16, exec_lo
                                        ; implicit-def: $vgpr23
	v_cmpx_lt_u32_e32 0x7fff, v35
	s_xor_b32 s16, exec_lo, s16
	s_cbranch_execz .LBB162_27
; %bb.26:                               ;   in Loop: Header=BB162_24 Depth=2
	v_mov_b32_e32 v36, v28
	s_delay_alu instid0(VALU_DEP_1) | instskip(NEXT) | instid1(VALU_DEP_1)
	v_lshlrev_b64 v[12:13], 1, v[35:36]
	v_add_co_u32 v12, vcc_lo, s12, v12
	s_delay_alu instid0(VALU_DEP_2)
	v_add_co_ci_u32_e32 v13, vcc_lo, s13, v13, vcc_lo
	global_load_b128 v[20:23], v[12:13], off
.LBB162_27:                             ;   in Loop: Header=BB162_24 Depth=2
	s_and_not1_saveexec_b32 s16, s16
	s_cbranch_execz .LBB162_29
; %bb.28:                               ;   in Loop: Header=BB162_24 Depth=2
	s_waitcnt vmcnt(0)
	ds_load_b128 v[20:23], v41
.LBB162_29:                             ;   in Loop: Header=BB162_24 Depth=2
	s_or_b32 exec_lo, exec_lo, s16
	v_dual_mov_b32 v15, 0 :: v_dual_mov_b32 v14, 0
	v_dual_mov_b32 v13, 0 :: v_dual_mov_b32 v12, 0
	s_mov_b32 s16, exec_lo
	v_cmpx_gt_u32_e64 s4, v34
	s_cbranch_execz .LBB162_22
; %bb.30:                               ;   in Loop: Header=BB162_24 Depth=2
	s_mov_b32 s17, exec_lo
                                        ; implicit-def: $vgpr15
	v_cmpx_lt_u32_e32 0x7fff, v34
	s_xor_b32 s17, exec_lo, s17
	s_cbranch_execz .LBB162_32
; %bb.31:                               ;   in Loop: Header=BB162_24 Depth=2
	v_mov_b32_e32 v35, v28
	s_delay_alu instid0(VALU_DEP_1) | instskip(NEXT) | instid1(VALU_DEP_1)
	v_lshlrev_b64 v[12:13], 1, v[34:35]
	v_add_co_u32 v12, vcc_lo, s12, v12
	s_delay_alu instid0(VALU_DEP_2)
	v_add_co_ci_u32_e32 v13, vcc_lo, s13, v13, vcc_lo
	global_load_b128 v[12:15], v[12:13], off
.LBB162_32:                             ;   in Loop: Header=BB162_24 Depth=2
	s_and_not1_saveexec_b32 s17, s17
	s_cbranch_execz .LBB162_21
; %bb.33:                               ;   in Loop: Header=BB162_24 Depth=2
	s_waitcnt vmcnt(0)
	ds_load_b128 v[12:15], v41 offset:512
	s_branch .LBB162_21
.LBB162_34:                             ;   in Loop: Header=BB162_19 Depth=1
	s_delay_alu instid0(VALU_DEP_1) | instskip(SKIP_1) | instid1(VALU_DEP_2)
	v_cvt_i32_f32_e32 v0, v43
	s_waitcnt lgkmcnt(0)
	v_cvt_i32_f32_e32 v1, v42
	s_delay_alu instid0(VALU_DEP_2) | instskip(NEXT) | instid1(VALU_DEP_2)
	v_cvt_f32_i32_dpp v0, v0 row_shr:8 row_mask:0xf bank_mask:0xf bound_ctrl:1
	v_cvt_f32_i32_dpp v1, v1 row_shr:8 row_mask:0xf bank_mask:0xf bound_ctrl:1
	s_delay_alu instid0(VALU_DEP_1) | instskip(NEXT) | instid1(VALU_DEP_1)
	v_dual_add_f32 v0, v43, v0 :: v_dual_add_f32 v1, v42, v1
	v_cvt_i32_f32_e32 v2, v0
	s_waitcnt vmcnt(0)
	s_delay_alu instid0(VALU_DEP_2) | instskip(NEXT) | instid1(VALU_DEP_2)
	v_cvt_i32_f32_e32 v3, v1
	v_cvt_f32_i32_dpp v2, v2 row_shr:4 row_mask:0xf bank_mask:0xf bound_ctrl:1
	s_delay_alu instid0(VALU_DEP_2) | instskip(NEXT) | instid1(VALU_DEP_1)
	v_cvt_f32_i32_dpp v3, v3 row_shr:4 row_mask:0xf bank_mask:0xf bound_ctrl:1
	v_dual_add_f32 v0, v0, v2 :: v_dual_add_f32 v1, v1, v3
	s_delay_alu instid0(VALU_DEP_1) | instskip(NEXT) | instid1(VALU_DEP_2)
	v_cvt_i32_f32_e32 v2, v0
	v_cvt_i32_f32_e32 v3, v1
	s_delay_alu instid0(VALU_DEP_2) | instskip(NEXT) | instid1(VALU_DEP_2)
	v_cvt_f32_i32_dpp v2, v2 row_shr:2 row_mask:0xf bank_mask:0xf bound_ctrl:1
	v_cvt_f32_i32_dpp v3, v3 row_shr:2 row_mask:0xf bank_mask:0xf bound_ctrl:1
	s_delay_alu instid0(VALU_DEP_1) | instskip(NEXT) | instid1(VALU_DEP_1)
	v_dual_add_f32 v0, v0, v2 :: v_dual_add_f32 v1, v1, v3
	v_cvt_i32_f32_e32 v2, v0
	s_delay_alu instid0(VALU_DEP_2) | instskip(NEXT) | instid1(VALU_DEP_2)
	v_cvt_i32_f32_e32 v3, v1
	v_cvt_f32_i32_dpp v2, v2 row_shr:1 row_mask:0xf bank_mask:0xf bound_ctrl:1
	s_delay_alu instid0(VALU_DEP_2) | instskip(NEXT) | instid1(VALU_DEP_2)
	v_cvt_f32_i32_dpp v3, v3 row_shr:1 row_mask:0xf bank_mask:0xf bound_ctrl:1
	v_add_f32_e32 v2, v0, v2
	s_delay_alu instid0(VALU_DEP_2)
	v_add_f32_e32 v0, v1, v3
	ds_bpermute_b32 v4, v39, v2
	ds_bpermute_b32 v1, v39, v0
	s_and_saveexec_b32 s1, s0
	s_cbranch_execz .LBB162_49
; %bb.35:                               ;   in Loop: Header=BB162_19 Depth=1
	v_mov_b32_e32 v3, 0
	v_mov_b32_e32 v5, 0
	s_and_not1_b32 vcc_lo, exec_lo, s20
	s_cbranch_vccnz .LBB162_37
; %bb.36:                               ;   in Loop: Header=BB162_19 Depth=1
	v_mul_hi_u32 v3, v26, v40
	v_mul_hi_u32 v5, v29, v40
	s_delay_alu instid0(VALU_DEP_2) | instskip(NEXT) | instid1(VALU_DEP_2)
	v_mul_lo_u32 v3, v3, s18
	v_mul_lo_u32 v5, v5, s18
	s_delay_alu instid0(VALU_DEP_2) | instskip(NEXT) | instid1(VALU_DEP_2)
	v_sub_nc_u32_e32 v3, v26, v3
	v_sub_nc_u32_e32 v5, v29, v5
	s_delay_alu instid0(VALU_DEP_2) | instskip(SKIP_1) | instid1(VALU_DEP_2)
	v_subrev_nc_u32_e32 v6, s18, v3
	v_cmp_le_u32_e32 vcc_lo, s18, v3
	v_cndmask_b32_e32 v3, v3, v6, vcc_lo
	s_delay_alu instid0(VALU_DEP_4) | instskip(SKIP_1) | instid1(VALU_DEP_3)
	v_subrev_nc_u32_e32 v6, s18, v5
	v_cmp_le_u32_e32 vcc_lo, s18, v5
	v_subrev_nc_u32_e32 v7, s18, v3
	s_delay_alu instid0(VALU_DEP_3) | instskip(SKIP_1) | instid1(VALU_DEP_3)
	v_cndmask_b32_e32 v8, v5, v6, vcc_lo
	v_cmp_le_u32_e32 vcc_lo, s18, v3
	v_cndmask_b32_e32 v27, v3, v7, vcc_lo
	s_delay_alu instid0(VALU_DEP_3) | instskip(SKIP_1) | instid1(VALU_DEP_3)
	v_subrev_nc_u32_e32 v3, s18, v8
	v_cmp_le_u32_e32 vcc_lo, s18, v8
	v_lshlrev_b64 v[5:6], 1, v[27:28]
	s_delay_alu instid0(VALU_DEP_3) | instskip(NEXT) | instid1(VALU_DEP_2)
	v_cndmask_b32_e32 v27, v8, v3, vcc_lo
	v_add_co_u32 v5, vcc_lo, s8, v5
	s_delay_alu instid0(VALU_DEP_2) | instskip(NEXT) | instid1(VALU_DEP_4)
	v_lshlrev_b64 v[7:8], 1, v[27:28]
	v_add_co_ci_u32_e32 v6, vcc_lo, s9, v6, vcc_lo
	s_delay_alu instid0(VALU_DEP_2) | instskip(NEXT) | instid1(VALU_DEP_3)
	v_add_co_u32 v7, vcc_lo, s8, v7
	v_add_co_ci_u32_e32 v8, vcc_lo, s9, v8, vcc_lo
	s_clause 0x1
	global_load_u16 v5, v[5:6], off
	global_load_u16 v3, v[7:8], off
.LBB162_37:                             ;   in Loop: Header=BB162_19 Depth=1
	s_mov_b32 s2, exec_lo
	v_cmpx_ne_u32_e32 0, v24
	s_cbranch_execz .LBB162_43
; %bb.38:                               ;   in Loop: Header=BB162_19 Depth=1
	s_waitcnt lgkmcnt(1)
	v_add_f32_e32 v2, v2, v4
	s_waitcnt vmcnt(1)
	v_lshlrev_b32_e32 v4, 16, v5
	s_delay_alu instid0(VALU_DEP_1) | instskip(NEXT) | instid1(VALU_DEP_1)
	v_add_f32_e32 v4, v2, v4
	v_and_b32_e32 v2, 0x7f800000, v4
	s_delay_alu instid0(VALU_DEP_1) | instskip(SKIP_1) | instid1(SALU_CYCLE_1)
	v_cmp_ne_u32_e32 vcc_lo, 0x7f800000, v2
                                        ; implicit-def: $vgpr2
	s_and_saveexec_b32 s16, vcc_lo
	s_xor_b32 s16, exec_lo, s16
; %bb.39:                               ;   in Loop: Header=BB162_19 Depth=1
	v_bfe_u32 v2, v4, 16, 1
	s_delay_alu instid0(VALU_DEP_1)
	v_add3_u32 v2, v4, v2, 0x7fff
                                        ; implicit-def: $vgpr4
; %bb.40:                               ;   in Loop: Header=BB162_19 Depth=1
	s_and_not1_saveexec_b32 s16, s16
; %bb.41:                               ;   in Loop: Header=BB162_19 Depth=1
	v_and_b32_e32 v2, 0xffff, v4
	v_or_b32_e32 v5, 0x10000, v4
	s_delay_alu instid0(VALU_DEP_2) | instskip(NEXT) | instid1(VALU_DEP_2)
	v_cmp_eq_u32_e32 vcc_lo, 0, v2
	v_cndmask_b32_e32 v2, v5, v4, vcc_lo
; %bb.42:                               ;   in Loop: Header=BB162_19 Depth=1
	s_or_b32 exec_lo, exec_lo, s16
	v_mov_b32_e32 v27, v28
	s_delay_alu instid0(VALU_DEP_1) | instskip(NEXT) | instid1(VALU_DEP_1)
	v_lshlrev_b64 v[4:5], 1, v[26:27]
	v_add_co_u32 v4, vcc_lo, s10, v4
	s_delay_alu instid0(VALU_DEP_2)
	v_add_co_ci_u32_e32 v5, vcc_lo, s11, v5, vcc_lo
	global_store_d16_hi_b16 v[4:5], v2, off
.LBB162_43:                             ;   in Loop: Header=BB162_19 Depth=1
	s_or_b32 exec_lo, exec_lo, s2
	v_cmp_ne_u32_e32 vcc_lo, 0, v25
	s_and_b32 exec_lo, exec_lo, vcc_lo
	s_cbranch_execz .LBB162_49
; %bb.44:                               ;   in Loop: Header=BB162_19 Depth=1
	s_waitcnt vmcnt(0) lgkmcnt(0)
	v_dual_add_f32 v0, v0, v1 :: v_dual_lshlrev_b32 v1, 16, v3
	s_delay_alu instid0(VALU_DEP_1) | instskip(NEXT) | instid1(VALU_DEP_1)
	v_add_f32_e32 v1, v0, v1
	v_and_b32_e32 v0, 0x7f800000, v1
	s_delay_alu instid0(VALU_DEP_1) | instskip(SKIP_1) | instid1(SALU_CYCLE_1)
	v_cmp_ne_u32_e32 vcc_lo, 0x7f800000, v0
                                        ; implicit-def: $vgpr0
	s_and_saveexec_b32 s2, vcc_lo
	s_xor_b32 s2, exec_lo, s2
; %bb.45:                               ;   in Loop: Header=BB162_19 Depth=1
	v_bfe_u32 v0, v1, 16, 1
	s_delay_alu instid0(VALU_DEP_1)
	v_add3_u32 v0, v1, v0, 0x7fff
                                        ; implicit-def: $vgpr1
; %bb.46:                               ;   in Loop: Header=BB162_19 Depth=1
	s_and_not1_saveexec_b32 s2, s2
; %bb.47:                               ;   in Loop: Header=BB162_19 Depth=1
	v_and_b32_e32 v0, 0xffff, v1
	v_or_b32_e32 v2, 0x10000, v1
	s_delay_alu instid0(VALU_DEP_2) | instskip(NEXT) | instid1(VALU_DEP_2)
	v_cmp_eq_u32_e32 vcc_lo, 0, v0
	v_cndmask_b32_e32 v0, v2, v1, vcc_lo
; %bb.48:                               ;   in Loop: Header=BB162_19 Depth=1
	s_or_b32 exec_lo, exec_lo, s2
	v_mov_b32_e32 v30, v28
	s_delay_alu instid0(VALU_DEP_1) | instskip(NEXT) | instid1(VALU_DEP_1)
	v_lshlrev_b64 v[1:2], 1, v[29:30]
	v_add_co_u32 v1, vcc_lo, s10, v1
	s_delay_alu instid0(VALU_DEP_2)
	v_add_co_ci_u32_e32 v2, vcc_lo, s11, v2, vcc_lo
	global_store_d16_hi_b16 v[1:2], v0, off
.LBB162_49:                             ;   in Loop: Header=BB162_19 Depth=1
	s_or_b32 exec_lo, exec_lo, s1
	v_add_nc_u32_e32 v26, s22, v26
	s_delay_alu instid0(VALU_DEP_1) | instskip(SKIP_1) | instid1(VALU_DEP_2)
	v_add_nc_u32_e32 v0, 2, v26
	v_cmp_gt_u32_e32 vcc_lo, s7, v26
	v_cmp_le_u32_e64 s1, s7, v0
	s_delay_alu instid0(VALU_DEP_1) | instskip(NEXT) | instid1(SALU_CYCLE_1)
	s_and_b32 s1, vcc_lo, s1
	s_and_saveexec_b32 s24, s1
	s_cbranch_execz .LBB162_18
; %bb.50:                               ;   in Loop: Header=BB162_19 Depth=1
	s_mov_b32 s25, exec_lo
	v_cmpx_ne_u32_e64 s23, v26
	s_cbranch_execz .LBB162_17
; %bb.51:                               ;   in Loop: Header=BB162_19 Depth=1
	v_subrev_nc_u32_e32 v0, s23, v26
	s_mov_b32 s26, 0
	s_mov_b64 s[16:17], 0
	s_delay_alu instid0(VALU_DEP_1)
	v_cmp_lt_u32_e32 vcc_lo, 1, v0
	v_cndmask_b32_e32 v0, 1, v0, vcc_lo
.LBB162_52:                             ;   Parent Loop BB162_19 Depth=1
                                        ; =>  This Inner Loop Header: Depth=2
	s_cmp_lg_u32 s16, 1
	s_cselect_b32 vcc_lo, -1, 0
	s_cmp_lg_u32 s16, 0
	v_cndmask_b32_e32 v25, 0, v25, vcc_lo
	s_cselect_b32 s1, -1, 0
	s_add_u32 s16, s16, 1
	v_cndmask_b32_e64 v24, 0, v24, s1
	v_cmp_eq_u32_e64 s2, s16, v0
	s_addc_u32 s17, s17, 0
	s_delay_alu instid0(VALU_DEP_1) | instskip(NEXT) | instid1(SALU_CYCLE_1)
	s_or_b32 s26, s2, s26
	s_and_not1_b32 exec_lo, exec_lo, s26
	s_cbranch_execnz .LBB162_52
; %bb.53:                               ;   in Loop: Header=BB162_19 Depth=1
	s_or_b32 exec_lo, exec_lo, s26
	s_branch .LBB162_17
.LBB162_54:
	s_nop 0
	s_sendmsg sendmsg(MSG_DEALLOC_VGPRS)
	s_endpgm
	.section	.rodata,"a",@progbits
	.p2align	6, 0x0
	.amdhsa_kernel _Z12wvSplitK_hf_I14__hip_bfloat16Li32ELi2ELi16ELi8ELi2ELi1EEviiiiiiPKT_S3_S3_PS1_ii
		.amdhsa_group_segment_fixed_size 65536
		.amdhsa_private_segment_fixed_size 0
		.amdhsa_kernarg_size 64
		.amdhsa_user_sgpr_count 15
		.amdhsa_user_sgpr_dispatch_ptr 0
		.amdhsa_user_sgpr_queue_ptr 0
		.amdhsa_user_sgpr_kernarg_segment_ptr 1
		.amdhsa_user_sgpr_dispatch_id 0
		.amdhsa_user_sgpr_private_segment_size 0
		.amdhsa_wavefront_size32 1
		.amdhsa_uses_dynamic_stack 0
		.amdhsa_enable_private_segment 0
		.amdhsa_system_sgpr_workgroup_id_x 1
		.amdhsa_system_sgpr_workgroup_id_y 0
		.amdhsa_system_sgpr_workgroup_id_z 0
		.amdhsa_system_sgpr_workgroup_info 0
		.amdhsa_system_vgpr_workitem_id 1
		.amdhsa_next_free_vgpr 46
		.amdhsa_next_free_sgpr 27
		.amdhsa_reserve_vcc 1
		.amdhsa_float_round_mode_32 0
		.amdhsa_float_round_mode_16_64 0
		.amdhsa_float_denorm_mode_32 3
		.amdhsa_float_denorm_mode_16_64 3
		.amdhsa_dx10_clamp 1
		.amdhsa_ieee_mode 1
		.amdhsa_fp16_overflow 0
		.amdhsa_workgroup_processor_mode 1
		.amdhsa_memory_ordered 1
		.amdhsa_forward_progress 0
		.amdhsa_shared_vgpr_count 0
		.amdhsa_exception_fp_ieee_invalid_op 0
		.amdhsa_exception_fp_denorm_src 0
		.amdhsa_exception_fp_ieee_div_zero 0
		.amdhsa_exception_fp_ieee_overflow 0
		.amdhsa_exception_fp_ieee_underflow 0
		.amdhsa_exception_fp_ieee_inexact 0
		.amdhsa_exception_int_div_zero 0
	.end_amdhsa_kernel
	.section	.text._Z12wvSplitK_hf_I14__hip_bfloat16Li32ELi2ELi16ELi8ELi2ELi1EEviiiiiiPKT_S3_S3_PS1_ii,"axG",@progbits,_Z12wvSplitK_hf_I14__hip_bfloat16Li32ELi2ELi16ELi8ELi2ELi1EEviiiiiiPKT_S3_S3_PS1_ii,comdat
.Lfunc_end162:
	.size	_Z12wvSplitK_hf_I14__hip_bfloat16Li32ELi2ELi16ELi8ELi2ELi1EEviiiiiiPKT_S3_S3_PS1_ii, .Lfunc_end162-_Z12wvSplitK_hf_I14__hip_bfloat16Li32ELi2ELi16ELi8ELi2ELi1EEviiiiiiPKT_S3_S3_PS1_ii
                                        ; -- End function
	.section	.AMDGPU.csdata,"",@progbits
; Kernel info:
; codeLenInByte = 3056
; NumSgprs: 29
; NumVgprs: 46
; ScratchSize: 0
; MemoryBound: 0
; FloatMode: 240
; IeeeMode: 1
; LDSByteSize: 65536 bytes/workgroup (compile time only)
; SGPRBlocks: 3
; VGPRBlocks: 5
; NumSGPRsForWavesPerEU: 29
; NumVGPRsForWavesPerEU: 46
; Occupancy: 8
; WaveLimiterHint : 0
; COMPUTE_PGM_RSRC2:SCRATCH_EN: 0
; COMPUTE_PGM_RSRC2:USER_SGPR: 15
; COMPUTE_PGM_RSRC2:TRAP_HANDLER: 0
; COMPUTE_PGM_RSRC2:TGID_X_EN: 1
; COMPUTE_PGM_RSRC2:TGID_Y_EN: 0
; COMPUTE_PGM_RSRC2:TGID_Z_EN: 0
; COMPUTE_PGM_RSRC2:TIDIG_COMP_CNT: 1
	.section	.text._Z16wvSplitK_hf_big_I14__hip_bfloat16Li32ELi2ELi16ELi8ELi2ELi1EEviiiiiiPKT_S3_S3_PS1_ii,"axG",@progbits,_Z16wvSplitK_hf_big_I14__hip_bfloat16Li32ELi2ELi16ELi8ELi2ELi1EEviiiiiiPKT_S3_S3_PS1_ii,comdat
	.protected	_Z16wvSplitK_hf_big_I14__hip_bfloat16Li32ELi2ELi16ELi8ELi2ELi1EEviiiiiiPKT_S3_S3_PS1_ii ; -- Begin function _Z16wvSplitK_hf_big_I14__hip_bfloat16Li32ELi2ELi16ELi8ELi2ELi1EEviiiiiiPKT_S3_S3_PS1_ii
	.globl	_Z16wvSplitK_hf_big_I14__hip_bfloat16Li32ELi2ELi16ELi8ELi2ELi1EEviiiiiiPKT_S3_S3_PS1_ii
	.p2align	8
	.type	_Z16wvSplitK_hf_big_I14__hip_bfloat16Li32ELi2ELi16ELi8ELi2ELi1EEviiiiiiPKT_S3_S3_PS1_ii,@function
_Z16wvSplitK_hf_big_I14__hip_bfloat16Li32ELi2ELi16ELi8ELi2ELi1EEviiiiiiPKT_S3_S3_PS1_ii: ; @_Z16wvSplitK_hf_big_I14__hip_bfloat16Li32ELi2ELi16ELi8ELi2ELi1EEviiiiiiPKT_S3_S3_PS1_ii
; %bb.0:
	s_load_b64 s[12:13], s[0:1], 0x38
	v_bfe_u32 v1, v0, 10, 10
	s_mov_b32 s2, exec_lo
	s_waitcnt lgkmcnt(0)
	s_delay_alu instid0(VALU_DEP_1)
	v_cmpx_gt_u32_e64 s12, v1
	s_cbranch_execz .LBB163_52
; %bb.1:
	s_load_b128 s[16:19], s[0:1], 0x0
	s_mul_i32 s15, s15, s12
	s_mov_b32 s4, 1
	v_add_lshl_u32 v26, s15, v1, 1
	s_mov_b32 s5, s4
	s_delay_alu instid0(SALU_CYCLE_1) | instskip(NEXT) | instid1(VALU_DEP_2)
	v_dual_mov_b32 v25, s5 :: v_dual_mov_b32 v24, s4
	v_add_nc_u32_e32 v2, 2, v26
	s_waitcnt lgkmcnt(0)
	v_cmp_gt_u32_e32 vcc_lo, s19, v26
	s_delay_alu instid0(VALU_DEP_2) | instskip(NEXT) | instid1(VALU_DEP_1)
	v_cmp_le_u32_e64 s2, s19, v2
	s_and_b32 s2, vcc_lo, s2
	s_delay_alu instid0(SALU_CYCLE_1)
	s_and_saveexec_b32 s6, s2
	s_cbranch_execz .LBB163_7
; %bb.2:
	v_dual_mov_b32 v25, s5 :: v_dual_mov_b32 v24, s4
	s_add_i32 s7, s19, -2
	s_mov_b32 s8, exec_lo
	v_cmpx_ne_u32_e64 s7, v26
	s_cbranch_execz .LBB163_6
; %bb.3:
	v_subrev_nc_u32_e32 v2, s7, v26
	s_mov_b32 s2, 1
	s_mov_b32 s9, 0
	s_mov_b64 s[4:5], 0
	s_mov_b32 s3, s2
	v_cmp_lt_u32_e32 vcc_lo, 1, v2
	v_cndmask_b32_e32 v2, 1, v2, vcc_lo
.LBB163_4:                              ; =>This Inner Loop Header: Depth=1
	s_cmp_lg_u32 s4, 1
	s_cselect_b32 s3, s3, 0
	s_cmp_lg_u32 s4, 0
	s_cselect_b32 s2, s2, 0
	s_add_u32 s4, s4, 1
	v_dual_mov_b32 v25, s3 :: v_dual_mov_b32 v24, s2
	v_cmp_eq_u32_e32 vcc_lo, s4, v2
	s_addc_u32 s5, s5, 0
	s_or_b32 s9, vcc_lo, s9
	s_delay_alu instid0(SALU_CYCLE_1)
	s_and_not1_b32 exec_lo, exec_lo, s9
	s_cbranch_execnz .LBB163_4
; %bb.5:
	s_or_b32 exec_lo, exec_lo, s9
	v_mov_b32_e32 v26, s7
.LBB163_6:
	s_or_b32 exec_lo, exec_lo, s8
.LBB163_7:
	s_delay_alu instid0(SALU_CYCLE_1)
	s_or_b32 exec_lo, exec_lo, s6
	s_lshl_b32 s2, s12, 1
	s_abs_i32 s6, s19
	s_abs_i32 s3, s2
	s_mov_b32 s14, 0
	v_cvt_f32_u32_e32 v2, s3
	s_sub_i32 s5, 0, s3
	s_delay_alu instid0(VALU_DEP_1) | instskip(SKIP_2) | instid1(VALU_DEP_1)
	v_rcp_iflag_f32_e32 v2, v2
	s_waitcnt_depctr 0xfff
	v_mul_f32_e32 v2, 0x4f7ffffe, v2
	v_cvt_u32_f32_e32 v2, v2
	s_delay_alu instid0(VALU_DEP_1) | instskip(NEXT) | instid1(VALU_DEP_1)
	v_readfirstlane_b32 s4, v2
	s_mul_i32 s5, s5, s4
	s_delay_alu instid0(SALU_CYCLE_1) | instskip(NEXT) | instid1(SALU_CYCLE_1)
	s_mul_hi_u32 s5, s4, s5
	s_add_i32 s4, s4, s5
	s_ashr_i32 s5, s19, 31
	s_mul_hi_u32 s4, s6, s4
	s_delay_alu instid0(SALU_CYCLE_1) | instskip(NEXT) | instid1(SALU_CYCLE_1)
	s_mul_i32 s4, s4, s3
	s_sub_i32 s4, s6, s4
	s_delay_alu instid0(SALU_CYCLE_1) | instskip(SKIP_2) | instid1(SALU_CYCLE_1)
	s_sub_i32 s6, s4, s3
	s_cmp_ge_u32 s4, s3
	s_cselect_b32 s4, s6, s4
	s_sub_i32 s6, s4, s3
	s_cmp_ge_u32 s4, s3
	s_cselect_b32 s3, s6, s4
	s_add_i32 s2, s2, s19
	s_xor_b32 s3, s3, s5
	s_delay_alu instid0(SALU_CYCLE_1) | instskip(NEXT) | instid1(SALU_CYCLE_1)
	s_sub_i32 s3, s3, s5
	s_sub_i32 s2, s2, s3
	s_cmp_eq_u32 s3, 0
	s_cselect_b32 s3, s19, s2
	s_delay_alu instid0(SALU_CYCLE_1)
	v_cmp_gt_u32_e32 vcc_lo, s3, v26
	s_and_b32 exec_lo, exec_lo, vcc_lo
	s_cbranch_execz .LBB163_52
; %bb.8:
	s_clause 0x1
	s_load_b32 s15, s[0:1], 0x10
	s_load_b256 s[4:11], s[0:1], 0x18
	s_min_u32 s20, s18, 0x8000
	s_cmp_lg_u32 s16, 0
	s_mul_i32 s0, s13, s12
	s_cselect_b32 s21, -1, 0
	s_cmp_lg_u32 s18, 0
	v_and_b32_e32 v0, 0x3ff, v0
	s_cselect_b32 s22, -1, 0
	s_lshl_b32 s23, s12, 8
	s_add_i32 s24, s16, -8
	s_add_i32 s25, s19, -1
	s_lshl_b32 s26, s0, 1
	v_mbcnt_lo_u32_b32 v33, -1, 0
	v_lshlrev_b32_e32 v4, 4, v0
	v_lshlrev_b32_e32 v34, 3, v0
	v_mov_b32_e32 v28, 0
	s_delay_alu instid0(VALU_DEP_4) | instskip(NEXT) | instid1(VALU_DEP_4)
	v_xor_b32_e32 v35, 16, v33
	v_lshl_add_u32 v36, v1, 9, v4
	s_waitcnt lgkmcnt(0)
	v_cvt_f32_u32_e32 v2, s15
	s_cmp_lg_u64 s[8:9], 0
	v_lshl_add_u32 v37, v1, 8, v34
	s_cselect_b32 s27, -1, 0
	s_sub_i32 s0, 0, s15
	v_rcp_iflag_f32_e32 v2, v2
	s_add_i32 s28, s19, -2
	s_add_u32 s29, s10, 2
	s_addc_u32 s30, s11, 0
	s_lshl_b32 s31, s12, 9
	s_waitcnt_depctr 0xfff
	v_mul_f32_e32 v2, 0x4f7ffffe, v2
	s_delay_alu instid0(VALU_DEP_1) | instskip(NEXT) | instid1(VALU_DEP_1)
	v_cvt_u32_f32_e32 v2, v2
	v_mul_lo_u32 v3, s0, v2
	v_cmp_eq_u32_e64 s0, 31, v0
	s_delay_alu instid0(VALU_DEP_2) | instskip(NEXT) | instid1(VALU_DEP_1)
	v_mul_hi_u32 v3, v2, v3
	v_add_nc_u32_e32 v38, v2, v3
	s_branch .LBB163_12
.LBB163_9:                              ;   in Loop: Header=BB163_12 Depth=1
	s_or_b32 exec_lo, exec_lo, s35
	v_mov_b32_e32 v26, s28
.LBB163_10:                             ;   in Loop: Header=BB163_12 Depth=1
	s_or_b32 exec_lo, exec_lo, s34
.LBB163_11:                             ;   in Loop: Header=BB163_12 Depth=1
	s_delay_alu instid0(SALU_CYCLE_1) | instskip(NEXT) | instid1(VALU_DEP_1)
	s_or_b32 exec_lo, exec_lo, s33
	v_cmp_le_u32_e32 vcc_lo, s3, v26
	s_or_b32 s14, vcc_lo, s14
	s_delay_alu instid0(SALU_CYCLE_1)
	s_and_not1_b32 exec_lo, exec_lo, s14
	s_cbranch_execz .LBB163_52
.LBB163_12:                             ; =>This Loop Header: Depth=1
                                        ;     Child Loop BB163_17 Depth 2
                                        ;       Child Loop BB163_22 Depth 3
                                        ;     Child Loop BB163_50 Depth 2
	v_mov_b32_e32 v40, v28
	v_mov_b32_e32 v39, v28
	s_and_not1_b32 vcc_lo, exec_lo, s21
	s_mov_b32 s12, 0
	s_cbranch_vccnz .LBB163_29
; %bb.13:                               ;   in Loop: Header=BB163_12 Depth=1
	v_add_nc_u32_e32 v0, 1, v26
	s_waitcnt lgkmcnt(0)
	v_min_u32_e32 v1, s25, v26
	v_cmp_gt_u32_e64 s1, s19, v26
	v_dual_mov_b32 v39, 0 :: v_dual_mov_b32 v40, 0
	s_mov_b32 s13, 0
	s_delay_alu instid0(VALU_DEP_3) | instskip(SKIP_2) | instid1(VALU_DEP_1)
	v_mul_lo_u32 v27, v1, s17
	v_mov_b32_e32 v1, v28
	v_min_u32_e32 v0, s25, v0
	v_mul_lo_u32 v0, v0, s17
	s_delay_alu instid0(VALU_DEP_4) | instskip(NEXT) | instid1(VALU_DEP_2)
	v_lshlrev_b64 v[29:30], 1, v[27:28]
	v_lshlrev_b64 v[31:32], 1, v[0:1]
	s_branch .LBB163_17
.LBB163_14:                             ;   in Loop: Header=BB163_17 Depth=2
	s_or_b32 exec_lo, exec_lo, s34
.LBB163_15:                             ;   in Loop: Header=BB163_17 Depth=2
	s_delay_alu instid0(SALU_CYCLE_1)
	s_or_b32 exec_lo, exec_lo, s33
	s_waitcnt lgkmcnt(0)
	v_and_b32_e32 v42, 0xffff0000, v21
	v_lshlrev_b32_e32 v21, 16, v21
	v_and_b32_e32 v44, 0xffff0000, v22
	s_waitcnt vmcnt(3)
	v_and_b32_e32 v43, 0xffff0000, v17
	v_lshlrev_b32_e32 v17, 16, v17
	v_and_b32_e32 v45, 0xffff0000, v18
	s_delay_alu instid0(VALU_DEP_3) | instskip(NEXT) | instid1(VALU_DEP_1)
	v_mul_f32_e32 v43, v42, v43
	v_fmac_f32_e32 v43, v21, v17
	v_and_b32_e32 v27, 0xffff0000, v20
	s_delay_alu instid0(VALU_DEP_4) | instskip(SKIP_2) | instid1(VALU_DEP_2)
	v_dual_mul_f32 v18, v44, v45 :: v_dual_lshlrev_b32 v17, 16, v18
	v_and_b32_e32 v41, 0xffff0000, v16
	v_lshlrev_b32_e32 v20, 16, v20
	v_dual_mul_f32 v41, v27, v41 :: v_dual_lshlrev_b32 v16, 16, v16
	s_delay_alu instid0(VALU_DEP_1) | instskip(NEXT) | instid1(VALU_DEP_1)
	v_dual_fmac_f32 v41, v20, v16 :: v_dual_lshlrev_b32 v16, 16, v22
	v_add_f32_e32 v22, v40, v41
	s_delay_alu instid0(VALU_DEP_2) | instskip(SKIP_1) | instid1(VALU_DEP_3)
	v_dual_fmac_f32 v18, v16, v17 :: v_dual_and_b32 v41, 0xffff0000, v19
	v_lshlrev_b32_e32 v19, 16, v19
	v_add_f32_e32 v17, v22, v43
	v_and_b32_e32 v22, 0xffff0000, v23
	s_waitcnt vmcnt(2)
	v_and_b32_e32 v40, 0xffff0000, v12
	v_lshlrev_b32_e32 v12, 16, v12
	v_lshlrev_b32_e32 v23, 16, v23
	v_add_f32_e32 v17, v17, v18
	v_mul_f32_e32 v41, v22, v41
	v_dual_mul_f32 v27, v27, v40 :: v_dual_and_b32 v40, 0xffff0000, v13
	s_delay_alu instid0(VALU_DEP_2) | instskip(NEXT) | instid1(VALU_DEP_2)
	v_dual_fmac_f32 v41, v23, v19 :: v_dual_and_b32 v18, 0xffff0000, v14
	v_dual_fmac_f32 v27, v20, v12 :: v_dual_lshlrev_b32 v12, 16, v13
	s_delay_alu instid0(VALU_DEP_3) | instskip(NEXT) | instid1(VALU_DEP_3)
	v_mul_f32_e32 v13, v42, v40
	v_add_f32_e32 v17, v17, v41
	s_delay_alu instid0(VALU_DEP_3) | instskip(NEXT) | instid1(VALU_DEP_3)
	v_add_f32_e32 v19, v39, v27
	v_dual_fmac_f32 v13, v21, v12 :: v_dual_lshlrev_b32 v12, 16, v14
	v_mul_f32_e32 v14, v44, v18
	v_and_b32_e32 v18, 0xffff0000, v15
	v_lshlrev_b32_e32 v15, 16, v15
	s_delay_alu instid0(VALU_DEP_3)
	v_dual_add_f32 v13, v19, v13 :: v_dual_fmac_f32 v14, v16, v12
	s_waitcnt vmcnt(1)
	v_and_b32_e32 v16, 0xffff0000, v4
	v_mul_f32_e32 v18, v22, v18
	v_and_b32_e32 v12, 0xffff0000, v8
	v_dual_add_f32 v13, v13, v14 :: v_dual_lshlrev_b32 v8, 16, v8
	s_delay_alu instid0(VALU_DEP_3) | instskip(NEXT) | instid1(VALU_DEP_3)
	v_dual_fmac_f32 v18, v23, v15 :: v_dual_and_b32 v19, 0xffff0000, v5
	v_mul_f32_e32 v16, v12, v16
	s_delay_alu instid0(VALU_DEP_2) | instskip(SKIP_1) | instid1(VALU_DEP_1)
	v_dual_add_f32 v13, v13, v18 :: v_dual_and_b32 v14, 0xffff0000, v9
	v_lshlrev_b32_e32 v4, 16, v4
	v_fmac_f32_e32 v16, v8, v4
	s_delay_alu instid0(VALU_DEP_3) | instskip(NEXT) | instid1(VALU_DEP_2)
	v_dual_mul_f32 v9, v14, v19 :: v_dual_lshlrev_b32 v4, 16, v9
	v_dual_add_f32 v15, v17, v16 :: v_dual_and_b32 v16, 0xffff0000, v10
	v_lshlrev_b32_e32 v5, 16, v5
	v_and_b32_e32 v17, 0xffff0000, v6
	s_delay_alu instid0(VALU_DEP_2) | instskip(SKIP_2) | instid1(VALU_DEP_3)
	v_fmac_f32_e32 v9, v4, v5
	s_waitcnt vmcnt(0)
	v_and_b32_e32 v5, 0xffff0000, v0
	v_dual_mul_f32 v17, v16, v17 :: v_dual_lshlrev_b32 v10, 16, v10
	v_lshlrev_b32_e32 v6, 16, v6
	v_dual_add_f32 v9, v15, v9 :: v_dual_lshlrev_b32 v0, 16, v0
	s_delay_alu instid0(VALU_DEP_4) | instskip(NEXT) | instid1(VALU_DEP_3)
	v_mul_f32_e32 v5, v12, v5
	v_dual_fmac_f32 v17, v10, v6 :: v_dual_and_b32 v12, 0xffff0000, v1
	s_delay_alu instid0(VALU_DEP_2) | instskip(NEXT) | instid1(VALU_DEP_2)
	v_dual_fmac_f32 v5, v8, v0 :: v_dual_and_b32 v6, 0xffff0000, v11
	v_dual_mul_f32 v1, v14, v12 :: v_dual_lshlrev_b32 v0, 16, v1
	v_lshlrev_b32_e32 v8, 16, v11
	v_and_b32_e32 v11, 0xffff0000, v2
	s_delay_alu instid0(VALU_DEP_4) | instskip(NEXT) | instid1(VALU_DEP_4)
	v_dual_add_f32 v5, v13, v5 :: v_dual_and_b32 v12, 0xffff0000, v7
	v_dual_fmac_f32 v1, v4, v0 :: v_dual_lshlrev_b32 v0, 16, v2
	s_delay_alu instid0(VALU_DEP_3) | instskip(SKIP_2) | instid1(VALU_DEP_4)
	v_mul_f32_e32 v2, v16, v11
	v_lshlrev_b32_e32 v4, 16, v7
	v_and_b32_e32 v7, 0xffff0000, v3
	v_add_f32_e32 v1, v5, v1
	v_mul_f32_e32 v11, v6, v12
	v_fmac_f32_e32 v2, v10, v0
	v_dual_add_f32 v5, v9, v17 :: v_dual_lshlrev_b32 v0, 16, v3
	v_mul_f32_e32 v3, v6, v7
	s_delay_alu instid0(VALU_DEP_4) | instskip(NEXT) | instid1(VALU_DEP_4)
	v_fmac_f32_e32 v11, v8, v4
	v_add_f32_e32 v1, v1, v2
	s_delay_alu instid0(VALU_DEP_2) | instskip(NEXT) | instid1(VALU_DEP_1)
	v_dual_fmac_f32 v3, v8, v0 :: v_dual_add_f32 v40, v5, v11
	v_add_f32_e32 v39, v1, v3
.LBB163_16:                             ;   in Loop: Header=BB163_17 Depth=2
	s_or_b32 exec_lo, exec_lo, s2
	s_addk_i32 s13, 0x200
	s_delay_alu instid0(SALU_CYCLE_1)
	s_cmp_ge_u32 s13, s16
	s_cbranch_scc1 .LBB163_29
.LBB163_17:                             ;   Parent Loop BB163_12 Depth=1
                                        ; =>  This Loop Header: Depth=2
                                        ;       Child Loop BB163_22 Depth 3
	s_cmp_eq_u32 s13, 0
	s_cselect_b32 s33, -1, 0
	s_add_i32 s2, s12, s20
	s_delay_alu instid0(SALU_CYCLE_1) | instskip(SKIP_1) | instid1(SALU_CYCLE_1)
	s_cmp_eq_u32 s13, s2
	s_cselect_b32 s34, -1, 0
	s_or_b32 s34, s33, s34
	s_delay_alu instid0(SALU_CYCLE_1)
	s_and_not1_b32 vcc_lo, exec_lo, s34
	s_cbranch_vccz .LBB163_19
; %bb.18:                               ;   in Loop: Header=BB163_17 Depth=2
	s_and_saveexec_b32 s2, s1
	s_cbranch_execz .LBB163_16
	s_branch .LBB163_26
.LBB163_19:                             ;   in Loop: Header=BB163_17 Depth=2
	s_and_b32 s33, s33, exec_lo
	s_cselect_b32 s12, s12, s2
	s_and_not1_b32 vcc_lo, exec_lo, s22
	s_waitcnt vmcnt(0)
	s_waitcnt_vscnt null, 0x0
	s_barrier
	buffer_gl0_inv
	s_cbranch_vccnz .LBB163_25
; %bb.20:                               ;   in Loop: Header=BB163_17 Depth=2
	v_dual_mov_b32 v1, v36 :: v_dual_add_nc_u32 v0, s12, v37
	s_mov_b32 s33, 0
	s_mov_b32 s34, 0
                                        ; implicit-def: $sgpr35
	s_set_inst_prefetch_distance 0x1
	s_branch .LBB163_22
	.p2align	6
.LBB163_21:                             ;   in Loop: Header=BB163_22 Depth=3
	s_or_b32 exec_lo, exec_lo, s2
	s_delay_alu instid0(SALU_CYCLE_1) | instskip(NEXT) | instid1(SALU_CYCLE_1)
	s_and_b32 s2, exec_lo, s35
	s_or_b32 s33, s2, s33
	s_delay_alu instid0(SALU_CYCLE_1)
	s_and_not1_b32 exec_lo, exec_lo, s33
	s_cbranch_execz .LBB163_24
.LBB163_22:                             ;   Parent Loop BB163_12 Depth=1
                                        ;     Parent Loop BB163_17 Depth=2
                                        ; =>    This Inner Loop Header: Depth=3
	v_add_nc_u32_e32 v27, s34, v0
	v_add_nc_u32_e32 v2, s34, v37
	s_or_b32 s35, s35, exec_lo
	s_delay_alu instid0(VALU_DEP_2) | instskip(NEXT) | instid1(VALU_DEP_2)
	v_cmp_gt_u32_e32 vcc_lo, s18, v27
	v_cmp_gt_u32_e64 s2, s20, v2
	s_delay_alu instid0(VALU_DEP_1) | instskip(NEXT) | instid1(SALU_CYCLE_1)
	s_and_b32 s36, s2, vcc_lo
	s_and_saveexec_b32 s2, s36
	s_cbranch_execz .LBB163_21
; %bb.23:                               ;   in Loop: Header=BB163_22 Depth=3
	v_lshlrev_b64 v[2:3], 1, v[27:28]
	s_add_i32 s34, s34, s23
	s_delay_alu instid0(SALU_CYCLE_1) | instskip(SKIP_1) | instid1(VALU_DEP_1)
	s_cmp_ge_u32 s34, s20
	s_cselect_b32 s36, -1, 0
	v_add_co_u32 v2, vcc_lo, s6, v2
	s_delay_alu instid0(VALU_DEP_2) | instskip(SKIP_2) | instid1(SALU_CYCLE_1)
	v_add_co_ci_u32_e32 v3, vcc_lo, s7, v3, vcc_lo
	s_and_not1_b32 s35, s35, exec_lo
	s_and_b32 s36, s36, exec_lo
	s_or_b32 s35, s35, s36
	global_load_b128 v[2:5], v[2:3], off
	s_waitcnt vmcnt(0)
	ds_store_b128 v1, v[2:5]
	v_add_nc_u32_e32 v1, s31, v1
	s_branch .LBB163_21
.LBB163_24:                             ;   in Loop: Header=BB163_17 Depth=2
	s_set_inst_prefetch_distance 0x2
	s_or_b32 exec_lo, exec_lo, s33
.LBB163_25:                             ;   in Loop: Header=BB163_17 Depth=2
	s_waitcnt lgkmcnt(0)
	s_barrier
	buffer_gl0_inv
	s_and_saveexec_b32 s2, s1
	s_cbranch_execz .LBB163_16
.LBB163_26:                             ;   in Loop: Header=BB163_17 Depth=2
	v_dual_mov_b32 v10, 0 :: v_dual_add_nc_u32 v41, s13, v34
	v_dual_mov_b32 v23, 0 :: v_dual_mov_b32 v22, 0
	v_dual_mov_b32 v21, 0 :: v_dual_mov_b32 v20, 0
	s_delay_alu instid0(VALU_DEP_3) | instskip(SKIP_2) | instid1(VALU_DEP_2)
	v_min_u32_e32 v27, s24, v41
	v_dual_mov_b32 v11, 0 :: v_dual_add_nc_u32 v42, 0x100, v41
	s_mov_b32 s33, exec_lo
	v_lshlrev_b64 v[0:1], 1, v[27:28]
	s_delay_alu instid0(VALU_DEP_2) | instskip(SKIP_1) | instid1(VALU_DEP_2)
	v_min_u32_e32 v27, s24, v42
	s_waitcnt vmcnt(0)
	v_add_co_u32 v4, vcc_lo, s4, v0
	s_delay_alu instid0(VALU_DEP_3) | instskip(NEXT) | instid1(VALU_DEP_3)
	v_add_co_ci_u32_e32 v5, vcc_lo, s5, v1, vcc_lo
	v_lshlrev_b64 v[0:1], 1, v[27:28]
	s_delay_alu instid0(VALU_DEP_3) | instskip(NEXT) | instid1(VALU_DEP_3)
	v_add_co_u32 v2, vcc_lo, v4, v29
	v_add_co_ci_u32_e32 v3, vcc_lo, v5, v30, vcc_lo
	s_delay_alu instid0(VALU_DEP_3) | instskip(NEXT) | instid1(VALU_DEP_4)
	v_add_co_u32 v6, vcc_lo, s4, v0
	v_add_co_ci_u32_e32 v7, vcc_lo, s5, v1, vcc_lo
	v_add_co_u32 v0, vcc_lo, v4, v31
	v_add_co_ci_u32_e32 v1, vcc_lo, v5, v32, vcc_lo
	s_delay_alu instid0(VALU_DEP_4) | instskip(NEXT) | instid1(VALU_DEP_4)
	v_add_co_u32 v4, vcc_lo, v6, v29
	v_add_co_ci_u32_e32 v5, vcc_lo, v7, v30, vcc_lo
	v_add_co_u32 v8, vcc_lo, v6, v31
	v_add_co_ci_u32_e32 v9, vcc_lo, v7, v32, vcc_lo
	s_clause 0x3
	global_load_b128 v[16:19], v[2:3], off slc dlc
	global_load_b128 v[12:15], v[0:1], off slc dlc
	;; [unrolled: 1-line block ×4, first 2 shown]
	v_dual_mov_b32 v9, 0 :: v_dual_mov_b32 v8, 0
	v_cmpx_gt_u32_e64 s16, v41
	s_cbranch_execz .LBB163_15
; %bb.27:                               ;   in Loop: Header=BB163_17 Depth=2
	v_subrev_nc_u32_e32 v8, s12, v41
	v_dual_mov_b32 v9, 0 :: v_dual_mov_b32 v10, 0
	v_mov_b32_e32 v11, 0
	s_mov_b32 s34, exec_lo
	s_delay_alu instid0(VALU_DEP_3)
	v_dual_mov_b32 v8, 0 :: v_dual_lshlrev_b32 v27, 1, v8
	ds_load_b128 v[20:23], v27
	v_cmpx_gt_u32_e64 s16, v42
	s_cbranch_execz .LBB163_14
; %bb.28:                               ;   in Loop: Header=BB163_17 Depth=2
	ds_load_b128 v[8:11], v27 offset:512
	s_branch .LBB163_14
.LBB163_29:                             ;   in Loop: Header=BB163_12 Depth=1
	s_mov_b32 s1, exec_lo
	v_cmpx_le_u32_e64 s19, v26
	s_xor_b32 s1, exec_lo, s1
; %bb.30:                               ;   in Loop: Header=BB163_12 Depth=1
	v_add_nc_u32_e32 v26, s26, v26
                                        ; implicit-def: $vgpr40
                                        ; implicit-def: $vgpr39
; %bb.31:                               ;   in Loop: Header=BB163_12 Depth=1
	s_and_not1_saveexec_b32 s33, s1
	s_cbranch_execz .LBB163_11
; %bb.32:                               ;   in Loop: Header=BB163_12 Depth=1
	v_cvt_i32_f32_e32 v0, v40
	s_waitcnt lgkmcnt(0)
	v_cvt_i32_f32_e32 v1, v39
	v_cmp_gt_i32_e32 vcc_lo, 32, v35
	s_delay_alu instid0(VALU_DEP_3) | instskip(NEXT) | instid1(VALU_DEP_3)
	v_cvt_f32_i32_dpp v0, v0 row_shr:8 row_mask:0xf bank_mask:0xf bound_ctrl:1
	v_cvt_f32_i32_dpp v1, v1 row_shr:8 row_mask:0xf bank_mask:0xf bound_ctrl:1
	s_waitcnt vmcnt(0)
	v_cndmask_b32_e32 v4, v33, v35, vcc_lo
	s_delay_alu instid0(VALU_DEP_2) | instskip(NEXT) | instid1(VALU_DEP_2)
	v_dual_add_f32 v0, v40, v0 :: v_dual_add_f32 v1, v39, v1
	v_lshlrev_b32_e32 v4, 2, v4
	s_delay_alu instid0(VALU_DEP_2) | instskip(NEXT) | instid1(VALU_DEP_3)
	v_cvt_i32_f32_e32 v2, v0
	v_cvt_i32_f32_e32 v3, v1
	s_delay_alu instid0(VALU_DEP_2) | instskip(NEXT) | instid1(VALU_DEP_2)
	v_cvt_f32_i32_dpp v2, v2 row_shr:4 row_mask:0xf bank_mask:0xf bound_ctrl:1
	v_cvt_f32_i32_dpp v3, v3 row_shr:4 row_mask:0xf bank_mask:0xf bound_ctrl:1
	s_delay_alu instid0(VALU_DEP_1) | instskip(NEXT) | instid1(VALU_DEP_1)
	v_dual_add_f32 v0, v0, v2 :: v_dual_add_f32 v1, v1, v3
	v_cvt_i32_f32_e32 v2, v0
	s_delay_alu instid0(VALU_DEP_2) | instskip(NEXT) | instid1(VALU_DEP_2)
	v_cvt_i32_f32_e32 v3, v1
	v_cvt_f32_i32_dpp v2, v2 row_shr:2 row_mask:0xf bank_mask:0xf bound_ctrl:1
	s_delay_alu instid0(VALU_DEP_2) | instskip(NEXT) | instid1(VALU_DEP_1)
	v_cvt_f32_i32_dpp v3, v3 row_shr:2 row_mask:0xf bank_mask:0xf bound_ctrl:1
	v_dual_add_f32 v0, v0, v2 :: v_dual_add_f32 v1, v1, v3
	s_delay_alu instid0(VALU_DEP_1) | instskip(NEXT) | instid1(VALU_DEP_2)
	v_cvt_i32_f32_e32 v2, v0
	v_cvt_i32_f32_e32 v3, v1
	s_delay_alu instid0(VALU_DEP_2) | instskip(NEXT) | instid1(VALU_DEP_2)
	v_cvt_f32_i32_dpp v2, v2 row_shr:1 row_mask:0xf bank_mask:0xf bound_ctrl:1
	v_cvt_f32_i32_dpp v3, v3 row_shr:1 row_mask:0xf bank_mask:0xf bound_ctrl:1
	s_delay_alu instid0(VALU_DEP_2) | instskip(NEXT) | instid1(VALU_DEP_2)
	v_add_f32_e32 v2, v0, v2
	v_add_f32_e32 v0, v1, v3
	ds_bpermute_b32 v3, v4, v2
	ds_bpermute_b32 v1, v4, v0
	s_and_saveexec_b32 s1, s0
	s_cbranch_execz .LBB163_47
; %bb.33:                               ;   in Loop: Header=BB163_12 Depth=1
	v_dual_mov_b32 v4, 0 :: v_dual_mov_b32 v5, 0
	s_and_not1_b32 vcc_lo, exec_lo, s27
	s_cbranch_vccnz .LBB163_35
; %bb.34:                               ;   in Loop: Header=BB163_12 Depth=1
	v_mul_hi_u32 v4, v26, v38
	s_delay_alu instid0(VALU_DEP_1) | instskip(NEXT) | instid1(VALU_DEP_1)
	v_mul_lo_u32 v4, v4, s15
	v_sub_nc_u32_e32 v4, v26, v4
	s_delay_alu instid0(VALU_DEP_1) | instskip(SKIP_1) | instid1(VALU_DEP_2)
	v_subrev_nc_u32_e32 v7, s15, v4
	v_cmp_le_u32_e32 vcc_lo, s15, v4
	v_dual_cndmask_b32 v4, v4, v7 :: v_dual_add_nc_u32 v5, 1, v26
	s_delay_alu instid0(VALU_DEP_1) | instskip(NEXT) | instid1(VALU_DEP_2)
	v_mul_hi_u32 v6, v5, v38
	v_subrev_nc_u32_e32 v7, s15, v4
	s_delay_alu instid0(VALU_DEP_2) | instskip(NEXT) | instid1(VALU_DEP_1)
	v_mul_lo_u32 v6, v6, s15
	v_sub_nc_u32_e32 v5, v5, v6
	s_delay_alu instid0(VALU_DEP_1) | instskip(SKIP_1) | instid1(VALU_DEP_2)
	v_subrev_nc_u32_e32 v6, s15, v5
	v_cmp_le_u32_e32 vcc_lo, s15, v5
	v_cndmask_b32_e32 v6, v5, v6, vcc_lo
	v_cmp_le_u32_e32 vcc_lo, s15, v4
	v_cndmask_b32_e32 v27, v4, v7, vcc_lo
	s_delay_alu instid0(VALU_DEP_3) | instskip(SKIP_1) | instid1(VALU_DEP_3)
	v_subrev_nc_u32_e32 v7, s15, v6
	v_cmp_le_u32_e32 vcc_lo, s15, v6
	v_lshlrev_b64 v[4:5], 1, v[27:28]
	s_delay_alu instid0(VALU_DEP_3) | instskip(NEXT) | instid1(VALU_DEP_2)
	v_cndmask_b32_e32 v27, v6, v7, vcc_lo
	v_add_co_u32 v4, vcc_lo, s8, v4
	s_delay_alu instid0(VALU_DEP_2) | instskip(NEXT) | instid1(VALU_DEP_4)
	v_lshlrev_b64 v[6:7], 1, v[27:28]
	v_add_co_ci_u32_e32 v5, vcc_lo, s9, v5, vcc_lo
	s_delay_alu instid0(VALU_DEP_2) | instskip(NEXT) | instid1(VALU_DEP_3)
	v_add_co_u32 v6, vcc_lo, s8, v6
	v_add_co_ci_u32_e32 v7, vcc_lo, s9, v7, vcc_lo
	s_clause 0x1
	global_load_u16 v5, v[4:5], off
	global_load_u16 v4, v[6:7], off
.LBB163_35:                             ;   in Loop: Header=BB163_12 Depth=1
	s_mov_b32 s2, exec_lo
	v_cmpx_ne_u32_e32 0, v24
	s_cbranch_execz .LBB163_41
; %bb.36:                               ;   in Loop: Header=BB163_12 Depth=1
	s_waitcnt vmcnt(1) lgkmcnt(1)
	v_dual_add_f32 v2, v2, v3 :: v_dual_lshlrev_b32 v3, 16, v5
	s_delay_alu instid0(VALU_DEP_1) | instskip(NEXT) | instid1(VALU_DEP_1)
	v_add_f32_e32 v3, v2, v3
	v_and_b32_e32 v2, 0x7f800000, v3
	s_delay_alu instid0(VALU_DEP_1) | instskip(SKIP_1) | instid1(SALU_CYCLE_1)
	v_cmp_ne_u32_e32 vcc_lo, 0x7f800000, v2
                                        ; implicit-def: $vgpr2
	s_and_saveexec_b32 s12, vcc_lo
	s_xor_b32 s12, exec_lo, s12
; %bb.37:                               ;   in Loop: Header=BB163_12 Depth=1
	v_bfe_u32 v2, v3, 16, 1
	s_delay_alu instid0(VALU_DEP_1)
	v_add3_u32 v2, v3, v2, 0x7fff
                                        ; implicit-def: $vgpr3
; %bb.38:                               ;   in Loop: Header=BB163_12 Depth=1
	s_and_not1_saveexec_b32 s12, s12
; %bb.39:                               ;   in Loop: Header=BB163_12 Depth=1
	v_and_b32_e32 v2, 0xffff, v3
	v_or_b32_e32 v5, 0x10000, v3
	s_delay_alu instid0(VALU_DEP_2) | instskip(NEXT) | instid1(VALU_DEP_2)
	v_cmp_eq_u32_e32 vcc_lo, 0, v2
	v_cndmask_b32_e32 v2, v5, v3, vcc_lo
; %bb.40:                               ;   in Loop: Header=BB163_12 Depth=1
	s_or_b32 exec_lo, exec_lo, s12
	v_mov_b32_e32 v27, v28
	s_delay_alu instid0(VALU_DEP_1) | instskip(NEXT) | instid1(VALU_DEP_1)
	v_lshlrev_b64 v[5:6], 1, v[26:27]
	v_add_co_u32 v5, vcc_lo, s10, v5
	s_delay_alu instid0(VALU_DEP_2)
	v_add_co_ci_u32_e32 v6, vcc_lo, s11, v6, vcc_lo
	global_store_d16_hi_b16 v[5:6], v2, off
.LBB163_41:                             ;   in Loop: Header=BB163_12 Depth=1
	s_or_b32 exec_lo, exec_lo, s2
	v_cmp_ne_u32_e32 vcc_lo, 0, v25
	s_and_b32 exec_lo, exec_lo, vcc_lo
	s_cbranch_execz .LBB163_47
; %bb.42:                               ;   in Loop: Header=BB163_12 Depth=1
	s_waitcnt vmcnt(0) lgkmcnt(0)
	v_dual_add_f32 v0, v0, v1 :: v_dual_lshlrev_b32 v1, 16, v4
	s_delay_alu instid0(VALU_DEP_1) | instskip(NEXT) | instid1(VALU_DEP_1)
	v_add_f32_e32 v1, v0, v1
	v_and_b32_e32 v0, 0x7f800000, v1
	s_delay_alu instid0(VALU_DEP_1) | instskip(SKIP_1) | instid1(SALU_CYCLE_1)
	v_cmp_ne_u32_e32 vcc_lo, 0x7f800000, v0
                                        ; implicit-def: $vgpr0
	s_and_saveexec_b32 s2, vcc_lo
	s_xor_b32 s2, exec_lo, s2
; %bb.43:                               ;   in Loop: Header=BB163_12 Depth=1
	v_bfe_u32 v0, v1, 16, 1
	s_delay_alu instid0(VALU_DEP_1)
	v_add3_u32 v0, v1, v0, 0x7fff
                                        ; implicit-def: $vgpr1
; %bb.44:                               ;   in Loop: Header=BB163_12 Depth=1
	s_and_not1_saveexec_b32 s2, s2
; %bb.45:                               ;   in Loop: Header=BB163_12 Depth=1
	v_and_b32_e32 v0, 0xffff, v1
	v_or_b32_e32 v2, 0x10000, v1
	s_delay_alu instid0(VALU_DEP_2) | instskip(NEXT) | instid1(VALU_DEP_2)
	v_cmp_eq_u32_e32 vcc_lo, 0, v0
	v_cndmask_b32_e32 v0, v2, v1, vcc_lo
; %bb.46:                               ;   in Loop: Header=BB163_12 Depth=1
	s_or_b32 exec_lo, exec_lo, s2
	v_mov_b32_e32 v27, v28
	s_delay_alu instid0(VALU_DEP_1) | instskip(NEXT) | instid1(VALU_DEP_1)
	v_lshlrev_b64 v[1:2], 1, v[26:27]
	v_add_co_u32 v1, vcc_lo, s29, v1
	s_delay_alu instid0(VALU_DEP_2)
	v_add_co_ci_u32_e32 v2, vcc_lo, s30, v2, vcc_lo
	global_store_d16_hi_b16 v[1:2], v0, off
.LBB163_47:                             ;   in Loop: Header=BB163_12 Depth=1
	s_or_b32 exec_lo, exec_lo, s1
	v_add_nc_u32_e32 v26, s26, v26
	s_delay_alu instid0(VALU_DEP_1) | instskip(SKIP_1) | instid1(VALU_DEP_2)
	v_add_nc_u32_e32 v0, 2, v26
	v_cmp_gt_u32_e32 vcc_lo, s19, v26
	v_cmp_le_u32_e64 s1, s19, v0
	s_delay_alu instid0(VALU_DEP_1) | instskip(NEXT) | instid1(SALU_CYCLE_1)
	s_and_b32 s1, vcc_lo, s1
	s_and_saveexec_b32 s34, s1
	s_cbranch_execz .LBB163_10
; %bb.48:                               ;   in Loop: Header=BB163_12 Depth=1
	s_mov_b32 s35, exec_lo
	v_cmpx_ne_u32_e64 s28, v26
	s_cbranch_execz .LBB163_9
; %bb.49:                               ;   in Loop: Header=BB163_12 Depth=1
	v_subrev_nc_u32_e32 v0, s28, v26
	s_mov_b32 s36, 0
	s_mov_b64 s[12:13], 0
	s_delay_alu instid0(VALU_DEP_1)
	v_cmp_lt_u32_e32 vcc_lo, 1, v0
	v_cndmask_b32_e32 v0, 1, v0, vcc_lo
.LBB163_50:                             ;   Parent Loop BB163_12 Depth=1
                                        ; =>  This Inner Loop Header: Depth=2
	s_cmp_lg_u32 s12, 1
	s_cselect_b32 vcc_lo, -1, 0
	s_cmp_lg_u32 s12, 0
	v_cndmask_b32_e32 v25, 0, v25, vcc_lo
	s_cselect_b32 s1, -1, 0
	s_add_u32 s12, s12, 1
	v_cndmask_b32_e64 v24, 0, v24, s1
	v_cmp_eq_u32_e64 s2, s12, v0
	s_addc_u32 s13, s13, 0
	s_delay_alu instid0(VALU_DEP_1) | instskip(NEXT) | instid1(SALU_CYCLE_1)
	s_or_b32 s36, s2, s36
	s_and_not1_b32 exec_lo, exec_lo, s36
	s_cbranch_execnz .LBB163_50
; %bb.51:                               ;   in Loop: Header=BB163_12 Depth=1
	s_or_b32 exec_lo, exec_lo, s36
	s_branch .LBB163_9
.LBB163_52:
	s_nop 0
	s_sendmsg sendmsg(MSG_DEALLOC_VGPRS)
	s_endpgm
	.section	.rodata,"a",@progbits
	.p2align	6, 0x0
	.amdhsa_kernel _Z16wvSplitK_hf_big_I14__hip_bfloat16Li32ELi2ELi16ELi8ELi2ELi1EEviiiiiiPKT_S3_S3_PS1_ii
		.amdhsa_group_segment_fixed_size 65536
		.amdhsa_private_segment_fixed_size 0
		.amdhsa_kernarg_size 64
		.amdhsa_user_sgpr_count 15
		.amdhsa_user_sgpr_dispatch_ptr 0
		.amdhsa_user_sgpr_queue_ptr 0
		.amdhsa_user_sgpr_kernarg_segment_ptr 1
		.amdhsa_user_sgpr_dispatch_id 0
		.amdhsa_user_sgpr_private_segment_size 0
		.amdhsa_wavefront_size32 1
		.amdhsa_uses_dynamic_stack 0
		.amdhsa_enable_private_segment 0
		.amdhsa_system_sgpr_workgroup_id_x 1
		.amdhsa_system_sgpr_workgroup_id_y 0
		.amdhsa_system_sgpr_workgroup_id_z 0
		.amdhsa_system_sgpr_workgroup_info 0
		.amdhsa_system_vgpr_workitem_id 1
		.amdhsa_next_free_vgpr 46
		.amdhsa_next_free_sgpr 37
		.amdhsa_reserve_vcc 1
		.amdhsa_float_round_mode_32 0
		.amdhsa_float_round_mode_16_64 0
		.amdhsa_float_denorm_mode_32 3
		.amdhsa_float_denorm_mode_16_64 3
		.amdhsa_dx10_clamp 1
		.amdhsa_ieee_mode 1
		.amdhsa_fp16_overflow 0
		.amdhsa_workgroup_processor_mode 1
		.amdhsa_memory_ordered 1
		.amdhsa_forward_progress 0
		.amdhsa_shared_vgpr_count 0
		.amdhsa_exception_fp_ieee_invalid_op 0
		.amdhsa_exception_fp_denorm_src 0
		.amdhsa_exception_fp_ieee_div_zero 0
		.amdhsa_exception_fp_ieee_overflow 0
		.amdhsa_exception_fp_ieee_underflow 0
		.amdhsa_exception_fp_ieee_inexact 0
		.amdhsa_exception_int_div_zero 0
	.end_amdhsa_kernel
	.section	.text._Z16wvSplitK_hf_big_I14__hip_bfloat16Li32ELi2ELi16ELi8ELi2ELi1EEviiiiiiPKT_S3_S3_PS1_ii,"axG",@progbits,_Z16wvSplitK_hf_big_I14__hip_bfloat16Li32ELi2ELi16ELi8ELi2ELi1EEviiiiiiPKT_S3_S3_PS1_ii,comdat
.Lfunc_end163:
	.size	_Z16wvSplitK_hf_big_I14__hip_bfloat16Li32ELi2ELi16ELi8ELi2ELi1EEviiiiiiPKT_S3_S3_PS1_ii, .Lfunc_end163-_Z16wvSplitK_hf_big_I14__hip_bfloat16Li32ELi2ELi16ELi8ELi2ELi1EEviiiiiiPKT_S3_S3_PS1_ii
                                        ; -- End function
	.section	.AMDGPU.csdata,"",@progbits
; Kernel info:
; codeLenInByte = 2884
; NumSgprs: 39
; NumVgprs: 46
; ScratchSize: 0
; MemoryBound: 0
; FloatMode: 240
; IeeeMode: 1
; LDSByteSize: 65536 bytes/workgroup (compile time only)
; SGPRBlocks: 4
; VGPRBlocks: 5
; NumSGPRsForWavesPerEU: 39
; NumVGPRsForWavesPerEU: 46
; Occupancy: 8
; WaveLimiterHint : 0
; COMPUTE_PGM_RSRC2:SCRATCH_EN: 0
; COMPUTE_PGM_RSRC2:USER_SGPR: 15
; COMPUTE_PGM_RSRC2:TRAP_HANDLER: 0
; COMPUTE_PGM_RSRC2:TGID_X_EN: 1
; COMPUTE_PGM_RSRC2:TGID_Y_EN: 0
; COMPUTE_PGM_RSRC2:TGID_Z_EN: 0
; COMPUTE_PGM_RSRC2:TIDIG_COMP_CNT: 1
	.section	.text._Z16wvSplitK_hf_sml_I14__hip_bfloat16Li32ELi3ELi16ELi8ELi2ELi1EEviiiiiiPKT_S3_S3_PS1_ii,"axG",@progbits,_Z16wvSplitK_hf_sml_I14__hip_bfloat16Li32ELi3ELi16ELi8ELi2ELi1EEviiiiiiPKT_S3_S3_PS1_ii,comdat
	.protected	_Z16wvSplitK_hf_sml_I14__hip_bfloat16Li32ELi3ELi16ELi8ELi2ELi1EEviiiiiiPKT_S3_S3_PS1_ii ; -- Begin function _Z16wvSplitK_hf_sml_I14__hip_bfloat16Li32ELi3ELi16ELi8ELi2ELi1EEviiiiiiPKT_S3_S3_PS1_ii
	.globl	_Z16wvSplitK_hf_sml_I14__hip_bfloat16Li32ELi3ELi16ELi8ELi2ELi1EEviiiiiiPKT_S3_S3_PS1_ii
	.p2align	8
	.type	_Z16wvSplitK_hf_sml_I14__hip_bfloat16Li32ELi3ELi16ELi8ELi2ELi1EEviiiiiiPKT_S3_S3_PS1_ii,@function
_Z16wvSplitK_hf_sml_I14__hip_bfloat16Li32ELi3ELi16ELi8ELi2ELi1EEviiiiiiPKT_S3_S3_PS1_ii: ; @_Z16wvSplitK_hf_sml_I14__hip_bfloat16Li32ELi3ELi16ELi8ELi2ELi1EEviiiiiiPKT_S3_S3_PS1_ii
; %bb.0:
	s_load_b128 s[4:7], s[0:1], 0x0
	v_and_b32_e32 v1, 0x3ff, v0
	v_bfe_u32 v0, v0, 10, 10
	s_delay_alu instid0(VALU_DEP_2) | instskip(NEXT) | instid1(VALU_DEP_1)
	v_lshlrev_b32_e32 v43, 3, v1
	v_lshl_add_u32 v3, v0, 8, v43
	s_waitcnt lgkmcnt(0)
	s_min_u32 s8, s6, 0x8000
	s_mov_b32 s6, exec_lo
	s_delay_alu instid0(VALU_DEP_1)
	v_cmpx_gt_u32_e64 s8, v3
	s_cbranch_execz .LBB164_9
; %bb.1:
	s_load_b64 s[2:3], s[0:1], 0x20
	v_lshlrev_b32_e32 v2, 1, v3
	v_add_nc_u32_e32 v8, 0x1000, v3
	s_mov_b32 s9, exec_lo
	s_waitcnt lgkmcnt(0)
	global_load_b128 v[4:7], v2, s[2:3]
	s_waitcnt vmcnt(0)
	ds_store_b128 v2, v[4:7]
	v_cmpx_gt_u32_e64 s8, v8
	s_xor_b32 s9, exec_lo, s9
	s_cbranch_execz .LBB164_9
; %bb.2:
	v_add_co_u32 v4, s2, s2, v2
	s_delay_alu instid0(VALU_DEP_1) | instskip(SKIP_1) | instid1(VALU_DEP_3)
	v_add_co_ci_u32_e64 v5, null, s3, 0, s2
	v_add_nc_u32_e32 v10, 0x2000, v3
	v_add_co_u32 v6, vcc_lo, 0x2000, v4
	s_delay_alu instid0(VALU_DEP_3)
	v_add_co_ci_u32_e32 v7, vcc_lo, 0, v5, vcc_lo
	s_mov_b32 s2, exec_lo
	global_load_b128 v[6:9], v[6:7], off
	s_waitcnt vmcnt(0)
	ds_store_b128 v2, v[6:9] offset:8192
	v_cmpx_gt_u32_e64 s8, v10
	s_xor_b32 s2, exec_lo, s2
	s_cbranch_execz .LBB164_9
; %bb.3:
	v_add_co_u32 v6, vcc_lo, 0x4000, v4
	v_add_co_ci_u32_e32 v7, vcc_lo, 0, v5, vcc_lo
	v_add_nc_u32_e32 v10, 0x3000, v3
	s_mov_b32 s2, exec_lo
	global_load_b128 v[6:9], v[6:7], off
	s_waitcnt vmcnt(0)
	ds_store_b128 v2, v[6:9] offset:16384
	v_cmpx_gt_u32_e64 s8, v10
	s_xor_b32 s2, exec_lo, s2
	s_cbranch_execz .LBB164_9
; %bb.4:
	v_add_co_u32 v6, vcc_lo, 0x6000, v4
	v_add_co_ci_u32_e32 v7, vcc_lo, 0, v5, vcc_lo
	v_add_nc_u32_e32 v10, 0x4000, v3
	;; [unrolled: 11-line block ×5, first 2 shown]
	s_mov_b32 s2, exec_lo
	global_load_b128 v[6:9], v[6:7], off
	s_waitcnt vmcnt(0)
	ds_store_b128 v2, v[6:9] offset:49152
	v_cmpx_gt_u32_e64 s8, v3
	s_xor_b32 s2, exec_lo, s2
	s_cbranch_execz .LBB164_9
; %bb.8:
	v_add_co_u32 v3, vcc_lo, 0xe000, v4
	v_add_co_ci_u32_e32 v4, vcc_lo, 0, v5, vcc_lo
	global_load_b128 v[3:6], v[3:4], off
	s_waitcnt vmcnt(0)
	ds_store_b128 v2, v[3:6] offset:57344
.LBB164_9:
	s_or_b32 exec_lo, exec_lo, s6
	s_load_b64 s[12:13], s[0:1], 0x38
	s_waitcnt lgkmcnt(0)
	s_barrier
	buffer_gl0_inv
	s_mov_b32 s2, exec_lo
	v_cmpx_gt_u32_e64 s12, v0
	s_cbranch_execz .LBB164_36
; %bb.10:
	s_load_b32 s6, s[0:1], 0x10
	v_mad_u64_u32 v[2:3], null, s15, s12, v[0:1]
	s_delay_alu instid0(VALU_DEP_1) | instskip(NEXT) | instid1(VALU_DEP_1)
	v_lshl_add_u32 v32, v2, 1, v2
	v_cmp_gt_u32_e32 vcc_lo, s7, v32
	s_and_b32 exec_lo, exec_lo, vcc_lo
	s_cbranch_execz .LBB164_36
; %bb.11:
	s_waitcnt lgkmcnt(0)
	v_cvt_f32_u32_e32 v0, s6
	v_mbcnt_lo_u32_b32 v2, -1, 0
	s_clause 0x1
	s_load_b128 s[8:11], s[0:1], 0x28
	s_load_b64 s[2:3], s[0:1], 0x18
	s_cmp_lg_u32 s4, 0
	v_rcp_iflag_f32_e32 v0, v0
	v_xor_b32_e32 v4, 16, v2
	s_cselect_b32 s1, -1, 0
	s_add_i32 s14, s4, -8
	s_add_i32 s15, s7, -1
	v_mov_b32_e32 v34, 0
	v_cmp_gt_i32_e32 vcc_lo, 32, v4
	v_lshlrev_b32_e32 v44, 4, v1
	s_mul_i32 s13, s12, s13
	s_mov_b32 s12, 0
	s_mul_i32 s13, s13, 3
	v_cndmask_b32_e32 v2, v2, v4, vcc_lo
	s_waitcnt_depctr 0xfff
	v_dual_mul_f32 v0, 0x4f7ffffe, v0 :: v_dual_lshlrev_b32 v45, 2, v2
	s_delay_alu instid0(VALU_DEP_1) | instskip(SKIP_4) | instid1(SALU_CYCLE_1)
	v_cvt_u32_f32_e32 v0, v0
	s_waitcnt lgkmcnt(0)
	s_cmp_lg_u64 s[8:9], 0
	s_cselect_b32 s16, -1, 0
	s_sub_i32 s0, 0, s6
	v_mul_lo_u32 v3, s0, v0
	v_cmp_eq_u32_e64 s0, 31, v1
	s_delay_alu instid0(VALU_DEP_2) | instskip(NEXT) | instid1(VALU_DEP_1)
	v_mul_hi_u32 v3, v0, v3
	v_add_nc_u32_e32 v46, v0, v3
	s_branch .LBB164_14
.LBB164_12:                             ;   in Loop: Header=BB164_14 Depth=1
	s_or_b32 exec_lo, exec_lo, s18
	v_mov_b32_e32 v36, v34
	s_delay_alu instid0(VALU_DEP_1) | instskip(NEXT) | instid1(VALU_DEP_1)
	v_lshlrev_b64 v[2:3], 1, v[35:36]
	v_add_co_u32 v2, vcc_lo, s10, v2
	s_delay_alu instid0(VALU_DEP_2)
	v_add_co_ci_u32_e32 v3, vcc_lo, s11, v3, vcc_lo
	global_store_d16_hi_b16 v[2:3], v1, off
.LBB164_13:                             ;   in Loop: Header=BB164_14 Depth=1
	s_or_b32 exec_lo, exec_lo, s17
	v_add_nc_u32_e32 v32, s13, v32
	s_delay_alu instid0(VALU_DEP_1) | instskip(SKIP_1) | instid1(SALU_CYCLE_1)
	v_cmp_le_u32_e32 vcc_lo, s7, v32
	s_or_b32 s12, vcc_lo, s12
	s_and_not1_b32 exec_lo, exec_lo, s12
	s_cbranch_execz .LBB164_36
.LBB164_14:                             ; =>This Loop Header: Depth=1
                                        ;     Child Loop BB164_18 Depth 2
	v_dual_mov_b32 v49, v34 :: v_dual_add_nc_u32 v36, 1, v32
	v_dual_mov_b32 v48, v34 :: v_dual_add_nc_u32 v35, 2, v32
	v_mov_b32_e32 v50, v34
	s_and_not1_b32 vcc_lo, exec_lo, s1
	s_cbranch_vccnz .LBB164_21
; %bb.15:                               ;   in Loop: Header=BB164_14 Depth=1
	v_min_u32_e32 v0, s15, v32
	s_waitcnt lgkmcnt(0)
	v_min_u32_e32 v1, s15, v36
	v_min_u32_e32 v2, s15, v35
	v_dual_mov_b32 v3, v34 :: v_dual_mov_b32 v48, 0
	v_mul_lo_u32 v33, v0, s5
	s_delay_alu instid0(VALU_DEP_4) | instskip(NEXT) | instid1(VALU_DEP_4)
	v_mul_lo_u32 v0, v1, s5
	v_mul_lo_u32 v2, v2, s5
	v_dual_mov_b32 v1, v34 :: v_dual_mov_b32 v50, 0
	v_mov_b32_e32 v47, v44
	v_mov_b32_e32 v49, 0
	s_mov_b32 s17, 0
	v_lshlrev_b64 v[37:38], 1, v[33:34]
	v_lshlrev_b64 v[39:40], 1, v[0:1]
	;; [unrolled: 1-line block ×3, first 2 shown]
	s_branch .LBB164_18
.LBB164_16:                             ;   in Loop: Header=BB164_18 Depth=2
	s_or_b32 exec_lo, exec_lo, s19
.LBB164_17:                             ;   in Loop: Header=BB164_18 Depth=2
	s_delay_alu instid0(SALU_CYCLE_1)
	s_or_b32 exec_lo, exec_lo, s18
	s_waitcnt lgkmcnt(0)
	v_and_b32_e32 v33, 0xffff0000, v28
	v_and_b32_e32 v54, 0xffff0000, v30
	v_lshlrev_b32_e32 v30, 16, v30
	s_waitcnt vmcnt(5)
	v_and_b32_e32 v51, 0xffff0000, v24
	v_lshlrev_b32_e32 v28, 16, v28
	v_and_b32_e32 v53, 0xffff0000, v25
	s_addk_i32 s17, 0x200
	v_add_nc_u32_e32 v47, 0x400, v47
	v_dual_mul_f32 v51, v33, v51 :: v_dual_and_b32 v52, 0xffff0000, v29
	v_lshlrev_b32_e32 v24, 16, v24
	s_cmp_ge_u32 s17, s4
	s_delay_alu instid0(VALU_DEP_2) | instskip(NEXT) | instid1(VALU_DEP_2)
	v_mul_f32_e32 v53, v52, v53
	v_fmac_f32_e32 v51, v28, v24
	s_delay_alu instid0(VALU_DEP_1)
	v_add_f32_e32 v50, v50, v51
	v_and_b32_e32 v24, 0xffff0000, v26
	v_lshlrev_b32_e32 v29, 16, v29
	s_waitcnt vmcnt(4)
	v_and_b32_e32 v51, 0xffff0000, v21
	v_lshlrev_b32_e32 v26, 16, v26
	v_mul_f32_e32 v24, v54, v24
	s_delay_alu instid0(VALU_DEP_1) | instskip(NEXT) | instid1(VALU_DEP_1)
	v_dual_fmac_f32 v24, v30, v26 :: v_dual_lshlrev_b32 v25, 16, v25
	v_fmac_f32_e32 v53, v29, v25
	s_delay_alu instid0(VALU_DEP_1) | instskip(NEXT) | instid1(VALU_DEP_1)
	v_dual_add_f32 v26, v50, v53 :: v_dual_and_b32 v25, 0xffff0000, v20
	v_dual_mul_f32 v25, v33, v25 :: v_dual_and_b32 v50, 0xffff0000, v31
	s_delay_alu instid0(VALU_DEP_2)
	v_add_f32_e32 v24, v26, v24
	s_waitcnt vmcnt(3)
	v_and_b32_e32 v26, 0xffff0000, v16
	v_lshlrev_b32_e32 v16, 16, v16
	v_and_b32_e32 v53, 0xffff0000, v27
	v_lshlrev_b32_e32 v20, 16, v20
	v_lshlrev_b32_e32 v31, 16, v31
	;; [unrolled: 1-line block ×3, first 2 shown]
	s_delay_alu instid0(VALU_DEP_4) | instskip(NEXT) | instid1(VALU_DEP_4)
	v_mul_f32_e32 v53, v50, v53
	v_dual_fmac_f32 v25, v28, v20 :: v_dual_lshlrev_b32 v20, 16, v21
	v_mul_f32_e32 v21, v52, v51
	v_and_b32_e32 v51, 0xffff0000, v22
	s_delay_alu instid0(VALU_DEP_3) | instskip(NEXT) | instid1(VALU_DEP_3)
	v_add_f32_e32 v25, v49, v25
	v_dual_fmac_f32 v21, v29, v20 :: v_dual_lshlrev_b32 v20, 16, v22
	s_delay_alu instid0(VALU_DEP_1) | instskip(NEXT) | instid1(VALU_DEP_1)
	v_dual_mul_f32 v22, v54, v51 :: v_dual_add_f32 v21, v25, v21
	v_fmac_f32_e32 v22, v30, v20
	v_dual_mul_f32 v20, v33, v26 :: v_dual_fmac_f32 v53, v31, v27
	s_waitcnt vmcnt(2)
	v_and_b32_e32 v27, 0xffff0000, v9
	s_delay_alu instid0(VALU_DEP_2)
	v_dual_add_f32 v21, v21, v22 :: v_dual_fmac_f32 v20, v28, v16
	v_lshlrev_b32_e32 v16, 16, v17
	v_and_b32_e32 v22, 0xffff0000, v23
	v_and_b32_e32 v25, 0xffff0000, v17
	v_add_f32_e32 v24, v24, v53
	v_add_f32_e32 v20, v48, v20
	s_delay_alu instid0(VALU_DEP_3) | instskip(NEXT) | instid1(VALU_DEP_1)
	v_dual_mul_f32 v22, v50, v22 :: v_dual_mul_f32 v17, v52, v25
	v_dual_fmac_f32 v17, v29, v16 :: v_dual_lshlrev_b32 v16, 16, v18
	v_and_b32_e32 v25, 0xffff0000, v18
	v_lshlrev_b32_e32 v23, 16, v23
	s_delay_alu instid0(VALU_DEP_3) | instskip(SKIP_1) | instid1(VALU_DEP_4)
	v_dual_add_f32 v17, v20, v17 :: v_dual_and_b32 v26, 0xffff0000, v8
	v_and_b32_e32 v20, 0xffff0000, v19
	v_dual_mul_f32 v18, v54, v25 :: v_dual_and_b32 v25, 0xffff0000, v12
	s_delay_alu instid0(VALU_DEP_4) | instskip(SKIP_1) | instid1(VALU_DEP_3)
	v_dual_fmac_f32 v22, v31, v23 :: v_dual_lshlrev_b32 v9, 16, v9
	v_lshlrev_b32_e32 v12, 16, v12
	v_fmac_f32_e32 v18, v30, v16
	v_lshlrev_b32_e32 v8, 16, v8
	v_dual_mul_f32 v16, v25, v26 :: v_dual_lshlrev_b32 v19, 16, v19
	s_delay_alu instid0(VALU_DEP_3) | instskip(NEXT) | instid1(VALU_DEP_2)
	v_dual_add_f32 v17, v17, v18 :: v_dual_and_b32 v26, 0xffff0000, v13
	v_fmac_f32_e32 v16, v12, v8
	v_lshlrev_b32_e32 v8, 16, v13
	v_and_b32_e32 v28, 0xffff0000, v10
	s_waitcnt vmcnt(1)
	v_dual_mul_f32 v13, v26, v27 :: v_dual_and_b32 v18, 0xffff0000, v5
	v_dual_add_f32 v16, v24, v16 :: v_dual_and_b32 v27, 0xffff0000, v14
	s_delay_alu instid0(VALU_DEP_2) | instskip(NEXT) | instid1(VALU_DEP_2)
	v_fmac_f32_e32 v13, v8, v9
	v_dual_mul_f32 v14, v27, v28 :: v_dual_lshlrev_b32 v9, 16, v14
	s_delay_alu instid0(VALU_DEP_2) | instskip(SKIP_1) | instid1(VALU_DEP_2)
	v_dual_add_f32 v13, v16, v13 :: v_dual_mul_f32 v20, v50, v20
	v_add_f32_e32 v16, v21, v22
	v_fmac_f32_e32 v20, v31, v19
	v_and_b32_e32 v19, 0xffff0000, v11
	v_lshlrev_b32_e32 v11, 16, v11
	s_delay_alu instid0(VALU_DEP_3) | instskip(NEXT) | instid1(VALU_DEP_1)
	v_dual_add_f32 v17, v17, v20 :: v_dual_lshlrev_b32 v10, 16, v10
	v_fmac_f32_e32 v14, v9, v10
	v_and_b32_e32 v10, 0xffff0000, v4
	s_delay_alu instid0(VALU_DEP_2) | instskip(NEXT) | instid1(VALU_DEP_2)
	v_dual_add_f32 v13, v13, v14 :: v_dual_lshlrev_b32 v4, 16, v4
	v_mul_f32_e32 v10, v25, v10
	v_and_b32_e32 v14, 0xffff0000, v15
	s_delay_alu instid0(VALU_DEP_2) | instskip(SKIP_2) | instid1(VALU_DEP_3)
	v_dual_fmac_f32 v10, v12, v4 :: v_dual_lshlrev_b32 v15, 16, v15
	v_dual_mul_f32 v5, v26, v18 :: v_dual_lshlrev_b32 v4, 16, v5
	s_waitcnt vmcnt(0)
	v_dual_mul_f32 v18, v14, v19 :: v_dual_and_b32 v19, 0xffff0000, v0
	s_delay_alu instid0(VALU_DEP_3) | instskip(SKIP_3) | instid1(VALU_DEP_2)
	v_add_f32_e32 v10, v16, v10
	v_lshlrev_b32_e32 v0, 16, v0
	v_dual_fmac_f32 v5, v8, v4 :: v_dual_and_b32 v4, 0xffff0000, v6
	v_lshlrev_b32_e32 v6, 16, v6
	v_dual_fmac_f32 v18, v15, v11 :: v_dual_add_f32 v5, v10, v5
	s_delay_alu instid0(VALU_DEP_3) | instskip(SKIP_1) | instid1(VALU_DEP_3)
	v_mul_f32_e32 v4, v27, v4
	v_and_b32_e32 v10, 0xffff0000, v7
	v_add_f32_e32 v50, v13, v18
	s_delay_alu instid0(VALU_DEP_3) | instskip(SKIP_1) | instid1(VALU_DEP_2)
	v_fmac_f32_e32 v4, v9, v6
	v_and_b32_e32 v6, 0xffff0000, v2
	v_add_f32_e32 v4, v5, v4
	v_dual_mul_f32 v16, v25, v19 :: v_dual_and_b32 v19, 0xffff0000, v1
	s_delay_alu instid0(VALU_DEP_1) | instskip(NEXT) | instid1(VALU_DEP_2)
	v_fmac_f32_e32 v16, v12, v0
	v_dual_mul_f32 v1, v26, v19 :: v_dual_lshlrev_b32 v0, 16, v1
	s_delay_alu instid0(VALU_DEP_2) | instskip(NEXT) | instid1(VALU_DEP_2)
	v_add_f32_e32 v12, v17, v16
	v_dual_fmac_f32 v1, v8, v0 :: v_dual_lshlrev_b32 v0, 16, v2
	v_mul_f32_e32 v2, v27, v6
	v_lshlrev_b32_e32 v6, 16, v7
	v_dual_mul_f32 v8, v14, v10 :: v_dual_and_b32 v7, 0xffff0000, v3
	s_delay_alu instid0(VALU_DEP_3) | instskip(SKIP_1) | instid1(VALU_DEP_3)
	v_dual_add_f32 v1, v12, v1 :: v_dual_fmac_f32 v2, v9, v0
	v_lshlrev_b32_e32 v0, 16, v3
	v_dual_mul_f32 v3, v14, v7 :: v_dual_fmac_f32 v8, v15, v6
	s_delay_alu instid0(VALU_DEP_3) | instskip(NEXT) | instid1(VALU_DEP_2)
	v_add_f32_e32 v1, v1, v2
	v_fmac_f32_e32 v3, v15, v0
	s_delay_alu instid0(VALU_DEP_1)
	v_dual_add_f32 v49, v4, v8 :: v_dual_add_f32 v48, v1, v3
	s_cbranch_scc1 .LBB164_21
.LBB164_18:                             ;   Parent Loop BB164_14 Depth=1
                                        ; =>  This Inner Loop Header: Depth=2
	v_dual_mov_b32 v31, 0 :: v_dual_add_nc_u32 v28, s17, v43
	v_dual_mov_b32 v30, 0 :: v_dual_mov_b32 v29, 0
	s_delay_alu instid0(VALU_DEP_2) | instskip(SKIP_1) | instid1(VALU_DEP_2)
	v_min_u32_e32 v33, s14, v28
	v_add_nc_u32_e32 v51, 0x100, v28
	v_lshlrev_b64 v[0:1], 1, v[33:34]
	s_delay_alu instid0(VALU_DEP_2) | instskip(NEXT) | instid1(VALU_DEP_2)
	v_min_u32_e32 v33, s14, v51
	v_add_co_u32 v6, vcc_lo, s2, v0
	s_delay_alu instid0(VALU_DEP_3) | instskip(NEXT) | instid1(VALU_DEP_3)
	v_add_co_ci_u32_e32 v7, vcc_lo, s3, v1, vcc_lo
	v_lshlrev_b64 v[0:1], 1, v[33:34]
	s_delay_alu instid0(VALU_DEP_3) | instskip(NEXT) | instid1(VALU_DEP_3)
	v_add_co_u32 v2, vcc_lo, v6, v37
	v_add_co_ci_u32_e32 v3, vcc_lo, v7, v38, vcc_lo
	v_add_co_u32 v4, vcc_lo, v6, v39
	v_add_co_ci_u32_e32 v5, vcc_lo, v7, v40, vcc_lo
	;; [unrolled: 2-line block ×4, first 2 shown]
	s_delay_alu instid0(VALU_DEP_4) | instskip(NEXT) | instid1(VALU_DEP_4)
	v_add_co_u32 v6, vcc_lo, v8, v37
	v_add_co_ci_u32_e32 v7, vcc_lo, v9, v38, vcc_lo
	v_add_co_u32 v12, vcc_lo, v8, v39
	v_add_co_ci_u32_e32 v13, vcc_lo, v9, v40, vcc_lo
	;; [unrolled: 2-line block ×3, first 2 shown]
	s_clause 0x5
	global_load_b128 v[24:27], v[2:3], off slc dlc
	global_load_b128 v[20:23], v[4:5], off slc dlc
	;; [unrolled: 1-line block ×6, first 2 shown]
	v_dual_mov_b32 v14, 0 :: v_dual_mov_b32 v15, 0
	v_cmp_gt_u32_e32 vcc_lo, s4, v28
	v_dual_mov_b32 v13, 0 :: v_dual_mov_b32 v12, 0
	v_mov_b32_e32 v28, 0
	s_and_saveexec_b32 s18, vcc_lo
	s_cbranch_execz .LBB164_17
; %bb.19:                               ;   in Loop: Header=BB164_18 Depth=2
	ds_load_b128 v[28:31], v47
	v_dual_mov_b32 v12, 0 :: v_dual_mov_b32 v13, 0
	v_dual_mov_b32 v14, 0 :: v_dual_mov_b32 v15, 0
	s_mov_b32 s19, exec_lo
	v_cmpx_gt_u32_e64 s4, v51
	s_cbranch_execz .LBB164_16
; %bb.20:                               ;   in Loop: Header=BB164_18 Depth=2
	ds_load_b128 v[12:15], v47 offset:512
	s_branch .LBB164_16
.LBB164_21:                             ;   in Loop: Header=BB164_14 Depth=1
	; sched_barrier mask(0x00000000)
	s_delay_alu instid0(VALU_DEP_1) | instskip(SKIP_1) | instid1(VALU_DEP_2)
	v_cvt_i32_f32_e32 v0, v50
	s_waitcnt lgkmcnt(0)
	v_cvt_i32_f32_e32 v1, v49
	v_cvt_i32_f32_e32 v2, v48
	s_delay_alu instid0(VALU_DEP_3) | instskip(NEXT) | instid1(VALU_DEP_3)
	v_cvt_f32_i32_dpp v0, v0 row_shr:8 row_mask:0xf bank_mask:0xf bound_ctrl:1
	v_cvt_f32_i32_dpp v1, v1 row_shr:8 row_mask:0xf bank_mask:0xf bound_ctrl:1
	s_delay_alu instid0(VALU_DEP_3) | instskip(NEXT) | instid1(VALU_DEP_2)
	v_cvt_f32_i32_dpp v2, v2 row_shr:8 row_mask:0xf bank_mask:0xf bound_ctrl:1
	v_dual_add_f32 v0, v50, v0 :: v_dual_add_f32 v1, v49, v1
	s_delay_alu instid0(VALU_DEP_1) | instskip(NEXT) | instid1(VALU_DEP_2)
	v_cvt_i32_f32_e32 v3, v0
	v_cvt_i32_f32_e32 v4, v1
	s_delay_alu instid0(VALU_DEP_2) | instskip(NEXT) | instid1(VALU_DEP_2)
	v_cvt_f32_i32_dpp v3, v3 row_shr:4 row_mask:0xf bank_mask:0xf bound_ctrl:1
	v_cvt_f32_i32_dpp v4, v4 row_shr:4 row_mask:0xf bank_mask:0xf bound_ctrl:1
	s_delay_alu instid0(VALU_DEP_1) | instskip(NEXT) | instid1(VALU_DEP_1)
	v_dual_add_f32 v2, v48, v2 :: v_dual_add_f32 v1, v1, v4
	v_cvt_i32_f32_e32 v5, v2
	s_delay_alu instid0(VALU_DEP_2) | instskip(NEXT) | instid1(VALU_DEP_2)
	v_cvt_i32_f32_e32 v4, v1
	v_cvt_f32_i32_dpp v5, v5 row_shr:4 row_mask:0xf bank_mask:0xf bound_ctrl:1
	s_delay_alu instid0(VALU_DEP_2) | instskip(SKIP_1) | instid1(VALU_DEP_2)
	v_cvt_f32_i32_dpp v4, v4 row_shr:2 row_mask:0xf bank_mask:0xf bound_ctrl:1
	v_add_f32_e32 v0, v0, v3
	v_dual_add_f32 v2, v2, v5 :: v_dual_add_f32 v1, v1, v4
	s_delay_alu instid0(VALU_DEP_2) | instskip(NEXT) | instid1(VALU_DEP_2)
	v_cvt_i32_f32_e32 v3, v0
	v_cvt_i32_f32_e32 v5, v2
	s_delay_alu instid0(VALU_DEP_3) | instskip(NEXT) | instid1(VALU_DEP_3)
	v_cvt_i32_f32_e32 v4, v1
	v_cvt_f32_i32_dpp v3, v3 row_shr:2 row_mask:0xf bank_mask:0xf bound_ctrl:1
	s_delay_alu instid0(VALU_DEP_3) | instskip(NEXT) | instid1(VALU_DEP_3)
	v_cvt_f32_i32_dpp v5, v5 row_shr:2 row_mask:0xf bank_mask:0xf bound_ctrl:1
	v_cvt_f32_i32_dpp v4, v4 row_shr:1 row_mask:0xf bank_mask:0xf bound_ctrl:1
	s_delay_alu instid0(VALU_DEP_2) | instskip(NEXT) | instid1(VALU_DEP_1)
	v_dual_add_f32 v0, v0, v3 :: v_dual_add_f32 v3, v2, v5
	v_cvt_i32_f32_e32 v2, v0
	s_delay_alu instid0(VALU_DEP_2) | instskip(NEXT) | instid1(VALU_DEP_2)
	v_cvt_i32_f32_e32 v5, v3
	v_cvt_f32_i32_dpp v2, v2 row_shr:1 row_mask:0xf bank_mask:0xf bound_ctrl:1
	s_delay_alu instid0(VALU_DEP_2) | instskip(NEXT) | instid1(VALU_DEP_2)
	v_cvt_f32_i32_dpp v6, v5 row_shr:1 row_mask:0xf bank_mask:0xf bound_ctrl:1
	v_dual_add_f32 v5, v0, v2 :: v_dual_add_f32 v2, v1, v4
	s_delay_alu instid0(VALU_DEP_2)
	v_add_f32_e32 v0, v3, v6
	ds_bpermute_b32 v6, v45, v5
	ds_bpermute_b32 v3, v45, v2
	;; [unrolled: 1-line block ×3, first 2 shown]
	s_and_saveexec_b32 s17, s0
	s_cbranch_execz .LBB164_13
; %bb.22:                               ;   in Loop: Header=BB164_14 Depth=1
	v_dual_mov_b32 v8, 0 :: v_dual_mov_b32 v7, 0
	v_mov_b32_e32 v4, 0
	s_and_not1_b32 vcc_lo, exec_lo, s16
	s_cbranch_vccnz .LBB164_24
; %bb.23:                               ;   in Loop: Header=BB164_14 Depth=1
	v_mul_hi_u32 v4, v32, v46
	v_mul_hi_u32 v7, v36, v46
	;; [unrolled: 1-line block ×3, first 2 shown]
	s_delay_alu instid0(VALU_DEP_3) | instskip(NEXT) | instid1(VALU_DEP_3)
	v_mul_lo_u32 v4, v4, s6
	v_mul_lo_u32 v7, v7, s6
	s_delay_alu instid0(VALU_DEP_3) | instskip(NEXT) | instid1(VALU_DEP_3)
	v_mul_lo_u32 v8, v8, s6
	v_sub_nc_u32_e32 v4, v32, v4
	s_delay_alu instid0(VALU_DEP_3) | instskip(NEXT) | instid1(VALU_DEP_3)
	v_sub_nc_u32_e32 v7, v36, v7
	v_sub_nc_u32_e32 v8, v35, v8
	s_delay_alu instid0(VALU_DEP_3) | instskip(SKIP_1) | instid1(VALU_DEP_2)
	v_subrev_nc_u32_e32 v9, s6, v4
	v_cmp_le_u32_e32 vcc_lo, s6, v4
	v_cndmask_b32_e32 v4, v4, v9, vcc_lo
	v_subrev_nc_u32_e32 v9, s6, v7
	v_cmp_le_u32_e32 vcc_lo, s6, v7
	s_delay_alu instid0(VALU_DEP_3) | instskip(NEXT) | instid1(VALU_DEP_3)
	v_subrev_nc_u32_e32 v10, s6, v4
	v_cndmask_b32_e32 v9, v7, v9, vcc_lo
	v_cmp_le_u32_e32 vcc_lo, s6, v4
	v_subrev_nc_u32_e32 v7, s6, v8
	s_delay_alu instid0(VALU_DEP_4) | instskip(SKIP_2) | instid1(VALU_DEP_4)
	v_cndmask_b32_e32 v33, v4, v10, vcc_lo
	v_cmp_le_u32_e32 vcc_lo, s6, v8
	v_subrev_nc_u32_e32 v4, s6, v9
	v_cndmask_b32_e32 v11, v8, v7, vcc_lo
	v_cmp_le_u32_e32 vcc_lo, s6, v9
	v_lshlrev_b64 v[7:8], 1, v[33:34]
	s_delay_alu instid0(VALU_DEP_4) | instskip(NEXT) | instid1(VALU_DEP_4)
	v_cndmask_b32_e32 v33, v9, v4, vcc_lo
	v_subrev_nc_u32_e32 v4, s6, v11
	v_cmp_le_u32_e32 vcc_lo, s6, v11
	s_delay_alu instid0(VALU_DEP_3) | instskip(NEXT) | instid1(VALU_DEP_3)
	v_lshlrev_b64 v[9:10], 1, v[33:34]
	v_cndmask_b32_e32 v33, v11, v4, vcc_lo
	v_add_co_u32 v7, vcc_lo, s8, v7
	v_add_co_ci_u32_e32 v8, vcc_lo, s9, v8, vcc_lo
	s_delay_alu instid0(VALU_DEP_3) | instskip(SKIP_2) | instid1(VALU_DEP_3)
	v_lshlrev_b64 v[11:12], 1, v[33:34]
	v_add_co_u32 v9, vcc_lo, s8, v9
	v_add_co_ci_u32_e32 v10, vcc_lo, s9, v10, vcc_lo
	v_add_co_u32 v11, vcc_lo, s8, v11
	s_delay_alu instid0(VALU_DEP_4)
	v_add_co_ci_u32_e32 v12, vcc_lo, s9, v12, vcc_lo
	s_clause 0x2
	global_load_u16 v8, v[7:8], off
	global_load_u16 v7, v[9:10], off
	;; [unrolled: 1-line block ×3, first 2 shown]
.LBB164_24:                             ;   in Loop: Header=BB164_14 Depth=1
	s_waitcnt vmcnt(2) lgkmcnt(2)
	v_dual_add_f32 v5, v5, v6 :: v_dual_lshlrev_b32 v6, 16, v8
	s_delay_alu instid0(VALU_DEP_1) | instskip(NEXT) | instid1(VALU_DEP_1)
	v_add_f32_e32 v6, v5, v6
	v_and_b32_e32 v5, 0x7f800000, v6
	s_delay_alu instid0(VALU_DEP_1) | instskip(SKIP_1) | instid1(SALU_CYCLE_1)
	v_cmp_ne_u32_e32 vcc_lo, 0x7f800000, v5
                                        ; implicit-def: $vgpr5
	s_and_saveexec_b32 s18, vcc_lo
	s_xor_b32 s18, exec_lo, s18
; %bb.25:                               ;   in Loop: Header=BB164_14 Depth=1
	v_bfe_u32 v5, v6, 16, 1
	s_delay_alu instid0(VALU_DEP_1)
	v_add3_u32 v5, v6, v5, 0x7fff
                                        ; implicit-def: $vgpr6
; %bb.26:                               ;   in Loop: Header=BB164_14 Depth=1
	s_and_not1_saveexec_b32 s18, s18
; %bb.27:                               ;   in Loop: Header=BB164_14 Depth=1
	v_and_b32_e32 v5, 0xffff, v6
	v_or_b32_e32 v8, 0x10000, v6
	s_delay_alu instid0(VALU_DEP_2) | instskip(NEXT) | instid1(VALU_DEP_2)
	v_cmp_eq_u32_e32 vcc_lo, 0, v5
	v_cndmask_b32_e32 v5, v8, v6, vcc_lo
; %bb.28:                               ;   in Loop: Header=BB164_14 Depth=1
	s_or_b32 exec_lo, exec_lo, s18
	s_waitcnt lgkmcnt(1)
	v_add_f32_e32 v2, v2, v3
	s_waitcnt vmcnt(1)
	v_lshlrev_b32_e32 v3, 16, v7
	s_delay_alu instid0(VALU_DEP_1) | instskip(NEXT) | instid1(VALU_DEP_1)
	v_add_f32_e32 v3, v2, v3
	v_dual_mov_b32 v33, v34 :: v_dual_and_b32 v2, 0x7f800000, v3
	s_delay_alu instid0(VALU_DEP_1) | instskip(NEXT) | instid1(VALU_DEP_1)
	v_lshlrev_b64 v[6:7], 1, v[32:33]
	v_add_co_u32 v6, vcc_lo, s10, v6
	s_delay_alu instid0(VALU_DEP_2) | instskip(NEXT) | instid1(VALU_DEP_4)
	v_add_co_ci_u32_e32 v7, vcc_lo, s11, v7, vcc_lo
	v_cmp_ne_u32_e32 vcc_lo, 0x7f800000, v2
                                        ; implicit-def: $vgpr2
	global_store_d16_hi_b16 v[6:7], v5, off
	s_and_saveexec_b32 s18, vcc_lo
	s_delay_alu instid0(SALU_CYCLE_1)
	s_xor_b32 s18, exec_lo, s18
; %bb.29:                               ;   in Loop: Header=BB164_14 Depth=1
	v_bfe_u32 v2, v3, 16, 1
	s_delay_alu instid0(VALU_DEP_1)
	v_add3_u32 v2, v3, v2, 0x7fff
                                        ; implicit-def: $vgpr3
; %bb.30:                               ;   in Loop: Header=BB164_14 Depth=1
	s_and_not1_saveexec_b32 s18, s18
; %bb.31:                               ;   in Loop: Header=BB164_14 Depth=1
	v_and_b32_e32 v2, 0xffff, v3
	v_or_b32_e32 v5, 0x10000, v3
	s_delay_alu instid0(VALU_DEP_2) | instskip(NEXT) | instid1(VALU_DEP_2)
	v_cmp_eq_u32_e32 vcc_lo, 0, v2
	v_cndmask_b32_e32 v2, v5, v3, vcc_lo
; %bb.32:                               ;   in Loop: Header=BB164_14 Depth=1
	s_or_b32 exec_lo, exec_lo, s18
	s_waitcnt vmcnt(0) lgkmcnt(0)
	v_dual_add_f32 v0, v0, v1 :: v_dual_lshlrev_b32 v1, 16, v4
	s_delay_alu instid0(VALU_DEP_1) | instskip(NEXT) | instid1(VALU_DEP_1)
	v_dual_mov_b32 v37, v34 :: v_dual_add_f32 v0, v0, v1
	v_lshlrev_b64 v[3:4], 1, v[36:37]
	s_delay_alu instid0(VALU_DEP_2) | instskip(NEXT) | instid1(VALU_DEP_2)
	v_and_b32_e32 v1, 0x7f800000, v0
	v_add_co_u32 v3, vcc_lo, s10, v3
	s_delay_alu instid0(VALU_DEP_3) | instskip(NEXT) | instid1(VALU_DEP_3)
	v_add_co_ci_u32_e32 v4, vcc_lo, s11, v4, vcc_lo
	v_cmp_ne_u32_e32 vcc_lo, 0x7f800000, v1
                                        ; implicit-def: $vgpr1
	global_store_d16_hi_b16 v[3:4], v2, off
	s_and_saveexec_b32 s18, vcc_lo
	s_delay_alu instid0(SALU_CYCLE_1)
	s_xor_b32 s18, exec_lo, s18
; %bb.33:                               ;   in Loop: Header=BB164_14 Depth=1
	v_bfe_u32 v1, v0, 16, 1
	s_delay_alu instid0(VALU_DEP_1)
	v_add3_u32 v1, v0, v1, 0x7fff
                                        ; implicit-def: $vgpr0
; %bb.34:                               ;   in Loop: Header=BB164_14 Depth=1
	s_and_not1_saveexec_b32 s18, s18
	s_cbranch_execz .LBB164_12
; %bb.35:                               ;   in Loop: Header=BB164_14 Depth=1
	v_and_b32_e32 v1, 0xffff, v0
	v_or_b32_e32 v2, 0x10000, v0
	s_delay_alu instid0(VALU_DEP_2) | instskip(NEXT) | instid1(VALU_DEP_2)
	v_cmp_eq_u32_e32 vcc_lo, 0, v1
	v_cndmask_b32_e32 v1, v2, v0, vcc_lo
	s_branch .LBB164_12
.LBB164_36:
	s_nop 0
	s_sendmsg sendmsg(MSG_DEALLOC_VGPRS)
	s_endpgm
	.section	.rodata,"a",@progbits
	.p2align	6, 0x0
	.amdhsa_kernel _Z16wvSplitK_hf_sml_I14__hip_bfloat16Li32ELi3ELi16ELi8ELi2ELi1EEviiiiiiPKT_S3_S3_PS1_ii
		.amdhsa_group_segment_fixed_size 65536
		.amdhsa_private_segment_fixed_size 0
		.amdhsa_kernarg_size 64
		.amdhsa_user_sgpr_count 15
		.amdhsa_user_sgpr_dispatch_ptr 0
		.amdhsa_user_sgpr_queue_ptr 0
		.amdhsa_user_sgpr_kernarg_segment_ptr 1
		.amdhsa_user_sgpr_dispatch_id 0
		.amdhsa_user_sgpr_private_segment_size 0
		.amdhsa_wavefront_size32 1
		.amdhsa_uses_dynamic_stack 0
		.amdhsa_enable_private_segment 0
		.amdhsa_system_sgpr_workgroup_id_x 1
		.amdhsa_system_sgpr_workgroup_id_y 0
		.amdhsa_system_sgpr_workgroup_id_z 0
		.amdhsa_system_sgpr_workgroup_info 0
		.amdhsa_system_vgpr_workitem_id 1
		.amdhsa_next_free_vgpr 55
		.amdhsa_next_free_sgpr 20
		.amdhsa_reserve_vcc 1
		.amdhsa_float_round_mode_32 0
		.amdhsa_float_round_mode_16_64 0
		.amdhsa_float_denorm_mode_32 3
		.amdhsa_float_denorm_mode_16_64 3
		.amdhsa_dx10_clamp 1
		.amdhsa_ieee_mode 1
		.amdhsa_fp16_overflow 0
		.amdhsa_workgroup_processor_mode 1
		.amdhsa_memory_ordered 1
		.amdhsa_forward_progress 0
		.amdhsa_shared_vgpr_count 0
		.amdhsa_exception_fp_ieee_invalid_op 0
		.amdhsa_exception_fp_denorm_src 0
		.amdhsa_exception_fp_ieee_div_zero 0
		.amdhsa_exception_fp_ieee_overflow 0
		.amdhsa_exception_fp_ieee_underflow 0
		.amdhsa_exception_fp_ieee_inexact 0
		.amdhsa_exception_int_div_zero 0
	.end_amdhsa_kernel
	.section	.text._Z16wvSplitK_hf_sml_I14__hip_bfloat16Li32ELi3ELi16ELi8ELi2ELi1EEviiiiiiPKT_S3_S3_PS1_ii,"axG",@progbits,_Z16wvSplitK_hf_sml_I14__hip_bfloat16Li32ELi3ELi16ELi8ELi2ELi1EEviiiiiiPKT_S3_S3_PS1_ii,comdat
.Lfunc_end164:
	.size	_Z16wvSplitK_hf_sml_I14__hip_bfloat16Li32ELi3ELi16ELi8ELi2ELi1EEviiiiiiPKT_S3_S3_PS1_ii, .Lfunc_end164-_Z16wvSplitK_hf_sml_I14__hip_bfloat16Li32ELi3ELi16ELi8ELi2ELi1EEviiiiiiPKT_S3_S3_PS1_ii
                                        ; -- End function
	.section	.AMDGPU.csdata,"",@progbits
; Kernel info:
; codeLenInByte = 3156
; NumSgprs: 22
; NumVgprs: 55
; ScratchSize: 0
; MemoryBound: 0
; FloatMode: 240
; IeeeMode: 1
; LDSByteSize: 65536 bytes/workgroup (compile time only)
; SGPRBlocks: 2
; VGPRBlocks: 6
; NumSGPRsForWavesPerEU: 22
; NumVGPRsForWavesPerEU: 55
; Occupancy: 8
; WaveLimiterHint : 0
; COMPUTE_PGM_RSRC2:SCRATCH_EN: 0
; COMPUTE_PGM_RSRC2:USER_SGPR: 15
; COMPUTE_PGM_RSRC2:TRAP_HANDLER: 0
; COMPUTE_PGM_RSRC2:TGID_X_EN: 1
; COMPUTE_PGM_RSRC2:TGID_Y_EN: 0
; COMPUTE_PGM_RSRC2:TGID_Z_EN: 0
; COMPUTE_PGM_RSRC2:TIDIG_COMP_CNT: 1
	.section	.text._Z12wvSplitK_hf_I14__hip_bfloat16Li32ELi3ELi16ELi8ELi2ELi1EEviiiiiiPKT_S3_S3_PS1_ii,"axG",@progbits,_Z12wvSplitK_hf_I14__hip_bfloat16Li32ELi3ELi16ELi8ELi2ELi1EEviiiiiiPKT_S3_S3_PS1_ii,comdat
	.protected	_Z12wvSplitK_hf_I14__hip_bfloat16Li32ELi3ELi16ELi8ELi2ELi1EEviiiiiiPKT_S3_S3_PS1_ii ; -- Begin function _Z12wvSplitK_hf_I14__hip_bfloat16Li32ELi3ELi16ELi8ELi2ELi1EEviiiiiiPKT_S3_S3_PS1_ii
	.globl	_Z12wvSplitK_hf_I14__hip_bfloat16Li32ELi3ELi16ELi8ELi2ELi1EEviiiiiiPKT_S3_S3_PS1_ii
	.p2align	8
	.type	_Z12wvSplitK_hf_I14__hip_bfloat16Li32ELi3ELi16ELi8ELi2ELi1EEviiiiiiPKT_S3_S3_PS1_ii,@function
_Z12wvSplitK_hf_I14__hip_bfloat16Li32ELi3ELi16ELi8ELi2ELi1EEviiiiiiPKT_S3_S3_PS1_ii: ; @_Z12wvSplitK_hf_I14__hip_bfloat16Li32ELi3ELi16ELi8ELi2ELi1EEviiiiiiPKT_S3_S3_PS1_ii
; %bb.0:
	s_clause 0x1
	s_load_b64 s[16:17], s[0:1], 0x38
	s_load_b128 s[4:7], s[0:1], 0x0
	v_bfe_u32 v1, v0, 10, 10
	s_clause 0x1
	s_load_b64 s[12:13], s[0:1], 0x20
	s_load_b32 s18, s[0:1], 0x10
	s_mov_b32 s8, 1
	s_delay_alu instid0(SALU_CYCLE_1) | instskip(SKIP_1) | instid1(SALU_CYCLE_1)
	s_mov_b32 s9, s8
	s_mov_b32 s10, s8
	v_mov_b32_e32 v34, s10
	v_dual_mov_b32 v32, s8 :: v_dual_mov_b32 v33, s9
	s_waitcnt lgkmcnt(0)
	v_mad_u64_u32 v[2:3], null, s15, s16, v[1:2]
	s_delay_alu instid0(VALU_DEP_1) | instskip(NEXT) | instid1(VALU_DEP_1)
	v_lshl_add_u32 v35, v2, 1, v2
	v_add_nc_u32_e32 v2, 3, v35
	v_cmp_gt_u32_e32 vcc_lo, s7, v35
	s_delay_alu instid0(VALU_DEP_2) | instskip(NEXT) | instid1(VALU_DEP_1)
	v_cmp_le_u32_e64 s2, s7, v2
	s_and_b32 s2, vcc_lo, s2
	s_delay_alu instid0(SALU_CYCLE_1)
	s_and_saveexec_b32 s11, s2
	s_cbranch_execz .LBB165_6
; %bb.1:
	v_dual_mov_b32 v34, s10 :: v_dual_mov_b32 v33, s9
	v_mov_b32_e32 v32, s8
	s_add_i32 s14, s7, -3
	s_mov_b32 s15, exec_lo
	v_cmpx_ne_u32_e64 s14, v35
	s_cbranch_execz .LBB165_5
; %bb.2:
	v_subrev_nc_u32_e32 v2, s14, v35
	s_mov_b32 s19, 0
	s_mov_b64 s[2:3], 0
	s_mov_b32 s9, s8
	s_mov_b32 s10, s8
	v_cmp_lt_u32_e32 vcc_lo, 1, v2
	v_cndmask_b32_e32 v2, 1, v2, vcc_lo
.LBB165_3:                              ; =>This Inner Loop Header: Depth=1
	s_cmp_lg_u32 s2, 2
	s_cselect_b32 s10, s10, 0
	s_cmp_lg_u32 s2, 1
	s_cselect_b32 s9, s9, 0
	s_cmp_lg_u32 s2, 0
	s_cselect_b32 s8, s8, 0
	s_add_u32 s2, s2, 1
	v_dual_mov_b32 v34, s10 :: v_dual_mov_b32 v33, s9
	v_cmp_eq_u32_e32 vcc_lo, s2, v2
	v_mov_b32_e32 v32, s8
	s_addc_u32 s3, s3, 0
	s_or_b32 s19, vcc_lo, s19
	s_delay_alu instid0(SALU_CYCLE_1)
	s_and_not1_b32 exec_lo, exec_lo, s19
	s_cbranch_execnz .LBB165_3
; %bb.4:
	s_or_b32 exec_lo, exec_lo, s19
	v_mov_b32_e32 v35, s14
.LBB165_5:
	s_or_b32 exec_lo, exec_lo, s15
.LBB165_6:
	s_delay_alu instid0(SALU_CYCLE_1) | instskip(SKIP_3) | instid1(VALU_DEP_1)
	s_or_b32 exec_lo, exec_lo, s11
	v_and_b32_e32 v0, 0x3ff, v0
	s_min_u32 s3, s6, 0x8000
	s_mov_b32 s2, exec_lo
	v_lshlrev_b32_e32 v49, 3, v0
	s_delay_alu instid0(VALU_DEP_1) | instskip(NEXT) | instid1(VALU_DEP_1)
	v_lshl_add_u32 v3, v1, 8, v49
	v_cmpx_gt_u32_e64 s3, v3
	s_cbranch_execz .LBB165_15
; %bb.7:
	v_lshlrev_b32_e32 v2, 1, v3
	v_add_nc_u32_e32 v8, 0x1000, v3
	s_mov_b32 s6, exec_lo
	global_load_b128 v[4:7], v2, s[12:13]
	s_waitcnt vmcnt(0)
	ds_store_b128 v2, v[4:7]
	v_cmpx_gt_u32_e64 s3, v8
	s_xor_b32 s6, exec_lo, s6
	s_cbranch_execz .LBB165_15
; %bb.8:
	v_add_co_u32 v4, s6, s12, v2
	s_delay_alu instid0(VALU_DEP_1) | instskip(SKIP_1) | instid1(VALU_DEP_3)
	v_add_co_ci_u32_e64 v5, null, s13, 0, s6
	v_add_nc_u32_e32 v10, 0x2000, v3
	v_add_co_u32 v6, vcc_lo, 0x2000, v4
	s_delay_alu instid0(VALU_DEP_3)
	v_add_co_ci_u32_e32 v7, vcc_lo, 0, v5, vcc_lo
	s_mov_b32 s6, exec_lo
	global_load_b128 v[6:9], v[6:7], off
	s_waitcnt vmcnt(0)
	ds_store_b128 v2, v[6:9] offset:8192
	v_cmpx_gt_u32_e64 s3, v10
	s_xor_b32 s6, exec_lo, s6
	s_cbranch_execz .LBB165_15
; %bb.9:
	v_add_co_u32 v6, vcc_lo, 0x4000, v4
	v_add_co_ci_u32_e32 v7, vcc_lo, 0, v5, vcc_lo
	v_add_nc_u32_e32 v10, 0x3000, v3
	s_mov_b32 s6, exec_lo
	global_load_b128 v[6:9], v[6:7], off
	s_waitcnt vmcnt(0)
	ds_store_b128 v2, v[6:9] offset:16384
	v_cmpx_gt_u32_e64 s3, v10
	s_xor_b32 s6, exec_lo, s6
	s_cbranch_execz .LBB165_15
; %bb.10:
	v_add_co_u32 v6, vcc_lo, 0x6000, v4
	v_add_co_ci_u32_e32 v7, vcc_lo, 0, v5, vcc_lo
	v_add_nc_u32_e32 v10, 0x4000, v3
	;; [unrolled: 11-line block ×5, first 2 shown]
	global_load_b128 v[6:9], v[6:7], off
	v_cmp_gt_u32_e32 vcc_lo, s3, v3
	s_waitcnt vmcnt(0)
	ds_store_b128 v2, v[6:9] offset:49152
	s_and_saveexec_b32 s3, vcc_lo
	s_delay_alu instid0(SALU_CYCLE_1)
	s_xor_b32 s3, exec_lo, s3
	s_cbranch_execz .LBB165_15
; %bb.14:
	v_add_co_u32 v3, vcc_lo, 0xe000, v4
	v_add_co_ci_u32_e32 v4, vcc_lo, 0, v5, vcc_lo
	global_load_b128 v[3:6], v[3:4], off
	s_waitcnt vmcnt(0)
	ds_store_b128 v2, v[3:6] offset:57344
.LBB165_15:
	s_or_b32 exec_lo, exec_lo, s2
	v_cmp_gt_u32_e32 vcc_lo, s16, v1
	v_cmp_gt_u32_e64 s2, s7, v35
	s_waitcnt lgkmcnt(0)
	s_barrier
	buffer_gl0_inv
	s_and_b32 s2, vcc_lo, s2
	s_delay_alu instid0(SALU_CYCLE_1)
	s_and_saveexec_b32 s3, s2
	s_cbranch_execz .LBB165_60
; %bb.16:
	v_cvt_f32_u32_e32 v1, s18
	s_clause 0x1
	s_load_b128 s[8:11], s[0:1], 0x28
	s_load_b64 s[14:15], s[0:1], 0x18
	v_mbcnt_lo_u32_b32 v2, -1, 0
	s_cmp_lg_u32 s4, 0
	v_rcp_iflag_f32_e32 v1, v1
	s_cselect_b32 s6, -1, 0
	s_add_i32 s19, s4, -8
	v_xor_b32_e32 v4, 16, v2
	s_add_i32 s20, s7, -1
	v_dual_mov_b32 v37, 0 :: v_dual_lshlrev_b32 v50, 4, v0
	s_mul_i32 s23, s16, s17
	s_delay_alu instid0(VALU_DEP_2)
	v_cmp_gt_i32_e32 vcc_lo, 32, v4
	s_mov_b32 s22, 0
	s_waitcnt_depctr 0xfff
	v_mul_f32_e32 v1, 0x4f7ffffe, v1
	s_mul_i32 s23, s23, 3
	v_cndmask_b32_e32 v2, v2, v4, vcc_lo
	s_delay_alu instid0(VALU_DEP_2)
	v_cvt_u32_f32_e32 v1, v1
	s_waitcnt lgkmcnt(0)
	s_cmp_lg_u64 s[8:9], 0
	s_cselect_b32 s21, -1, 0
	s_sub_i32 s0, 0, s18
	v_lshlrev_b32_e32 v51, 2, v2
	v_mul_lo_u32 v3, s0, v1
	v_cmp_eq_u32_e64 s0, 31, v0
	s_add_i32 s24, s7, -3
	s_delay_alu instid0(VALU_DEP_2) | instskip(NEXT) | instid1(VALU_DEP_1)
	v_mul_hi_u32 v3, v1, v3
	v_add_nc_u32_e32 v52, v1, v3
	s_branch .LBB165_19
.LBB165_17:                             ;   in Loop: Header=BB165_19 Depth=1
	s_or_b32 exec_lo, exec_lo, s26
	v_mov_b32_e32 v35, s24
.LBB165_18:                             ;   in Loop: Header=BB165_19 Depth=1
	s_or_b32 exec_lo, exec_lo, s25
	s_delay_alu instid0(VALU_DEP_1) | instskip(SKIP_1) | instid1(SALU_CYCLE_1)
	v_cmp_le_u32_e32 vcc_lo, s7, v35
	s_or_b32 s22, vcc_lo, s22
	s_and_not1_b32 exec_lo, exec_lo, s22
	s_cbranch_execz .LBB165_60
.LBB165_19:                             ; =>This Loop Header: Depth=1
                                        ;     Child Loop BB165_24 Depth 2
                                        ;     Child Loop BB165_58 Depth 2
	v_dual_mov_b32 v54, v37 :: v_dual_add_nc_u32 v39, 1, v35
	v_dual_mov_b32 v55, v37 :: v_dual_add_nc_u32 v38, 2, v35
	v_mov_b32_e32 v56, v37
	s_and_not1_b32 vcc_lo, exec_lo, s6
	s_cbranch_vccnz .LBB165_34
; %bb.20:                               ;   in Loop: Header=BB165_19 Depth=1
	v_min_u32_e32 v0, s20, v35
	s_waitcnt lgkmcnt(0)
	v_min_u32_e32 v1, s20, v39
	v_min_u32_e32 v2, s20, v38
	v_dual_mov_b32 v3, v37 :: v_dual_mov_b32 v54, 0
	v_mul_lo_u32 v36, v0, s5
	s_delay_alu instid0(VALU_DEP_4) | instskip(NEXT) | instid1(VALU_DEP_4)
	v_mul_lo_u32 v0, v1, s5
	v_mul_lo_u32 v2, v2, s5
	v_dual_mov_b32 v1, v37 :: v_dual_mov_b32 v56, 0
	v_mov_b32_e32 v53, v50
	v_mov_b32_e32 v55, 0
	s_mov_b32 s1, 0
	v_lshlrev_b64 v[40:41], 1, v[36:37]
	v_lshlrev_b64 v[42:43], 1, v[0:1]
	;; [unrolled: 1-line block ×3, first 2 shown]
	s_branch .LBB165_24
.LBB165_21:                             ;   in Loop: Header=BB165_24 Depth=2
	s_or_b32 exec_lo, exec_lo, s16
.LBB165_22:                             ;   in Loop: Header=BB165_24 Depth=2
	s_delay_alu instid0(SALU_CYCLE_1)
	s_or_b32 exec_lo, exec_lo, s3
.LBB165_23:                             ;   in Loop: Header=BB165_24 Depth=2
	s_delay_alu instid0(SALU_CYCLE_1)
	s_or_b32 exec_lo, exec_lo, s2
	s_waitcnt vmcnt(0) lgkmcnt(0)
	v_and_b32_e32 v36, 0xffff0000, v28
	v_lshlrev_b32_e32 v28, 16, v28
	v_and_b32_e32 v47, 0xffff0000, v29
	v_and_b32_e32 v48, 0xffff0000, v25
	v_lshlrev_b32_e32 v29, 16, v29
	v_lshlrev_b32_e32 v25, 16, v25
	s_addk_i32 s1, 0x200
	s_delay_alu instid0(VALU_DEP_3) | instskip(SKIP_2) | instid1(VALU_DEP_2)
	v_dual_mul_f32 v48, v47, v48 :: v_dual_add_nc_u32 v53, 0x400, v53
	v_and_b32_e32 v57, 0xffff0000, v30
	s_cmp_ge_u32 s1, s4
	v_dual_fmac_f32 v48, v29, v25 :: v_dual_and_b32 v25, 0xffff0000, v16
	v_and_b32_e32 v46, 0xffff0000, v24
	v_lshlrev_b32_e32 v16, 16, v16
	s_delay_alu instid0(VALU_DEP_3) | instskip(NEXT) | instid1(VALU_DEP_1)
	v_dual_mul_f32 v25, v36, v25 :: v_dual_lshlrev_b32 v24, 16, v24
	v_dual_fmac_f32 v25, v28, v16 :: v_dual_lshlrev_b32 v16, 16, v17
	s_delay_alu instid0(VALU_DEP_1) | instskip(NEXT) | instid1(VALU_DEP_1)
	v_dual_add_f32 v25, v55, v25 :: v_dual_mul_f32 v46, v36, v46
	v_fmac_f32_e32 v46, v28, v24
	v_and_b32_e32 v24, 0xffff0000, v26
	v_lshlrev_b32_e32 v30, 16, v30
	v_lshlrev_b32_e32 v26, 16, v26
	s_delay_alu instid0(VALU_DEP_4) | instskip(NEXT) | instid1(VALU_DEP_4)
	v_add_f32_e32 v46, v56, v46
	v_mul_f32_e32 v24, v57, v24
	v_and_b32_e32 v56, 0xffff0000, v27
	s_delay_alu instid0(VALU_DEP_2) | instskip(NEXT) | instid1(VALU_DEP_4)
	v_dual_fmac_f32 v24, v30, v26 :: v_dual_lshlrev_b32 v27, 16, v27
	v_add_f32_e32 v26, v46, v48
	v_and_b32_e32 v48, 0xffff0000, v17
	s_delay_alu instid0(VALU_DEP_1) | instskip(NEXT) | instid1(VALU_DEP_1)
	v_dual_mul_f32 v17, v47, v48 :: v_dual_and_b32 v48, 0xffff0000, v18
	v_dual_fmac_f32 v17, v29, v16 :: v_dual_lshlrev_b32 v16, 16, v18
	s_delay_alu instid0(VALU_DEP_2) | instskip(NEXT) | instid1(VALU_DEP_2)
	v_mul_f32_e32 v18, v57, v48
	v_add_f32_e32 v17, v25, v17
	v_dual_add_f32 v24, v26, v24 :: v_dual_and_b32 v25, 0xffff0000, v13
	v_and_b32_e32 v26, 0xffff0000, v12
	s_delay_alu instid0(VALU_DEP_4) | instskip(SKIP_1) | instid1(VALU_DEP_3)
	v_fmac_f32_e32 v18, v30, v16
	v_lshlrev_b32_e32 v12, 16, v12
	v_mul_f32_e32 v16, v36, v26
	v_and_b32_e32 v26, 0xffff0000, v8
	v_lshlrev_b32_e32 v8, 16, v8
	s_delay_alu instid0(VALU_DEP_3) | instskip(SKIP_2) | instid1(VALU_DEP_3)
	v_fmac_f32_e32 v16, v28, v12
	v_lshlrev_b32_e32 v12, 16, v13
	v_dual_mul_f32 v13, v47, v25 :: v_dual_and_b32 v46, 0xffff0000, v31
	v_dual_add_f32 v16, v54, v16 :: v_dual_lshlrev_b32 v31, 16, v31
	v_and_b32_e32 v25, 0xffff0000, v14
	s_delay_alu instid0(VALU_DEP_3) | instskip(NEXT) | instid1(VALU_DEP_2)
	v_dual_fmac_f32 v13, v29, v12 :: v_dual_lshlrev_b32 v12, 16, v14
	v_mul_f32_e32 v14, v57, v25
	s_delay_alu instid0(VALU_DEP_2) | instskip(SKIP_1) | instid1(VALU_DEP_3)
	v_dual_add_f32 v13, v16, v13 :: v_dual_mul_f32 v56, v46, v56
	v_and_b32_e32 v25, 0xffff0000, v20
	v_fmac_f32_e32 v14, v30, v12
	s_delay_alu instid0(VALU_DEP_3) | instskip(NEXT) | instid1(VALU_DEP_3)
	v_fmac_f32_e32 v56, v31, v27
	v_mul_f32_e32 v16, v25, v26
	v_and_b32_e32 v26, 0xffff0000, v21
	v_lshlrev_b32_e32 v12, 16, v20
	v_and_b32_e32 v20, 0xffff0000, v15
	v_lshlrev_b32_e32 v15, 16, v15
	v_dual_add_f32 v17, v17, v18 :: v_dual_and_b32 v18, 0xffff0000, v19
	v_lshlrev_b32_e32 v19, 16, v19
	s_delay_alu instid0(VALU_DEP_4) | instskip(SKIP_1) | instid1(VALU_DEP_4)
	v_dual_mul_f32 v20, v46, v20 :: v_dual_and_b32 v27, 0xffff0000, v9
	v_add_f32_e32 v24, v24, v56
	v_mul_f32_e32 v18, v46, v18
	v_dual_fmac_f32 v16, v12, v8 :: v_dual_lshlrev_b32 v9, 16, v9
	s_delay_alu instid0(VALU_DEP_4) | instskip(NEXT) | instid1(VALU_DEP_3)
	v_dual_fmac_f32 v20, v31, v15 :: v_dual_add_f32 v13, v13, v14
	v_fmac_f32_e32 v18, v31, v19
	v_and_b32_e32 v19, 0xffff0000, v11
	v_lshlrev_b32_e32 v11, 16, v11
	s_delay_alu instid0(VALU_DEP_4) | instskip(NEXT) | instid1(VALU_DEP_4)
	v_add_f32_e32 v13, v13, v20
	v_dual_add_f32 v15, v17, v18 :: v_dual_lshlrev_b32 v18, 16, v23
	v_dual_mul_f32 v21, v26, v27 :: v_dual_lshlrev_b32 v8, 16, v21
	v_and_b32_e32 v27, 0xffff0000, v22
	v_and_b32_e32 v28, 0xffff0000, v10
	v_lshlrev_b32_e32 v10, 16, v10
	v_add_f32_e32 v16, v24, v16
	v_fmac_f32_e32 v21, v8, v9
	s_delay_alu instid0(VALU_DEP_4) | instskip(SKIP_1) | instid1(VALU_DEP_3)
	v_dual_mul_f32 v22, v27, v28 :: v_dual_lshlrev_b32 v9, 16, v22
	v_and_b32_e32 v17, 0xffff0000, v5
	v_add_f32_e32 v14, v16, v21
	v_and_b32_e32 v16, 0xffff0000, v23
	s_delay_alu instid0(VALU_DEP_4) | instskip(SKIP_2) | instid1(VALU_DEP_3)
	v_fmac_f32_e32 v22, v9, v10
	v_and_b32_e32 v10, 0xffff0000, v4
	v_lshlrev_b32_e32 v4, 16, v4
	v_add_f32_e32 v14, v14, v22
	s_delay_alu instid0(VALU_DEP_3) | instskip(NEXT) | instid1(VALU_DEP_1)
	v_mul_f32_e32 v10, v25, v10
	v_fmac_f32_e32 v10, v12, v4
	v_lshlrev_b32_e32 v4, 16, v5
	v_mul_f32_e32 v5, v26, v17
	v_mul_f32_e32 v17, v16, v19
	s_delay_alu instid0(VALU_DEP_4) | instskip(NEXT) | instid1(VALU_DEP_2)
	v_dual_add_f32 v10, v15, v10 :: v_dual_and_b32 v19, 0xffff0000, v0
	v_dual_fmac_f32 v17, v18, v11 :: v_dual_lshlrev_b32 v0, 16, v0
	s_delay_alu instid0(VALU_DEP_4) | instskip(NEXT) | instid1(VALU_DEP_3)
	v_dual_fmac_f32 v5, v8, v4 :: v_dual_and_b32 v4, 0xffff0000, v6
	v_dual_mul_f32 v15, v25, v19 :: v_dual_lshlrev_b32 v6, 16, v6
	v_and_b32_e32 v19, 0xffff0000, v1
	s_delay_alu instid0(VALU_DEP_3) | instskip(NEXT) | instid1(VALU_DEP_3)
	v_dual_add_f32 v5, v10, v5 :: v_dual_mul_f32 v4, v27, v4
	v_dual_fmac_f32 v15, v12, v0 :: v_dual_lshlrev_b32 v0, 16, v1
	s_delay_alu instid0(VALU_DEP_3) | instskip(SKIP_1) | instid1(VALU_DEP_4)
	v_mul_f32_e32 v1, v26, v19
	v_and_b32_e32 v10, 0xffff0000, v7
	v_fmac_f32_e32 v4, v9, v6
	v_and_b32_e32 v6, 0xffff0000, v2
	s_delay_alu instid0(VALU_DEP_4) | instskip(SKIP_2) | instid1(VALU_DEP_4)
	v_dual_add_f32 v12, v13, v15 :: v_dual_fmac_f32 v1, v8, v0
	v_lshlrev_b32_e32 v0, 16, v2
	v_mul_f32_e32 v8, v16, v10
	v_mul_f32_e32 v2, v27, v6
	v_lshlrev_b32_e32 v6, 16, v7
	v_and_b32_e32 v7, 0xffff0000, v3
	v_dual_add_f32 v1, v12, v1 :: v_dual_add_f32 v4, v5, v4
	s_delay_alu instid0(VALU_DEP_4) | instskip(SKIP_1) | instid1(VALU_DEP_4)
	v_fmac_f32_e32 v2, v9, v0
	v_lshlrev_b32_e32 v0, 16, v3
	v_dual_mul_f32 v3, v16, v7 :: v_dual_fmac_f32 v8, v18, v6
	s_delay_alu instid0(VALU_DEP_3) | instskip(NEXT) | instid1(VALU_DEP_2)
	v_dual_add_f32 v56, v14, v17 :: v_dual_add_f32 v1, v1, v2
	v_fmac_f32_e32 v3, v18, v0
	s_delay_alu instid0(VALU_DEP_1)
	v_dual_add_f32 v55, v4, v8 :: v_dual_add_f32 v54, v1, v3
	s_cbranch_scc1 .LBB165_34
.LBB165_24:                             ;   Parent Loop BB165_19 Depth=1
                                        ; =>  This Inner Loop Header: Depth=2
	v_add_nc_u32_e32 v47, s1, v49
	v_dual_mov_b32 v31, 0 :: v_dual_mov_b32 v30, 0
	v_dual_mov_b32 v29, 0 :: v_dual_mov_b32 v28, 0
	s_delay_alu instid0(VALU_DEP_3) | instskip(SKIP_2) | instid1(VALU_DEP_2)
	v_min_u32_e32 v36, s19, v47
	v_add_nc_u32_e32 v46, 0x100, v47
	s_mov_b32 s2, exec_lo
	v_lshlrev_b64 v[0:1], 1, v[36:37]
	s_delay_alu instid0(VALU_DEP_2) | instskip(NEXT) | instid1(VALU_DEP_2)
	v_min_u32_e32 v36, s19, v46
	v_add_co_u32 v6, vcc_lo, s14, v0
	s_waitcnt vmcnt(1)
	s_delay_alu instid0(VALU_DEP_3) | instskip(NEXT) | instid1(VALU_DEP_3)
	v_add_co_ci_u32_e32 v7, vcc_lo, s15, v1, vcc_lo
	v_lshlrev_b64 v[0:1], 1, v[36:37]
	s_delay_alu instid0(VALU_DEP_3) | instskip(NEXT) | instid1(VALU_DEP_3)
	v_add_co_u32 v2, vcc_lo, v6, v40
	v_add_co_ci_u32_e32 v3, vcc_lo, v7, v41, vcc_lo
	s_waitcnt vmcnt(0)
	v_add_co_u32 v4, vcc_lo, v6, v42
	v_add_co_ci_u32_e32 v5, vcc_lo, v7, v43, vcc_lo
	v_add_co_u32 v8, vcc_lo, s14, v0
	v_add_co_ci_u32_e32 v9, vcc_lo, s15, v1, vcc_lo
	;; [unrolled: 2-line block ×3, first 2 shown]
	s_delay_alu instid0(VALU_DEP_4) | instskip(NEXT) | instid1(VALU_DEP_4)
	v_add_co_u32 v6, vcc_lo, v8, v40
	v_add_co_ci_u32_e32 v7, vcc_lo, v9, v41, vcc_lo
	v_add_co_u32 v20, vcc_lo, v8, v42
	v_add_co_ci_u32_e32 v21, vcc_lo, v9, v43, vcc_lo
	;; [unrolled: 2-line block ×3, first 2 shown]
	s_clause 0x5
	global_load_b128 v[24:27], v[2:3], off slc dlc
	global_load_b128 v[16:19], v[4:5], off slc dlc
	;; [unrolled: 1-line block ×6, first 2 shown]
	v_dual_mov_b32 v23, 0 :: v_dual_mov_b32 v22, 0
	v_dual_mov_b32 v21, 0 :: v_dual_mov_b32 v20, 0
	v_cmpx_gt_u32_e64 s4, v47
	s_cbranch_execz .LBB165_23
; %bb.25:                               ;   in Loop: Header=BB165_24 Depth=2
	s_mov_b32 s3, exec_lo
                                        ; implicit-def: $vgpr31
	v_cmpx_lt_u32_e32 0x7fff, v47
	s_xor_b32 s3, exec_lo, s3
	s_cbranch_execz .LBB165_27
; %bb.26:                               ;   in Loop: Header=BB165_24 Depth=2
	v_mov_b32_e32 v48, v37
	s_delay_alu instid0(VALU_DEP_1) | instskip(NEXT) | instid1(VALU_DEP_1)
	v_lshlrev_b64 v[20:21], 1, v[47:48]
	v_add_co_u32 v20, vcc_lo, s12, v20
	s_delay_alu instid0(VALU_DEP_2)
	v_add_co_ci_u32_e32 v21, vcc_lo, s13, v21, vcc_lo
	global_load_b128 v[28:31], v[20:21], off
.LBB165_27:                             ;   in Loop: Header=BB165_24 Depth=2
	s_and_not1_saveexec_b32 s3, s3
	s_cbranch_execz .LBB165_29
; %bb.28:                               ;   in Loop: Header=BB165_24 Depth=2
	s_waitcnt vmcnt(0)
	ds_load_b128 v[28:31], v53
.LBB165_29:                             ;   in Loop: Header=BB165_24 Depth=2
	s_or_b32 exec_lo, exec_lo, s3
	v_dual_mov_b32 v23, 0 :: v_dual_mov_b32 v22, 0
	v_dual_mov_b32 v21, 0 :: v_dual_mov_b32 v20, 0
	s_mov_b32 s3, exec_lo
	v_cmpx_gt_u32_e64 s4, v46
	s_cbranch_execz .LBB165_22
; %bb.30:                               ;   in Loop: Header=BB165_24 Depth=2
	s_mov_b32 s16, exec_lo
                                        ; implicit-def: $vgpr23
	v_cmpx_lt_u32_e32 0x7fff, v46
	s_xor_b32 s16, exec_lo, s16
	s_cbranch_execz .LBB165_32
; %bb.31:                               ;   in Loop: Header=BB165_24 Depth=2
	v_mov_b32_e32 v47, v37
	s_delay_alu instid0(VALU_DEP_1) | instskip(NEXT) | instid1(VALU_DEP_1)
	v_lshlrev_b64 v[20:21], 1, v[46:47]
	v_add_co_u32 v20, vcc_lo, s12, v20
	s_delay_alu instid0(VALU_DEP_2)
	v_add_co_ci_u32_e32 v21, vcc_lo, s13, v21, vcc_lo
	global_load_b128 v[20:23], v[20:21], off
.LBB165_32:                             ;   in Loop: Header=BB165_24 Depth=2
	s_and_not1_saveexec_b32 s16, s16
	s_cbranch_execz .LBB165_21
; %bb.33:                               ;   in Loop: Header=BB165_24 Depth=2
	s_waitcnt vmcnt(0)
	ds_load_b128 v[20:23], v53 offset:512
	s_branch .LBB165_21
.LBB165_34:                             ;   in Loop: Header=BB165_19 Depth=1
	s_delay_alu instid0(VALU_DEP_1) | instskip(SKIP_1) | instid1(VALU_DEP_2)
	v_cvt_i32_f32_e32 v0, v56
	s_waitcnt lgkmcnt(0)
	v_cvt_i32_f32_e32 v1, v55
	v_cvt_i32_f32_e32 v2, v54
	s_delay_alu instid0(VALU_DEP_3) | instskip(NEXT) | instid1(VALU_DEP_3)
	v_cvt_f32_i32_dpp v0, v0 row_shr:8 row_mask:0xf bank_mask:0xf bound_ctrl:1
	v_cvt_f32_i32_dpp v1, v1 row_shr:8 row_mask:0xf bank_mask:0xf bound_ctrl:1
	s_delay_alu instid0(VALU_DEP_3) | instskip(NEXT) | instid1(VALU_DEP_2)
	v_cvt_f32_i32_dpp v2, v2 row_shr:8 row_mask:0xf bank_mask:0xf bound_ctrl:1
	v_dual_add_f32 v0, v56, v0 :: v_dual_add_f32 v1, v55, v1
	s_delay_alu instid0(VALU_DEP_1) | instskip(SKIP_1) | instid1(VALU_DEP_2)
	v_cvt_i32_f32_e32 v3, v0
	s_waitcnt vmcnt(0)
	v_cvt_i32_f32_e32 v4, v1
	s_delay_alu instid0(VALU_DEP_2) | instskip(NEXT) | instid1(VALU_DEP_2)
	v_cvt_f32_i32_dpp v3, v3 row_shr:4 row_mask:0xf bank_mask:0xf bound_ctrl:1
	v_cvt_f32_i32_dpp v4, v4 row_shr:4 row_mask:0xf bank_mask:0xf bound_ctrl:1
	s_delay_alu instid0(VALU_DEP_1) | instskip(NEXT) | instid1(VALU_DEP_1)
	v_dual_add_f32 v2, v54, v2 :: v_dual_add_f32 v1, v1, v4
	v_cvt_i32_f32_e32 v5, v2
	s_delay_alu instid0(VALU_DEP_2) | instskip(NEXT) | instid1(VALU_DEP_2)
	v_cvt_i32_f32_e32 v4, v1
	v_cvt_f32_i32_dpp v5, v5 row_shr:4 row_mask:0xf bank_mask:0xf bound_ctrl:1
	s_delay_alu instid0(VALU_DEP_2) | instskip(SKIP_1) | instid1(VALU_DEP_2)
	v_cvt_f32_i32_dpp v4, v4 row_shr:2 row_mask:0xf bank_mask:0xf bound_ctrl:1
	v_add_f32_e32 v0, v0, v3
	v_dual_add_f32 v2, v2, v5 :: v_dual_add_f32 v1, v1, v4
	s_delay_alu instid0(VALU_DEP_2) | instskip(NEXT) | instid1(VALU_DEP_2)
	v_cvt_i32_f32_e32 v3, v0
	v_cvt_i32_f32_e32 v5, v2
	s_delay_alu instid0(VALU_DEP_3) | instskip(NEXT) | instid1(VALU_DEP_3)
	v_cvt_i32_f32_e32 v4, v1
	v_cvt_f32_i32_dpp v3, v3 row_shr:2 row_mask:0xf bank_mask:0xf bound_ctrl:1
	s_delay_alu instid0(VALU_DEP_3) | instskip(NEXT) | instid1(VALU_DEP_3)
	v_cvt_f32_i32_dpp v5, v5 row_shr:2 row_mask:0xf bank_mask:0xf bound_ctrl:1
	v_cvt_f32_i32_dpp v4, v4 row_shr:1 row_mask:0xf bank_mask:0xf bound_ctrl:1
	s_delay_alu instid0(VALU_DEP_2) | instskip(NEXT) | instid1(VALU_DEP_1)
	v_dual_add_f32 v0, v0, v3 :: v_dual_add_f32 v3, v2, v5
	v_cvt_i32_f32_e32 v2, v0
	s_delay_alu instid0(VALU_DEP_2) | instskip(NEXT) | instid1(VALU_DEP_2)
	v_cvt_i32_f32_e32 v5, v3
	v_cvt_f32_i32_dpp v2, v2 row_shr:1 row_mask:0xf bank_mask:0xf bound_ctrl:1
	s_delay_alu instid0(VALU_DEP_2) | instskip(NEXT) | instid1(VALU_DEP_2)
	v_cvt_f32_i32_dpp v6, v5 row_shr:1 row_mask:0xf bank_mask:0xf bound_ctrl:1
	v_dual_add_f32 v5, v0, v2 :: v_dual_add_f32 v2, v1, v4
	s_delay_alu instid0(VALU_DEP_2)
	v_add_f32_e32 v0, v3, v6
	ds_bpermute_b32 v6, v51, v5
	ds_bpermute_b32 v3, v51, v2
	;; [unrolled: 1-line block ×3, first 2 shown]
	s_and_saveexec_b32 s1, s0
	s_cbranch_execz .LBB165_55
; %bb.35:                               ;   in Loop: Header=BB165_19 Depth=1
	v_dual_mov_b32 v8, 0 :: v_dual_mov_b32 v7, 0
	v_mov_b32_e32 v4, 0
	s_and_not1_b32 vcc_lo, exec_lo, s21
	s_cbranch_vccnz .LBB165_37
; %bb.36:                               ;   in Loop: Header=BB165_19 Depth=1
	v_mul_hi_u32 v4, v35, v52
	v_mul_hi_u32 v7, v39, v52
	;; [unrolled: 1-line block ×3, first 2 shown]
	s_delay_alu instid0(VALU_DEP_3) | instskip(NEXT) | instid1(VALU_DEP_3)
	v_mul_lo_u32 v4, v4, s18
	v_mul_lo_u32 v7, v7, s18
	s_delay_alu instid0(VALU_DEP_3) | instskip(NEXT) | instid1(VALU_DEP_3)
	v_mul_lo_u32 v8, v8, s18
	v_sub_nc_u32_e32 v4, v35, v4
	s_delay_alu instid0(VALU_DEP_3) | instskip(NEXT) | instid1(VALU_DEP_3)
	v_sub_nc_u32_e32 v7, v39, v7
	v_sub_nc_u32_e32 v8, v38, v8
	s_delay_alu instid0(VALU_DEP_3) | instskip(SKIP_1) | instid1(VALU_DEP_2)
	v_subrev_nc_u32_e32 v9, s18, v4
	v_cmp_le_u32_e32 vcc_lo, s18, v4
	v_cndmask_b32_e32 v4, v4, v9, vcc_lo
	v_subrev_nc_u32_e32 v9, s18, v7
	v_cmp_le_u32_e32 vcc_lo, s18, v7
	s_delay_alu instid0(VALU_DEP_3) | instskip(NEXT) | instid1(VALU_DEP_3)
	v_subrev_nc_u32_e32 v10, s18, v4
	v_cndmask_b32_e32 v9, v7, v9, vcc_lo
	v_cmp_le_u32_e32 vcc_lo, s18, v4
	v_subrev_nc_u32_e32 v7, s18, v8
	s_delay_alu instid0(VALU_DEP_4) | instskip(SKIP_2) | instid1(VALU_DEP_4)
	v_cndmask_b32_e32 v36, v4, v10, vcc_lo
	v_cmp_le_u32_e32 vcc_lo, s18, v8
	v_subrev_nc_u32_e32 v4, s18, v9
	v_cndmask_b32_e32 v11, v8, v7, vcc_lo
	v_cmp_le_u32_e32 vcc_lo, s18, v9
	v_lshlrev_b64 v[7:8], 1, v[36:37]
	s_delay_alu instid0(VALU_DEP_4) | instskip(NEXT) | instid1(VALU_DEP_4)
	v_cndmask_b32_e32 v36, v9, v4, vcc_lo
	v_subrev_nc_u32_e32 v4, s18, v11
	v_cmp_le_u32_e32 vcc_lo, s18, v11
	s_delay_alu instid0(VALU_DEP_3) | instskip(NEXT) | instid1(VALU_DEP_3)
	v_lshlrev_b64 v[9:10], 1, v[36:37]
	v_cndmask_b32_e32 v36, v11, v4, vcc_lo
	v_add_co_u32 v7, vcc_lo, s8, v7
	v_add_co_ci_u32_e32 v8, vcc_lo, s9, v8, vcc_lo
	s_delay_alu instid0(VALU_DEP_3) | instskip(SKIP_2) | instid1(VALU_DEP_3)
	v_lshlrev_b64 v[11:12], 1, v[36:37]
	v_add_co_u32 v9, vcc_lo, s8, v9
	v_add_co_ci_u32_e32 v10, vcc_lo, s9, v10, vcc_lo
	v_add_co_u32 v11, vcc_lo, s8, v11
	s_delay_alu instid0(VALU_DEP_4)
	v_add_co_ci_u32_e32 v12, vcc_lo, s9, v12, vcc_lo
	s_clause 0x2
	global_load_u16 v8, v[7:8], off
	global_load_u16 v7, v[9:10], off
	;; [unrolled: 1-line block ×3, first 2 shown]
.LBB165_37:                             ;   in Loop: Header=BB165_19 Depth=1
	s_mov_b32 s2, exec_lo
	v_cmpx_ne_u32_e32 0, v32
	s_cbranch_execz .LBB165_43
; %bb.38:                               ;   in Loop: Header=BB165_19 Depth=1
	s_waitcnt vmcnt(2) lgkmcnt(2)
	v_dual_add_f32 v5, v5, v6 :: v_dual_lshlrev_b32 v6, 16, v8
	s_delay_alu instid0(VALU_DEP_1) | instskip(NEXT) | instid1(VALU_DEP_1)
	v_add_f32_e32 v6, v5, v6
	v_and_b32_e32 v5, 0x7f800000, v6
	s_delay_alu instid0(VALU_DEP_1) | instskip(SKIP_1) | instid1(SALU_CYCLE_1)
	v_cmp_ne_u32_e32 vcc_lo, 0x7f800000, v5
                                        ; implicit-def: $vgpr5
	s_and_saveexec_b32 s3, vcc_lo
	s_xor_b32 s3, exec_lo, s3
; %bb.39:                               ;   in Loop: Header=BB165_19 Depth=1
	v_bfe_u32 v5, v6, 16, 1
	s_delay_alu instid0(VALU_DEP_1)
	v_add3_u32 v5, v6, v5, 0x7fff
                                        ; implicit-def: $vgpr6
; %bb.40:                               ;   in Loop: Header=BB165_19 Depth=1
	s_and_not1_saveexec_b32 s3, s3
; %bb.41:                               ;   in Loop: Header=BB165_19 Depth=1
	v_and_b32_e32 v5, 0xffff, v6
	v_or_b32_e32 v8, 0x10000, v6
	s_delay_alu instid0(VALU_DEP_2) | instskip(NEXT) | instid1(VALU_DEP_2)
	v_cmp_eq_u32_e32 vcc_lo, 0, v5
	v_cndmask_b32_e32 v5, v8, v6, vcc_lo
; %bb.42:                               ;   in Loop: Header=BB165_19 Depth=1
	s_or_b32 exec_lo, exec_lo, s3
	v_mov_b32_e32 v36, v37
	s_delay_alu instid0(VALU_DEP_1) | instskip(NEXT) | instid1(VALU_DEP_1)
	v_lshlrev_b64 v[8:9], 1, v[35:36]
	v_add_co_u32 v8, vcc_lo, s10, v8
	s_delay_alu instid0(VALU_DEP_2)
	v_add_co_ci_u32_e32 v9, vcc_lo, s11, v9, vcc_lo
	global_store_d16_hi_b16 v[8:9], v5, off
.LBB165_43:                             ;   in Loop: Header=BB165_19 Depth=1
	s_or_b32 exec_lo, exec_lo, s2
	s_delay_alu instid0(SALU_CYCLE_1)
	s_mov_b32 s2, exec_lo
	v_cmpx_ne_u32_e32 0, v33
	s_cbranch_execz .LBB165_49
; %bb.44:                               ;   in Loop: Header=BB165_19 Depth=1
	s_waitcnt lgkmcnt(1)
	v_add_f32_e32 v2, v2, v3
	s_waitcnt vmcnt(1)
	v_lshlrev_b32_e32 v3, 16, v7
	s_delay_alu instid0(VALU_DEP_1) | instskip(NEXT) | instid1(VALU_DEP_1)
	v_add_f32_e32 v3, v2, v3
	v_and_b32_e32 v2, 0x7f800000, v3
	s_delay_alu instid0(VALU_DEP_1) | instskip(SKIP_1) | instid1(SALU_CYCLE_1)
	v_cmp_ne_u32_e32 vcc_lo, 0x7f800000, v2
                                        ; implicit-def: $vgpr2
	s_and_saveexec_b32 s3, vcc_lo
	s_xor_b32 s3, exec_lo, s3
; %bb.45:                               ;   in Loop: Header=BB165_19 Depth=1
	v_bfe_u32 v2, v3, 16, 1
	s_delay_alu instid0(VALU_DEP_1)
	v_add3_u32 v2, v3, v2, 0x7fff
                                        ; implicit-def: $vgpr3
; %bb.46:                               ;   in Loop: Header=BB165_19 Depth=1
	s_and_not1_saveexec_b32 s3, s3
; %bb.47:                               ;   in Loop: Header=BB165_19 Depth=1
	v_and_b32_e32 v2, 0xffff, v3
	v_or_b32_e32 v5, 0x10000, v3
	s_delay_alu instid0(VALU_DEP_2) | instskip(NEXT) | instid1(VALU_DEP_2)
	v_cmp_eq_u32_e32 vcc_lo, 0, v2
	v_cndmask_b32_e32 v2, v5, v3, vcc_lo
; %bb.48:                               ;   in Loop: Header=BB165_19 Depth=1
	s_or_b32 exec_lo, exec_lo, s3
	v_mov_b32_e32 v40, v37
	s_delay_alu instid0(VALU_DEP_1) | instskip(NEXT) | instid1(VALU_DEP_1)
	v_lshlrev_b64 v[5:6], 1, v[39:40]
	v_add_co_u32 v5, vcc_lo, s10, v5
	s_delay_alu instid0(VALU_DEP_2)
	v_add_co_ci_u32_e32 v6, vcc_lo, s11, v6, vcc_lo
	global_store_d16_hi_b16 v[5:6], v2, off
.LBB165_49:                             ;   in Loop: Header=BB165_19 Depth=1
	s_or_b32 exec_lo, exec_lo, s2
	v_cmp_ne_u32_e32 vcc_lo, 0, v34
	s_and_b32 exec_lo, exec_lo, vcc_lo
	s_cbranch_execz .LBB165_55
; %bb.50:                               ;   in Loop: Header=BB165_19 Depth=1
	s_waitcnt vmcnt(0) lgkmcnt(0)
	v_dual_add_f32 v0, v0, v1 :: v_dual_lshlrev_b32 v1, 16, v4
	s_delay_alu instid0(VALU_DEP_1) | instskip(NEXT) | instid1(VALU_DEP_1)
	v_add_f32_e32 v1, v0, v1
	v_and_b32_e32 v0, 0x7f800000, v1
	s_delay_alu instid0(VALU_DEP_1) | instskip(SKIP_1) | instid1(SALU_CYCLE_1)
	v_cmp_ne_u32_e32 vcc_lo, 0x7f800000, v0
                                        ; implicit-def: $vgpr0
	s_and_saveexec_b32 s2, vcc_lo
	s_xor_b32 s2, exec_lo, s2
; %bb.51:                               ;   in Loop: Header=BB165_19 Depth=1
	v_bfe_u32 v0, v1, 16, 1
	s_delay_alu instid0(VALU_DEP_1)
	v_add3_u32 v0, v1, v0, 0x7fff
                                        ; implicit-def: $vgpr1
; %bb.52:                               ;   in Loop: Header=BB165_19 Depth=1
	s_and_not1_saveexec_b32 s2, s2
; %bb.53:                               ;   in Loop: Header=BB165_19 Depth=1
	v_and_b32_e32 v0, 0xffff, v1
	v_or_b32_e32 v2, 0x10000, v1
	s_delay_alu instid0(VALU_DEP_2) | instskip(NEXT) | instid1(VALU_DEP_2)
	v_cmp_eq_u32_e32 vcc_lo, 0, v0
	v_cndmask_b32_e32 v0, v2, v1, vcc_lo
; %bb.54:                               ;   in Loop: Header=BB165_19 Depth=1
	s_or_b32 exec_lo, exec_lo, s2
	v_mov_b32_e32 v39, v37
	s_delay_alu instid0(VALU_DEP_1) | instskip(NEXT) | instid1(VALU_DEP_1)
	v_lshlrev_b64 v[1:2], 1, v[38:39]
	v_add_co_u32 v1, vcc_lo, s10, v1
	s_delay_alu instid0(VALU_DEP_2)
	v_add_co_ci_u32_e32 v2, vcc_lo, s11, v2, vcc_lo
	global_store_d16_hi_b16 v[1:2], v0, off
.LBB165_55:                             ;   in Loop: Header=BB165_19 Depth=1
	s_or_b32 exec_lo, exec_lo, s1
	v_add_nc_u32_e32 v35, s23, v35
	s_delay_alu instid0(VALU_DEP_1) | instskip(SKIP_1) | instid1(VALU_DEP_2)
	v_add_nc_u32_e32 v0, 3, v35
	v_cmp_gt_u32_e32 vcc_lo, s7, v35
	v_cmp_le_u32_e64 s1, s7, v0
	s_delay_alu instid0(VALU_DEP_1) | instskip(NEXT) | instid1(SALU_CYCLE_1)
	s_and_b32 s1, vcc_lo, s1
	s_and_saveexec_b32 s25, s1
	s_cbranch_execz .LBB165_18
; %bb.56:                               ;   in Loop: Header=BB165_19 Depth=1
	s_mov_b32 s26, exec_lo
	v_cmpx_ne_u32_e64 s24, v35
	s_cbranch_execz .LBB165_17
; %bb.57:                               ;   in Loop: Header=BB165_19 Depth=1
	v_subrev_nc_u32_e32 v0, s24, v35
	s_mov_b32 s27, 0
	s_mov_b64 s[16:17], 0
	s_delay_alu instid0(VALU_DEP_1)
	v_cmp_lt_u32_e32 vcc_lo, 1, v0
	v_cndmask_b32_e32 v0, 1, v0, vcc_lo
	.p2align	6
.LBB165_58:                             ;   Parent Loop BB165_19 Depth=1
                                        ; =>  This Inner Loop Header: Depth=2
	s_cmp_lg_u32 s16, 2
	s_cselect_b32 vcc_lo, -1, 0
	s_cmp_lg_u32 s16, 1
	v_cndmask_b32_e32 v34, 0, v34, vcc_lo
	s_cselect_b32 s1, -1, 0
	s_cmp_lg_u32 s16, 0
	v_cndmask_b32_e64 v33, 0, v33, s1
	s_cselect_b32 s2, -1, 0
	s_add_u32 s16, s16, 1
	v_cndmask_b32_e64 v32, 0, v32, s2
	v_cmp_eq_u32_e64 s3, s16, v0
	s_addc_u32 s17, s17, 0
	s_delay_alu instid0(VALU_DEP_1) | instskip(NEXT) | instid1(SALU_CYCLE_1)
	s_or_b32 s27, s3, s27
	s_and_not1_b32 exec_lo, exec_lo, s27
	s_cbranch_execnz .LBB165_58
; %bb.59:                               ;   in Loop: Header=BB165_19 Depth=1
	s_or_b32 exec_lo, exec_lo, s27
	s_branch .LBB165_17
.LBB165_60:
	s_nop 0
	s_sendmsg sendmsg(MSG_DEALLOC_VGPRS)
	s_endpgm
	.section	.rodata,"a",@progbits
	.p2align	6, 0x0
	.amdhsa_kernel _Z12wvSplitK_hf_I14__hip_bfloat16Li32ELi3ELi16ELi8ELi2ELi1EEviiiiiiPKT_S3_S3_PS1_ii
		.amdhsa_group_segment_fixed_size 65536
		.amdhsa_private_segment_fixed_size 0
		.amdhsa_kernarg_size 64
		.amdhsa_user_sgpr_count 15
		.amdhsa_user_sgpr_dispatch_ptr 0
		.amdhsa_user_sgpr_queue_ptr 0
		.amdhsa_user_sgpr_kernarg_segment_ptr 1
		.amdhsa_user_sgpr_dispatch_id 0
		.amdhsa_user_sgpr_private_segment_size 0
		.amdhsa_wavefront_size32 1
		.amdhsa_uses_dynamic_stack 0
		.amdhsa_enable_private_segment 0
		.amdhsa_system_sgpr_workgroup_id_x 1
		.amdhsa_system_sgpr_workgroup_id_y 0
		.amdhsa_system_sgpr_workgroup_id_z 0
		.amdhsa_system_sgpr_workgroup_info 0
		.amdhsa_system_vgpr_workitem_id 1
		.amdhsa_next_free_vgpr 58
		.amdhsa_next_free_sgpr 28
		.amdhsa_reserve_vcc 1
		.amdhsa_float_round_mode_32 0
		.amdhsa_float_round_mode_16_64 0
		.amdhsa_float_denorm_mode_32 3
		.amdhsa_float_denorm_mode_16_64 3
		.amdhsa_dx10_clamp 1
		.amdhsa_ieee_mode 1
		.amdhsa_fp16_overflow 0
		.amdhsa_workgroup_processor_mode 1
		.amdhsa_memory_ordered 1
		.amdhsa_forward_progress 0
		.amdhsa_shared_vgpr_count 0
		.amdhsa_exception_fp_ieee_invalid_op 0
		.amdhsa_exception_fp_denorm_src 0
		.amdhsa_exception_fp_ieee_div_zero 0
		.amdhsa_exception_fp_ieee_overflow 0
		.amdhsa_exception_fp_ieee_underflow 0
		.amdhsa_exception_fp_ieee_inexact 0
		.amdhsa_exception_int_div_zero 0
	.end_amdhsa_kernel
	.section	.text._Z12wvSplitK_hf_I14__hip_bfloat16Li32ELi3ELi16ELi8ELi2ELi1EEviiiiiiPKT_S3_S3_PS1_ii,"axG",@progbits,_Z12wvSplitK_hf_I14__hip_bfloat16Li32ELi3ELi16ELi8ELi2ELi1EEviiiiiiPKT_S3_S3_PS1_ii,comdat
.Lfunc_end165:
	.size	_Z12wvSplitK_hf_I14__hip_bfloat16Li32ELi3ELi16ELi8ELi2ELi1EEviiiiiiPKT_S3_S3_PS1_ii, .Lfunc_end165-_Z12wvSplitK_hf_I14__hip_bfloat16Li32ELi3ELi16ELi8ELi2ELi1EEviiiiiiPKT_S3_S3_PS1_ii
                                        ; -- End function
	.section	.AMDGPU.csdata,"",@progbits
; Kernel info:
; codeLenInByte = 3728
; NumSgprs: 30
; NumVgprs: 58
; ScratchSize: 0
; MemoryBound: 0
; FloatMode: 240
; IeeeMode: 1
; LDSByteSize: 65536 bytes/workgroup (compile time only)
; SGPRBlocks: 3
; VGPRBlocks: 7
; NumSGPRsForWavesPerEU: 30
; NumVGPRsForWavesPerEU: 58
; Occupancy: 8
; WaveLimiterHint : 0
; COMPUTE_PGM_RSRC2:SCRATCH_EN: 0
; COMPUTE_PGM_RSRC2:USER_SGPR: 15
; COMPUTE_PGM_RSRC2:TRAP_HANDLER: 0
; COMPUTE_PGM_RSRC2:TGID_X_EN: 1
; COMPUTE_PGM_RSRC2:TGID_Y_EN: 0
; COMPUTE_PGM_RSRC2:TGID_Z_EN: 0
; COMPUTE_PGM_RSRC2:TIDIG_COMP_CNT: 1
	.section	.text._Z16wvSplitK_hf_big_I14__hip_bfloat16Li32ELi3ELi16ELi8ELi2ELi1EEviiiiiiPKT_S3_S3_PS1_ii,"axG",@progbits,_Z16wvSplitK_hf_big_I14__hip_bfloat16Li32ELi3ELi16ELi8ELi2ELi1EEviiiiiiPKT_S3_S3_PS1_ii,comdat
	.protected	_Z16wvSplitK_hf_big_I14__hip_bfloat16Li32ELi3ELi16ELi8ELi2ELi1EEviiiiiiPKT_S3_S3_PS1_ii ; -- Begin function _Z16wvSplitK_hf_big_I14__hip_bfloat16Li32ELi3ELi16ELi8ELi2ELi1EEviiiiiiPKT_S3_S3_PS1_ii
	.globl	_Z16wvSplitK_hf_big_I14__hip_bfloat16Li32ELi3ELi16ELi8ELi2ELi1EEviiiiiiPKT_S3_S3_PS1_ii
	.p2align	8
	.type	_Z16wvSplitK_hf_big_I14__hip_bfloat16Li32ELi3ELi16ELi8ELi2ELi1EEviiiiiiPKT_S3_S3_PS1_ii,@function
_Z16wvSplitK_hf_big_I14__hip_bfloat16Li32ELi3ELi16ELi8ELi2ELi1EEviiiiiiPKT_S3_S3_PS1_ii: ; @_Z16wvSplitK_hf_big_I14__hip_bfloat16Li32ELi3ELi16ELi8ELi2ELi1EEviiiiiiPKT_S3_S3_PS1_ii
; %bb.0:
	s_load_b64 s[12:13], s[0:1], 0x38
	v_bfe_u32 v1, v0, 10, 10
	s_mov_b32 s2, exec_lo
	s_waitcnt lgkmcnt(0)
	s_delay_alu instid0(VALU_DEP_1)
	v_cmpx_gt_u32_e64 s12, v1
	s_cbranch_execz .LBB166_58
; %bb.1:
	s_load_b128 s[16:19], s[0:1], 0x0
	v_mad_u64_u32 v[2:3], null, s15, s12, v[1:2]
	s_mov_b32 s4, 1
	s_delay_alu instid0(SALU_CYCLE_1) | instskip(SKIP_1) | instid1(SALU_CYCLE_1)
	s_mov_b32 s5, s4
	s_mov_b32 s6, s4
	v_mov_b32_e32 v34, s6
	s_delay_alu instid0(VALU_DEP_2) | instskip(SKIP_1) | instid1(VALU_DEP_2)
	v_lshl_add_u32 v35, v2, 1, v2
	v_dual_mov_b32 v32, s4 :: v_dual_mov_b32 v33, s5
	v_add_nc_u32_e32 v2, 3, v35
	s_waitcnt lgkmcnt(0)
	v_cmp_gt_u32_e32 vcc_lo, s19, v35
	s_delay_alu instid0(VALU_DEP_2) | instskip(NEXT) | instid1(VALU_DEP_1)
	v_cmp_le_u32_e64 s2, s19, v2
	s_and_b32 s2, vcc_lo, s2
	s_delay_alu instid0(SALU_CYCLE_1)
	s_and_saveexec_b32 s7, s2
	s_cbranch_execz .LBB166_7
; %bb.2:
	v_dual_mov_b32 v34, s6 :: v_dual_mov_b32 v33, s5
	v_mov_b32_e32 v32, s4
	s_add_i32 s8, s19, -3
	s_mov_b32 s9, exec_lo
	v_cmpx_ne_u32_e64 s8, v35
	s_cbranch_execz .LBB166_6
; %bb.3:
	v_subrev_nc_u32_e32 v2, s8, v35
	s_mov_b32 s10, 0
	s_mov_b64 s[2:3], 0
	s_mov_b32 s5, s4
	s_mov_b32 s6, s4
	v_cmp_lt_u32_e32 vcc_lo, 1, v2
	v_cndmask_b32_e32 v2, 1, v2, vcc_lo
.LBB166_4:                              ; =>This Inner Loop Header: Depth=1
	s_cmp_lg_u32 s2, 2
	s_cselect_b32 s6, s6, 0
	s_cmp_lg_u32 s2, 1
	s_cselect_b32 s5, s5, 0
	;; [unrolled: 2-line block ×3, first 2 shown]
	s_add_u32 s2, s2, 1
	v_dual_mov_b32 v34, s6 :: v_dual_mov_b32 v33, s5
	v_cmp_eq_u32_e32 vcc_lo, s2, v2
	v_mov_b32_e32 v32, s4
	s_addc_u32 s3, s3, 0
	s_or_b32 s10, vcc_lo, s10
	s_delay_alu instid0(SALU_CYCLE_1)
	s_and_not1_b32 exec_lo, exec_lo, s10
	s_cbranch_execnz .LBB166_4
; %bb.5:
	s_or_b32 exec_lo, exec_lo, s10
	v_mov_b32_e32 v35, s8
.LBB166_6:
	s_or_b32 exec_lo, exec_lo, s9
.LBB166_7:
	s_delay_alu instid0(SALU_CYCLE_1)
	s_or_b32 exec_lo, exec_lo, s7
	s_mul_i32 s28, s12, 3
	s_abs_i32 s5, s19
	s_abs_i32 s2, s28
	s_mov_b32 s15, 0
	v_cvt_f32_u32_e32 v2, s2
	s_sub_i32 s4, 0, s2
	s_delay_alu instid0(VALU_DEP_1) | instskip(SKIP_2) | instid1(VALU_DEP_1)
	v_rcp_iflag_f32_e32 v2, v2
	s_waitcnt_depctr 0xfff
	v_mul_f32_e32 v2, 0x4f7ffffe, v2
	v_cvt_u32_f32_e32 v2, v2
	s_delay_alu instid0(VALU_DEP_1) | instskip(NEXT) | instid1(VALU_DEP_1)
	v_readfirstlane_b32 s3, v2
	s_mul_i32 s4, s4, s3
	s_delay_alu instid0(SALU_CYCLE_1) | instskip(NEXT) | instid1(SALU_CYCLE_1)
	s_mul_hi_u32 s4, s3, s4
	s_add_i32 s3, s3, s4
	s_ashr_i32 s4, s19, 31
	s_mul_hi_u32 s3, s5, s3
	s_delay_alu instid0(SALU_CYCLE_1) | instskip(NEXT) | instid1(SALU_CYCLE_1)
	s_mul_i32 s3, s3, s2
	s_sub_i32 s3, s5, s3
	s_delay_alu instid0(SALU_CYCLE_1) | instskip(SKIP_2) | instid1(SALU_CYCLE_1)
	s_sub_i32 s5, s3, s2
	s_cmp_ge_u32 s3, s2
	s_cselect_b32 s3, s5, s3
	s_sub_i32 s5, s3, s2
	s_cmp_ge_u32 s3, s2
	s_cselect_b32 s2, s5, s3
	s_add_i32 s3, s28, s19
	s_xor_b32 s2, s2, s4
	s_delay_alu instid0(SALU_CYCLE_1) | instskip(NEXT) | instid1(SALU_CYCLE_1)
	s_sub_i32 s2, s2, s4
	s_sub_i32 s3, s3, s2
	s_cmp_eq_u32 s2, 0
	s_cselect_b32 s14, s19, s3
	s_delay_alu instid0(SALU_CYCLE_1)
	v_cmp_gt_u32_e32 vcc_lo, s14, v35
	s_and_b32 exec_lo, exec_lo, vcc_lo
	s_cbranch_execz .LBB166_58
; %bb.8:
	s_clause 0x1
	s_load_b32 s20, s[0:1], 0x10
	s_load_b256 s[4:11], s[0:1], 0x18
	s_min_u32 s21, s18, 0x8000
	s_cmp_lg_u32 s16, 0
	v_and_b32_e32 v0, 0x3ff, v0
	s_cselect_b32 s22, -1, 0
	s_cmp_lg_u32 s18, 0
	v_mbcnt_lo_u32_b32 v45, -1, 0
	s_cselect_b32 s23, -1, 0
	s_lshl_b32 s24, s12, 8
	s_add_i32 s25, s16, -8
	s_add_i32 s26, s19, -1
	v_lshlrev_b32_e32 v4, 4, v0
	v_lshlrev_b32_e32 v46, 3, v0
	v_mov_b32_e32 v38, 0
	v_xor_b32_e32 v47, 16, v45
	s_mul_i32 s28, s28, s13
	v_lshl_add_u32 v48, v1, 9, v4
	v_lshl_add_u32 v49, v1, 8, v46
	s_waitcnt lgkmcnt(0)
	v_cvt_f32_u32_e32 v2, s20
	s_cmp_lg_u64 s[8:9], 0
	s_cselect_b32 s27, -1, 0
	s_sub_i32 s0, 0, s20
	s_delay_alu instid0(VALU_DEP_1)
	v_rcp_iflag_f32_e32 v2, v2
	s_add_i32 s29, s19, -3
	s_add_u32 s30, s10, 2
	s_addc_u32 s31, s11, 0
	s_lshl_b32 s33, s12, 9
	s_waitcnt_depctr 0xfff
	v_mul_f32_e32 v2, 0x4f7ffffe, v2
	s_delay_alu instid0(VALU_DEP_1) | instskip(NEXT) | instid1(VALU_DEP_1)
	v_cvt_u32_f32_e32 v2, v2
	v_mul_lo_u32 v3, s0, v2
	v_cmp_eq_u32_e64 s0, 31, v0
	s_delay_alu instid0(VALU_DEP_2) | instskip(NEXT) | instid1(VALU_DEP_1)
	v_mul_hi_u32 v3, v2, v3
	v_add_nc_u32_e32 v50, v2, v3
	s_branch .LBB166_12
.LBB166_9:                              ;   in Loop: Header=BB166_12 Depth=1
	s_or_b32 exec_lo, exec_lo, s36
	v_mov_b32_e32 v35, s29
.LBB166_10:                             ;   in Loop: Header=BB166_12 Depth=1
	s_or_b32 exec_lo, exec_lo, s35
.LBB166_11:                             ;   in Loop: Header=BB166_12 Depth=1
	s_delay_alu instid0(SALU_CYCLE_1) | instskip(NEXT) | instid1(VALU_DEP_1)
	s_or_b32 exec_lo, exec_lo, s34
	v_cmp_le_u32_e32 vcc_lo, s14, v35
	s_or_b32 s15, vcc_lo, s15
	s_delay_alu instid0(SALU_CYCLE_1)
	s_and_not1_b32 exec_lo, exec_lo, s15
	s_cbranch_execz .LBB166_58
.LBB166_12:                             ; =>This Loop Header: Depth=1
                                        ;     Child Loop BB166_17 Depth 2
                                        ;       Child Loop BB166_22 Depth 3
                                        ;     Child Loop BB166_56 Depth 2
	v_mov_b32_e32 v36, v38
	v_mov_b32_e32 v51, v38
	;; [unrolled: 1-line block ×3, first 2 shown]
	s_and_not1_b32 vcc_lo, exec_lo, s22
	s_mov_b32 s3, 0
	s_cbranch_vccnz .LBB166_29
; %bb.13:                               ;   in Loop: Header=BB166_12 Depth=1
	s_waitcnt lgkmcnt(0)
	v_dual_mov_b32 v52, 0 :: v_dual_add_nc_u32 v1, 2, v35
	v_add_nc_u32_e32 v0, 1, v35
	v_min_u32_e32 v2, s26, v35
	v_dual_mov_b32 v3, v38 :: v_dual_mov_b32 v36, 0
	s_delay_alu instid0(VALU_DEP_4) | instskip(SKIP_1) | instid1(VALU_DEP_4)
	v_min_u32_e32 v1, s26, v1
	v_cmp_gt_u32_e64 s1, s19, v35
	v_mul_lo_u32 v37, v2, s17
	v_mov_b32_e32 v51, 0
	s_mov_b32 s12, 0
	v_mul_lo_u32 v2, v1, s17
	v_mov_b32_e32 v1, v38
	v_min_u32_e32 v0, s26, v0
	v_lshlrev_b64 v[39:40], 1, v[37:38]
	s_delay_alu instid0(VALU_DEP_2) | instskip(SKIP_1) | instid1(VALU_DEP_2)
	v_mul_lo_u32 v0, v0, s17
	v_lshlrev_b64 v[43:44], 1, v[2:3]
	v_lshlrev_b64 v[41:42], 1, v[0:1]
	s_branch .LBB166_17
.LBB166_14:                             ;   in Loop: Header=BB166_17 Depth=2
	s_or_b32 exec_lo, exec_lo, s34
.LBB166_15:                             ;   in Loop: Header=BB166_17 Depth=2
	s_delay_alu instid0(SALU_CYCLE_1)
	s_or_b32 exec_lo, exec_lo, s13
	s_waitcnt lgkmcnt(0)
	v_and_b32_e32 v37, 0xffff0000, v28
	v_and_b32_e32 v56, 0xffff0000, v30
	v_lshlrev_b32_e32 v30, 16, v30
	s_waitcnt vmcnt(5)
	v_and_b32_e32 v53, 0xffff0000, v24
	v_lshlrev_b32_e32 v28, 16, v28
	v_and_b32_e32 v55, 0xffff0000, v25
	s_delay_alu instid0(VALU_DEP_3) | instskip(SKIP_1) | instid1(VALU_DEP_1)
	v_mul_f32_e32 v53, v37, v53
	v_and_b32_e32 v54, 0xffff0000, v29
	v_dual_mul_f32 v55, v54, v55 :: v_dual_lshlrev_b32 v24, 16, v24
	s_delay_alu instid0(VALU_DEP_1) | instskip(NEXT) | instid1(VALU_DEP_1)
	v_fmac_f32_e32 v53, v28, v24
	v_add_f32_e32 v52, v52, v53
	v_lshlrev_b32_e32 v25, 16, v25
	v_and_b32_e32 v24, 0xffff0000, v26
	s_delay_alu instid0(VALU_DEP_1) | instskip(NEXT) | instid1(VALU_DEP_1)
	v_dual_mul_f32 v24, v56, v24 :: v_dual_lshlrev_b32 v29, 16, v29
	v_fmac_f32_e32 v55, v29, v25
	s_waitcnt vmcnt(4)
	v_and_b32_e32 v25, 0xffff0000, v20
	s_delay_alu instid0(VALU_DEP_1) | instskip(NEXT) | instid1(VALU_DEP_1)
	v_dual_mul_f32 v25, v37, v25 :: v_dual_lshlrev_b32 v20, 16, v20
	v_fmac_f32_e32 v25, v28, v20
	v_and_b32_e32 v53, 0xffff0000, v21
	v_lshlrev_b32_e32 v26, 16, v26
	v_lshlrev_b32_e32 v20, 16, v21
	s_delay_alu instid0(VALU_DEP_4) | instskip(NEXT) | instid1(VALU_DEP_4)
	v_add_f32_e32 v25, v51, v25
	v_mul_f32_e32 v21, v54, v53
	s_delay_alu instid0(VALU_DEP_4) | instskip(SKIP_1) | instid1(VALU_DEP_3)
	v_fmac_f32_e32 v24, v30, v26
	v_add_f32_e32 v26, v52, v55
	v_dual_fmac_f32 v21, v29, v20 :: v_dual_and_b32 v52, 0xffff0000, v31
	v_lshlrev_b32_e32 v20, 16, v22
	s_delay_alu instid0(VALU_DEP_3) | instskip(SKIP_1) | instid1(VALU_DEP_3)
	v_dual_add_f32 v24, v26, v24 :: v_dual_and_b32 v53, 0xffff0000, v22
	s_waitcnt vmcnt(3)
	v_dual_add_f32 v21, v25, v21 :: v_dual_and_b32 v26, 0xffff0000, v16
	s_delay_alu instid0(VALU_DEP_2) | instskip(NEXT) | instid1(VALU_DEP_1)
	v_dual_mul_f32 v22, v56, v53 :: v_dual_lshlrev_b32 v31, 16, v31
	v_fmac_f32_e32 v22, v30, v20
	s_delay_alu instid0(VALU_DEP_3) | instskip(NEXT) | instid1(VALU_DEP_2)
	v_mul_f32_e32 v20, v37, v26
	v_dual_add_f32 v21, v21, v22 :: v_dual_lshlrev_b32 v16, 16, v16
	s_delay_alu instid0(VALU_DEP_1) | instskip(SKIP_1) | instid1(VALU_DEP_2)
	v_dual_fmac_f32 v20, v28, v16 :: v_dual_and_b32 v55, 0xffff0000, v27
	v_lshlrev_b32_e32 v27, 16, v27
	v_mul_f32_e32 v55, v52, v55
	s_delay_alu instid0(VALU_DEP_1)
	v_dual_add_f32 v20, v36, v20 :: v_dual_fmac_f32 v55, v31, v27
	s_waitcnt vmcnt(2)
	v_and_b32_e32 v27, 0xffff0000, v9
	v_lshlrev_b32_e32 v16, 16, v17
	v_and_b32_e32 v22, 0xffff0000, v23
	v_dual_add_f32 v24, v24, v55 :: v_dual_and_b32 v25, 0xffff0000, v17
	s_delay_alu instid0(VALU_DEP_1) | instskip(NEXT) | instid1(VALU_DEP_1)
	v_dual_mul_f32 v22, v52, v22 :: v_dual_mul_f32 v17, v54, v25
	v_dual_fmac_f32 v17, v29, v16 :: v_dual_lshlrev_b32 v16, 16, v18
	v_and_b32_e32 v25, 0xffff0000, v18
	v_lshlrev_b32_e32 v23, 16, v23
	s_delay_alu instid0(VALU_DEP_3) | instskip(SKIP_1) | instid1(VALU_DEP_4)
	v_dual_add_f32 v17, v20, v17 :: v_dual_and_b32 v26, 0xffff0000, v8
	v_and_b32_e32 v20, 0xffff0000, v19
	v_dual_mul_f32 v18, v56, v25 :: v_dual_and_b32 v25, 0xffff0000, v12
	s_delay_alu instid0(VALU_DEP_4) | instskip(SKIP_1) | instid1(VALU_DEP_3)
	v_dual_fmac_f32 v22, v31, v23 :: v_dual_lshlrev_b32 v9, 16, v9
	v_lshlrev_b32_e32 v12, 16, v12
	v_fmac_f32_e32 v18, v30, v16
	v_lshlrev_b32_e32 v8, 16, v8
	v_dual_mul_f32 v16, v25, v26 :: v_dual_lshlrev_b32 v19, 16, v19
	s_delay_alu instid0(VALU_DEP_3) | instskip(NEXT) | instid1(VALU_DEP_2)
	v_dual_add_f32 v17, v17, v18 :: v_dual_and_b32 v26, 0xffff0000, v13
	v_fmac_f32_e32 v16, v12, v8
	v_lshlrev_b32_e32 v8, 16, v13
	v_and_b32_e32 v28, 0xffff0000, v10
	s_waitcnt vmcnt(1)
	v_dual_mul_f32 v13, v26, v27 :: v_dual_and_b32 v18, 0xffff0000, v5
	v_dual_add_f32 v16, v24, v16 :: v_dual_and_b32 v27, 0xffff0000, v14
	s_delay_alu instid0(VALU_DEP_2) | instskip(NEXT) | instid1(VALU_DEP_2)
	v_fmac_f32_e32 v13, v8, v9
	v_dual_mul_f32 v14, v27, v28 :: v_dual_lshlrev_b32 v9, 16, v14
	s_delay_alu instid0(VALU_DEP_2) | instskip(SKIP_2) | instid1(VALU_DEP_2)
	v_add_f32_e32 v13, v16, v13
	v_mul_f32_e32 v20, v52, v20
	v_add_f32_e32 v16, v21, v22
	v_fmac_f32_e32 v20, v31, v19
	v_and_b32_e32 v19, 0xffff0000, v11
	v_lshlrev_b32_e32 v11, 16, v11
	s_delay_alu instid0(VALU_DEP_3) | instskip(NEXT) | instid1(VALU_DEP_1)
	v_dual_add_f32 v17, v17, v20 :: v_dual_lshlrev_b32 v10, 16, v10
	v_fmac_f32_e32 v14, v9, v10
	v_and_b32_e32 v10, 0xffff0000, v4
	s_delay_alu instid0(VALU_DEP_2) | instskip(NEXT) | instid1(VALU_DEP_2)
	v_dual_add_f32 v13, v13, v14 :: v_dual_lshlrev_b32 v4, 16, v4
	v_mul_f32_e32 v10, v25, v10
	v_and_b32_e32 v14, 0xffff0000, v15
	s_delay_alu instid0(VALU_DEP_2) | instskip(SKIP_2) | instid1(VALU_DEP_3)
	v_dual_fmac_f32 v10, v12, v4 :: v_dual_lshlrev_b32 v15, 16, v15
	v_dual_mul_f32 v5, v26, v18 :: v_dual_lshlrev_b32 v4, 16, v5
	s_waitcnt vmcnt(0)
	v_dual_mul_f32 v18, v14, v19 :: v_dual_and_b32 v19, 0xffff0000, v0
	s_delay_alu instid0(VALU_DEP_3) | instskip(SKIP_3) | instid1(VALU_DEP_2)
	v_add_f32_e32 v10, v16, v10
	v_lshlrev_b32_e32 v0, 16, v0
	v_dual_fmac_f32 v5, v8, v4 :: v_dual_and_b32 v4, 0xffff0000, v6
	v_lshlrev_b32_e32 v6, 16, v6
	v_dual_fmac_f32 v18, v15, v11 :: v_dual_add_f32 v5, v10, v5
	s_delay_alu instid0(VALU_DEP_3) | instskip(SKIP_1) | instid1(VALU_DEP_3)
	v_mul_f32_e32 v4, v27, v4
	v_and_b32_e32 v10, 0xffff0000, v7
	v_add_f32_e32 v52, v13, v18
	s_delay_alu instid0(VALU_DEP_3) | instskip(SKIP_1) | instid1(VALU_DEP_2)
	v_fmac_f32_e32 v4, v9, v6
	v_and_b32_e32 v6, 0xffff0000, v2
	v_add_f32_e32 v4, v5, v4
	v_dual_mul_f32 v16, v25, v19 :: v_dual_and_b32 v19, 0xffff0000, v1
	s_delay_alu instid0(VALU_DEP_1) | instskip(NEXT) | instid1(VALU_DEP_2)
	v_fmac_f32_e32 v16, v12, v0
	v_dual_mul_f32 v1, v26, v19 :: v_dual_lshlrev_b32 v0, 16, v1
	s_delay_alu instid0(VALU_DEP_2) | instskip(NEXT) | instid1(VALU_DEP_2)
	v_add_f32_e32 v12, v17, v16
	v_dual_fmac_f32 v1, v8, v0 :: v_dual_lshlrev_b32 v0, 16, v2
	v_mul_f32_e32 v2, v27, v6
	v_lshlrev_b32_e32 v6, 16, v7
	v_dual_mul_f32 v8, v14, v10 :: v_dual_and_b32 v7, 0xffff0000, v3
	s_delay_alu instid0(VALU_DEP_3) | instskip(SKIP_1) | instid1(VALU_DEP_3)
	v_dual_add_f32 v1, v12, v1 :: v_dual_fmac_f32 v2, v9, v0
	v_lshlrev_b32_e32 v0, 16, v3
	v_dual_mul_f32 v3, v14, v7 :: v_dual_fmac_f32 v8, v15, v6
	s_delay_alu instid0(VALU_DEP_3) | instskip(NEXT) | instid1(VALU_DEP_2)
	v_add_f32_e32 v1, v1, v2
	v_fmac_f32_e32 v3, v15, v0
	s_delay_alu instid0(VALU_DEP_1)
	v_dual_add_f32 v51, v4, v8 :: v_dual_add_f32 v36, v1, v3
.LBB166_16:                             ;   in Loop: Header=BB166_17 Depth=2
	s_or_b32 exec_lo, exec_lo, s2
	s_addk_i32 s12, 0x200
	s_delay_alu instid0(SALU_CYCLE_1)
	s_cmp_ge_u32 s12, s16
	s_cbranch_scc1 .LBB166_29
.LBB166_17:                             ;   Parent Loop BB166_12 Depth=1
                                        ; =>  This Loop Header: Depth=2
                                        ;       Child Loop BB166_22 Depth 3
	s_cmp_eq_u32 s12, 0
	s_cselect_b32 s13, -1, 0
	s_add_i32 s2, s3, s21
	s_delay_alu instid0(SALU_CYCLE_1) | instskip(SKIP_1) | instid1(SALU_CYCLE_1)
	s_cmp_eq_u32 s12, s2
	s_cselect_b32 s34, -1, 0
	s_or_b32 s34, s13, s34
	s_delay_alu instid0(SALU_CYCLE_1)
	s_and_not1_b32 vcc_lo, exec_lo, s34
	s_cbranch_vccz .LBB166_19
; %bb.18:                               ;   in Loop: Header=BB166_17 Depth=2
	s_and_saveexec_b32 s2, s1
	s_cbranch_execz .LBB166_16
	s_branch .LBB166_26
.LBB166_19:                             ;   in Loop: Header=BB166_17 Depth=2
	s_and_b32 s13, s13, exec_lo
	s_cselect_b32 s3, s3, s2
	s_and_not1_b32 vcc_lo, exec_lo, s23
	s_waitcnt vmcnt(0)
	s_waitcnt_vscnt null, 0x0
	s_barrier
	buffer_gl0_inv
	s_cbranch_vccnz .LBB166_25
; %bb.20:                               ;   in Loop: Header=BB166_17 Depth=2
	v_dual_mov_b32 v1, v48 :: v_dual_add_nc_u32 v0, s3, v49
	s_mov_b32 s13, 0
	s_mov_b32 s34, 0
                                        ; implicit-def: $sgpr35
	s_set_inst_prefetch_distance 0x1
	s_branch .LBB166_22
	.p2align	6
.LBB166_21:                             ;   in Loop: Header=BB166_22 Depth=3
	s_or_b32 exec_lo, exec_lo, s2
	s_delay_alu instid0(SALU_CYCLE_1) | instskip(NEXT) | instid1(SALU_CYCLE_1)
	s_and_b32 s2, exec_lo, s35
	s_or_b32 s13, s2, s13
	s_delay_alu instid0(SALU_CYCLE_1)
	s_and_not1_b32 exec_lo, exec_lo, s13
	s_cbranch_execz .LBB166_24
.LBB166_22:                             ;   Parent Loop BB166_12 Depth=1
                                        ;     Parent Loop BB166_17 Depth=2
                                        ; =>    This Inner Loop Header: Depth=3
	v_add_nc_u32_e32 v37, s34, v0
	v_add_nc_u32_e32 v2, s34, v49
	s_or_b32 s35, s35, exec_lo
	s_delay_alu instid0(VALU_DEP_2) | instskip(NEXT) | instid1(VALU_DEP_2)
	v_cmp_gt_u32_e32 vcc_lo, s18, v37
	v_cmp_gt_u32_e64 s2, s21, v2
	s_delay_alu instid0(VALU_DEP_1) | instskip(NEXT) | instid1(SALU_CYCLE_1)
	s_and_b32 s36, s2, vcc_lo
	s_and_saveexec_b32 s2, s36
	s_cbranch_execz .LBB166_21
; %bb.23:                               ;   in Loop: Header=BB166_22 Depth=3
	v_lshlrev_b64 v[2:3], 1, v[37:38]
	s_add_i32 s34, s34, s24
	s_delay_alu instid0(SALU_CYCLE_1) | instskip(SKIP_1) | instid1(VALU_DEP_1)
	s_cmp_ge_u32 s34, s21
	s_cselect_b32 s36, -1, 0
	v_add_co_u32 v2, vcc_lo, s6, v2
	s_delay_alu instid0(VALU_DEP_2) | instskip(SKIP_2) | instid1(SALU_CYCLE_1)
	v_add_co_ci_u32_e32 v3, vcc_lo, s7, v3, vcc_lo
	s_and_not1_b32 s35, s35, exec_lo
	s_and_b32 s36, s36, exec_lo
	s_or_b32 s35, s35, s36
	global_load_b128 v[2:5], v[2:3], off
	s_waitcnt vmcnt(0)
	ds_store_b128 v1, v[2:5]
	v_add_nc_u32_e32 v1, s33, v1
	s_branch .LBB166_21
.LBB166_24:                             ;   in Loop: Header=BB166_17 Depth=2
	s_set_inst_prefetch_distance 0x2
	s_or_b32 exec_lo, exec_lo, s13
.LBB166_25:                             ;   in Loop: Header=BB166_17 Depth=2
	s_waitcnt lgkmcnt(0)
	s_barrier
	buffer_gl0_inv
	s_and_saveexec_b32 s2, s1
	s_cbranch_execz .LBB166_16
.LBB166_26:                             ;   in Loop: Header=BB166_17 Depth=2
	v_add_nc_u32_e32 v53, s12, v46
	v_dual_mov_b32 v31, 0 :: v_dual_mov_b32 v30, 0
	v_dual_mov_b32 v29, 0 :: v_dual_mov_b32 v28, 0
	s_delay_alu instid0(VALU_DEP_3) | instskip(SKIP_2) | instid1(VALU_DEP_2)
	v_min_u32_e32 v37, s25, v53
	v_add_nc_u32_e32 v54, 0x100, v53
	s_mov_b32 s13, exec_lo
	v_lshlrev_b64 v[0:1], 1, v[37:38]
	s_delay_alu instid0(VALU_DEP_2) | instskip(NEXT) | instid1(VALU_DEP_2)
	v_min_u32_e32 v37, s25, v54
	v_add_co_u32 v6, vcc_lo, s4, v0
	s_waitcnt vmcnt(1)
	s_delay_alu instid0(VALU_DEP_3) | instskip(NEXT) | instid1(VALU_DEP_3)
	v_add_co_ci_u32_e32 v7, vcc_lo, s5, v1, vcc_lo
	v_lshlrev_b64 v[0:1], 1, v[37:38]
	s_delay_alu instid0(VALU_DEP_3) | instskip(NEXT) | instid1(VALU_DEP_3)
	v_add_co_u32 v2, vcc_lo, v6, v39
	v_add_co_ci_u32_e32 v3, vcc_lo, v7, v40, vcc_lo
	s_waitcnt vmcnt(0)
	v_add_co_u32 v4, vcc_lo, v6, v41
	v_add_co_ci_u32_e32 v5, vcc_lo, v7, v42, vcc_lo
	v_add_co_u32 v8, vcc_lo, s4, v0
	v_add_co_ci_u32_e32 v9, vcc_lo, s5, v1, vcc_lo
	;; [unrolled: 2-line block ×3, first 2 shown]
	s_delay_alu instid0(VALU_DEP_4) | instskip(NEXT) | instid1(VALU_DEP_4)
	v_add_co_u32 v6, vcc_lo, v8, v39
	v_add_co_ci_u32_e32 v7, vcc_lo, v9, v40, vcc_lo
	v_add_co_u32 v12, vcc_lo, v8, v41
	v_add_co_ci_u32_e32 v13, vcc_lo, v9, v42, vcc_lo
	;; [unrolled: 2-line block ×3, first 2 shown]
	s_clause 0x5
	global_load_b128 v[24:27], v[2:3], off slc dlc
	global_load_b128 v[20:23], v[4:5], off slc dlc
	global_load_b128 v[16:19], v[0:1], off slc dlc
	global_load_b128 v[8:11], v[6:7], off slc dlc
	global_load_b128 v[4:7], v[12:13], off slc dlc
	global_load_b128 v[0:3], v[14:15], off slc dlc
	v_dual_mov_b32 v15, 0 :: v_dual_mov_b32 v14, 0
	v_dual_mov_b32 v13, 0 :: v_dual_mov_b32 v12, 0
	v_cmpx_gt_u32_e64 s16, v53
	s_cbranch_execz .LBB166_15
; %bb.27:                               ;   in Loop: Header=BB166_17 Depth=2
	v_subrev_nc_u32_e32 v12, s3, v53
	v_dual_mov_b32 v13, 0 :: v_dual_mov_b32 v14, 0
	v_mov_b32_e32 v15, 0
	s_mov_b32 s34, exec_lo
	s_delay_alu instid0(VALU_DEP_3)
	v_dual_mov_b32 v12, 0 :: v_dual_lshlrev_b32 v37, 1, v12
	ds_load_b128 v[28:31], v37
	v_cmpx_gt_u32_e64 s16, v54
	s_cbranch_execz .LBB166_14
; %bb.28:                               ;   in Loop: Header=BB166_17 Depth=2
	ds_load_b128 v[12:15], v37 offset:512
	s_branch .LBB166_14
.LBB166_29:                             ;   in Loop: Header=BB166_12 Depth=1
	s_mov_b32 s1, exec_lo
	v_cmpx_le_u32_e64 s19, v35
	s_xor_b32 s1, exec_lo, s1
; %bb.30:                               ;   in Loop: Header=BB166_12 Depth=1
	v_add_nc_u32_e32 v35, s28, v35
                                        ; implicit-def: $vgpr52
                                        ; implicit-def: $vgpr51
                                        ; implicit-def: $vgpr36
; %bb.31:                               ;   in Loop: Header=BB166_12 Depth=1
	s_and_not1_saveexec_b32 s34, s1
	s_cbranch_execz .LBB166_11
; %bb.32:                               ;   in Loop: Header=BB166_12 Depth=1
	v_cvt_i32_f32_e32 v0, v52
	s_waitcnt lgkmcnt(0)
	v_cvt_i32_f32_e32 v1, v51
	v_cvt_i32_f32_e32 v2, v36
	v_cmp_gt_i32_e32 vcc_lo, 32, v47
	v_cvt_f32_i32_dpp v0, v0 row_shr:8 row_mask:0xf bank_mask:0xf bound_ctrl:1
	s_delay_alu instid0(VALU_DEP_4) | instskip(NEXT) | instid1(VALU_DEP_4)
	v_cvt_f32_i32_dpp v1, v1 row_shr:8 row_mask:0xf bank_mask:0xf bound_ctrl:1
	v_cvt_f32_i32_dpp v2, v2 row_shr:8 row_mask:0xf bank_mask:0xf bound_ctrl:1
	s_delay_alu instid0(VALU_DEP_2) | instskip(NEXT) | instid1(VALU_DEP_1)
	v_dual_add_f32 v0, v52, v0 :: v_dual_add_f32 v1, v51, v1
	v_cvt_i32_f32_e32 v3, v0
	s_waitcnt vmcnt(0)
	s_delay_alu instid0(VALU_DEP_2) | instskip(NEXT) | instid1(VALU_DEP_2)
	v_cvt_i32_f32_e32 v4, v1
	v_cvt_f32_i32_dpp v3, v3 row_shr:4 row_mask:0xf bank_mask:0xf bound_ctrl:1
	s_delay_alu instid0(VALU_DEP_2) | instskip(NEXT) | instid1(VALU_DEP_1)
	v_cvt_f32_i32_dpp v4, v4 row_shr:4 row_mask:0xf bank_mask:0xf bound_ctrl:1
	v_dual_add_f32 v2, v36, v2 :: v_dual_add_f32 v1, v1, v4
	s_delay_alu instid0(VALU_DEP_1) | instskip(NEXT) | instid1(VALU_DEP_2)
	v_cvt_i32_f32_e32 v5, v2
	v_cvt_i32_f32_e32 v4, v1
	s_delay_alu instid0(VALU_DEP_2) | instskip(NEXT) | instid1(VALU_DEP_2)
	v_cvt_f32_i32_dpp v5, v5 row_shr:4 row_mask:0xf bank_mask:0xf bound_ctrl:1
	v_cvt_f32_i32_dpp v4, v4 row_shr:2 row_mask:0xf bank_mask:0xf bound_ctrl:1
	v_add_f32_e32 v0, v0, v3
	s_delay_alu instid0(VALU_DEP_2) | instskip(NEXT) | instid1(VALU_DEP_2)
	v_dual_add_f32 v2, v2, v5 :: v_dual_add_f32 v1, v1, v4
	v_cvt_i32_f32_e32 v3, v0
	s_delay_alu instid0(VALU_DEP_2) | instskip(NEXT) | instid1(VALU_DEP_3)
	v_cvt_i32_f32_e32 v5, v2
	v_cvt_i32_f32_e32 v4, v1
	s_delay_alu instid0(VALU_DEP_3) | instskip(NEXT) | instid1(VALU_DEP_3)
	v_cvt_f32_i32_dpp v3, v3 row_shr:2 row_mask:0xf bank_mask:0xf bound_ctrl:1
	v_cvt_f32_i32_dpp v5, v5 row_shr:2 row_mask:0xf bank_mask:0xf bound_ctrl:1
	s_delay_alu instid0(VALU_DEP_3) | instskip(NEXT) | instid1(VALU_DEP_2)
	v_cvt_f32_i32_dpp v4, v4 row_shr:1 row_mask:0xf bank_mask:0xf bound_ctrl:1
	v_dual_add_f32 v0, v0, v3 :: v_dual_add_f32 v3, v2, v5
	s_delay_alu instid0(VALU_DEP_1) | instskip(NEXT) | instid1(VALU_DEP_2)
	v_cvt_i32_f32_e32 v2, v0
	v_cvt_i32_f32_e32 v5, v3
	s_delay_alu instid0(VALU_DEP_2) | instskip(SKIP_1) | instid1(VALU_DEP_3)
	v_cvt_f32_i32_dpp v2, v2 row_shr:1 row_mask:0xf bank_mask:0xf bound_ctrl:1
	v_cndmask_b32_e32 v6, v45, v47, vcc_lo
	v_cvt_f32_i32_dpp v7, v5 row_shr:1 row_mask:0xf bank_mask:0xf bound_ctrl:1
	s_delay_alu instid0(VALU_DEP_3) | instskip(NEXT) | instid1(VALU_DEP_3)
	v_add_f32_e32 v5, v0, v2
	v_lshlrev_b32_e32 v8, 2, v6
	v_add_f32_e32 v2, v1, v4
	s_delay_alu instid0(VALU_DEP_4)
	v_add_f32_e32 v0, v3, v7
	ds_bpermute_b32 v6, v8, v5
	ds_bpermute_b32 v3, v8, v2
	;; [unrolled: 1-line block ×3, first 2 shown]
	s_and_saveexec_b32 s1, s0
	s_cbranch_execz .LBB166_53
; %bb.33:                               ;   in Loop: Header=BB166_12 Depth=1
	v_dual_mov_b32 v8, 0 :: v_dual_add_nc_u32 v37, 2, v35
	v_dual_mov_b32 v7, 0 :: v_dual_mov_b32 v4, 0
	s_and_not1_b32 vcc_lo, exec_lo, s27
	s_cbranch_vccnz .LBB166_35
; %bb.34:                               ;   in Loop: Header=BB166_12 Depth=1
	v_mul_hi_u32 v7, v35, v50
	v_mul_hi_u32 v8, v37, v50
	s_delay_alu instid0(VALU_DEP_2) | instskip(NEXT) | instid1(VALU_DEP_2)
	v_mul_lo_u32 v7, v7, s20
	v_mul_lo_u32 v8, v8, s20
	s_delay_alu instid0(VALU_DEP_2) | instskip(NEXT) | instid1(VALU_DEP_2)
	v_sub_nc_u32_e32 v7, v35, v7
	v_sub_nc_u32_e32 v10, v37, v8
	s_delay_alu instid0(VALU_DEP_2) | instskip(SKIP_1) | instid1(VALU_DEP_3)
	v_cmp_le_u32_e32 vcc_lo, s20, v7
	v_add_nc_u32_e32 v4, 1, v35
	v_subrev_nc_u32_e32 v11, s20, v10
	s_delay_alu instid0(VALU_DEP_2) | instskip(NEXT) | instid1(VALU_DEP_1)
	v_mul_hi_u32 v9, v4, v50
	v_mul_lo_u32 v9, v9, s20
	s_delay_alu instid0(VALU_DEP_1) | instskip(SKIP_1) | instid1(VALU_DEP_2)
	v_sub_nc_u32_e32 v4, v4, v9
	v_subrev_nc_u32_e32 v9, s20, v7
	v_subrev_nc_u32_e32 v12, s20, v4
	s_delay_alu instid0(VALU_DEP_2) | instskip(SKIP_3) | instid1(VALU_DEP_4)
	v_cndmask_b32_e32 v7, v7, v9, vcc_lo
	v_cmp_le_u32_e32 vcc_lo, s20, v10
	v_cndmask_b32_e32 v9, v10, v11, vcc_lo
	v_cmp_le_u32_e32 vcc_lo, s20, v4
	v_subrev_nc_u32_e32 v11, s20, v7
	v_cndmask_b32_e32 v4, v4, v12, vcc_lo
	v_cmp_le_u32_e32 vcc_lo, s20, v7
	v_mov_b32_e32 v8, v38
	v_subrev_nc_u32_e32 v13, s20, v9
	s_delay_alu instid0(VALU_DEP_4) | instskip(SKIP_3) | instid1(VALU_DEP_3)
	v_subrev_nc_u32_e32 v14, s20, v4
	v_cndmask_b32_e32 v7, v7, v11, vcc_lo
	v_cmp_le_u32_e32 vcc_lo, s20, v9
	v_mov_b32_e32 v10, v38
	v_lshlrev_b64 v[7:8], 1, v[7:8]
	v_cndmask_b32_e32 v11, v9, v13, vcc_lo
	v_cmp_le_u32_e32 vcc_lo, s20, v4
	v_dual_mov_b32 v12, v38 :: v_dual_cndmask_b32 v9, v4, v14
	s_delay_alu instid0(VALU_DEP_1) | instskip(SKIP_2) | instid1(VALU_DEP_4)
	v_lshlrev_b64 v[11:12], 1, v[11:12]
	v_add_co_u32 v7, vcc_lo, s8, v7
	v_add_co_ci_u32_e32 v8, vcc_lo, s9, v8, vcc_lo
	v_lshlrev_b64 v[9:10], 1, v[9:10]
	s_delay_alu instid0(VALU_DEP_1) | instskip(NEXT) | instid1(VALU_DEP_2)
	v_add_co_u32 v9, vcc_lo, s8, v9
	v_add_co_ci_u32_e32 v10, vcc_lo, s9, v10, vcc_lo
	v_add_co_u32 v11, vcc_lo, s8, v11
	v_add_co_ci_u32_e32 v12, vcc_lo, s9, v12, vcc_lo
	s_clause 0x2
	global_load_u16 v8, v[7:8], off
	global_load_u16 v7, v[9:10], off
	;; [unrolled: 1-line block ×3, first 2 shown]
.LBB166_35:                             ;   in Loop: Header=BB166_12 Depth=1
	s_mov_b32 s2, exec_lo
	v_cmpx_ne_u32_e32 0, v32
	s_cbranch_execz .LBB166_41
; %bb.36:                               ;   in Loop: Header=BB166_12 Depth=1
	s_waitcnt vmcnt(2) lgkmcnt(2)
	v_dual_add_f32 v5, v5, v6 :: v_dual_lshlrev_b32 v6, 16, v8
	s_delay_alu instid0(VALU_DEP_1) | instskip(NEXT) | instid1(VALU_DEP_1)
	v_add_f32_e32 v6, v5, v6
	v_and_b32_e32 v5, 0x7f800000, v6
	s_delay_alu instid0(VALU_DEP_1) | instskip(SKIP_1) | instid1(SALU_CYCLE_1)
	v_cmp_ne_u32_e32 vcc_lo, 0x7f800000, v5
                                        ; implicit-def: $vgpr5
	s_and_saveexec_b32 s3, vcc_lo
	s_xor_b32 s3, exec_lo, s3
; %bb.37:                               ;   in Loop: Header=BB166_12 Depth=1
	v_bfe_u32 v5, v6, 16, 1
	s_delay_alu instid0(VALU_DEP_1)
	v_add3_u32 v5, v6, v5, 0x7fff
                                        ; implicit-def: $vgpr6
; %bb.38:                               ;   in Loop: Header=BB166_12 Depth=1
	s_and_not1_saveexec_b32 s3, s3
; %bb.39:                               ;   in Loop: Header=BB166_12 Depth=1
	v_and_b32_e32 v5, 0xffff, v6
	v_or_b32_e32 v8, 0x10000, v6
	s_delay_alu instid0(VALU_DEP_2) | instskip(NEXT) | instid1(VALU_DEP_2)
	v_cmp_eq_u32_e32 vcc_lo, 0, v5
	v_cndmask_b32_e32 v5, v8, v6, vcc_lo
; %bb.40:                               ;   in Loop: Header=BB166_12 Depth=1
	s_or_b32 exec_lo, exec_lo, s3
	v_mov_b32_e32 v36, v38
	s_delay_alu instid0(VALU_DEP_1) | instskip(NEXT) | instid1(VALU_DEP_1)
	v_lshlrev_b64 v[8:9], 1, v[35:36]
	v_add_co_u32 v8, vcc_lo, s10, v8
	s_delay_alu instid0(VALU_DEP_2)
	v_add_co_ci_u32_e32 v9, vcc_lo, s11, v9, vcc_lo
	global_store_d16_hi_b16 v[8:9], v5, off
.LBB166_41:                             ;   in Loop: Header=BB166_12 Depth=1
	s_or_b32 exec_lo, exec_lo, s2
	s_delay_alu instid0(SALU_CYCLE_1)
	s_mov_b32 s2, exec_lo
	v_cmpx_ne_u32_e32 0, v33
	s_cbranch_execz .LBB166_47
; %bb.42:                               ;   in Loop: Header=BB166_12 Depth=1
	s_waitcnt lgkmcnt(1)
	v_add_f32_e32 v2, v2, v3
	s_waitcnt vmcnt(1)
	v_lshlrev_b32_e32 v3, 16, v7
	s_delay_alu instid0(VALU_DEP_1) | instskip(NEXT) | instid1(VALU_DEP_1)
	v_add_f32_e32 v3, v2, v3
	v_and_b32_e32 v2, 0x7f800000, v3
	s_delay_alu instid0(VALU_DEP_1) | instskip(SKIP_1) | instid1(SALU_CYCLE_1)
	v_cmp_ne_u32_e32 vcc_lo, 0x7f800000, v2
                                        ; implicit-def: $vgpr2
	s_and_saveexec_b32 s3, vcc_lo
	s_xor_b32 s3, exec_lo, s3
; %bb.43:                               ;   in Loop: Header=BB166_12 Depth=1
	v_bfe_u32 v2, v3, 16, 1
	s_delay_alu instid0(VALU_DEP_1)
	v_add3_u32 v2, v3, v2, 0x7fff
                                        ; implicit-def: $vgpr3
; %bb.44:                               ;   in Loop: Header=BB166_12 Depth=1
	s_and_not1_saveexec_b32 s3, s3
; %bb.45:                               ;   in Loop: Header=BB166_12 Depth=1
	v_and_b32_e32 v2, 0xffff, v3
	v_or_b32_e32 v5, 0x10000, v3
	s_delay_alu instid0(VALU_DEP_2) | instskip(NEXT) | instid1(VALU_DEP_2)
	v_cmp_eq_u32_e32 vcc_lo, 0, v2
	v_cndmask_b32_e32 v2, v5, v3, vcc_lo
; %bb.46:                               ;   in Loop: Header=BB166_12 Depth=1
	s_or_b32 exec_lo, exec_lo, s3
	v_mov_b32_e32 v36, v38
	s_delay_alu instid0(VALU_DEP_1) | instskip(NEXT) | instid1(VALU_DEP_1)
	v_lshlrev_b64 v[5:6], 1, v[35:36]
	v_add_co_u32 v5, vcc_lo, s30, v5
	s_delay_alu instid0(VALU_DEP_2)
	v_add_co_ci_u32_e32 v6, vcc_lo, s31, v6, vcc_lo
	global_store_d16_hi_b16 v[5:6], v2, off
.LBB166_47:                             ;   in Loop: Header=BB166_12 Depth=1
	s_or_b32 exec_lo, exec_lo, s2
	v_cmp_ne_u32_e32 vcc_lo, 0, v34
	s_and_b32 exec_lo, exec_lo, vcc_lo
	s_cbranch_execz .LBB166_53
; %bb.48:                               ;   in Loop: Header=BB166_12 Depth=1
	s_waitcnt vmcnt(0) lgkmcnt(0)
	v_dual_add_f32 v0, v0, v1 :: v_dual_lshlrev_b32 v1, 16, v4
	s_delay_alu instid0(VALU_DEP_1) | instskip(NEXT) | instid1(VALU_DEP_1)
	v_add_f32_e32 v1, v0, v1
	v_and_b32_e32 v0, 0x7f800000, v1
	s_delay_alu instid0(VALU_DEP_1) | instskip(SKIP_1) | instid1(SALU_CYCLE_1)
	v_cmp_ne_u32_e32 vcc_lo, 0x7f800000, v0
                                        ; implicit-def: $vgpr0
	s_and_saveexec_b32 s2, vcc_lo
	s_xor_b32 s2, exec_lo, s2
; %bb.49:                               ;   in Loop: Header=BB166_12 Depth=1
	v_bfe_u32 v0, v1, 16, 1
	s_delay_alu instid0(VALU_DEP_1)
	v_add3_u32 v0, v1, v0, 0x7fff
                                        ; implicit-def: $vgpr1
; %bb.50:                               ;   in Loop: Header=BB166_12 Depth=1
	s_and_not1_saveexec_b32 s2, s2
; %bb.51:                               ;   in Loop: Header=BB166_12 Depth=1
	v_and_b32_e32 v0, 0xffff, v1
	v_or_b32_e32 v2, 0x10000, v1
	s_delay_alu instid0(VALU_DEP_2) | instskip(NEXT) | instid1(VALU_DEP_2)
	v_cmp_eq_u32_e32 vcc_lo, 0, v0
	v_cndmask_b32_e32 v0, v2, v1, vcc_lo
; %bb.52:                               ;   in Loop: Header=BB166_12 Depth=1
	s_or_b32 exec_lo, exec_lo, s2
	v_lshlrev_b64 v[1:2], 1, v[37:38]
	s_delay_alu instid0(VALU_DEP_1) | instskip(NEXT) | instid1(VALU_DEP_2)
	v_add_co_u32 v1, vcc_lo, s10, v1
	v_add_co_ci_u32_e32 v2, vcc_lo, s11, v2, vcc_lo
	global_store_d16_hi_b16 v[1:2], v0, off
.LBB166_53:                             ;   in Loop: Header=BB166_12 Depth=1
	s_or_b32 exec_lo, exec_lo, s1
	v_add_nc_u32_e32 v35, s28, v35
	s_delay_alu instid0(VALU_DEP_1) | instskip(SKIP_1) | instid1(VALU_DEP_2)
	v_add_nc_u32_e32 v0, 3, v35
	v_cmp_gt_u32_e32 vcc_lo, s19, v35
	v_cmp_le_u32_e64 s1, s19, v0
	s_delay_alu instid0(VALU_DEP_1) | instskip(NEXT) | instid1(SALU_CYCLE_1)
	s_and_b32 s1, vcc_lo, s1
	s_and_saveexec_b32 s35, s1
	s_cbranch_execz .LBB166_10
; %bb.54:                               ;   in Loop: Header=BB166_12 Depth=1
	s_mov_b32 s36, exec_lo
	v_cmpx_ne_u32_e64 s29, v35
	s_cbranch_execz .LBB166_9
; %bb.55:                               ;   in Loop: Header=BB166_12 Depth=1
	v_subrev_nc_u32_e32 v0, s29, v35
	s_mov_b32 s37, 0
	s_mov_b64 s[12:13], 0
	s_delay_alu instid0(VALU_DEP_1)
	v_cmp_lt_u32_e32 vcc_lo, 1, v0
	v_cndmask_b32_e32 v0, 1, v0, vcc_lo
	.p2align	6
.LBB166_56:                             ;   Parent Loop BB166_12 Depth=1
                                        ; =>  This Inner Loop Header: Depth=2
	s_cmp_lg_u32 s12, 2
	s_cselect_b32 vcc_lo, -1, 0
	s_cmp_lg_u32 s12, 1
	v_cndmask_b32_e32 v34, 0, v34, vcc_lo
	s_cselect_b32 s1, -1, 0
	s_cmp_lg_u32 s12, 0
	v_cndmask_b32_e64 v33, 0, v33, s1
	s_cselect_b32 s2, -1, 0
	s_add_u32 s12, s12, 1
	v_cndmask_b32_e64 v32, 0, v32, s2
	v_cmp_eq_u32_e64 s3, s12, v0
	s_addc_u32 s13, s13, 0
	s_delay_alu instid0(VALU_DEP_1) | instskip(NEXT) | instid1(SALU_CYCLE_1)
	s_or_b32 s37, s3, s37
	s_and_not1_b32 exec_lo, exec_lo, s37
	s_cbranch_execnz .LBB166_56
; %bb.57:                               ;   in Loop: Header=BB166_12 Depth=1
	s_or_b32 exec_lo, exec_lo, s37
	s_branch .LBB166_9
.LBB166_58:
	s_nop 0
	s_sendmsg sendmsg(MSG_DEALLOC_VGPRS)
	s_endpgm
	.section	.rodata,"a",@progbits
	.p2align	6, 0x0
	.amdhsa_kernel _Z16wvSplitK_hf_big_I14__hip_bfloat16Li32ELi3ELi16ELi8ELi2ELi1EEviiiiiiPKT_S3_S3_PS1_ii
		.amdhsa_group_segment_fixed_size 65536
		.amdhsa_private_segment_fixed_size 0
		.amdhsa_kernarg_size 64
		.amdhsa_user_sgpr_count 15
		.amdhsa_user_sgpr_dispatch_ptr 0
		.amdhsa_user_sgpr_queue_ptr 0
		.amdhsa_user_sgpr_kernarg_segment_ptr 1
		.amdhsa_user_sgpr_dispatch_id 0
		.amdhsa_user_sgpr_private_segment_size 0
		.amdhsa_wavefront_size32 1
		.amdhsa_uses_dynamic_stack 0
		.amdhsa_enable_private_segment 0
		.amdhsa_system_sgpr_workgroup_id_x 1
		.amdhsa_system_sgpr_workgroup_id_y 0
		.amdhsa_system_sgpr_workgroup_id_z 0
		.amdhsa_system_sgpr_workgroup_info 0
		.amdhsa_system_vgpr_workitem_id 1
		.amdhsa_next_free_vgpr 57
		.amdhsa_next_free_sgpr 38
		.amdhsa_reserve_vcc 1
		.amdhsa_float_round_mode_32 0
		.amdhsa_float_round_mode_16_64 0
		.amdhsa_float_denorm_mode_32 3
		.amdhsa_float_denorm_mode_16_64 3
		.amdhsa_dx10_clamp 1
		.amdhsa_ieee_mode 1
		.amdhsa_fp16_overflow 0
		.amdhsa_workgroup_processor_mode 1
		.amdhsa_memory_ordered 1
		.amdhsa_forward_progress 0
		.amdhsa_shared_vgpr_count 0
		.amdhsa_exception_fp_ieee_invalid_op 0
		.amdhsa_exception_fp_denorm_src 0
		.amdhsa_exception_fp_ieee_div_zero 0
		.amdhsa_exception_fp_ieee_overflow 0
		.amdhsa_exception_fp_ieee_underflow 0
		.amdhsa_exception_fp_ieee_inexact 0
		.amdhsa_exception_int_div_zero 0
	.end_amdhsa_kernel
	.section	.text._Z16wvSplitK_hf_big_I14__hip_bfloat16Li32ELi3ELi16ELi8ELi2ELi1EEviiiiiiPKT_S3_S3_PS1_ii,"axG",@progbits,_Z16wvSplitK_hf_big_I14__hip_bfloat16Li32ELi3ELi16ELi8ELi2ELi1EEviiiiiiPKT_S3_S3_PS1_ii,comdat
.Lfunc_end166:
	.size	_Z16wvSplitK_hf_big_I14__hip_bfloat16Li32ELi3ELi16ELi8ELi2ELi1EEviiiiiiPKT_S3_S3_PS1_ii, .Lfunc_end166-_Z16wvSplitK_hf_big_I14__hip_bfloat16Li32ELi3ELi16ELi8ELi2ELi1EEviiiiiiPKT_S3_S3_PS1_ii
                                        ; -- End function
	.section	.AMDGPU.csdata,"",@progbits
; Kernel info:
; codeLenInByte = 3588
; NumSgprs: 40
; NumVgprs: 57
; ScratchSize: 0
; MemoryBound: 0
; FloatMode: 240
; IeeeMode: 1
; LDSByteSize: 65536 bytes/workgroup (compile time only)
; SGPRBlocks: 4
; VGPRBlocks: 7
; NumSGPRsForWavesPerEU: 40
; NumVGPRsForWavesPerEU: 57
; Occupancy: 8
; WaveLimiterHint : 0
; COMPUTE_PGM_RSRC2:SCRATCH_EN: 0
; COMPUTE_PGM_RSRC2:USER_SGPR: 15
; COMPUTE_PGM_RSRC2:TRAP_HANDLER: 0
; COMPUTE_PGM_RSRC2:TGID_X_EN: 1
; COMPUTE_PGM_RSRC2:TGID_Y_EN: 0
; COMPUTE_PGM_RSRC2:TGID_Z_EN: 0
; COMPUTE_PGM_RSRC2:TIDIG_COMP_CNT: 1
	.section	.text._Z16wvSplitK_hf_sml_I14__hip_bfloat16Li32ELi4ELi16ELi8ELi1ELi1EEviiiiiiPKT_S3_S3_PS1_ii,"axG",@progbits,_Z16wvSplitK_hf_sml_I14__hip_bfloat16Li32ELi4ELi16ELi8ELi1ELi1EEviiiiiiPKT_S3_S3_PS1_ii,comdat
	.protected	_Z16wvSplitK_hf_sml_I14__hip_bfloat16Li32ELi4ELi16ELi8ELi1ELi1EEviiiiiiPKT_S3_S3_PS1_ii ; -- Begin function _Z16wvSplitK_hf_sml_I14__hip_bfloat16Li32ELi4ELi16ELi8ELi1ELi1EEviiiiiiPKT_S3_S3_PS1_ii
	.globl	_Z16wvSplitK_hf_sml_I14__hip_bfloat16Li32ELi4ELi16ELi8ELi1ELi1EEviiiiiiPKT_S3_S3_PS1_ii
	.p2align	8
	.type	_Z16wvSplitK_hf_sml_I14__hip_bfloat16Li32ELi4ELi16ELi8ELi1ELi1EEviiiiiiPKT_S3_S3_PS1_ii,@function
_Z16wvSplitK_hf_sml_I14__hip_bfloat16Li32ELi4ELi16ELi8ELi1ELi1EEviiiiiiPKT_S3_S3_PS1_ii: ; @_Z16wvSplitK_hf_sml_I14__hip_bfloat16Li32ELi4ELi16ELi8ELi1ELi1EEviiiiiiPKT_S3_S3_PS1_ii
; %bb.0:
	s_load_b128 s[4:7], s[0:1], 0x0
	v_and_b32_e32 v1, 0x3ff, v0
	v_bfe_u32 v0, v0, 10, 10
	s_delay_alu instid0(VALU_DEP_2) | instskip(NEXT) | instid1(VALU_DEP_1)
	v_lshlrev_b32_e32 v31, 3, v1
	v_lshl_add_u32 v3, v0, 8, v31
	s_waitcnt lgkmcnt(0)
	s_min_u32 s8, s6, 0x8000
	s_mov_b32 s6, exec_lo
	s_delay_alu instid0(VALU_DEP_1)
	v_cmpx_gt_u32_e64 s8, v3
	s_cbranch_execz .LBB167_9
; %bb.1:
	s_load_b64 s[2:3], s[0:1], 0x20
	v_lshlrev_b32_e32 v2, 1, v3
	v_add_nc_u32_e32 v8, 0x1000, v3
	s_mov_b32 s9, exec_lo
	s_waitcnt lgkmcnt(0)
	global_load_b128 v[4:7], v2, s[2:3]
	s_waitcnt vmcnt(0)
	ds_store_b128 v2, v[4:7]
	v_cmpx_gt_u32_e64 s8, v8
	s_xor_b32 s9, exec_lo, s9
	s_cbranch_execz .LBB167_9
; %bb.2:
	v_add_co_u32 v4, s2, s2, v2
	s_delay_alu instid0(VALU_DEP_1) | instskip(SKIP_1) | instid1(VALU_DEP_3)
	v_add_co_ci_u32_e64 v5, null, s3, 0, s2
	v_add_nc_u32_e32 v10, 0x2000, v3
	v_add_co_u32 v6, vcc_lo, 0x2000, v4
	s_delay_alu instid0(VALU_DEP_3)
	v_add_co_ci_u32_e32 v7, vcc_lo, 0, v5, vcc_lo
	s_mov_b32 s2, exec_lo
	global_load_b128 v[6:9], v[6:7], off
	s_waitcnt vmcnt(0)
	ds_store_b128 v2, v[6:9] offset:8192
	v_cmpx_gt_u32_e64 s8, v10
	s_xor_b32 s2, exec_lo, s2
	s_cbranch_execz .LBB167_9
; %bb.3:
	v_add_co_u32 v6, vcc_lo, 0x4000, v4
	v_add_co_ci_u32_e32 v7, vcc_lo, 0, v5, vcc_lo
	v_add_nc_u32_e32 v10, 0x3000, v3
	s_mov_b32 s2, exec_lo
	global_load_b128 v[6:9], v[6:7], off
	s_waitcnt vmcnt(0)
	ds_store_b128 v2, v[6:9] offset:16384
	v_cmpx_gt_u32_e64 s8, v10
	s_xor_b32 s2, exec_lo, s2
	s_cbranch_execz .LBB167_9
; %bb.4:
	v_add_co_u32 v6, vcc_lo, 0x6000, v4
	v_add_co_ci_u32_e32 v7, vcc_lo, 0, v5, vcc_lo
	v_add_nc_u32_e32 v10, 0x4000, v3
	;; [unrolled: 11-line block ×5, first 2 shown]
	s_mov_b32 s2, exec_lo
	global_load_b128 v[6:9], v[6:7], off
	s_waitcnt vmcnt(0)
	ds_store_b128 v2, v[6:9] offset:49152
	v_cmpx_gt_u32_e64 s8, v3
	s_xor_b32 s2, exec_lo, s2
	s_cbranch_execz .LBB167_9
; %bb.8:
	v_add_co_u32 v3, vcc_lo, 0xe000, v4
	v_add_co_ci_u32_e32 v4, vcc_lo, 0, v5, vcc_lo
	global_load_b128 v[3:6], v[3:4], off
	s_waitcnt vmcnt(0)
	ds_store_b128 v2, v[3:6] offset:57344
.LBB167_9:
	s_or_b32 exec_lo, exec_lo, s6
	s_load_b64 s[12:13], s[0:1], 0x38
	s_waitcnt lgkmcnt(0)
	s_barrier
	buffer_gl0_inv
	s_mov_b32 s2, exec_lo
	v_cmpx_gt_u32_e64 s12, v0
	s_cbranch_execz .LBB167_38
; %bb.10:
	s_load_b32 s6, s[0:1], 0x10
	s_mul_i32 s15, s15, s12
	s_delay_alu instid0(SALU_CYCLE_1) | instskip(NEXT) | instid1(VALU_DEP_1)
	v_add_lshl_u32 v20, s15, v0, 2
	v_cmp_gt_u32_e32 vcc_lo, s7, v20
	s_and_b32 exec_lo, exec_lo, vcc_lo
	s_cbranch_execz .LBB167_38
; %bb.11:
	s_waitcnt lgkmcnt(0)
	v_cvt_f32_u32_e32 v0, s6
	v_mbcnt_lo_u32_b32 v2, -1, 0
	s_clause 0x1
	s_load_b128 s[8:11], s[0:1], 0x28
	s_load_b64 s[2:3], s[0:1], 0x18
	s_cmp_lg_u32 s4, 0
	v_rcp_iflag_f32_e32 v0, v0
	v_xor_b32_e32 v4, 16, v2
	s_cselect_b32 s1, -1, 0
	s_add_i32 s14, s4, -8
	s_add_i32 s15, s7, -1
	v_mov_b32_e32 v22, 0
	v_cmp_gt_i32_e32 vcc_lo, 32, v4
	v_lshlrev_b32_e32 v32, 4, v1
	s_mul_i32 s13, s12, s13
	s_mov_b32 s12, 0
	v_cndmask_b32_e32 v2, v2, v4, vcc_lo
	s_waitcnt_depctr 0xfff
	v_dual_mul_f32 v0, 0x4f7ffffe, v0 :: v_dual_lshlrev_b32 v33, 2, v2
	s_delay_alu instid0(VALU_DEP_1)
	v_cvt_u32_f32_e32 v0, v0
	s_waitcnt lgkmcnt(0)
	s_cmp_lg_u64 s[8:9], 0
	s_cselect_b32 s16, -1, 0
	s_sub_i32 s0, 0, s6
	s_lshl_b32 s13, s13, 2
	v_mul_lo_u32 v3, s0, v0
	v_cmp_eq_u32_e64 s0, 31, v1
	s_delay_alu instid0(VALU_DEP_2) | instskip(NEXT) | instid1(VALU_DEP_1)
	v_mul_hi_u32 v3, v0, v3
	v_add_nc_u32_e32 v34, v0, v3
	s_branch .LBB167_14
.LBB167_12:                             ;   in Loop: Header=BB167_14 Depth=1
	s_or_b32 exec_lo, exec_lo, s18
	global_store_d16_hi_b16 v[0:1], v3, off offset:6
.LBB167_13:                             ;   in Loop: Header=BB167_14 Depth=1
	s_or_b32 exec_lo, exec_lo, s17
	v_add_nc_u32_e32 v20, s13, v20
	s_delay_alu instid0(VALU_DEP_1) | instskip(SKIP_1) | instid1(SALU_CYCLE_1)
	v_cmp_le_u32_e32 vcc_lo, s7, v20
	s_or_b32 s12, vcc_lo, s12
	s_and_not1_b32 exec_lo, exec_lo, s12
	s_cbranch_execz .LBB167_38
.LBB167_14:                             ; =>This Loop Header: Depth=1
                                        ;     Child Loop BB167_17 Depth 2
	v_mov_b32_e32 v35, v22
	v_mov_b32_e32 v36, v22
	;; [unrolled: 1-line block ×4, first 2 shown]
	s_and_not1_b32 vcc_lo, exec_lo, s1
	s_cbranch_vccnz .LBB167_19
; %bb.15:                               ;   in Loop: Header=BB167_14 Depth=1
	v_or_b32_e32 v0, 1, v20
	s_waitcnt lgkmcnt(2)
	v_or_b32_e32 v1, 2, v20
	v_or_b32_e32 v2, 3, v20
	s_waitcnt lgkmcnt(0)
	v_min_u32_e32 v3, s15, v20
	v_mov_b32_e32 v5, v22
	v_min_u32_e32 v0, s15, v0
	v_min_u32_e32 v1, s15, v1
	;; [unrolled: 1-line block ×3, first 2 shown]
	v_mul_lo_u32 v21, v3, s5
	v_dual_mov_b32 v3, v22 :: v_dual_mov_b32 v36, 0
	v_mul_lo_u32 v0, v0, s5
	v_mul_lo_u32 v2, v1, s5
	;; [unrolled: 1-line block ×3, first 2 shown]
	v_dual_mov_b32 v1, v22 :: v_dual_mov_b32 v38, 0
	v_lshlrev_b64 v[23:24], 1, v[21:22]
	v_mov_b32_e32 v39, 0
	v_mov_b32_e32 v37, v32
	s_delay_alu instid0(VALU_DEP_4)
	v_lshlrev_b64 v[25:26], 1, v[0:1]
	v_lshlrev_b64 v[27:28], 1, v[2:3]
	;; [unrolled: 1-line block ×3, first 2 shown]
	v_mov_b32_e32 v35, 0
	s_mov_b32 s17, 0
	s_branch .LBB167_17
.LBB167_16:                             ;   in Loop: Header=BB167_17 Depth=2
	s_or_b32 exec_lo, exec_lo, s18
	s_waitcnt lgkmcnt(0)
	v_and_b32_e32 v41, 0xffff0000, v17
	s_waitcnt vmcnt(3)
	v_and_b32_e32 v42, 0xffff0000, v13
	v_and_b32_e32 v21, 0xffff0000, v16
	v_lshlrev_b32_e32 v17, 16, v17
	s_addk_i32 s17, 0x100
	s_delay_alu instid0(VALU_DEP_3) | instskip(SKIP_4) | instid1(VALU_DEP_1)
	v_dual_mul_f32 v42, v41, v42 :: v_dual_add_nc_u32 v37, 0x200, v37
	v_and_b32_e32 v43, 0xffff0000, v18
	v_lshlrev_b32_e32 v13, 16, v13
	s_cmp_ge_u32 s17, s4
	s_waitcnt vmcnt(2)
	v_dual_fmac_f32 v42, v17, v13 :: v_dual_and_b32 v13, 0xffff0000, v8
	v_and_b32_e32 v40, 0xffff0000, v12
	s_delay_alu instid0(VALU_DEP_2) | instskip(NEXT) | instid1(VALU_DEP_2)
	v_dual_mul_f32 v13, v21, v13 :: v_dual_lshlrev_b32 v8, 16, v8
	v_mul_f32_e32 v40, v21, v40
	v_lshlrev_b32_e32 v16, 16, v16
	s_delay_alu instid0(VALU_DEP_1) | instskip(NEXT) | instid1(VALU_DEP_1)
	v_dual_fmac_f32 v13, v16, v8 :: v_dual_lshlrev_b32 v18, 16, v18
	v_dual_add_f32 v13, v38, v13 :: v_dual_lshlrev_b32 v12, 16, v12
	s_delay_alu instid0(VALU_DEP_1) | instskip(SKIP_2) | instid1(VALU_DEP_3)
	v_fmac_f32_e32 v40, v16, v12
	v_lshlrev_b32_e32 v8, 16, v9
	v_and_b32_e32 v12, 0xffff0000, v14
	v_dual_add_f32 v39, v39, v40 :: v_dual_lshlrev_b32 v14, 16, v14
	s_delay_alu instid0(VALU_DEP_2) | instskip(NEXT) | instid1(VALU_DEP_1)
	v_mul_f32_e32 v12, v43, v12
	v_fmac_f32_e32 v12, v18, v14
	s_delay_alu instid0(VALU_DEP_3) | instskip(NEXT) | instid1(VALU_DEP_1)
	v_dual_add_f32 v14, v39, v42 :: v_dual_and_b32 v39, 0xffff0000, v9
	v_dual_add_f32 v12, v14, v12 :: v_dual_mul_f32 v9, v41, v39
	s_delay_alu instid0(VALU_DEP_1) | instskip(NEXT) | instid1(VALU_DEP_1)
	v_dual_fmac_f32 v9, v17, v8 :: v_dual_lshlrev_b32 v14, 16, v19
	v_dual_add_f32 v9, v13, v9 :: v_dual_lshlrev_b32 v8, 16, v10
	s_waitcnt vmcnt(1)
	v_and_b32_e32 v13, 0xffff0000, v5
	v_and_b32_e32 v40, 0xffff0000, v19
	;; [unrolled: 1-line block ×3, first 2 shown]
	s_delay_alu instid0(VALU_DEP_1) | instskip(SKIP_2) | instid1(VALU_DEP_3)
	v_dual_mul_f32 v10, v43, v19 :: v_dual_and_b32 v19, 0xffff0000, v4
	v_and_b32_e32 v39, 0xffff0000, v15
	v_lshlrev_b32_e32 v4, 16, v4
	v_fmac_f32_e32 v10, v18, v8
	s_delay_alu instid0(VALU_DEP_4) | instskip(SKIP_1) | instid1(VALU_DEP_2)
	v_mul_f32_e32 v8, v21, v19
	v_lshlrev_b32_e32 v15, 16, v15
	v_dual_add_f32 v9, v9, v10 :: v_dual_fmac_f32 v8, v16, v4
	v_lshlrev_b32_e32 v4, 16, v5
	v_dual_mul_f32 v5, v41, v13 :: v_dual_mul_f32 v38, v40, v39
	s_waitcnt vmcnt(0)
	v_and_b32_e32 v13, 0xffff0000, v0
	v_lshlrev_b32_e32 v0, 16, v0
	s_delay_alu instid0(VALU_DEP_2) | instskip(NEXT) | instid1(VALU_DEP_1)
	v_dual_add_f32 v8, v36, v8 :: v_dual_mul_f32 v13, v21, v13
	v_dual_fmac_f32 v13, v16, v0 :: v_dual_fmac_f32 v38, v14, v15
	v_and_b32_e32 v15, 0xffff0000, v1
	v_lshlrev_b32_e32 v0, 16, v1
	s_delay_alu instid0(VALU_DEP_3) | instskip(NEXT) | instid1(VALU_DEP_4)
	v_add_f32_e32 v13, v35, v13
	v_add_f32_e32 v39, v12, v38
	s_delay_alu instid0(VALU_DEP_4) | instskip(SKIP_2) | instid1(VALU_DEP_3)
	v_mul_f32_e32 v1, v41, v15
	v_dual_fmac_f32 v5, v17, v4 :: v_dual_and_b32 v10, 0xffff0000, v11
	v_lshlrev_b32_e32 v11, 16, v11
	v_dual_fmac_f32 v1, v17, v0 :: v_dual_and_b32 v4, 0xffff0000, v6
	s_delay_alu instid0(VALU_DEP_3) | instskip(NEXT) | instid1(VALU_DEP_2)
	v_dual_add_f32 v5, v8, v5 :: v_dual_lshlrev_b32 v6, 16, v6
	v_dual_add_f32 v1, v13, v1 :: v_dual_and_b32 v8, 0xffff0000, v7
	s_delay_alu instid0(VALU_DEP_3) | instskip(SKIP_2) | instid1(VALU_DEP_4)
	v_mul_f32_e32 v4, v43, v4
	v_lshlrev_b32_e32 v0, 16, v2
	v_mul_f32_e32 v10, v40, v10
	v_mul_f32_e32 v8, v40, v8
	s_delay_alu instid0(VALU_DEP_4) | instskip(SKIP_1) | instid1(VALU_DEP_4)
	v_fmac_f32_e32 v4, v18, v6
	v_and_b32_e32 v6, 0xffff0000, v2
	v_fmac_f32_e32 v10, v14, v11
	s_delay_alu instid0(VALU_DEP_2) | instskip(SKIP_1) | instid1(VALU_DEP_3)
	v_mul_f32_e32 v2, v43, v6
	v_lshlrev_b32_e32 v6, 16, v7
	v_dual_add_f32 v38, v9, v10 :: v_dual_and_b32 v7, 0xffff0000, v3
	s_delay_alu instid0(VALU_DEP_3) | instskip(SKIP_1) | instid1(VALU_DEP_3)
	v_fmac_f32_e32 v2, v18, v0
	v_lshlrev_b32_e32 v0, 16, v3
	v_dual_mul_f32 v3, v40, v7 :: v_dual_fmac_f32 v8, v14, v6
	s_delay_alu instid0(VALU_DEP_3) | instskip(NEXT) | instid1(VALU_DEP_2)
	v_add_f32_e32 v1, v1, v2
	v_fmac_f32_e32 v3, v14, v0
	s_delay_alu instid0(VALU_DEP_1) | instskip(SKIP_1) | instid1(VALU_DEP_1)
	v_add_f32_e32 v35, v1, v3
	v_add_f32_e32 v4, v5, v4
	;; [unrolled: 1-line block ×3, first 2 shown]
	s_cbranch_scc1 .LBB167_19
.LBB167_17:                             ;   Parent Loop BB167_14 Depth=1
                                        ; =>  This Inner Loop Header: Depth=2
	v_dual_mov_b32 v19, 0 :: v_dual_add_nc_u32 v18, s17, v31
	s_delay_alu instid0(VALU_DEP_1) | instskip(NEXT) | instid1(VALU_DEP_1)
	v_min_u32_e32 v21, s14, v18
	v_lshlrev_b64 v[0:1], 1, v[21:22]
	s_delay_alu instid0(VALU_DEP_1) | instskip(NEXT) | instid1(VALU_DEP_2)
	v_add_co_u32 v6, vcc_lo, s2, v0
	v_add_co_ci_u32_e32 v7, vcc_lo, s3, v1, vcc_lo
	s_delay_alu instid0(VALU_DEP_2) | instskip(NEXT) | instid1(VALU_DEP_2)
	v_add_co_u32 v0, vcc_lo, v6, v23
	v_add_co_ci_u32_e32 v1, vcc_lo, v7, v24, vcc_lo
	v_add_co_u32 v2, vcc_lo, v6, v25
	v_add_co_ci_u32_e32 v3, vcc_lo, v7, v26, vcc_lo
	v_add_co_u32 v4, vcc_lo, v6, v27
	v_add_co_ci_u32_e32 v5, vcc_lo, v7, v28, vcc_lo
	v_add_co_u32 v16, vcc_lo, v6, v29
	v_add_co_ci_u32_e32 v17, vcc_lo, v7, v30, vcc_lo
	s_clause 0x3
	global_load_b128 v[12:15], v[0:1], off slc dlc
	global_load_b128 v[8:11], v[2:3], off slc dlc
	;; [unrolled: 1-line block ×4, first 2 shown]
	v_cmp_gt_u32_e32 vcc_lo, s4, v18
	v_dual_mov_b32 v18, 0 :: v_dual_mov_b32 v17, 0
	v_mov_b32_e32 v16, 0
	s_and_saveexec_b32 s18, vcc_lo
	s_cbranch_execz .LBB167_16
; %bb.18:                               ;   in Loop: Header=BB167_17 Depth=2
	ds_load_b128 v[16:19], v37
	s_branch .LBB167_16
.LBB167_19:                             ;   in Loop: Header=BB167_14 Depth=1
	; sched_barrier mask(0x00000000)
	s_delay_alu instid0(VALU_DEP_1)
	v_cvt_i32_f32_e32 v0, v39
	s_waitcnt lgkmcnt(2)
	v_cvt_i32_f32_e32 v1, v38
	v_cvt_i32_f32_e32 v2, v36
	s_waitcnt lgkmcnt(0)
	v_cvt_i32_f32_e32 v3, v35
	v_cvt_f32_i32_dpp v0, v0 row_shr:8 row_mask:0xf bank_mask:0xf bound_ctrl:1
	v_cvt_f32_i32_dpp v1, v1 row_shr:8 row_mask:0xf bank_mask:0xf bound_ctrl:1
	;; [unrolled: 1-line block ×3, first 2 shown]
	s_delay_alu instid0(VALU_DEP_4) | instskip(NEXT) | instid1(VALU_DEP_3)
	v_cvt_f32_i32_dpp v3, v3 row_shr:8 row_mask:0xf bank_mask:0xf bound_ctrl:1
	v_dual_add_f32 v0, v39, v0 :: v_dual_add_f32 v1, v38, v1
	s_delay_alu instid0(VALU_DEP_2) | instskip(NEXT) | instid1(VALU_DEP_2)
	v_dual_add_f32 v2, v36, v2 :: v_dual_add_f32 v3, v35, v3
	v_cvt_i32_f32_e32 v4, v0
	s_delay_alu instid0(VALU_DEP_3) | instskip(NEXT) | instid1(VALU_DEP_3)
	v_cvt_i32_f32_e32 v5, v1
	v_cvt_i32_f32_e32 v6, v2
	s_delay_alu instid0(VALU_DEP_4) | instskip(NEXT) | instid1(VALU_DEP_4)
	v_cvt_i32_f32_e32 v7, v3
	v_cvt_f32_i32_dpp v4, v4 row_shr:4 row_mask:0xf bank_mask:0xf bound_ctrl:1
	s_delay_alu instid0(VALU_DEP_4) | instskip(NEXT) | instid1(VALU_DEP_4)
	v_cvt_f32_i32_dpp v5, v5 row_shr:4 row_mask:0xf bank_mask:0xf bound_ctrl:1
	v_cvt_f32_i32_dpp v6, v6 row_shr:4 row_mask:0xf bank_mask:0xf bound_ctrl:1
	s_delay_alu instid0(VALU_DEP_4) | instskip(NEXT) | instid1(VALU_DEP_3)
	v_cvt_f32_i32_dpp v7, v7 row_shr:4 row_mask:0xf bank_mask:0xf bound_ctrl:1
	v_dual_add_f32 v0, v0, v4 :: v_dual_add_f32 v1, v1, v5
	s_delay_alu instid0(VALU_DEP_2) | instskip(NEXT) | instid1(VALU_DEP_2)
	v_dual_add_f32 v2, v2, v6 :: v_dual_add_f32 v3, v3, v7
	v_cvt_i32_f32_e32 v4, v0
	s_delay_alu instid0(VALU_DEP_3) | instskip(NEXT) | instid1(VALU_DEP_3)
	v_cvt_i32_f32_e32 v5, v1
	v_cvt_i32_f32_e32 v6, v2
	s_delay_alu instid0(VALU_DEP_4) | instskip(NEXT) | instid1(VALU_DEP_4)
	v_cvt_i32_f32_e32 v7, v3
	v_cvt_f32_i32_dpp v4, v4 row_shr:2 row_mask:0xf bank_mask:0xf bound_ctrl:1
	s_delay_alu instid0(VALU_DEP_4) | instskip(NEXT) | instid1(VALU_DEP_4)
	v_cvt_f32_i32_dpp v5, v5 row_shr:2 row_mask:0xf bank_mask:0xf bound_ctrl:1
	v_cvt_f32_i32_dpp v6, v6 row_shr:2 row_mask:0xf bank_mask:0xf bound_ctrl:1
	;; [unrolled: 15-line block ×3, first 2 shown]
	s_delay_alu instid0(VALU_DEP_4) | instskip(NEXT) | instid1(VALU_DEP_3)
	v_cvt_f32_i32_dpp v8, v7 row_shr:1 row_mask:0xf bank_mask:0xf bound_ctrl:1
	v_dual_add_f32 v7, v0, v4 :: v_dual_add_f32 v0, v1, v5
	s_delay_alu instid0(VALU_DEP_3) | instskip(NEXT) | instid1(VALU_DEP_3)
	v_add_f32_e32 v4, v2, v6
	v_add_f32_e32 v2, v3, v8
	ds_bpermute_b32 v8, v33, v7
	ds_bpermute_b32 v1, v33, v0
	;; [unrolled: 1-line block ×4, first 2 shown]
	s_and_saveexec_b32 s17, s0
	s_cbranch_execz .LBB167_13
; %bb.20:                               ;   in Loop: Header=BB167_14 Depth=1
	v_dual_mov_b32 v6, 0 :: v_dual_mov_b32 v9, 0
	v_dual_mov_b32 v10, 0 :: v_dual_mov_b32 v11, 0
	s_and_not1_b32 vcc_lo, exec_lo, s16
	s_cbranch_vccnz .LBB167_22
; %bb.21:                               ;   in Loop: Header=BB167_14 Depth=1
	v_mul_hi_u32 v6, v20, v34
	v_or_b32_e32 v9, 1, v20
	v_or_b32_e32 v10, 2, v20
	v_or_b32_e32 v11, 3, v20
	s_delay_alu instid0(VALU_DEP_3) | instskip(NEXT) | instid1(VALU_DEP_3)
	v_mul_hi_u32 v12, v9, v34
	v_mul_hi_u32 v13, v10, v34
	v_mul_lo_u32 v6, v6, s6
	s_delay_alu instid0(VALU_DEP_4) | instskip(NEXT) | instid1(VALU_DEP_4)
	v_mul_hi_u32 v14, v11, v34
	v_mul_lo_u32 v12, v12, s6
	s_delay_alu instid0(VALU_DEP_4) | instskip(NEXT) | instid1(VALU_DEP_4)
	v_mul_lo_u32 v13, v13, s6
	v_sub_nc_u32_e32 v6, v20, v6
	s_delay_alu instid0(VALU_DEP_4) | instskip(NEXT) | instid1(VALU_DEP_2)
	v_mul_lo_u32 v14, v14, s6
	v_subrev_nc_u32_e32 v15, s6, v6
	v_sub_nc_u32_e32 v9, v9, v12
	v_cmp_le_u32_e32 vcc_lo, s6, v6
	v_sub_nc_u32_e32 v10, v10, v13
	v_sub_nc_u32_e32 v11, v11, v14
	s_delay_alu instid0(VALU_DEP_4) | instskip(SKIP_4) | instid1(VALU_DEP_4)
	v_subrev_nc_u32_e32 v12, s6, v9
	v_cndmask_b32_e32 v6, v6, v15, vcc_lo
	v_cmp_le_u32_e32 vcc_lo, s6, v9
	v_subrev_nc_u32_e32 v13, s6, v10
	v_subrev_nc_u32_e32 v15, s6, v11
	;; [unrolled: 1-line block ×3, first 2 shown]
	v_cndmask_b32_e32 v12, v9, v12, vcc_lo
	v_cmp_le_u32_e32 vcc_lo, s6, v6
	s_delay_alu instid0(VALU_DEP_3)
	v_cndmask_b32_e32 v21, v6, v14, vcc_lo
	v_cmp_le_u32_e32 vcc_lo, s6, v10
	v_cndmask_b32_e32 v6, v10, v13, vcc_lo
	v_cmp_le_u32_e32 vcc_lo, s6, v11
	v_subrev_nc_u32_e32 v13, s6, v12
	v_lshlrev_b64 v[9:10], 1, v[21:22]
	v_cndmask_b32_e32 v15, v11, v15, vcc_lo
	v_cmp_le_u32_e32 vcc_lo, s6, v12
	s_delay_alu instid0(VALU_DEP_2) | instskip(SKIP_3) | instid1(VALU_DEP_3)
	v_subrev_nc_u32_e32 v16, s6, v15
	v_cndmask_b32_e32 v21, v12, v13, vcc_lo
	v_subrev_nc_u32_e32 v13, s6, v6
	v_cmp_le_u32_e32 vcc_lo, s6, v6
	v_lshlrev_b64 v[11:12], 1, v[21:22]
	s_delay_alu instid0(VALU_DEP_3) | instskip(SKIP_3) | instid1(VALU_DEP_4)
	v_cndmask_b32_e32 v21, v6, v13, vcc_lo
	v_add_co_u32 v9, vcc_lo, s8, v9
	v_add_co_ci_u32_e32 v10, vcc_lo, s9, v10, vcc_lo
	v_cmp_le_u32_e32 vcc_lo, s6, v15
	v_lshlrev_b64 v[13:14], 1, v[21:22]
	v_cndmask_b32_e32 v21, v15, v16, vcc_lo
	v_add_co_u32 v15, vcc_lo, s8, v11
	v_add_co_ci_u32_e32 v16, vcc_lo, s9, v12, vcc_lo
	s_delay_alu instid0(VALU_DEP_3) | instskip(SKIP_2) | instid1(VALU_DEP_3)
	v_lshlrev_b64 v[11:12], 1, v[21:22]
	v_add_co_u32 v13, vcc_lo, s8, v13
	v_add_co_ci_u32_e32 v14, vcc_lo, s9, v14, vcc_lo
	v_add_co_u32 v17, vcc_lo, s8, v11
	s_delay_alu instid0(VALU_DEP_4)
	v_add_co_ci_u32_e32 v18, vcc_lo, s9, v12, vcc_lo
	s_clause 0x3
	global_load_u16 v11, v[9:10], off
	global_load_u16 v10, v[15:16], off
	;; [unrolled: 1-line block ×4, first 2 shown]
.LBB167_22:                             ;   in Loop: Header=BB167_14 Depth=1
	s_waitcnt vmcnt(3) lgkmcnt(3)
	s_delay_alu instid0(VALU_DEP_1) | instskip(NEXT) | instid1(VALU_DEP_1)
	v_dual_add_f32 v7, v7, v8 :: v_dual_lshlrev_b32 v8, 16, v11
	v_add_f32_e32 v8, v7, v8
	s_delay_alu instid0(VALU_DEP_1) | instskip(NEXT) | instid1(VALU_DEP_1)
	v_and_b32_e32 v7, 0x7f800000, v8
	v_cmp_ne_u32_e32 vcc_lo, 0x7f800000, v7
                                        ; implicit-def: $vgpr7
	s_and_saveexec_b32 s18, vcc_lo
	s_delay_alu instid0(SALU_CYCLE_1)
	s_xor_b32 s18, exec_lo, s18
; %bb.23:                               ;   in Loop: Header=BB167_14 Depth=1
	v_bfe_u32 v7, v8, 16, 1
	s_delay_alu instid0(VALU_DEP_1)
	v_add3_u32 v7, v8, v7, 0x7fff
                                        ; implicit-def: $vgpr8
; %bb.24:                               ;   in Loop: Header=BB167_14 Depth=1
	s_and_not1_saveexec_b32 s18, s18
; %bb.25:                               ;   in Loop: Header=BB167_14 Depth=1
	v_and_b32_e32 v7, 0xffff, v8
	v_or_b32_e32 v11, 0x10000, v8
	s_delay_alu instid0(VALU_DEP_2) | instskip(NEXT) | instid1(VALU_DEP_2)
	v_cmp_eq_u32_e32 vcc_lo, 0, v7
	v_cndmask_b32_e32 v7, v11, v8, vcc_lo
; %bb.26:                               ;   in Loop: Header=BB167_14 Depth=1
	s_or_b32 exec_lo, exec_lo, s18
	s_waitcnt vmcnt(2) lgkmcnt(2)
	v_dual_add_f32 v0, v0, v1 :: v_dual_lshlrev_b32 v1, 16, v10
	v_mov_b32_e32 v21, v22
	s_mov_b32 s18, exec_lo
	s_delay_alu instid0(VALU_DEP_2) | instskip(NEXT) | instid1(VALU_DEP_2)
	v_add_f32_e32 v8, v0, v1
	v_lshlrev_b64 v[0:1], 1, v[20:21]
	s_delay_alu instid0(VALU_DEP_2) | instskip(NEXT) | instid1(VALU_DEP_2)
	v_and_b32_e32 v10, 0x7f800000, v8
	v_add_co_u32 v0, vcc_lo, s10, v0
	s_delay_alu instid0(VALU_DEP_3)
	v_add_co_ci_u32_e32 v1, vcc_lo, s11, v1, vcc_lo
	global_store_d16_hi_b16 v[0:1], v7, off
                                        ; implicit-def: $vgpr7
	v_cmpx_ne_u32_e32 0x7f800000, v10
	s_xor_b32 s18, exec_lo, s18
; %bb.27:                               ;   in Loop: Header=BB167_14 Depth=1
	v_bfe_u32 v7, v8, 16, 1
	s_delay_alu instid0(VALU_DEP_1)
	v_add3_u32 v7, v8, v7, 0x7fff
                                        ; implicit-def: $vgpr8
; %bb.28:                               ;   in Loop: Header=BB167_14 Depth=1
	s_and_not1_saveexec_b32 s18, s18
; %bb.29:                               ;   in Loop: Header=BB167_14 Depth=1
	v_and_b32_e32 v7, 0xffff, v8
	v_or_b32_e32 v10, 0x10000, v8
	s_delay_alu instid0(VALU_DEP_2) | instskip(NEXT) | instid1(VALU_DEP_2)
	v_cmp_eq_u32_e32 vcc_lo, 0, v7
	v_cndmask_b32_e32 v7, v10, v8, vcc_lo
; %bb.30:                               ;   in Loop: Header=BB167_14 Depth=1
	s_or_b32 exec_lo, exec_lo, s18
	s_waitcnt lgkmcnt(1)
	v_add_f32_e32 v4, v4, v5
	s_waitcnt vmcnt(1)
	v_lshlrev_b32_e32 v5, 16, v9
	global_store_d16_hi_b16 v[0:1], v7, off offset:2
	v_add_f32_e32 v5, v4, v5
	s_delay_alu instid0(VALU_DEP_1) | instskip(NEXT) | instid1(VALU_DEP_1)
	v_and_b32_e32 v4, 0x7f800000, v5
	v_cmp_ne_u32_e32 vcc_lo, 0x7f800000, v4
                                        ; implicit-def: $vgpr4
	s_and_saveexec_b32 s18, vcc_lo
	s_delay_alu instid0(SALU_CYCLE_1)
	s_xor_b32 s18, exec_lo, s18
; %bb.31:                               ;   in Loop: Header=BB167_14 Depth=1
	v_bfe_u32 v4, v5, 16, 1
	s_delay_alu instid0(VALU_DEP_1)
	v_add3_u32 v4, v5, v4, 0x7fff
                                        ; implicit-def: $vgpr5
; %bb.32:                               ;   in Loop: Header=BB167_14 Depth=1
	s_and_not1_saveexec_b32 s18, s18
; %bb.33:                               ;   in Loop: Header=BB167_14 Depth=1
	v_and_b32_e32 v4, 0xffff, v5
	v_or_b32_e32 v7, 0x10000, v5
	s_delay_alu instid0(VALU_DEP_2) | instskip(NEXT) | instid1(VALU_DEP_2)
	v_cmp_eq_u32_e32 vcc_lo, 0, v4
	v_cndmask_b32_e32 v4, v7, v5, vcc_lo
; %bb.34:                               ;   in Loop: Header=BB167_14 Depth=1
	s_or_b32 exec_lo, exec_lo, s18
	s_waitcnt vmcnt(0) lgkmcnt(0)
	v_dual_add_f32 v2, v2, v3 :: v_dual_lshlrev_b32 v3, 16, v6
	global_store_d16_hi_b16 v[0:1], v4, off offset:4
	v_add_f32_e32 v2, v2, v3
	s_delay_alu instid0(VALU_DEP_1) | instskip(NEXT) | instid1(VALU_DEP_1)
	v_and_b32_e32 v3, 0x7f800000, v2
	v_cmp_ne_u32_e32 vcc_lo, 0x7f800000, v3
                                        ; implicit-def: $vgpr3
	s_and_saveexec_b32 s18, vcc_lo
	s_delay_alu instid0(SALU_CYCLE_1)
	s_xor_b32 s18, exec_lo, s18
; %bb.35:                               ;   in Loop: Header=BB167_14 Depth=1
	v_bfe_u32 v3, v2, 16, 1
	s_delay_alu instid0(VALU_DEP_1)
	v_add3_u32 v3, v2, v3, 0x7fff
                                        ; implicit-def: $vgpr2
; %bb.36:                               ;   in Loop: Header=BB167_14 Depth=1
	s_and_not1_saveexec_b32 s18, s18
	s_cbranch_execz .LBB167_12
; %bb.37:                               ;   in Loop: Header=BB167_14 Depth=1
	v_and_b32_e32 v3, 0xffff, v2
	v_or_b32_e32 v4, 0x10000, v2
	s_delay_alu instid0(VALU_DEP_2) | instskip(NEXT) | instid1(VALU_DEP_2)
	v_cmp_eq_u32_e32 vcc_lo, 0, v3
	v_cndmask_b32_e32 v3, v4, v2, vcc_lo
	s_branch .LBB167_12
.LBB167_38:
	s_nop 0
	s_sendmsg sendmsg(MSG_DEALLOC_VGPRS)
	s_endpgm
	.section	.rodata,"a",@progbits
	.p2align	6, 0x0
	.amdhsa_kernel _Z16wvSplitK_hf_sml_I14__hip_bfloat16Li32ELi4ELi16ELi8ELi1ELi1EEviiiiiiPKT_S3_S3_PS1_ii
		.amdhsa_group_segment_fixed_size 65536
		.amdhsa_private_segment_fixed_size 0
		.amdhsa_kernarg_size 64
		.amdhsa_user_sgpr_count 15
		.amdhsa_user_sgpr_dispatch_ptr 0
		.amdhsa_user_sgpr_queue_ptr 0
		.amdhsa_user_sgpr_kernarg_segment_ptr 1
		.amdhsa_user_sgpr_dispatch_id 0
		.amdhsa_user_sgpr_private_segment_size 0
		.amdhsa_wavefront_size32 1
		.amdhsa_uses_dynamic_stack 0
		.amdhsa_enable_private_segment 0
		.amdhsa_system_sgpr_workgroup_id_x 1
		.amdhsa_system_sgpr_workgroup_id_y 0
		.amdhsa_system_sgpr_workgroup_id_z 0
		.amdhsa_system_sgpr_workgroup_info 0
		.amdhsa_system_vgpr_workitem_id 1
		.amdhsa_next_free_vgpr 44
		.amdhsa_next_free_sgpr 19
		.amdhsa_reserve_vcc 1
		.amdhsa_float_round_mode_32 0
		.amdhsa_float_round_mode_16_64 0
		.amdhsa_float_denorm_mode_32 3
		.amdhsa_float_denorm_mode_16_64 3
		.amdhsa_dx10_clamp 1
		.amdhsa_ieee_mode 1
		.amdhsa_fp16_overflow 0
		.amdhsa_workgroup_processor_mode 1
		.amdhsa_memory_ordered 1
		.amdhsa_forward_progress 0
		.amdhsa_shared_vgpr_count 0
		.amdhsa_exception_fp_ieee_invalid_op 0
		.amdhsa_exception_fp_denorm_src 0
		.amdhsa_exception_fp_ieee_div_zero 0
		.amdhsa_exception_fp_ieee_overflow 0
		.amdhsa_exception_fp_ieee_underflow 0
		.amdhsa_exception_fp_ieee_inexact 0
		.amdhsa_exception_int_div_zero 0
	.end_amdhsa_kernel
	.section	.text._Z16wvSplitK_hf_sml_I14__hip_bfloat16Li32ELi4ELi16ELi8ELi1ELi1EEviiiiiiPKT_S3_S3_PS1_ii,"axG",@progbits,_Z16wvSplitK_hf_sml_I14__hip_bfloat16Li32ELi4ELi16ELi8ELi1ELi1EEviiiiiiPKT_S3_S3_PS1_ii,comdat
.Lfunc_end167:
	.size	_Z16wvSplitK_hf_sml_I14__hip_bfloat16Li32ELi4ELi16ELi8ELi1ELi1EEviiiiiiPKT_S3_S3_PS1_ii, .Lfunc_end167-_Z16wvSplitK_hf_sml_I14__hip_bfloat16Li32ELi4ELi16ELi8ELi1ELi1EEviiiiiiPKT_S3_S3_PS1_ii
                                        ; -- End function
	.section	.AMDGPU.csdata,"",@progbits
; Kernel info:
; codeLenInByte = 3000
; NumSgprs: 21
; NumVgprs: 44
; ScratchSize: 0
; MemoryBound: 0
; FloatMode: 240
; IeeeMode: 1
; LDSByteSize: 65536 bytes/workgroup (compile time only)
; SGPRBlocks: 2
; VGPRBlocks: 5
; NumSGPRsForWavesPerEU: 21
; NumVGPRsForWavesPerEU: 44
; Occupancy: 8
; WaveLimiterHint : 0
; COMPUTE_PGM_RSRC2:SCRATCH_EN: 0
; COMPUTE_PGM_RSRC2:USER_SGPR: 15
; COMPUTE_PGM_RSRC2:TRAP_HANDLER: 0
; COMPUTE_PGM_RSRC2:TGID_X_EN: 1
; COMPUTE_PGM_RSRC2:TGID_Y_EN: 0
; COMPUTE_PGM_RSRC2:TGID_Z_EN: 0
; COMPUTE_PGM_RSRC2:TIDIG_COMP_CNT: 1
	.section	.text._Z12wvSplitK_hf_I14__hip_bfloat16Li32ELi4ELi16ELi8ELi1ELi1EEviiiiiiPKT_S3_S3_PS1_ii,"axG",@progbits,_Z12wvSplitK_hf_I14__hip_bfloat16Li32ELi4ELi16ELi8ELi1ELi1EEviiiiiiPKT_S3_S3_PS1_ii,comdat
	.protected	_Z12wvSplitK_hf_I14__hip_bfloat16Li32ELi4ELi16ELi8ELi1ELi1EEviiiiiiPKT_S3_S3_PS1_ii ; -- Begin function _Z12wvSplitK_hf_I14__hip_bfloat16Li32ELi4ELi16ELi8ELi1ELi1EEviiiiiiPKT_S3_S3_PS1_ii
	.globl	_Z12wvSplitK_hf_I14__hip_bfloat16Li32ELi4ELi16ELi8ELi1ELi1EEviiiiiiPKT_S3_S3_PS1_ii
	.p2align	8
	.type	_Z12wvSplitK_hf_I14__hip_bfloat16Li32ELi4ELi16ELi8ELi1ELi1EEviiiiiiPKT_S3_S3_PS1_ii,@function
_Z12wvSplitK_hf_I14__hip_bfloat16Li32ELi4ELi16ELi8ELi1ELi1EEviiiiiiPKT_S3_S3_PS1_ii: ; @_Z12wvSplitK_hf_I14__hip_bfloat16Li32ELi4ELi16ELi8ELi1ELi1EEviiiiiiPKT_S3_S3_PS1_ii
; %bb.0:
	s_clause 0x1
	s_load_b64 s[16:17], s[0:1], 0x38
	s_load_b128 s[4:7], s[0:1], 0x0
	v_bfe_u32 v5, v0, 10, 10
	s_clause 0x1
	s_load_b64 s[12:13], s[0:1], 0x20
	s_load_b32 s18, s[0:1], 0x10
	s_mov_b32 s8, 1
	s_delay_alu instid0(SALU_CYCLE_1) | instskip(SKIP_4) | instid1(SALU_CYCLE_1)
	s_mov_b32 s9, s8
	s_mov_b32 s10, s8
	;; [unrolled: 1-line block ×3, first 2 shown]
	s_waitcnt lgkmcnt(0)
	s_mul_i32 s15, s15, s16
	v_add_lshl_u32 v25, s15, v5, 2
	s_delay_alu instid0(VALU_DEP_1) | instskip(SKIP_1) | instid1(VALU_DEP_2)
	v_add_nc_u32_e32 v1, 4, v25
	v_cmp_gt_u32_e32 vcc_lo, s7, v25
	v_cmp_le_u32_e64 s2, s7, v1
	v_dual_mov_b32 v1, s8 :: v_dual_mov_b32 v4, s11
	v_dual_mov_b32 v2, s9 :: v_dual_mov_b32 v3, s10
	s_delay_alu instid0(VALU_DEP_3) | instskip(NEXT) | instid1(SALU_CYCLE_1)
	s_and_b32 s2, vcc_lo, s2
	s_and_saveexec_b32 s14, s2
	s_cbranch_execz .LBB168_6
; %bb.1:
	v_dual_mov_b32 v1, s8 :: v_dual_mov_b32 v2, s9
	v_dual_mov_b32 v3, s10 :: v_dual_mov_b32 v4, s11
	s_add_i32 s15, s7, -4
	s_mov_b32 s19, exec_lo
	v_cmpx_ne_u32_e64 s15, v25
	s_cbranch_execz .LBB168_5
; %bb.2:
	v_subrev_nc_u32_e32 v1, s15, v25
	s_mov_b32 s20, 0
	s_mov_b64 s[2:3], 0
	s_mov_b32 s9, s8
	s_mov_b32 s10, s8
	v_cmp_lt_u32_e32 vcc_lo, 1, v1
	s_mov_b32 s11, s8
	v_cndmask_b32_e32 v6, 1, v1, vcc_lo
	.p2align	6
.LBB168_3:                              ; =>This Inner Loop Header: Depth=1
	s_cmp_lg_u32 s2, 3
	s_cselect_b32 s11, s11, 0
	s_cmp_lg_u32 s2, 2
	s_cselect_b32 s10, s10, 0
	;; [unrolled: 2-line block ×4, first 2 shown]
	s_add_u32 s2, s2, 1
	v_dual_mov_b32 v1, s8 :: v_dual_mov_b32 v2, s9
	v_cmp_eq_u32_e32 vcc_lo, s2, v6
	v_dual_mov_b32 v3, s10 :: v_dual_mov_b32 v4, s11
	s_addc_u32 s3, s3, 0
	s_or_b32 s20, vcc_lo, s20
	s_delay_alu instid0(SALU_CYCLE_1)
	s_and_not1_b32 exec_lo, exec_lo, s20
	s_cbranch_execnz .LBB168_3
; %bb.4:
	s_or_b32 exec_lo, exec_lo, s20
	v_mov_b32_e32 v25, s15
.LBB168_5:
	s_or_b32 exec_lo, exec_lo, s19
.LBB168_6:
	s_delay_alu instid0(SALU_CYCLE_1) | instskip(SKIP_3) | instid1(VALU_DEP_1)
	s_or_b32 exec_lo, exec_lo, s14
	v_and_b32_e32 v6, 0x3ff, v0
	s_min_u32 s3, s6, 0x8000
	s_mov_b32 s2, exec_lo
	v_lshlrev_b32_e32 v0, 3, v6
	s_delay_alu instid0(VALU_DEP_1) | instskip(NEXT) | instid1(VALU_DEP_1)
	v_lshl_add_u32 v8, v5, 8, v0
	v_cmpx_gt_u32_e64 s3, v8
	s_cbranch_execz .LBB168_15
; %bb.7:
	v_lshlrev_b32_e32 v7, 1, v8
	v_add_nc_u32_e32 v13, 0x1000, v8
	s_mov_b32 s6, exec_lo
	global_load_b128 v[9:12], v7, s[12:13]
	s_waitcnt vmcnt(0)
	ds_store_b128 v7, v[9:12]
	v_cmpx_gt_u32_e64 s3, v13
	s_xor_b32 s6, exec_lo, s6
	s_cbranch_execz .LBB168_15
; %bb.8:
	v_add_co_u32 v9, s6, s12, v7
	s_delay_alu instid0(VALU_DEP_1) | instskip(SKIP_1) | instid1(VALU_DEP_3)
	v_add_co_ci_u32_e64 v10, null, s13, 0, s6
	v_add_nc_u32_e32 v15, 0x2000, v8
	v_add_co_u32 v11, vcc_lo, 0x2000, v9
	s_delay_alu instid0(VALU_DEP_3)
	v_add_co_ci_u32_e32 v12, vcc_lo, 0, v10, vcc_lo
	s_mov_b32 s6, exec_lo
	global_load_b128 v[11:14], v[11:12], off
	s_waitcnt vmcnt(0)
	ds_store_b128 v7, v[11:14] offset:8192
	v_cmpx_gt_u32_e64 s3, v15
	s_xor_b32 s6, exec_lo, s6
	s_cbranch_execz .LBB168_15
; %bb.9:
	v_add_co_u32 v11, vcc_lo, 0x4000, v9
	v_add_co_ci_u32_e32 v12, vcc_lo, 0, v10, vcc_lo
	v_add_nc_u32_e32 v15, 0x3000, v8
	s_mov_b32 s6, exec_lo
	global_load_b128 v[11:14], v[11:12], off
	s_waitcnt vmcnt(0)
	ds_store_b128 v7, v[11:14] offset:16384
	v_cmpx_gt_u32_e64 s3, v15
	s_xor_b32 s6, exec_lo, s6
	s_cbranch_execz .LBB168_15
; %bb.10:
	v_add_co_u32 v11, vcc_lo, 0x6000, v9
	v_add_co_ci_u32_e32 v12, vcc_lo, 0, v10, vcc_lo
	v_add_nc_u32_e32 v15, 0x4000, v8
	;; [unrolled: 11-line block ×5, first 2 shown]
	global_load_b128 v[11:14], v[11:12], off
	v_cmp_gt_u32_e32 vcc_lo, s3, v8
	s_waitcnt vmcnt(0)
	ds_store_b128 v7, v[11:14] offset:49152
	s_and_saveexec_b32 s3, vcc_lo
	s_delay_alu instid0(SALU_CYCLE_1)
	s_xor_b32 s3, exec_lo, s3
	s_cbranch_execz .LBB168_15
; %bb.14:
	v_add_co_u32 v8, vcc_lo, 0xe000, v9
	v_add_co_ci_u32_e32 v9, vcc_lo, 0, v10, vcc_lo
	global_load_b128 v[8:11], v[8:9], off
	s_waitcnt vmcnt(0)
	ds_store_b128 v7, v[8:11] offset:57344
.LBB168_15:
	s_or_b32 exec_lo, exec_lo, s2
	v_cmp_gt_u32_e32 vcc_lo, s16, v5
	v_cmp_gt_u32_e64 s2, s7, v25
	s_waitcnt lgkmcnt(0)
	s_barrier
	buffer_gl0_inv
	s_and_b32 s2, vcc_lo, s2
	s_delay_alu instid0(SALU_CYCLE_1)
	s_and_saveexec_b32 s3, s2
	s_cbranch_execz .LBB168_60
; %bb.16:
	v_cvt_f32_u32_e32 v5, s18
	v_mbcnt_lo_u32_b32 v7, -1, 0
	s_clause 0x1
	s_load_b128 s[8:11], s[0:1], 0x28
	s_load_b64 s[14:15], s[0:1], 0x18
	s_cmp_lg_u32 s4, 0
	v_rcp_iflag_f32_e32 v5, v5
	v_xor_b32_e32 v9, 16, v7
	s_cselect_b32 s6, -1, 0
	s_add_i32 s19, s4, -8
	s_add_i32 s20, s7, -1
	v_mov_b32_e32 v27, 0
	v_cmp_gt_i32_e32 vcc_lo, 32, v9
	v_lshlrev_b32_e32 v41, 4, v6
	s_mul_i32 s1, s16, s17
	s_mov_b32 s22, 0
	v_cndmask_b32_e32 v7, v7, v9, vcc_lo
	s_waitcnt_depctr 0xfff
	v_dual_mul_f32 v5, 0x4f7ffffe, v5 :: v_dual_lshlrev_b32 v42, 2, v7
	s_delay_alu instid0(VALU_DEP_1)
	v_cvt_u32_f32_e32 v5, v5
	s_waitcnt lgkmcnt(0)
	s_cmp_lg_u64 s[8:9], 0
	s_cselect_b32 s21, -1, 0
	s_sub_i32 s0, 0, s18
	s_lshl_b32 s23, s1, 2
	v_mul_lo_u32 v8, s0, v5
	v_cmp_eq_u32_e64 s0, 31, v6
	s_add_i32 s24, s7, -4
	s_delay_alu instid0(VALU_DEP_2) | instskip(NEXT) | instid1(VALU_DEP_1)
	v_mul_hi_u32 v8, v5, v8
	v_add_nc_u32_e32 v43, v5, v8
	s_branch .LBB168_19
.LBB168_17:                             ;   in Loop: Header=BB168_19 Depth=1
	s_or_b32 exec_lo, exec_lo, s26
	v_mov_b32_e32 v25, s24
.LBB168_18:                             ;   in Loop: Header=BB168_19 Depth=1
	s_or_b32 exec_lo, exec_lo, s25
	s_delay_alu instid0(VALU_DEP_1) | instskip(SKIP_1) | instid1(SALU_CYCLE_1)
	v_cmp_le_u32_e32 vcc_lo, s7, v25
	s_or_b32 s22, vcc_lo, s22
	s_and_not1_b32 exec_lo, exec_lo, s22
	s_cbranch_execz .LBB168_60
.LBB168_19:                             ; =>This Loop Header: Depth=1
                                        ;     Child Loop BB168_23 Depth 2
                                        ;     Child Loop BB168_58 Depth 2
	v_dual_mov_b32 v45, v27 :: v_dual_add_nc_u32 v30, 1, v25
	v_dual_mov_b32 v44, v27 :: v_dual_add_nc_u32 v29, 2, v25
	;; [unrolled: 1-line block ×3, first 2 shown]
	v_mov_b32_e32 v48, v27
	s_and_not1_b32 vcc_lo, exec_lo, s6
	s_cbranch_vccnz .LBB168_28
; %bb.20:                               ;   in Loop: Header=BB168_19 Depth=1
	v_min_u32_e32 v5, s20, v25
	s_waitcnt lgkmcnt(0)
	v_min_u32_e32 v6, s20, v30
	v_min_u32_e32 v7, s20, v29
	v_min_u32_e32 v8, s20, v28
	v_mov_b32_e32 v10, v27
	v_mul_lo_u32 v26, v5, s5
	v_mul_lo_u32 v5, v6, s5
	v_mul_lo_u32 v7, v7, s5
	v_mul_lo_u32 v9, v8, s5
	v_dual_mov_b32 v6, v27 :: v_dual_mov_b32 v47, 0
	v_dual_mov_b32 v8, v27 :: v_dual_mov_b32 v45, 0
	v_lshlrev_b64 v[31:32], 1, v[26:27]
	s_delay_alu instid0(VALU_DEP_3) | instskip(SKIP_1) | instid1(VALU_DEP_4)
	v_lshlrev_b64 v[33:34], 1, v[5:6]
	v_mov_b32_e32 v48, 0
	v_lshlrev_b64 v[35:36], 1, v[7:8]
	v_lshlrev_b64 v[37:38], 1, v[9:10]
	v_mov_b32_e32 v46, v41
	v_mov_b32_e32 v44, 0
	s_mov_b32 s1, 0
	s_branch .LBB168_23
.LBB168_21:                             ;   in Loop: Header=BB168_23 Depth=2
	s_or_b32 exec_lo, exec_lo, s3
.LBB168_22:                             ;   in Loop: Header=BB168_23 Depth=2
	s_delay_alu instid0(SALU_CYCLE_1)
	s_or_b32 exec_lo, exec_lo, s2
	s_waitcnt vmcnt(0) lgkmcnt(0)
	v_and_b32_e32 v26, 0xffff0000, v21
	v_and_b32_e32 v40, 0xffff0000, v22
	;; [unrolled: 1-line block ×3, first 2 shown]
	v_lshlrev_b32_e32 v22, 16, v22
	v_lshlrev_b32_e32 v18, 16, v18
	s_addk_i32 s1, 0x100
	s_delay_alu instid0(VALU_DEP_3) | instskip(SKIP_2) | instid1(VALU_DEP_2)
	v_dual_mul_f32 v49, v40, v49 :: v_dual_add_nc_u32 v46, 0x200, v46
	v_and_b32_e32 v50, 0xffff0000, v23
	s_cmp_ge_u32 s1, s4
	v_dual_fmac_f32 v49, v22, v18 :: v_dual_and_b32 v18, 0xffff0000, v13
	v_and_b32_e32 v39, 0xffff0000, v17
	v_lshlrev_b32_e32 v17, 16, v17
	v_lshlrev_b32_e32 v13, 16, v13
	s_delay_alu instid0(VALU_DEP_3) | instskip(SKIP_1) | instid1(VALU_DEP_1)
	v_mul_f32_e32 v39, v26, v39
	v_lshlrev_b32_e32 v21, 16, v21
	v_fmac_f32_e32 v39, v21, v17
	s_delay_alu instid0(VALU_DEP_1) | instskip(SKIP_1) | instid1(VALU_DEP_2)
	v_dual_add_f32 v39, v48, v39 :: v_dual_mul_f32 v18, v26, v18
	v_and_b32_e32 v48, 0xffff0000, v24
	v_dual_fmac_f32 v18, v21, v13 :: v_dual_lshlrev_b32 v13, 16, v14
	v_and_b32_e32 v17, 0xffff0000, v19
	s_delay_alu instid0(VALU_DEP_2) | instskip(SKIP_1) | instid1(VALU_DEP_3)
	v_dual_add_f32 v18, v47, v18 :: v_dual_lshlrev_b32 v19, 16, v19
	v_lshlrev_b32_e32 v23, 16, v23
	v_mul_f32_e32 v17, v50, v17
	s_delay_alu instid0(VALU_DEP_1) | instskip(SKIP_2) | instid1(VALU_DEP_1)
	v_fmac_f32_e32 v17, v23, v19
	v_add_f32_e32 v19, v39, v49
	v_and_b32_e32 v39, 0xffff0000, v14
	v_dual_add_f32 v17, v19, v17 :: v_dual_mul_f32 v14, v40, v39
	v_lshlrev_b32_e32 v19, 16, v24
	v_and_b32_e32 v24, 0xffff0000, v15
	s_delay_alu instid0(VALU_DEP_3) | instskip(NEXT) | instid1(VALU_DEP_2)
	v_dual_fmac_f32 v14, v22, v13 :: v_dual_lshlrev_b32 v13, 16, v15
	v_dual_mul_f32 v15, v50, v24 :: v_dual_and_b32 v24, 0xffff0000, v9
	s_delay_alu instid0(VALU_DEP_2) | instskip(NEXT) | instid1(VALU_DEP_2)
	v_dual_add_f32 v14, v18, v14 :: v_dual_lshlrev_b32 v9, 16, v9
	v_dual_fmac_f32 v15, v23, v13 :: v_dual_and_b32 v18, 0xffff0000, v10
	s_delay_alu instid0(VALU_DEP_3) | instskip(NEXT) | instid1(VALU_DEP_1)
	v_mul_f32_e32 v13, v26, v24
	v_dual_add_f32 v14, v14, v15 :: v_dual_fmac_f32 v13, v21, v9
	v_lshlrev_b32_e32 v9, 16, v10
	s_delay_alu instid0(VALU_DEP_4) | instskip(SKIP_1) | instid1(VALU_DEP_4)
	v_mul_f32_e32 v10, v40, v18
	v_and_b32_e32 v18, 0xffff0000, v5
	v_add_f32_e32 v13, v45, v13
	s_delay_alu instid0(VALU_DEP_3) | instskip(SKIP_1) | instid1(VALU_DEP_4)
	v_dual_fmac_f32 v10, v22, v9 :: v_dual_and_b32 v39, 0xffff0000, v20
	v_lshlrev_b32_e32 v20, 16, v20
	v_dual_mul_f32 v18, v26, v18 :: v_dual_lshlrev_b32 v5, 16, v5
	s_delay_alu instid0(VALU_DEP_3) | instskip(NEXT) | instid1(VALU_DEP_4)
	v_dual_add_f32 v10, v13, v10 :: v_dual_and_b32 v9, 0xffff0000, v11
	v_mul_f32_e32 v39, v48, v39
	s_delay_alu instid0(VALU_DEP_3) | instskip(NEXT) | instid1(VALU_DEP_3)
	v_dual_fmac_f32 v18, v21, v5 :: v_dual_lshlrev_b32 v11, 16, v11
	v_mul_f32_e32 v9, v50, v9
	v_lshlrev_b32_e32 v5, 16, v6
	v_and_b32_e32 v15, 0xffff0000, v16
	v_lshlrev_b32_e32 v16, 16, v16
	v_dual_fmac_f32 v39, v19, v20 :: v_dual_and_b32 v20, 0xffff0000, v6
	v_fmac_f32_e32 v9, v23, v11
	v_and_b32_e32 v11, 0xffff0000, v7
	v_dual_add_f32 v18, v44, v18 :: v_dual_and_b32 v13, 0xffff0000, v12
	s_delay_alu instid0(VALU_DEP_3) | instskip(NEXT) | instid1(VALU_DEP_2)
	v_dual_mul_f32 v6, v40, v20 :: v_dual_add_f32 v9, v10, v9
	v_mul_f32_e32 v13, v48, v13
	s_delay_alu instid0(VALU_DEP_2) | instskip(SKIP_3) | instid1(VALU_DEP_3)
	v_dual_fmac_f32 v6, v22, v5 :: v_dual_lshlrev_b32 v5, 16, v7
	v_mul_f32_e32 v7, v50, v11
	v_lshlrev_b32_e32 v11, 16, v12
	v_dual_mul_f32 v15, v48, v15 :: v_dual_and_b32 v12, 0xffff0000, v8
	v_dual_add_f32 v6, v18, v6 :: v_dual_fmac_f32 v7, v23, v5
	v_lshlrev_b32_e32 v5, 16, v8
	s_delay_alu instid0(VALU_DEP_3) | instskip(NEXT) | instid1(VALU_DEP_4)
	v_mul_f32_e32 v8, v48, v12
	v_fmac_f32_e32 v15, v19, v16
	v_fmac_f32_e32 v13, v19, v11
	v_add_f32_e32 v6, v6, v7
	v_add_f32_e32 v48, v17, v39
	s_delay_alu instid0(VALU_DEP_4) | instskip(NEXT) | instid1(VALU_DEP_1)
	v_dual_fmac_f32 v8, v19, v5 :: v_dual_add_f32 v47, v14, v15
	v_dual_add_f32 v45, v9, v13 :: v_dual_add_f32 v44, v6, v8
	s_cbranch_scc1 .LBB168_28
.LBB168_23:                             ;   Parent Loop BB168_19 Depth=1
                                        ; =>  This Inner Loop Header: Depth=2
	v_add_nc_u32_e32 v39, s1, v0
	v_mov_b32_e32 v23, 0
	s_mov_b32 s2, exec_lo
	v_mov_b32_e32 v24, 0
	s_delay_alu instid0(VALU_DEP_3) | instskip(NEXT) | instid1(VALU_DEP_1)
	v_min_u32_e32 v26, s19, v39
	v_lshlrev_b64 v[5:6], 1, v[26:27]
	s_waitcnt vmcnt(0)
	s_delay_alu instid0(VALU_DEP_1) | instskip(NEXT) | instid1(VALU_DEP_2)
	v_add_co_u32 v11, vcc_lo, s14, v5
	v_add_co_ci_u32_e32 v12, vcc_lo, s15, v6, vcc_lo
	s_delay_alu instid0(VALU_DEP_2) | instskip(NEXT) | instid1(VALU_DEP_2)
	v_add_co_u32 v5, vcc_lo, v11, v31
	v_add_co_ci_u32_e32 v6, vcc_lo, v12, v32, vcc_lo
	v_add_co_u32 v7, vcc_lo, v11, v33
	v_add_co_ci_u32_e32 v8, vcc_lo, v12, v34, vcc_lo
	;; [unrolled: 2-line block ×4, first 2 shown]
	s_clause 0x3
	global_load_b128 v[17:20], v[5:6], off slc dlc
	global_load_b128 v[13:16], v[7:8], off slc dlc
	;; [unrolled: 1-line block ×4, first 2 shown]
	v_dual_mov_b32 v22, 0 :: v_dual_mov_b32 v21, 0
	v_cmpx_gt_u32_e64 s4, v39
	s_cbranch_execz .LBB168_22
; %bb.24:                               ;   in Loop: Header=BB168_23 Depth=2
	s_mov_b32 s3, exec_lo
                                        ; implicit-def: $vgpr24
	v_cmpx_lt_u32_e32 0x7fff, v39
	s_xor_b32 s3, exec_lo, s3
	s_cbranch_execz .LBB168_26
; %bb.25:                               ;   in Loop: Header=BB168_23 Depth=2
	v_mov_b32_e32 v40, v27
	s_delay_alu instid0(VALU_DEP_1) | instskip(NEXT) | instid1(VALU_DEP_1)
	v_lshlrev_b64 v[21:22], 1, v[39:40]
	v_add_co_u32 v21, vcc_lo, s12, v21
	s_delay_alu instid0(VALU_DEP_2)
	v_add_co_ci_u32_e32 v22, vcc_lo, s13, v22, vcc_lo
	global_load_b128 v[21:24], v[21:22], off
.LBB168_26:                             ;   in Loop: Header=BB168_23 Depth=2
	s_and_not1_saveexec_b32 s3, s3
	s_cbranch_execz .LBB168_21
; %bb.27:                               ;   in Loop: Header=BB168_23 Depth=2
	s_waitcnt vmcnt(0)
	ds_load_b128 v[21:24], v46
	s_branch .LBB168_21
.LBB168_28:                             ;   in Loop: Header=BB168_19 Depth=1
	s_delay_alu instid0(VALU_DEP_1)
	v_cvt_i32_f32_e32 v5, v48
	s_waitcnt lgkmcnt(0)
	v_cvt_i32_f32_e32 v6, v47
	v_cvt_i32_f32_e32 v7, v45
	;; [unrolled: 1-line block ×3, first 2 shown]
	v_cvt_f32_i32_dpp v5, v5 row_shr:8 row_mask:0xf bank_mask:0xf bound_ctrl:1
	s_delay_alu instid0(VALU_DEP_4) | instskip(NEXT) | instid1(VALU_DEP_4)
	v_cvt_f32_i32_dpp v6, v6 row_shr:8 row_mask:0xf bank_mask:0xf bound_ctrl:1
	v_cvt_f32_i32_dpp v7, v7 row_shr:8 row_mask:0xf bank_mask:0xf bound_ctrl:1
	s_delay_alu instid0(VALU_DEP_4) | instskip(NEXT) | instid1(VALU_DEP_3)
	v_cvt_f32_i32_dpp v8, v8 row_shr:8 row_mask:0xf bank_mask:0xf bound_ctrl:1
	v_dual_add_f32 v5, v48, v5 :: v_dual_add_f32 v6, v47, v6
	s_delay_alu instid0(VALU_DEP_2) | instskip(NEXT) | instid1(VALU_DEP_2)
	v_dual_add_f32 v7, v45, v7 :: v_dual_add_f32 v8, v44, v8
	v_cvt_i32_f32_e32 v9, v5
	s_delay_alu instid0(VALU_DEP_3) | instskip(SKIP_1) | instid1(VALU_DEP_3)
	v_cvt_i32_f32_e32 v10, v6
	s_waitcnt vmcnt(0)
	v_cvt_i32_f32_e32 v11, v7
	v_cvt_i32_f32_e32 v12, v8
	v_cvt_f32_i32_dpp v9, v9 row_shr:4 row_mask:0xf bank_mask:0xf bound_ctrl:1
	v_cvt_f32_i32_dpp v10, v10 row_shr:4 row_mask:0xf bank_mask:0xf bound_ctrl:1
	s_delay_alu instid0(VALU_DEP_4) | instskip(NEXT) | instid1(VALU_DEP_4)
	v_cvt_f32_i32_dpp v11, v11 row_shr:4 row_mask:0xf bank_mask:0xf bound_ctrl:1
	v_cvt_f32_i32_dpp v12, v12 row_shr:4 row_mask:0xf bank_mask:0xf bound_ctrl:1
	s_delay_alu instid0(VALU_DEP_3) | instskip(NEXT) | instid1(VALU_DEP_2)
	v_dual_add_f32 v5, v5, v9 :: v_dual_add_f32 v6, v6, v10
	v_dual_add_f32 v7, v7, v11 :: v_dual_add_f32 v8, v8, v12
	s_delay_alu instid0(VALU_DEP_2) | instskip(NEXT) | instid1(VALU_DEP_3)
	v_cvt_i32_f32_e32 v9, v5
	v_cvt_i32_f32_e32 v10, v6
	s_delay_alu instid0(VALU_DEP_3) | instskip(NEXT) | instid1(VALU_DEP_4)
	v_cvt_i32_f32_e32 v11, v7
	v_cvt_i32_f32_e32 v12, v8
	s_delay_alu instid0(VALU_DEP_4) | instskip(NEXT) | instid1(VALU_DEP_4)
	v_cvt_f32_i32_dpp v9, v9 row_shr:2 row_mask:0xf bank_mask:0xf bound_ctrl:1
	v_cvt_f32_i32_dpp v10, v10 row_shr:2 row_mask:0xf bank_mask:0xf bound_ctrl:1
	s_delay_alu instid0(VALU_DEP_4) | instskip(NEXT) | instid1(VALU_DEP_4)
	v_cvt_f32_i32_dpp v11, v11 row_shr:2 row_mask:0xf bank_mask:0xf bound_ctrl:1
	v_cvt_f32_i32_dpp v12, v12 row_shr:2 row_mask:0xf bank_mask:0xf bound_ctrl:1
	s_delay_alu instid0(VALU_DEP_3) | instskip(NEXT) | instid1(VALU_DEP_2)
	v_dual_add_f32 v5, v5, v9 :: v_dual_add_f32 v6, v6, v10
	v_dual_add_f32 v7, v7, v11 :: v_dual_add_f32 v8, v8, v12
	s_delay_alu instid0(VALU_DEP_2) | instskip(NEXT) | instid1(VALU_DEP_3)
	v_cvt_i32_f32_e32 v9, v5
	v_cvt_i32_f32_e32 v10, v6
	s_delay_alu instid0(VALU_DEP_3) | instskip(NEXT) | instid1(VALU_DEP_4)
	v_cvt_i32_f32_e32 v11, v7
	v_cvt_i32_f32_e32 v12, v8
	s_delay_alu instid0(VALU_DEP_4) | instskip(NEXT) | instid1(VALU_DEP_4)
	v_cvt_f32_i32_dpp v9, v9 row_shr:1 row_mask:0xf bank_mask:0xf bound_ctrl:1
	v_cvt_f32_i32_dpp v10, v10 row_shr:1 row_mask:0xf bank_mask:0xf bound_ctrl:1
	s_delay_alu instid0(VALU_DEP_4) | instskip(NEXT) | instid1(VALU_DEP_4)
	v_cvt_f32_i32_dpp v11, v11 row_shr:1 row_mask:0xf bank_mask:0xf bound_ctrl:1
	v_cvt_f32_i32_dpp v13, v12 row_shr:1 row_mask:0xf bank_mask:0xf bound_ctrl:1
	s_delay_alu instid0(VALU_DEP_3) | instskip(NEXT) | instid1(VALU_DEP_3)
	v_dual_add_f32 v12, v5, v9 :: v_dual_add_f32 v9, v6, v10
	v_add_f32_e32 v7, v7, v11
	s_delay_alu instid0(VALU_DEP_3)
	v_add_f32_e32 v5, v8, v13
	ds_bpermute_b32 v13, v42, v12
	ds_bpermute_b32 v10, v42, v9
	;; [unrolled: 1-line block ×4, first 2 shown]
	s_and_saveexec_b32 s1, s0
	s_cbranch_execz .LBB168_55
; %bb.29:                               ;   in Loop: Header=BB168_19 Depth=1
	v_dual_mov_b32 v11, 0 :: v_dual_mov_b32 v14, 0
	v_dual_mov_b32 v15, 0 :: v_dual_mov_b32 v16, 0
	s_and_not1_b32 vcc_lo, exec_lo, s21
	s_cbranch_vccnz .LBB168_31
; %bb.30:                               ;   in Loop: Header=BB168_19 Depth=1
	v_mul_hi_u32 v11, v25, v43
	v_mul_hi_u32 v14, v30, v43
	;; [unrolled: 1-line block ×4, first 2 shown]
	s_delay_alu instid0(VALU_DEP_4) | instskip(NEXT) | instid1(VALU_DEP_4)
	v_mul_lo_u32 v11, v11, s18
	v_mul_lo_u32 v14, v14, s18
	s_delay_alu instid0(VALU_DEP_4) | instskip(NEXT) | instid1(VALU_DEP_4)
	v_mul_lo_u32 v16, v16, s18
	v_mul_lo_u32 v15, v15, s18
	s_delay_alu instid0(VALU_DEP_4) | instskip(NEXT) | instid1(VALU_DEP_4)
	v_sub_nc_u32_e32 v11, v25, v11
	v_sub_nc_u32_e32 v14, v30, v14
	s_delay_alu instid0(VALU_DEP_4) | instskip(NEXT) | instid1(VALU_DEP_4)
	v_sub_nc_u32_e32 v16, v28, v16
	v_sub_nc_u32_e32 v15, v29, v15
	s_delay_alu instid0(VALU_DEP_4) | instskip(SKIP_1) | instid1(VALU_DEP_4)
	v_subrev_nc_u32_e32 v17, s18, v11
	v_cmp_le_u32_e32 vcc_lo, s18, v11
	v_subrev_nc_u32_e32 v20, s18, v16
	s_delay_alu instid0(VALU_DEP_4) | instskip(NEXT) | instid1(VALU_DEP_4)
	v_subrev_nc_u32_e32 v18, s18, v15
	v_cndmask_b32_e32 v11, v11, v17, vcc_lo
	v_subrev_nc_u32_e32 v17, s18, v14
	v_cmp_le_u32_e32 vcc_lo, s18, v14
	s_delay_alu instid0(VALU_DEP_3) | instskip(NEXT) | instid1(VALU_DEP_3)
	v_subrev_nc_u32_e32 v19, s18, v11
	v_cndmask_b32_e32 v17, v14, v17, vcc_lo
	v_cmp_le_u32_e32 vcc_lo, s18, v11
	s_delay_alu instid0(VALU_DEP_3)
	v_cndmask_b32_e32 v26, v11, v19, vcc_lo
	v_cmp_le_u32_e32 vcc_lo, s18, v15
	v_cndmask_b32_e32 v11, v15, v18, vcc_lo
	v_cmp_le_u32_e32 vcc_lo, s18, v16
	v_subrev_nc_u32_e32 v18, s18, v17
	v_lshlrev_b64 v[14:15], 1, v[26:27]
	v_cndmask_b32_e32 v20, v16, v20, vcc_lo
	v_cmp_le_u32_e32 vcc_lo, s18, v17
	s_delay_alu instid0(VALU_DEP_2) | instskip(SKIP_3) | instid1(VALU_DEP_3)
	v_subrev_nc_u32_e32 v21, s18, v20
	v_cndmask_b32_e32 v26, v17, v18, vcc_lo
	v_subrev_nc_u32_e32 v18, s18, v11
	v_cmp_le_u32_e32 vcc_lo, s18, v11
	v_lshlrev_b64 v[16:17], 1, v[26:27]
	s_delay_alu instid0(VALU_DEP_3) | instskip(SKIP_3) | instid1(VALU_DEP_4)
	v_cndmask_b32_e32 v26, v11, v18, vcc_lo
	v_add_co_u32 v14, vcc_lo, s8, v14
	v_add_co_ci_u32_e32 v15, vcc_lo, s9, v15, vcc_lo
	v_cmp_le_u32_e32 vcc_lo, s18, v20
	v_lshlrev_b64 v[18:19], 1, v[26:27]
	v_cndmask_b32_e32 v26, v20, v21, vcc_lo
	v_add_co_u32 v20, vcc_lo, s8, v16
	v_add_co_ci_u32_e32 v21, vcc_lo, s9, v17, vcc_lo
	s_delay_alu instid0(VALU_DEP_3) | instskip(SKIP_2) | instid1(VALU_DEP_3)
	v_lshlrev_b64 v[16:17], 1, v[26:27]
	v_add_co_u32 v18, vcc_lo, s8, v18
	v_add_co_ci_u32_e32 v19, vcc_lo, s9, v19, vcc_lo
	v_add_co_u32 v22, vcc_lo, s8, v16
	s_delay_alu instid0(VALU_DEP_4)
	v_add_co_ci_u32_e32 v23, vcc_lo, s9, v17, vcc_lo
	s_clause 0x3
	global_load_u16 v16, v[14:15], off
	global_load_u16 v15, v[20:21], off
	;; [unrolled: 1-line block ×4, first 2 shown]
.LBB168_31:                             ;   in Loop: Header=BB168_19 Depth=1
	s_mov_b32 s2, exec_lo
	v_cmpx_ne_u32_e32 0, v1
	s_cbranch_execz .LBB168_37
; %bb.32:                               ;   in Loop: Header=BB168_19 Depth=1
	s_waitcnt vmcnt(3) lgkmcnt(3)
	v_dual_add_f32 v12, v12, v13 :: v_dual_lshlrev_b32 v13, 16, v16
	s_delay_alu instid0(VALU_DEP_1) | instskip(NEXT) | instid1(VALU_DEP_1)
	v_add_f32_e32 v13, v12, v13
	v_and_b32_e32 v12, 0x7f800000, v13
	s_delay_alu instid0(VALU_DEP_1) | instskip(SKIP_1) | instid1(SALU_CYCLE_1)
	v_cmp_ne_u32_e32 vcc_lo, 0x7f800000, v12
                                        ; implicit-def: $vgpr12
	s_and_saveexec_b32 s3, vcc_lo
	s_xor_b32 s3, exec_lo, s3
; %bb.33:                               ;   in Loop: Header=BB168_19 Depth=1
	v_bfe_u32 v12, v13, 16, 1
	s_delay_alu instid0(VALU_DEP_1)
	v_add3_u32 v12, v13, v12, 0x7fff
                                        ; implicit-def: $vgpr13
; %bb.34:                               ;   in Loop: Header=BB168_19 Depth=1
	s_and_not1_saveexec_b32 s3, s3
; %bb.35:                               ;   in Loop: Header=BB168_19 Depth=1
	v_and_b32_e32 v12, 0xffff, v13
	v_or_b32_e32 v16, 0x10000, v13
	s_delay_alu instid0(VALU_DEP_2) | instskip(NEXT) | instid1(VALU_DEP_2)
	v_cmp_eq_u32_e32 vcc_lo, 0, v12
	v_cndmask_b32_e32 v12, v16, v13, vcc_lo
; %bb.36:                               ;   in Loop: Header=BB168_19 Depth=1
	s_or_b32 exec_lo, exec_lo, s3
	v_mov_b32_e32 v26, v27
	s_delay_alu instid0(VALU_DEP_1) | instskip(NEXT) | instid1(VALU_DEP_1)
	v_lshlrev_b64 v[16:17], 1, v[25:26]
	v_add_co_u32 v16, vcc_lo, s10, v16
	s_delay_alu instid0(VALU_DEP_2)
	v_add_co_ci_u32_e32 v17, vcc_lo, s11, v17, vcc_lo
	global_store_d16_hi_b16 v[16:17], v12, off
.LBB168_37:                             ;   in Loop: Header=BB168_19 Depth=1
	s_or_b32 exec_lo, exec_lo, s2
	s_delay_alu instid0(SALU_CYCLE_1)
	s_mov_b32 s2, exec_lo
	v_cmpx_ne_u32_e32 0, v2
	s_cbranch_execz .LBB168_43
; %bb.38:                               ;   in Loop: Header=BB168_19 Depth=1
	s_waitcnt vmcnt(2) lgkmcnt(2)
	v_dual_add_f32 v9, v9, v10 :: v_dual_lshlrev_b32 v10, 16, v15
	s_delay_alu instid0(VALU_DEP_1) | instskip(NEXT) | instid1(VALU_DEP_1)
	v_add_f32_e32 v10, v9, v10
	v_and_b32_e32 v9, 0x7f800000, v10
	s_delay_alu instid0(VALU_DEP_1) | instskip(SKIP_1) | instid1(SALU_CYCLE_1)
	v_cmp_ne_u32_e32 vcc_lo, 0x7f800000, v9
                                        ; implicit-def: $vgpr9
	s_and_saveexec_b32 s3, vcc_lo
	s_xor_b32 s3, exec_lo, s3
; %bb.39:                               ;   in Loop: Header=BB168_19 Depth=1
	v_bfe_u32 v9, v10, 16, 1
	s_delay_alu instid0(VALU_DEP_1)
	v_add3_u32 v9, v10, v9, 0x7fff
                                        ; implicit-def: $vgpr10
; %bb.40:                               ;   in Loop: Header=BB168_19 Depth=1
	s_and_not1_saveexec_b32 s3, s3
; %bb.41:                               ;   in Loop: Header=BB168_19 Depth=1
	v_and_b32_e32 v9, 0xffff, v10
	v_or_b32_e32 v12, 0x10000, v10
	s_delay_alu instid0(VALU_DEP_2) | instskip(NEXT) | instid1(VALU_DEP_2)
	v_cmp_eq_u32_e32 vcc_lo, 0, v9
	v_cndmask_b32_e32 v9, v12, v10, vcc_lo
; %bb.42:                               ;   in Loop: Header=BB168_19 Depth=1
	s_or_b32 exec_lo, exec_lo, s3
	v_mov_b32_e32 v31, v27
	s_delay_alu instid0(VALU_DEP_1) | instskip(NEXT) | instid1(VALU_DEP_1)
	v_lshlrev_b64 v[12:13], 1, v[30:31]
	v_add_co_u32 v12, vcc_lo, s10, v12
	s_delay_alu instid0(VALU_DEP_2)
	v_add_co_ci_u32_e32 v13, vcc_lo, s11, v13, vcc_lo
	global_store_d16_hi_b16 v[12:13], v9, off
.LBB168_43:                             ;   in Loop: Header=BB168_19 Depth=1
	s_or_b32 exec_lo, exec_lo, s2
	s_delay_alu instid0(SALU_CYCLE_1)
	s_mov_b32 s2, exec_lo
	v_cmpx_ne_u32_e32 0, v3
	s_cbranch_execz .LBB168_49
; %bb.44:                               ;   in Loop: Header=BB168_19 Depth=1
	s_waitcnt vmcnt(1) lgkmcnt(1)
	v_dual_add_f32 v7, v7, v8 :: v_dual_lshlrev_b32 v8, 16, v14
	s_delay_alu instid0(VALU_DEP_1) | instskip(NEXT) | instid1(VALU_DEP_1)
	v_add_f32_e32 v8, v7, v8
	v_and_b32_e32 v7, 0x7f800000, v8
	s_delay_alu instid0(VALU_DEP_1) | instskip(SKIP_1) | instid1(SALU_CYCLE_1)
	v_cmp_ne_u32_e32 vcc_lo, 0x7f800000, v7
                                        ; implicit-def: $vgpr7
	s_and_saveexec_b32 s3, vcc_lo
	s_xor_b32 s3, exec_lo, s3
; %bb.45:                               ;   in Loop: Header=BB168_19 Depth=1
	v_bfe_u32 v7, v8, 16, 1
	s_delay_alu instid0(VALU_DEP_1)
	v_add3_u32 v7, v8, v7, 0x7fff
                                        ; implicit-def: $vgpr8
; %bb.46:                               ;   in Loop: Header=BB168_19 Depth=1
	s_and_not1_saveexec_b32 s3, s3
; %bb.47:                               ;   in Loop: Header=BB168_19 Depth=1
	v_and_b32_e32 v7, 0xffff, v8
	v_or_b32_e32 v9, 0x10000, v8
	s_delay_alu instid0(VALU_DEP_2) | instskip(NEXT) | instid1(VALU_DEP_2)
	v_cmp_eq_u32_e32 vcc_lo, 0, v7
	v_cndmask_b32_e32 v7, v9, v8, vcc_lo
; %bb.48:                               ;   in Loop: Header=BB168_19 Depth=1
	s_or_b32 exec_lo, exec_lo, s3
	v_mov_b32_e32 v30, v27
	s_delay_alu instid0(VALU_DEP_1) | instskip(NEXT) | instid1(VALU_DEP_1)
	v_lshlrev_b64 v[8:9], 1, v[29:30]
	v_add_co_u32 v8, vcc_lo, s10, v8
	s_delay_alu instid0(VALU_DEP_2)
	v_add_co_ci_u32_e32 v9, vcc_lo, s11, v9, vcc_lo
	global_store_d16_hi_b16 v[8:9], v7, off
.LBB168_49:                             ;   in Loop: Header=BB168_19 Depth=1
	s_or_b32 exec_lo, exec_lo, s2
	v_cmp_ne_u32_e32 vcc_lo, 0, v4
	s_and_b32 exec_lo, exec_lo, vcc_lo
	s_cbranch_execz .LBB168_55
; %bb.50:                               ;   in Loop: Header=BB168_19 Depth=1
	s_waitcnt vmcnt(0) lgkmcnt(0)
	v_dual_add_f32 v5, v5, v6 :: v_dual_lshlrev_b32 v6, 16, v11
	s_delay_alu instid0(VALU_DEP_1) | instskip(NEXT) | instid1(VALU_DEP_1)
	v_add_f32_e32 v6, v5, v6
	v_and_b32_e32 v5, 0x7f800000, v6
	s_delay_alu instid0(VALU_DEP_1) | instskip(SKIP_1) | instid1(SALU_CYCLE_1)
	v_cmp_ne_u32_e32 vcc_lo, 0x7f800000, v5
                                        ; implicit-def: $vgpr5
	s_and_saveexec_b32 s2, vcc_lo
	s_xor_b32 s2, exec_lo, s2
; %bb.51:                               ;   in Loop: Header=BB168_19 Depth=1
	v_bfe_u32 v5, v6, 16, 1
	s_delay_alu instid0(VALU_DEP_1)
	v_add3_u32 v5, v6, v5, 0x7fff
                                        ; implicit-def: $vgpr6
; %bb.52:                               ;   in Loop: Header=BB168_19 Depth=1
	s_and_not1_saveexec_b32 s2, s2
; %bb.53:                               ;   in Loop: Header=BB168_19 Depth=1
	v_and_b32_e32 v5, 0xffff, v6
	v_or_b32_e32 v7, 0x10000, v6
	s_delay_alu instid0(VALU_DEP_2) | instskip(NEXT) | instid1(VALU_DEP_2)
	v_cmp_eq_u32_e32 vcc_lo, 0, v5
	v_cndmask_b32_e32 v5, v7, v6, vcc_lo
; %bb.54:                               ;   in Loop: Header=BB168_19 Depth=1
	s_or_b32 exec_lo, exec_lo, s2
	v_mov_b32_e32 v29, v27
	s_delay_alu instid0(VALU_DEP_1) | instskip(NEXT) | instid1(VALU_DEP_1)
	v_lshlrev_b64 v[6:7], 1, v[28:29]
	v_add_co_u32 v6, vcc_lo, s10, v6
	s_delay_alu instid0(VALU_DEP_2)
	v_add_co_ci_u32_e32 v7, vcc_lo, s11, v7, vcc_lo
	global_store_d16_hi_b16 v[6:7], v5, off
.LBB168_55:                             ;   in Loop: Header=BB168_19 Depth=1
	s_or_b32 exec_lo, exec_lo, s1
	v_add_nc_u32_e32 v25, s23, v25
	s_delay_alu instid0(VALU_DEP_1) | instskip(SKIP_1) | instid1(VALU_DEP_2)
	v_add_nc_u32_e32 v5, 4, v25
	v_cmp_gt_u32_e32 vcc_lo, s7, v25
	v_cmp_le_u32_e64 s1, s7, v5
	s_delay_alu instid0(VALU_DEP_1) | instskip(NEXT) | instid1(SALU_CYCLE_1)
	s_and_b32 s1, vcc_lo, s1
	s_and_saveexec_b32 s25, s1
	s_cbranch_execz .LBB168_18
; %bb.56:                               ;   in Loop: Header=BB168_19 Depth=1
	s_mov_b32 s26, exec_lo
	v_cmpx_ne_u32_e64 s24, v25
	s_cbranch_execz .LBB168_17
; %bb.57:                               ;   in Loop: Header=BB168_19 Depth=1
	v_subrev_nc_u32_e32 v5, s24, v25
	s_mov_b32 s27, 0
	s_mov_b64 s[16:17], 0
	s_delay_alu instid0(VALU_DEP_1)
	v_cmp_lt_u32_e32 vcc_lo, 1, v5
	v_cndmask_b32_e32 v5, 1, v5, vcc_lo
	.p2align	6
.LBB168_58:                             ;   Parent Loop BB168_19 Depth=1
                                        ; =>  This Inner Loop Header: Depth=2
	s_cmp_lg_u32 s16, 3
	s_cselect_b32 vcc_lo, -1, 0
	s_cmp_lg_u32 s16, 2
	v_cndmask_b32_e32 v4, 0, v4, vcc_lo
	s_cselect_b32 s1, -1, 0
	s_cmp_lg_u32 s16, 1
	v_cndmask_b32_e64 v3, 0, v3, s1
	s_cselect_b32 s2, -1, 0
	s_cmp_lg_u32 s16, 0
	v_cndmask_b32_e64 v2, 0, v2, s2
	s_cselect_b32 s3, -1, 0
	s_add_u32 s16, s16, 1
	v_cndmask_b32_e64 v1, 0, v1, s3
	v_cmp_eq_u32_e32 vcc_lo, s16, v5
	s_addc_u32 s17, s17, 0
	s_or_b32 s27, vcc_lo, s27
	s_delay_alu instid0(SALU_CYCLE_1)
	s_and_not1_b32 exec_lo, exec_lo, s27
	s_cbranch_execnz .LBB168_58
; %bb.59:                               ;   in Loop: Header=BB168_19 Depth=1
	s_or_b32 exec_lo, exec_lo, s27
	s_branch .LBB168_17
.LBB168_60:
	s_nop 0
	s_sendmsg sendmsg(MSG_DEALLOC_VGPRS)
	s_endpgm
	.section	.rodata,"a",@progbits
	.p2align	6, 0x0
	.amdhsa_kernel _Z12wvSplitK_hf_I14__hip_bfloat16Li32ELi4ELi16ELi8ELi1ELi1EEviiiiiiPKT_S3_S3_PS1_ii
		.amdhsa_group_segment_fixed_size 65536
		.amdhsa_private_segment_fixed_size 0
		.amdhsa_kernarg_size 64
		.amdhsa_user_sgpr_count 15
		.amdhsa_user_sgpr_dispatch_ptr 0
		.amdhsa_user_sgpr_queue_ptr 0
		.amdhsa_user_sgpr_kernarg_segment_ptr 1
		.amdhsa_user_sgpr_dispatch_id 0
		.amdhsa_user_sgpr_private_segment_size 0
		.amdhsa_wavefront_size32 1
		.amdhsa_uses_dynamic_stack 0
		.amdhsa_enable_private_segment 0
		.amdhsa_system_sgpr_workgroup_id_x 1
		.amdhsa_system_sgpr_workgroup_id_y 0
		.amdhsa_system_sgpr_workgroup_id_z 0
		.amdhsa_system_sgpr_workgroup_info 0
		.amdhsa_system_vgpr_workitem_id 1
		.amdhsa_next_free_vgpr 51
		.amdhsa_next_free_sgpr 28
		.amdhsa_reserve_vcc 1
		.amdhsa_float_round_mode_32 0
		.amdhsa_float_round_mode_16_64 0
		.amdhsa_float_denorm_mode_32 3
		.amdhsa_float_denorm_mode_16_64 3
		.amdhsa_dx10_clamp 1
		.amdhsa_ieee_mode 1
		.amdhsa_fp16_overflow 0
		.amdhsa_workgroup_processor_mode 1
		.amdhsa_memory_ordered 1
		.amdhsa_forward_progress 0
		.amdhsa_shared_vgpr_count 0
		.amdhsa_exception_fp_ieee_invalid_op 0
		.amdhsa_exception_fp_denorm_src 0
		.amdhsa_exception_fp_ieee_div_zero 0
		.amdhsa_exception_fp_ieee_overflow 0
		.amdhsa_exception_fp_ieee_underflow 0
		.amdhsa_exception_fp_ieee_inexact 0
		.amdhsa_exception_int_div_zero 0
	.end_amdhsa_kernel
	.section	.text._Z12wvSplitK_hf_I14__hip_bfloat16Li32ELi4ELi16ELi8ELi1ELi1EEviiiiiiPKT_S3_S3_PS1_ii,"axG",@progbits,_Z12wvSplitK_hf_I14__hip_bfloat16Li32ELi4ELi16ELi8ELi1ELi1EEviiiiiiPKT_S3_S3_PS1_ii,comdat
.Lfunc_end168:
	.size	_Z12wvSplitK_hf_I14__hip_bfloat16Li32ELi4ELi16ELi8ELi1ELi1EEviiiiiiPKT_S3_S3_PS1_ii, .Lfunc_end168-_Z12wvSplitK_hf_I14__hip_bfloat16Li32ELi4ELi16ELi8ELi1ELi1EEviiiiiiPKT_S3_S3_PS1_ii
                                        ; -- End function
	.section	.AMDGPU.csdata,"",@progbits
; Kernel info:
; codeLenInByte = 3620
; NumSgprs: 30
; NumVgprs: 51
; ScratchSize: 0
; MemoryBound: 0
; FloatMode: 240
; IeeeMode: 1
; LDSByteSize: 65536 bytes/workgroup (compile time only)
; SGPRBlocks: 3
; VGPRBlocks: 6
; NumSGPRsForWavesPerEU: 30
; NumVGPRsForWavesPerEU: 51
; Occupancy: 8
; WaveLimiterHint : 0
; COMPUTE_PGM_RSRC2:SCRATCH_EN: 0
; COMPUTE_PGM_RSRC2:USER_SGPR: 15
; COMPUTE_PGM_RSRC2:TRAP_HANDLER: 0
; COMPUTE_PGM_RSRC2:TGID_X_EN: 1
; COMPUTE_PGM_RSRC2:TGID_Y_EN: 0
; COMPUTE_PGM_RSRC2:TGID_Z_EN: 0
; COMPUTE_PGM_RSRC2:TIDIG_COMP_CNT: 1
	.section	.text._Z16wvSplitK_hf_big_I14__hip_bfloat16Li32ELi4ELi16ELi8ELi1ELi1EEviiiiiiPKT_S3_S3_PS1_ii,"axG",@progbits,_Z16wvSplitK_hf_big_I14__hip_bfloat16Li32ELi4ELi16ELi8ELi1ELi1EEviiiiiiPKT_S3_S3_PS1_ii,comdat
	.protected	_Z16wvSplitK_hf_big_I14__hip_bfloat16Li32ELi4ELi16ELi8ELi1ELi1EEviiiiiiPKT_S3_S3_PS1_ii ; -- Begin function _Z16wvSplitK_hf_big_I14__hip_bfloat16Li32ELi4ELi16ELi8ELi1ELi1EEviiiiiiPKT_S3_S3_PS1_ii
	.globl	_Z16wvSplitK_hf_big_I14__hip_bfloat16Li32ELi4ELi16ELi8ELi1ELi1EEviiiiiiPKT_S3_S3_PS1_ii
	.p2align	8
	.type	_Z16wvSplitK_hf_big_I14__hip_bfloat16Li32ELi4ELi16ELi8ELi1ELi1EEviiiiiiPKT_S3_S3_PS1_ii,@function
_Z16wvSplitK_hf_big_I14__hip_bfloat16Li32ELi4ELi16ELi8ELi1ELi1EEviiiiiiPKT_S3_S3_PS1_ii: ; @_Z16wvSplitK_hf_big_I14__hip_bfloat16Li32ELi4ELi16ELi8ELi1ELi1EEviiiiiiPKT_S3_S3_PS1_ii
; %bb.0:
	s_load_b64 s[12:13], s[0:1], 0x38
	v_bfe_u32 v5, v0, 10, 10
	s_mov_b32 s2, exec_lo
	s_waitcnt lgkmcnt(0)
	s_delay_alu instid0(VALU_DEP_1)
	v_cmpx_gt_u32_e64 s12, v5
	s_cbranch_execz .LBB169_62
; %bb.1:
	s_load_b128 s[16:19], s[0:1], 0x0
	s_mul_i32 s15, s15, s12
	s_mov_b32 s4, 1
	v_add_lshl_u32 v25, s15, v5, 2
	s_mov_b32 s5, s4
	s_mov_b32 s6, s4
	;; [unrolled: 1-line block ×3, first 2 shown]
	s_delay_alu instid0(VALU_DEP_1) | instskip(SKIP_2) | instid1(VALU_DEP_2)
	v_add_nc_u32_e32 v1, 4, v25
	s_waitcnt lgkmcnt(0)
	v_cmp_gt_u32_e32 vcc_lo, s19, v25
	v_cmp_le_u32_e64 s2, s19, v1
	v_dual_mov_b32 v1, s4 :: v_dual_mov_b32 v4, s7
	v_dual_mov_b32 v2, s5 :: v_dual_mov_b32 v3, s6
	s_delay_alu instid0(VALU_DEP_3) | instskip(NEXT) | instid1(SALU_CYCLE_1)
	s_and_b32 s2, vcc_lo, s2
	s_and_saveexec_b32 s8, s2
	s_cbranch_execz .LBB169_7
; %bb.2:
	v_dual_mov_b32 v1, s4 :: v_dual_mov_b32 v2, s5
	v_dual_mov_b32 v3, s6 :: v_dual_mov_b32 v4, s7
	s_add_i32 s9, s19, -4
	s_mov_b32 s10, exec_lo
	v_cmpx_ne_u32_e64 s9, v25
	s_cbranch_execz .LBB169_6
; %bb.3:
	v_subrev_nc_u32_e32 v1, s9, v25
	s_mov_b32 s11, 0
	s_mov_b64 s[2:3], 0
	s_mov_b32 s5, s4
	s_mov_b32 s6, s4
	v_cmp_lt_u32_e32 vcc_lo, 1, v1
	s_mov_b32 s7, s4
	v_cndmask_b32_e32 v6, 1, v1, vcc_lo
	.p2align	6
.LBB169_4:                              ; =>This Inner Loop Header: Depth=1
	s_cmp_lg_u32 s2, 3
	s_cselect_b32 s7, s7, 0
	s_cmp_lg_u32 s2, 2
	s_cselect_b32 s6, s6, 0
	s_cmp_lg_u32 s2, 1
	s_cselect_b32 s5, s5, 0
	s_cmp_lg_u32 s2, 0
	s_cselect_b32 s4, s4, 0
	s_add_u32 s2, s2, 1
	v_dual_mov_b32 v1, s4 :: v_dual_mov_b32 v2, s5
	v_cmp_eq_u32_e32 vcc_lo, s2, v6
	v_dual_mov_b32 v3, s6 :: v_dual_mov_b32 v4, s7
	s_addc_u32 s3, s3, 0
	s_or_b32 s11, vcc_lo, s11
	s_delay_alu instid0(SALU_CYCLE_1)
	s_and_not1_b32 exec_lo, exec_lo, s11
	s_cbranch_execnz .LBB169_4
; %bb.5:
	s_or_b32 exec_lo, exec_lo, s11
	v_mov_b32_e32 v25, s9
.LBB169_6:
	s_or_b32 exec_lo, exec_lo, s10
.LBB169_7:
	s_delay_alu instid0(SALU_CYCLE_1)
	s_or_b32 exec_lo, exec_lo, s8
	s_lshl_b32 s2, s12, 2
	s_abs_i32 s6, s19
	s_abs_i32 s3, s2
	s_mov_b32 s15, 0
	v_cvt_f32_u32_e32 v6, s3
	s_sub_i32 s5, 0, s3
	s_delay_alu instid0(VALU_DEP_1) | instskip(SKIP_2) | instid1(VALU_DEP_1)
	v_rcp_iflag_f32_e32 v6, v6
	s_waitcnt_depctr 0xfff
	v_mul_f32_e32 v6, 0x4f7ffffe, v6
	v_cvt_u32_f32_e32 v6, v6
	s_delay_alu instid0(VALU_DEP_1) | instskip(NEXT) | instid1(VALU_DEP_1)
	v_readfirstlane_b32 s4, v6
	s_mul_i32 s5, s5, s4
	s_delay_alu instid0(SALU_CYCLE_1) | instskip(NEXT) | instid1(SALU_CYCLE_1)
	s_mul_hi_u32 s5, s4, s5
	s_add_i32 s4, s4, s5
	s_ashr_i32 s5, s19, 31
	s_mul_hi_u32 s4, s6, s4
	s_delay_alu instid0(SALU_CYCLE_1) | instskip(NEXT) | instid1(SALU_CYCLE_1)
	s_mul_i32 s4, s4, s3
	s_sub_i32 s4, s6, s4
	s_delay_alu instid0(SALU_CYCLE_1) | instskip(SKIP_2) | instid1(SALU_CYCLE_1)
	s_sub_i32 s6, s4, s3
	s_cmp_ge_u32 s4, s3
	s_cselect_b32 s4, s6, s4
	s_sub_i32 s6, s4, s3
	s_cmp_ge_u32 s4, s3
	s_cselect_b32 s3, s6, s4
	s_add_i32 s2, s2, s19
	s_xor_b32 s3, s3, s5
	s_delay_alu instid0(SALU_CYCLE_1) | instskip(NEXT) | instid1(SALU_CYCLE_1)
	s_sub_i32 s3, s3, s5
	s_sub_i32 s2, s2, s3
	s_cmp_eq_u32 s3, 0
	s_cselect_b32 s14, s19, s2
	s_delay_alu instid0(SALU_CYCLE_1)
	v_cmp_gt_u32_e32 vcc_lo, s14, v25
	s_and_b32 exec_lo, exec_lo, vcc_lo
	s_cbranch_execz .LBB169_62
; %bb.8:
	s_clause 0x1
	s_load_b32 s20, s[0:1], 0x10
	s_load_b256 s[4:11], s[0:1], 0x18
	s_min_u32 s21, s18, 0x8000
	v_and_b32_e32 v8, 0x3ff, v0
	s_cmp_lg_u32 s16, 0
	s_mul_i32 s0, s13, s12
	s_cselect_b32 s22, -1, 0
	s_cmp_lg_u32 s18, 0
	v_dual_mov_b32 v28, 0 :: v_dual_lshlrev_b32 v37, 3, v8
	s_cselect_b32 s23, -1, 0
	s_lshl_b32 s24, s12, 8
	s_add_i32 s25, s16, -8
	s_add_i32 s26, s19, -1
	s_lshl_b32 s27, s0, 2
	v_mbcnt_lo_u32_b32 v0, -1, 0
	v_lshl_add_u32 v40, v5, 8, v37
	v_lshlrev_b32_e32 v9, 4, v8
	s_waitcnt lgkmcnt(0)
	v_cvt_f32_u32_e32 v6, s20
	s_cmp_lg_u64 s[8:9], 0
	v_xor_b32_e32 v38, 16, v0
	s_cselect_b32 s28, -1, 0
	s_sub_i32 s0, 0, s20
	v_rcp_iflag_f32_e32 v6, v6
	s_add_i32 s29, s19, -4
	s_add_u32 s30, s10, 2
	s_addc_u32 s31, s11, 0
	s_lshl_b32 s33, s12, 9
	v_lshl_add_u32 v39, v5, 9, v9
	s_waitcnt_depctr 0xfff
	v_mul_f32_e32 v6, 0x4f7ffffe, v6
	s_delay_alu instid0(VALU_DEP_1) | instskip(NEXT) | instid1(VALU_DEP_1)
	v_cvt_u32_f32_e32 v6, v6
	v_mul_lo_u32 v7, s0, v6
	v_cmp_eq_u32_e64 s0, 31, v8
	s_delay_alu instid0(VALU_DEP_2) | instskip(NEXT) | instid1(VALU_DEP_1)
	v_mul_hi_u32 v7, v6, v7
	v_add_nc_u32_e32 v41, v6, v7
	s_branch .LBB169_12
.LBB169_9:                              ;   in Loop: Header=BB169_12 Depth=1
	s_or_b32 exec_lo, exec_lo, s36
	v_mov_b32_e32 v25, s29
.LBB169_10:                             ;   in Loop: Header=BB169_12 Depth=1
	s_or_b32 exec_lo, exec_lo, s35
.LBB169_11:                             ;   in Loop: Header=BB169_12 Depth=1
	s_delay_alu instid0(SALU_CYCLE_1) | instskip(NEXT) | instid1(VALU_DEP_1)
	s_or_b32 exec_lo, exec_lo, s34
	v_cmp_le_u32_e32 vcc_lo, s14, v25
	s_or_b32 s15, vcc_lo, s15
	s_delay_alu instid0(SALU_CYCLE_1)
	s_and_not1_b32 exec_lo, exec_lo, s15
	s_cbranch_execz .LBB169_62
.LBB169_12:                             ; =>This Loop Header: Depth=1
                                        ;     Child Loop BB169_16 Depth 2
                                        ;       Child Loop BB169_21 Depth 3
                                        ;     Child Loop BB169_60 Depth 2
	v_mov_b32_e32 v26, v28
	v_mov_b32_e32 v42, v28
	;; [unrolled: 1-line block ×4, first 2 shown]
	s_and_not1_b32 vcc_lo, exec_lo, s22
	s_mov_b32 s3, 0
	s_cbranch_vccnz .LBB169_27
; %bb.13:                               ;   in Loop: Header=BB169_12 Depth=1
	v_dual_mov_b32 v43, 0 :: v_dual_add_nc_u32 v6, 2, v25
	v_add_nc_u32_e32 v5, 1, v25
	s_waitcnt lgkmcnt(0)
	v_add_nc_u32_e32 v7, 3, v25
	v_min_u32_e32 v8, s26, v25
	v_min_u32_e32 v6, s26, v6
	v_mov_b32_e32 v10, v28
	v_cmp_gt_u32_e64 s1, s19, v25
	v_mov_b32_e32 v44, 0
	v_mul_lo_u32 v27, v8, s17
	v_mov_b32_e32 v8, v28
	v_min_u32_e32 v9, s26, v7
	v_mul_lo_u32 v7, v6, s17
	v_mov_b32_e32 v6, v28
	v_min_u32_e32 v5, s26, v5
	v_mov_b32_e32 v42, 0
	v_mul_lo_u32 v9, v9, s17
	v_lshlrev_b64 v[29:30], 1, v[27:28]
	v_mov_b32_e32 v26, 0
	v_mul_lo_u32 v5, v5, s17
	v_lshlrev_b64 v[33:34], 1, v[7:8]
	s_mov_b32 s12, 0
	v_lshlrev_b64 v[35:36], 1, v[9:10]
	s_delay_alu instid0(VALU_DEP_3)
	v_lshlrev_b64 v[31:32], 1, v[5:6]
	s_branch .LBB169_16
.LBB169_14:                             ;   in Loop: Header=BB169_16 Depth=2
	s_or_b32 exec_lo, exec_lo, s13
	s_waitcnt lgkmcnt(0)
	v_and_b32_e32 v46, 0xffff0000, v22
	s_waitcnt vmcnt(3)
	v_and_b32_e32 v47, 0xffff0000, v18
	v_and_b32_e32 v27, 0xffff0000, v21
	v_lshlrev_b32_e32 v21, 16, v21
	v_lshlrev_b32_e32 v22, 16, v22
	s_delay_alu instid0(VALU_DEP_4) | instskip(NEXT) | instid1(VALU_DEP_1)
	v_dual_mul_f32 v47, v46, v47 :: v_dual_lshlrev_b32 v18, 16, v18
	v_dual_fmac_f32 v47, v22, v18 :: v_dual_and_b32 v48, 0xffff0000, v23
	s_waitcnt vmcnt(2)
	v_and_b32_e32 v18, 0xffff0000, v13
	v_and_b32_e32 v45, 0xffff0000, v17
	s_delay_alu instid0(VALU_DEP_2) | instskip(SKIP_1) | instid1(VALU_DEP_3)
	v_dual_mul_f32 v18, v27, v18 :: v_dual_lshlrev_b32 v13, 16, v13
	v_lshlrev_b32_e32 v23, 16, v23
	v_mul_f32_e32 v45, v27, v45
	s_delay_alu instid0(VALU_DEP_3) | instskip(NEXT) | instid1(VALU_DEP_1)
	v_fmac_f32_e32 v18, v21, v13
	v_dual_add_f32 v18, v43, v18 :: v_dual_lshlrev_b32 v17, 16, v17
	v_lshlrev_b32_e32 v13, 16, v14
	s_delay_alu instid0(VALU_DEP_2) | instskip(SKIP_1) | instid1(VALU_DEP_2)
	v_fmac_f32_e32 v45, v21, v17
	v_and_b32_e32 v17, 0xffff0000, v19
	v_dual_add_f32 v44, v44, v45 :: v_dual_lshlrev_b32 v19, 16, v19
	s_delay_alu instid0(VALU_DEP_2) | instskip(SKIP_1) | instid1(VALU_DEP_2)
	v_mul_f32_e32 v17, v48, v17
	v_and_b32_e32 v45, 0xffff0000, v24
	v_fmac_f32_e32 v17, v23, v19
	s_delay_alu instid0(VALU_DEP_4) | instskip(NEXT) | instid1(VALU_DEP_1)
	v_dual_add_f32 v19, v44, v47 :: v_dual_and_b32 v44, 0xffff0000, v14
	v_mul_f32_e32 v14, v46, v44
	s_delay_alu instid0(VALU_DEP_2) | instskip(SKIP_2) | instid1(VALU_DEP_4)
	v_dual_add_f32 v17, v19, v17 :: v_dual_and_b32 v44, 0xffff0000, v20
	v_lshlrev_b32_e32 v19, 16, v24
	v_and_b32_e32 v24, 0xffff0000, v15
	v_dual_fmac_f32 v14, v22, v13 :: v_dual_lshlrev_b32 v13, 16, v15
	s_waitcnt vmcnt(1)
	s_delay_alu instid0(VALU_DEP_2) | instskip(SKIP_1) | instid1(VALU_DEP_3)
	v_dual_mul_f32 v15, v48, v24 :: v_dual_and_b32 v24, 0xffff0000, v9
	v_lshlrev_b32_e32 v20, 16, v20
	v_dual_add_f32 v14, v18, v14 :: v_dual_lshlrev_b32 v9, 16, v9
	s_delay_alu instid0(VALU_DEP_3) | instskip(NEXT) | instid1(VALU_DEP_4)
	v_fmac_f32_e32 v15, v23, v13
	v_dual_mul_f32 v13, v27, v24 :: v_dual_and_b32 v18, 0xffff0000, v10
	s_delay_alu instid0(VALU_DEP_1) | instskip(SKIP_1) | instid1(VALU_DEP_3)
	v_dual_add_f32 v14, v14, v15 :: v_dual_fmac_f32 v13, v21, v9
	v_lshlrev_b32_e32 v9, 16, v10
	v_mul_f32_e32 v10, v46, v18
	s_waitcnt vmcnt(0)
	v_and_b32_e32 v18, 0xffff0000, v5
	v_lshlrev_b32_e32 v5, 16, v5
	s_delay_alu instid0(VALU_DEP_3) | instskip(NEXT) | instid1(VALU_DEP_3)
	v_dual_fmac_f32 v10, v22, v9 :: v_dual_mul_f32 v43, v45, v44
	v_mul_f32_e32 v18, v27, v18
	s_delay_alu instid0(VALU_DEP_2) | instskip(NEXT) | instid1(VALU_DEP_2)
	v_dual_fmac_f32 v43, v19, v20 :: v_dual_and_b32 v20, 0xffff0000, v6
	v_dual_fmac_f32 v18, v21, v5 :: v_dual_lshlrev_b32 v5, 16, v6
	v_and_b32_e32 v15, 0xffff0000, v16
	v_lshlrev_b32_e32 v16, 16, v16
	s_delay_alu instid0(VALU_DEP_4) | instskip(NEXT) | instid1(VALU_DEP_4)
	v_mul_f32_e32 v6, v46, v20
	v_add_f32_e32 v18, v26, v18
	v_dual_add_f32 v13, v42, v13 :: v_dual_add_f32 v44, v17, v43
	s_delay_alu instid0(VALU_DEP_3) | instskip(SKIP_1) | instid1(VALU_DEP_3)
	v_dual_mul_f32 v15, v45, v15 :: v_dual_fmac_f32 v6, v22, v5
	v_and_b32_e32 v9, 0xffff0000, v11
	v_dual_add_f32 v10, v13, v10 :: v_dual_lshlrev_b32 v11, 16, v11
	s_delay_alu instid0(VALU_DEP_3) | instskip(NEXT) | instid1(VALU_DEP_3)
	v_dual_add_f32 v6, v18, v6 :: v_dual_and_b32 v13, 0xffff0000, v12
	v_mul_f32_e32 v9, v48, v9
	v_lshlrev_b32_e32 v5, 16, v7
	s_delay_alu instid0(VALU_DEP_3) | instskip(NEXT) | instid1(VALU_DEP_3)
	v_mul_f32_e32 v13, v45, v13
	v_fmac_f32_e32 v9, v23, v11
	v_and_b32_e32 v11, 0xffff0000, v7
	s_delay_alu instid0(VALU_DEP_1) | instskip(SKIP_3) | instid1(VALU_DEP_4)
	v_mul_f32_e32 v7, v48, v11
	v_lshlrev_b32_e32 v11, 16, v12
	v_and_b32_e32 v12, 0xffff0000, v8
	v_fmac_f32_e32 v15, v19, v16
	v_fmac_f32_e32 v7, v23, v5
	v_lshlrev_b32_e32 v5, 16, v8
	s_delay_alu instid0(VALU_DEP_4) | instskip(NEXT) | instid1(VALU_DEP_4)
	v_dual_mul_f32 v8, v45, v12 :: v_dual_fmac_f32 v13, v19, v11
	v_add_f32_e32 v43, v14, v15
	s_delay_alu instid0(VALU_DEP_4) | instskip(NEXT) | instid1(VALU_DEP_3)
	v_add_f32_e32 v6, v6, v7
	v_fmac_f32_e32 v8, v19, v5
	s_delay_alu instid0(VALU_DEP_1) | instskip(SKIP_1) | instid1(VALU_DEP_1)
	v_add_f32_e32 v26, v6, v8
	v_add_f32_e32 v9, v10, v9
	;; [unrolled: 1-line block ×3, first 2 shown]
.LBB169_15:                             ;   in Loop: Header=BB169_16 Depth=2
	s_or_b32 exec_lo, exec_lo, s2
	s_addk_i32 s12, 0x100
	s_delay_alu instid0(SALU_CYCLE_1)
	s_cmp_ge_u32 s12, s16
	s_cbranch_scc1 .LBB169_27
.LBB169_16:                             ;   Parent Loop BB169_12 Depth=1
                                        ; =>  This Loop Header: Depth=2
                                        ;       Child Loop BB169_21 Depth 3
	s_cmp_eq_u32 s12, 0
	s_cselect_b32 s13, -1, 0
	s_add_i32 s2, s3, s21
	s_delay_alu instid0(SALU_CYCLE_1) | instskip(SKIP_1) | instid1(SALU_CYCLE_1)
	s_cmp_eq_u32 s12, s2
	s_cselect_b32 s34, -1, 0
	s_or_b32 s34, s13, s34
	s_delay_alu instid0(SALU_CYCLE_1)
	s_and_not1_b32 vcc_lo, exec_lo, s34
	s_cbranch_vccz .LBB169_18
; %bb.17:                               ;   in Loop: Header=BB169_16 Depth=2
	s_and_saveexec_b32 s2, s1
	s_cbranch_execz .LBB169_15
	s_branch .LBB169_25
.LBB169_18:                             ;   in Loop: Header=BB169_16 Depth=2
	s_and_b32 s13, s13, exec_lo
	s_cselect_b32 s3, s3, s2
	s_and_not1_b32 vcc_lo, exec_lo, s23
	s_waitcnt vmcnt(0)
	s_waitcnt_vscnt null, 0x0
	s_barrier
	buffer_gl0_inv
	s_cbranch_vccnz .LBB169_24
; %bb.19:                               ;   in Loop: Header=BB169_16 Depth=2
	v_dual_mov_b32 v6, v39 :: v_dual_add_nc_u32 v5, s3, v40
	s_mov_b32 s13, 0
	s_mov_b32 s34, 0
                                        ; implicit-def: $sgpr35
	s_set_inst_prefetch_distance 0x1
	s_branch .LBB169_21
	.p2align	6
.LBB169_20:                             ;   in Loop: Header=BB169_21 Depth=3
	s_or_b32 exec_lo, exec_lo, s2
	s_delay_alu instid0(SALU_CYCLE_1) | instskip(NEXT) | instid1(SALU_CYCLE_1)
	s_and_b32 s2, exec_lo, s35
	s_or_b32 s13, s2, s13
	s_delay_alu instid0(SALU_CYCLE_1)
	s_and_not1_b32 exec_lo, exec_lo, s13
	s_cbranch_execz .LBB169_23
.LBB169_21:                             ;   Parent Loop BB169_12 Depth=1
                                        ;     Parent Loop BB169_16 Depth=2
                                        ; =>    This Inner Loop Header: Depth=3
	v_add_nc_u32_e32 v27, s34, v5
	v_add_nc_u32_e32 v7, s34, v40
	s_or_b32 s35, s35, exec_lo
	s_delay_alu instid0(VALU_DEP_2) | instskip(NEXT) | instid1(VALU_DEP_2)
	v_cmp_gt_u32_e32 vcc_lo, s18, v27
	v_cmp_gt_u32_e64 s2, s21, v7
	s_delay_alu instid0(VALU_DEP_1) | instskip(NEXT) | instid1(SALU_CYCLE_1)
	s_and_b32 s36, s2, vcc_lo
	s_and_saveexec_b32 s2, s36
	s_cbranch_execz .LBB169_20
; %bb.22:                               ;   in Loop: Header=BB169_21 Depth=3
	v_lshlrev_b64 v[7:8], 1, v[27:28]
	s_add_i32 s34, s34, s24
	s_delay_alu instid0(SALU_CYCLE_1) | instskip(SKIP_1) | instid1(VALU_DEP_1)
	s_cmp_ge_u32 s34, s21
	s_cselect_b32 s36, -1, 0
	v_add_co_u32 v7, vcc_lo, s6, v7
	s_delay_alu instid0(VALU_DEP_2) | instskip(SKIP_2) | instid1(SALU_CYCLE_1)
	v_add_co_ci_u32_e32 v8, vcc_lo, s7, v8, vcc_lo
	s_and_not1_b32 s35, s35, exec_lo
	s_and_b32 s36, s36, exec_lo
	s_or_b32 s35, s35, s36
	global_load_b128 v[7:10], v[7:8], off
	s_waitcnt vmcnt(0)
	ds_store_b128 v6, v[7:10]
	v_add_nc_u32_e32 v6, s33, v6
	s_branch .LBB169_20
.LBB169_23:                             ;   in Loop: Header=BB169_16 Depth=2
	s_set_inst_prefetch_distance 0x2
	s_or_b32 exec_lo, exec_lo, s13
.LBB169_24:                             ;   in Loop: Header=BB169_16 Depth=2
	s_waitcnt lgkmcnt(0)
	s_barrier
	buffer_gl0_inv
	s_and_saveexec_b32 s2, s1
	s_cbranch_execz .LBB169_15
.LBB169_25:                             ;   in Loop: Header=BB169_16 Depth=2
	v_dual_mov_b32 v24, 0 :: v_dual_add_nc_u32 v45, s12, v37
	v_mov_b32_e32 v23, 0
	s_mov_b32 s13, exec_lo
	s_delay_alu instid0(VALU_DEP_2) | instskip(NEXT) | instid1(VALU_DEP_1)
	v_min_u32_e32 v27, s25, v45
	v_lshlrev_b64 v[5:6], 1, v[27:28]
	s_delay_alu instid0(VALU_DEP_1) | instskip(SKIP_1) | instid1(VALU_DEP_2)
	v_add_co_u32 v11, vcc_lo, s4, v5
	s_waitcnt vmcnt(0)
	v_add_co_ci_u32_e32 v12, vcc_lo, s5, v6, vcc_lo
	s_delay_alu instid0(VALU_DEP_2) | instskip(NEXT) | instid1(VALU_DEP_2)
	v_add_co_u32 v5, vcc_lo, v11, v29
	v_add_co_ci_u32_e32 v6, vcc_lo, v12, v30, vcc_lo
	v_add_co_u32 v7, vcc_lo, v11, v31
	v_add_co_ci_u32_e32 v8, vcc_lo, v12, v32, vcc_lo
	;; [unrolled: 2-line block ×4, first 2 shown]
	s_clause 0x3
	global_load_b128 v[17:20], v[5:6], off slc dlc
	global_load_b128 v[13:16], v[7:8], off slc dlc
	;; [unrolled: 1-line block ×4, first 2 shown]
	v_dual_mov_b32 v22, 0 :: v_dual_mov_b32 v21, 0
	v_cmpx_gt_u32_e64 s16, v45
	s_cbranch_execz .LBB169_14
; %bb.26:                               ;   in Loop: Header=BB169_16 Depth=2
	v_subrev_nc_u32_e32 v21, s3, v45
	s_delay_alu instid0(VALU_DEP_1)
	v_lshlrev_b32_e32 v21, 1, v21
	ds_load_b128 v[21:24], v21
	s_branch .LBB169_14
.LBB169_27:                             ;   in Loop: Header=BB169_12 Depth=1
	s_mov_b32 s1, exec_lo
	v_cmpx_le_u32_e64 s19, v25
	s_xor_b32 s1, exec_lo, s1
; %bb.28:                               ;   in Loop: Header=BB169_12 Depth=1
	v_add_nc_u32_e32 v25, s27, v25
                                        ; implicit-def: $vgpr44
                                        ; implicit-def: $vgpr43
                                        ; implicit-def: $vgpr42
                                        ; implicit-def: $vgpr26
; %bb.29:                               ;   in Loop: Header=BB169_12 Depth=1
	s_and_not1_saveexec_b32 s34, s1
	s_cbranch_execz .LBB169_11
; %bb.30:                               ;   in Loop: Header=BB169_12 Depth=1
	v_cvt_i32_f32_e32 v5, v44
	v_cvt_i32_f32_e32 v6, v43
	v_cvt_i32_f32_e32 v8, v26
	s_waitcnt lgkmcnt(0)
	v_cvt_i32_f32_e32 v7, v42
	v_cmp_gt_i32_e32 vcc_lo, 32, v38
	v_cvt_f32_i32_dpp v5, v5 row_shr:8 row_mask:0xf bank_mask:0xf bound_ctrl:1
	v_cvt_f32_i32_dpp v6, v6 row_shr:8 row_mask:0xf bank_mask:0xf bound_ctrl:1
	;; [unrolled: 1-line block ×4, first 2 shown]
	s_delay_alu instid0(VALU_DEP_3) | instskip(NEXT) | instid1(VALU_DEP_1)
	v_dual_add_f32 v5, v44, v5 :: v_dual_add_f32 v6, v43, v6
	v_cvt_i32_f32_e32 v9, v5
	s_delay_alu instid0(VALU_DEP_2) | instskip(NEXT) | instid1(VALU_DEP_2)
	v_cvt_i32_f32_e32 v10, v6
	v_cvt_f32_i32_dpp v9, v9 row_shr:4 row_mask:0xf bank_mask:0xf bound_ctrl:1
	v_add_f32_e32 v8, v26, v8
	s_delay_alu instid0(VALU_DEP_3) | instskip(NEXT) | instid1(VALU_DEP_3)
	v_cvt_f32_i32_dpp v10, v10 row_shr:4 row_mask:0xf bank_mask:0xf bound_ctrl:1
	v_add_f32_e32 v5, v5, v9
	s_waitcnt vmcnt(0)
	s_delay_alu instid0(VALU_DEP_3) | instskip(NEXT) | instid1(VALU_DEP_2)
	v_cvt_i32_f32_e32 v12, v8
	v_cvt_i32_f32_e32 v9, v5
	s_delay_alu instid0(VALU_DEP_2) | instskip(SKIP_1) | instid1(VALU_DEP_3)
	v_cvt_f32_i32_dpp v12, v12 row_shr:4 row_mask:0xf bank_mask:0xf bound_ctrl:1
	v_add_f32_e32 v7, v42, v7
	v_cvt_f32_i32_dpp v9, v9 row_shr:2 row_mask:0xf bank_mask:0xf bound_ctrl:1
	s_delay_alu instid0(VALU_DEP_3) | instskip(NEXT) | instid1(VALU_DEP_3)
	v_add_f32_e32 v8, v8, v12
	v_cvt_i32_f32_e32 v11, v7
	s_delay_alu instid0(VALU_DEP_2) | instskip(NEXT) | instid1(VALU_DEP_2)
	v_cvt_i32_f32_e32 v12, v8
	v_cvt_f32_i32_dpp v11, v11 row_shr:4 row_mask:0xf bank_mask:0xf bound_ctrl:1
	v_add_f32_e32 v6, v6, v10
	s_delay_alu instid0(VALU_DEP_3) | instskip(NEXT) | instid1(VALU_DEP_3)
	v_cvt_f32_i32_dpp v12, v12 row_shr:2 row_mask:0xf bank_mask:0xf bound_ctrl:1
	v_add_f32_e32 v7, v7, v11
	s_delay_alu instid0(VALU_DEP_3) | instskip(NEXT) | instid1(VALU_DEP_2)
	v_cvt_i32_f32_e32 v10, v6
	v_cvt_i32_f32_e32 v11, v7
	s_delay_alu instid0(VALU_DEP_2) | instskip(SKIP_1) | instid1(VALU_DEP_3)
	v_cvt_f32_i32_dpp v10, v10 row_shr:2 row_mask:0xf bank_mask:0xf bound_ctrl:1
	v_add_f32_e32 v5, v5, v9
	v_cvt_f32_i32_dpp v11, v11 row_shr:2 row_mask:0xf bank_mask:0xf bound_ctrl:1
	s_delay_alu instid0(VALU_DEP_3) | instskip(NEXT) | instid1(VALU_DEP_1)
	v_add_f32_e32 v6, v6, v10
	v_cvt_i32_f32_e32 v10, v6
	s_delay_alu instid0(VALU_DEP_1) | instskip(NEXT) | instid1(VALU_DEP_1)
	v_cvt_f32_i32_dpp v10, v10 row_shr:1 row_mask:0xf bank_mask:0xf bound_ctrl:1
	v_dual_add_f32 v7, v7, v11 :: v_dual_add_f32 v10, v6, v10
	s_delay_alu instid0(VALU_DEP_1) | instskip(NEXT) | instid1(VALU_DEP_1)
	v_cvt_i32_f32_e32 v11, v7
	v_cvt_f32_i32_dpp v11, v11 row_shr:1 row_mask:0xf bank_mask:0xf bound_ctrl:1
	v_add_f32_e32 v9, v8, v12
	v_cvt_i32_f32_e32 v8, v5
	v_cndmask_b32_e32 v13, v0, v38, vcc_lo
	s_delay_alu instid0(VALU_DEP_2) | instskip(NEXT) | instid1(VALU_DEP_2)
	v_cvt_f32_i32_dpp v8, v8 row_shr:1 row_mask:0xf bank_mask:0xf bound_ctrl:1
	v_lshlrev_b32_e32 v15, 2, v13
	s_delay_alu instid0(VALU_DEP_2) | instskip(SKIP_4) | instid1(VALU_DEP_1)
	v_dual_add_f32 v13, v5, v8 :: v_dual_add_f32 v8, v7, v11
	v_cvt_i32_f32_e32 v12, v9
	ds_bpermute_b32 v11, v15, v10
	ds_bpermute_b32 v14, v15, v13
	v_cvt_f32_i32_dpp v12, v12 row_shr:1 row_mask:0xf bank_mask:0xf bound_ctrl:1
	v_add_f32_e32 v6, v9, v12
	ds_bpermute_b32 v9, v15, v8
	ds_bpermute_b32 v7, v15, v6
	s_and_saveexec_b32 s1, s0
	s_cbranch_execz .LBB169_57
; %bb.31:                               ;   in Loop: Header=BB169_12 Depth=1
	v_dual_mov_b32 v12, 0 :: v_dual_add_nc_u32 v27, 2, v25
	v_dual_mov_b32 v16, 0 :: v_dual_add_nc_u32 v5, 3, v25
	v_mov_b32_e32 v15, 0
	v_mov_b32_e32 v17, 0
	s_and_not1_b32 vcc_lo, exec_lo, s28
	s_cbranch_vccnz .LBB169_33
; %bb.32:                               ;   in Loop: Header=BB169_12 Depth=1
	v_mul_hi_u32 v12, v25, v41
	v_mul_hi_u32 v16, v27, v41
	v_add_nc_u32_e32 v15, 1, v25
	v_mul_hi_u32 v17, v5, v41
	s_delay_alu instid0(VALU_DEP_4) | instskip(NEXT) | instid1(VALU_DEP_4)
	v_mul_lo_u32 v12, v12, s20
	v_mul_lo_u32 v19, v16, s20
	v_mov_b32_e32 v16, v28
	v_mul_hi_u32 v18, v15, v41
	v_mul_lo_u32 v17, v17, s20
	v_sub_nc_u32_e32 v12, v25, v12
	v_sub_nc_u32_e32 v19, v27, v19
	s_delay_alu instid0(VALU_DEP_4) | instskip(NEXT) | instid1(VALU_DEP_4)
	v_mul_lo_u32 v21, v18, s20
	v_sub_nc_u32_e32 v17, v5, v17
	s_delay_alu instid0(VALU_DEP_4) | instskip(SKIP_1) | instid1(VALU_DEP_3)
	v_subrev_nc_u32_e32 v23, s20, v12
	v_cmp_le_u32_e32 vcc_lo, s20, v12
	v_subrev_nc_u32_e32 v24, s20, v17
	v_sub_nc_u32_e32 v15, v15, v21
	v_subrev_nc_u32_e32 v21, s20, v19
	v_cndmask_b32_e32 v12, v12, v23, vcc_lo
	v_cmp_le_u32_e32 vcc_lo, s20, v19
	v_mov_b32_e32 v18, v28
	v_subrev_nc_u32_e32 v23, s20, v15
	v_cndmask_b32_e32 v19, v19, v21, vcc_lo
	v_cmp_le_u32_e32 vcc_lo, s20, v17
	v_mov_b32_e32 v20, v28
	;; [unrolled: 4-line block ×3, first 2 shown]
	v_subrev_nc_u32_e32 v24, s20, v19
	s_delay_alu instid0(VALU_DEP_4) | instskip(SKIP_4) | instid1(VALU_DEP_4)
	v_subrev_nc_u32_e32 v26, s20, v17
	v_cndmask_b32_e32 v23, v15, v23, vcc_lo
	v_cmp_le_u32_e32 vcc_lo, s20, v12
	v_cndmask_b32_e32 v15, v12, v21, vcc_lo
	v_cmp_le_u32_e32 vcc_lo, s20, v19
	v_subrev_nc_u32_e32 v12, s20, v23
	s_delay_alu instid0(VALU_DEP_3) | instskip(SKIP_2) | instid1(VALU_DEP_2)
	v_lshlrev_b64 v[15:16], 1, v[15:16]
	v_cndmask_b32_e32 v19, v19, v24, vcc_lo
	v_cmp_le_u32_e32 vcc_lo, s20, v17
	v_lshlrev_b64 v[19:20], 1, v[19:20]
	v_cndmask_b32_e32 v21, v17, v26, vcc_lo
	v_cmp_le_u32_e32 vcc_lo, s20, v23
	s_delay_alu instid0(VALU_DEP_2) | instskip(SKIP_3) | instid1(VALU_DEP_3)
	v_lshlrev_b64 v[21:22], 1, v[21:22]
	v_cndmask_b32_e32 v17, v23, v12, vcc_lo
	v_add_co_u32 v15, vcc_lo, s8, v15
	v_add_co_ci_u32_e32 v16, vcc_lo, s9, v16, vcc_lo
	v_lshlrev_b64 v[17:18], 1, v[17:18]
	s_delay_alu instid0(VALU_DEP_1) | instskip(NEXT) | instid1(VALU_DEP_2)
	v_add_co_u32 v23, vcc_lo, s8, v17
	v_add_co_ci_u32_e32 v24, vcc_lo, s9, v18, vcc_lo
	v_add_co_u32 v18, vcc_lo, s8, v19
	v_add_co_ci_u32_e32 v19, vcc_lo, s9, v20, vcc_lo
	;; [unrolled: 2-line block ×3, first 2 shown]
	s_clause 0x3
	global_load_u16 v17, v[15:16], off
	global_load_u16 v16, v[23:24], off
	;; [unrolled: 1-line block ×4, first 2 shown]
.LBB169_33:                             ;   in Loop: Header=BB169_12 Depth=1
	s_mov_b32 s2, exec_lo
	v_cmpx_ne_u32_e32 0, v1
	s_cbranch_execz .LBB169_39
; %bb.34:                               ;   in Loop: Header=BB169_12 Depth=1
	s_waitcnt vmcnt(3) lgkmcnt(2)
	v_dual_add_f32 v13, v13, v14 :: v_dual_lshlrev_b32 v14, 16, v17
	s_delay_alu instid0(VALU_DEP_1) | instskip(NEXT) | instid1(VALU_DEP_1)
	v_add_f32_e32 v14, v13, v14
	v_and_b32_e32 v13, 0x7f800000, v14
	s_delay_alu instid0(VALU_DEP_1) | instskip(SKIP_1) | instid1(SALU_CYCLE_1)
	v_cmp_ne_u32_e32 vcc_lo, 0x7f800000, v13
                                        ; implicit-def: $vgpr13
	s_and_saveexec_b32 s3, vcc_lo
	s_xor_b32 s3, exec_lo, s3
; %bb.35:                               ;   in Loop: Header=BB169_12 Depth=1
	v_bfe_u32 v13, v14, 16, 1
	s_delay_alu instid0(VALU_DEP_1)
	v_add3_u32 v13, v14, v13, 0x7fff
                                        ; implicit-def: $vgpr14
; %bb.36:                               ;   in Loop: Header=BB169_12 Depth=1
	s_and_not1_saveexec_b32 s3, s3
; %bb.37:                               ;   in Loop: Header=BB169_12 Depth=1
	v_and_b32_e32 v13, 0xffff, v14
	v_or_b32_e32 v17, 0x10000, v14
	s_delay_alu instid0(VALU_DEP_2) | instskip(NEXT) | instid1(VALU_DEP_2)
	v_cmp_eq_u32_e32 vcc_lo, 0, v13
	v_cndmask_b32_e32 v13, v17, v14, vcc_lo
; %bb.38:                               ;   in Loop: Header=BB169_12 Depth=1
	s_or_b32 exec_lo, exec_lo, s3
	v_mov_b32_e32 v26, v28
	s_delay_alu instid0(VALU_DEP_1) | instskip(NEXT) | instid1(VALU_DEP_1)
	v_lshlrev_b64 v[17:18], 1, v[25:26]
	v_add_co_u32 v17, vcc_lo, s10, v17
	s_delay_alu instid0(VALU_DEP_2)
	v_add_co_ci_u32_e32 v18, vcc_lo, s11, v18, vcc_lo
	global_store_d16_hi_b16 v[17:18], v13, off
.LBB169_39:                             ;   in Loop: Header=BB169_12 Depth=1
	s_or_b32 exec_lo, exec_lo, s2
	s_delay_alu instid0(SALU_CYCLE_1)
	s_mov_b32 s2, exec_lo
	v_cmpx_ne_u32_e32 0, v2
	s_cbranch_execz .LBB169_45
; %bb.40:                               ;   in Loop: Header=BB169_12 Depth=1
	s_waitcnt vmcnt(2) lgkmcnt(3)
	v_dual_add_f32 v10, v10, v11 :: v_dual_lshlrev_b32 v11, 16, v16
	s_delay_alu instid0(VALU_DEP_1) | instskip(NEXT) | instid1(VALU_DEP_1)
	v_add_f32_e32 v11, v10, v11
	v_and_b32_e32 v10, 0x7f800000, v11
	s_delay_alu instid0(VALU_DEP_1) | instskip(SKIP_1) | instid1(SALU_CYCLE_1)
	v_cmp_ne_u32_e32 vcc_lo, 0x7f800000, v10
                                        ; implicit-def: $vgpr10
	s_and_saveexec_b32 s3, vcc_lo
	s_xor_b32 s3, exec_lo, s3
; %bb.41:                               ;   in Loop: Header=BB169_12 Depth=1
	v_bfe_u32 v10, v11, 16, 1
	s_delay_alu instid0(VALU_DEP_1)
	v_add3_u32 v10, v11, v10, 0x7fff
                                        ; implicit-def: $vgpr11
; %bb.42:                               ;   in Loop: Header=BB169_12 Depth=1
	s_and_not1_saveexec_b32 s3, s3
; %bb.43:                               ;   in Loop: Header=BB169_12 Depth=1
	v_and_b32_e32 v10, 0xffff, v11
	v_or_b32_e32 v13, 0x10000, v11
	s_delay_alu instid0(VALU_DEP_2) | instskip(NEXT) | instid1(VALU_DEP_2)
	v_cmp_eq_u32_e32 vcc_lo, 0, v10
	v_cndmask_b32_e32 v10, v13, v11, vcc_lo
; %bb.44:                               ;   in Loop: Header=BB169_12 Depth=1
	s_or_b32 exec_lo, exec_lo, s3
	v_mov_b32_e32 v26, v28
	s_waitcnt lgkmcnt(2)
	s_delay_alu instid0(VALU_DEP_1) | instskip(NEXT) | instid1(VALU_DEP_1)
	v_lshlrev_b64 v[13:14], 1, v[25:26]
	v_add_co_u32 v13, vcc_lo, s30, v13
	s_delay_alu instid0(VALU_DEP_2)
	v_add_co_ci_u32_e32 v14, vcc_lo, s31, v14, vcc_lo
	global_store_d16_hi_b16 v[13:14], v10, off
.LBB169_45:                             ;   in Loop: Header=BB169_12 Depth=1
	s_or_b32 exec_lo, exec_lo, s2
	s_delay_alu instid0(SALU_CYCLE_1)
	s_mov_b32 s2, exec_lo
	v_cmpx_ne_u32_e32 0, v3
	s_cbranch_execz .LBB169_51
; %bb.46:                               ;   in Loop: Header=BB169_12 Depth=1
	s_waitcnt vmcnt(1) lgkmcnt(1)
	v_dual_add_f32 v8, v8, v9 :: v_dual_lshlrev_b32 v9, 16, v15
	s_delay_alu instid0(VALU_DEP_1) | instskip(NEXT) | instid1(VALU_DEP_1)
	v_add_f32_e32 v9, v8, v9
	v_and_b32_e32 v8, 0x7f800000, v9
	s_delay_alu instid0(VALU_DEP_1) | instskip(SKIP_1) | instid1(SALU_CYCLE_1)
	v_cmp_ne_u32_e32 vcc_lo, 0x7f800000, v8
                                        ; implicit-def: $vgpr8
	s_and_saveexec_b32 s3, vcc_lo
	s_xor_b32 s3, exec_lo, s3
; %bb.47:                               ;   in Loop: Header=BB169_12 Depth=1
	v_bfe_u32 v8, v9, 16, 1
	s_delay_alu instid0(VALU_DEP_1)
	v_add3_u32 v8, v9, v8, 0x7fff
                                        ; implicit-def: $vgpr9
; %bb.48:                               ;   in Loop: Header=BB169_12 Depth=1
	s_and_not1_saveexec_b32 s3, s3
; %bb.49:                               ;   in Loop: Header=BB169_12 Depth=1
	v_and_b32_e32 v8, 0xffff, v9
	v_or_b32_e32 v10, 0x10000, v9
	s_delay_alu instid0(VALU_DEP_2) | instskip(NEXT) | instid1(VALU_DEP_2)
	v_cmp_eq_u32_e32 vcc_lo, 0, v8
	v_cndmask_b32_e32 v8, v10, v9, vcc_lo
; %bb.50:                               ;   in Loop: Header=BB169_12 Depth=1
	s_or_b32 exec_lo, exec_lo, s3
	v_lshlrev_b64 v[9:10], 1, v[27:28]
	s_delay_alu instid0(VALU_DEP_1) | instskip(NEXT) | instid1(VALU_DEP_2)
	v_add_co_u32 v9, vcc_lo, s10, v9
	v_add_co_ci_u32_e32 v10, vcc_lo, s11, v10, vcc_lo
	global_store_d16_hi_b16 v[9:10], v8, off
.LBB169_51:                             ;   in Loop: Header=BB169_12 Depth=1
	s_or_b32 exec_lo, exec_lo, s2
	v_cmp_ne_u32_e32 vcc_lo, 0, v4
	s_and_b32 exec_lo, exec_lo, vcc_lo
	s_cbranch_execz .LBB169_57
; %bb.52:                               ;   in Loop: Header=BB169_12 Depth=1
	s_waitcnt vmcnt(0) lgkmcnt(0)
	v_dual_add_f32 v6, v6, v7 :: v_dual_lshlrev_b32 v7, 16, v12
	s_delay_alu instid0(VALU_DEP_1) | instskip(NEXT) | instid1(VALU_DEP_1)
	v_add_f32_e32 v6, v6, v7
	v_and_b32_e32 v7, 0x7f800000, v6
	s_delay_alu instid0(VALU_DEP_1) | instskip(SKIP_1) | instid1(SALU_CYCLE_1)
	v_cmp_ne_u32_e32 vcc_lo, 0x7f800000, v7
                                        ; implicit-def: $vgpr7
	s_and_saveexec_b32 s2, vcc_lo
	s_xor_b32 s2, exec_lo, s2
; %bb.53:                               ;   in Loop: Header=BB169_12 Depth=1
	v_bfe_u32 v7, v6, 16, 1
	s_delay_alu instid0(VALU_DEP_1)
	v_add3_u32 v7, v6, v7, 0x7fff
                                        ; implicit-def: $vgpr6
; %bb.54:                               ;   in Loop: Header=BB169_12 Depth=1
	s_and_not1_saveexec_b32 s2, s2
; %bb.55:                               ;   in Loop: Header=BB169_12 Depth=1
	v_and_b32_e32 v7, 0xffff, v6
	v_or_b32_e32 v8, 0x10000, v6
	s_delay_alu instid0(VALU_DEP_2) | instskip(NEXT) | instid1(VALU_DEP_2)
	v_cmp_eq_u32_e32 vcc_lo, 0, v7
	v_cndmask_b32_e32 v7, v8, v6, vcc_lo
; %bb.56:                               ;   in Loop: Header=BB169_12 Depth=1
	s_or_b32 exec_lo, exec_lo, s2
	v_mov_b32_e32 v6, v28
	s_delay_alu instid0(VALU_DEP_1) | instskip(NEXT) | instid1(VALU_DEP_1)
	v_lshlrev_b64 v[5:6], 1, v[5:6]
	v_add_co_u32 v5, vcc_lo, s10, v5
	s_delay_alu instid0(VALU_DEP_2)
	v_add_co_ci_u32_e32 v6, vcc_lo, s11, v6, vcc_lo
	global_store_d16_hi_b16 v[5:6], v7, off
.LBB169_57:                             ;   in Loop: Header=BB169_12 Depth=1
	s_or_b32 exec_lo, exec_lo, s1
	v_add_nc_u32_e32 v25, s27, v25
	s_delay_alu instid0(VALU_DEP_1) | instskip(SKIP_1) | instid1(VALU_DEP_2)
	v_add_nc_u32_e32 v5, 4, v25
	v_cmp_gt_u32_e32 vcc_lo, s19, v25
	v_cmp_le_u32_e64 s1, s19, v5
	s_delay_alu instid0(VALU_DEP_1) | instskip(NEXT) | instid1(SALU_CYCLE_1)
	s_and_b32 s1, vcc_lo, s1
	s_and_saveexec_b32 s35, s1
	s_cbranch_execz .LBB169_10
; %bb.58:                               ;   in Loop: Header=BB169_12 Depth=1
	s_mov_b32 s36, exec_lo
	v_cmpx_ne_u32_e64 s29, v25
	s_cbranch_execz .LBB169_9
; %bb.59:                               ;   in Loop: Header=BB169_12 Depth=1
	v_subrev_nc_u32_e32 v5, s29, v25
	s_mov_b32 s37, 0
	s_mov_b64 s[12:13], 0
	s_delay_alu instid0(VALU_DEP_1)
	v_cmp_lt_u32_e32 vcc_lo, 1, v5
	v_cndmask_b32_e32 v5, 1, v5, vcc_lo
	.p2align	6
.LBB169_60:                             ;   Parent Loop BB169_12 Depth=1
                                        ; =>  This Inner Loop Header: Depth=2
	s_cmp_lg_u32 s12, 3
	s_cselect_b32 vcc_lo, -1, 0
	s_cmp_lg_u32 s12, 2
	v_cndmask_b32_e32 v4, 0, v4, vcc_lo
	s_cselect_b32 s1, -1, 0
	s_cmp_lg_u32 s12, 1
	v_cndmask_b32_e64 v3, 0, v3, s1
	s_cselect_b32 s2, -1, 0
	s_cmp_lg_u32 s12, 0
	v_cndmask_b32_e64 v2, 0, v2, s2
	s_cselect_b32 s3, -1, 0
	s_add_u32 s12, s12, 1
	v_cndmask_b32_e64 v1, 0, v1, s3
	v_cmp_eq_u32_e32 vcc_lo, s12, v5
	s_addc_u32 s13, s13, 0
	s_or_b32 s37, vcc_lo, s37
	s_delay_alu instid0(SALU_CYCLE_1)
	s_and_not1_b32 exec_lo, exec_lo, s37
	s_cbranch_execnz .LBB169_60
; %bb.61:                               ;   in Loop: Header=BB169_12 Depth=1
	s_or_b32 exec_lo, exec_lo, s37
	s_branch .LBB169_9
.LBB169_62:
	s_nop 0
	s_sendmsg sendmsg(MSG_DEALLOC_VGPRS)
	s_endpgm
	.section	.rodata,"a",@progbits
	.p2align	6, 0x0
	.amdhsa_kernel _Z16wvSplitK_hf_big_I14__hip_bfloat16Li32ELi4ELi16ELi8ELi1ELi1EEviiiiiiPKT_S3_S3_PS1_ii
		.amdhsa_group_segment_fixed_size 65536
		.amdhsa_private_segment_fixed_size 0
		.amdhsa_kernarg_size 64
		.amdhsa_user_sgpr_count 15
		.amdhsa_user_sgpr_dispatch_ptr 0
		.amdhsa_user_sgpr_queue_ptr 0
		.amdhsa_user_sgpr_kernarg_segment_ptr 1
		.amdhsa_user_sgpr_dispatch_id 0
		.amdhsa_user_sgpr_private_segment_size 0
		.amdhsa_wavefront_size32 1
		.amdhsa_uses_dynamic_stack 0
		.amdhsa_enable_private_segment 0
		.amdhsa_system_sgpr_workgroup_id_x 1
		.amdhsa_system_sgpr_workgroup_id_y 0
		.amdhsa_system_sgpr_workgroup_id_z 0
		.amdhsa_system_sgpr_workgroup_info 0
		.amdhsa_system_vgpr_workitem_id 1
		.amdhsa_next_free_vgpr 49
		.amdhsa_next_free_sgpr 38
		.amdhsa_reserve_vcc 1
		.amdhsa_float_round_mode_32 0
		.amdhsa_float_round_mode_16_64 0
		.amdhsa_float_denorm_mode_32 3
		.amdhsa_float_denorm_mode_16_64 3
		.amdhsa_dx10_clamp 1
		.amdhsa_ieee_mode 1
		.amdhsa_fp16_overflow 0
		.amdhsa_workgroup_processor_mode 1
		.amdhsa_memory_ordered 1
		.amdhsa_forward_progress 0
		.amdhsa_shared_vgpr_count 0
		.amdhsa_exception_fp_ieee_invalid_op 0
		.amdhsa_exception_fp_denorm_src 0
		.amdhsa_exception_fp_ieee_div_zero 0
		.amdhsa_exception_fp_ieee_overflow 0
		.amdhsa_exception_fp_ieee_underflow 0
		.amdhsa_exception_fp_ieee_inexact 0
		.amdhsa_exception_int_div_zero 0
	.end_amdhsa_kernel
	.section	.text._Z16wvSplitK_hf_big_I14__hip_bfloat16Li32ELi4ELi16ELi8ELi1ELi1EEviiiiiiPKT_S3_S3_PS1_ii,"axG",@progbits,_Z16wvSplitK_hf_big_I14__hip_bfloat16Li32ELi4ELi16ELi8ELi1ELi1EEviiiiiiPKT_S3_S3_PS1_ii,comdat
.Lfunc_end169:
	.size	_Z16wvSplitK_hf_big_I14__hip_bfloat16Li32ELi4ELi16ELi8ELi1ELi1EEviiiiiiPKT_S3_S3_PS1_ii, .Lfunc_end169-_Z16wvSplitK_hf_big_I14__hip_bfloat16Li32ELi4ELi16ELi8ELi1ELi1EEviiiiiiPKT_S3_S3_PS1_ii
                                        ; -- End function
	.section	.AMDGPU.csdata,"",@progbits
; Kernel info:
; codeLenInByte = 3540
; NumSgprs: 40
; NumVgprs: 49
; ScratchSize: 0
; MemoryBound: 0
; FloatMode: 240
; IeeeMode: 1
; LDSByteSize: 65536 bytes/workgroup (compile time only)
; SGPRBlocks: 4
; VGPRBlocks: 6
; NumSGPRsForWavesPerEU: 40
; NumVGPRsForWavesPerEU: 49
; Occupancy: 8
; WaveLimiterHint : 0
; COMPUTE_PGM_RSRC2:SCRATCH_EN: 0
; COMPUTE_PGM_RSRC2:USER_SGPR: 15
; COMPUTE_PGM_RSRC2:TRAP_HANDLER: 0
; COMPUTE_PGM_RSRC2:TGID_X_EN: 1
; COMPUTE_PGM_RSRC2:TGID_Y_EN: 0
; COMPUTE_PGM_RSRC2:TGID_Z_EN: 0
; COMPUTE_PGM_RSRC2:TIDIG_COMP_CNT: 1
	.section	.text._Z16wvSplitK_hf_sml_I14__hip_bfloat16Li32ELi4ELi16ELi8ELi2ELi1EEviiiiiiPKT_S3_S3_PS1_ii,"axG",@progbits,_Z16wvSplitK_hf_sml_I14__hip_bfloat16Li32ELi4ELi16ELi8ELi2ELi1EEviiiiiiPKT_S3_S3_PS1_ii,comdat
	.protected	_Z16wvSplitK_hf_sml_I14__hip_bfloat16Li32ELi4ELi16ELi8ELi2ELi1EEviiiiiiPKT_S3_S3_PS1_ii ; -- Begin function _Z16wvSplitK_hf_sml_I14__hip_bfloat16Li32ELi4ELi16ELi8ELi2ELi1EEviiiiiiPKT_S3_S3_PS1_ii
	.globl	_Z16wvSplitK_hf_sml_I14__hip_bfloat16Li32ELi4ELi16ELi8ELi2ELi1EEviiiiiiPKT_S3_S3_PS1_ii
	.p2align	8
	.type	_Z16wvSplitK_hf_sml_I14__hip_bfloat16Li32ELi4ELi16ELi8ELi2ELi1EEviiiiiiPKT_S3_S3_PS1_ii,@function
_Z16wvSplitK_hf_sml_I14__hip_bfloat16Li32ELi4ELi16ELi8ELi2ELi1EEviiiiiiPKT_S3_S3_PS1_ii: ; @_Z16wvSplitK_hf_sml_I14__hip_bfloat16Li32ELi4ELi16ELi8ELi2ELi1EEviiiiiiPKT_S3_S3_PS1_ii
; %bb.0:
	s_load_b128 s[4:7], s[0:1], 0x0
	v_and_b32_e32 v1, 0x3ff, v0
	v_bfe_u32 v0, v0, 10, 10
	s_delay_alu instid0(VALU_DEP_2) | instskip(NEXT) | instid1(VALU_DEP_1)
	v_lshlrev_b32_e32 v51, 3, v1
	v_lshl_add_u32 v3, v0, 8, v51
	s_waitcnt lgkmcnt(0)
	s_min_u32 s8, s6, 0x8000
	s_mov_b32 s6, exec_lo
	s_delay_alu instid0(VALU_DEP_1)
	v_cmpx_gt_u32_e64 s8, v3
	s_cbranch_execz .LBB170_9
; %bb.1:
	s_load_b64 s[2:3], s[0:1], 0x20
	v_lshlrev_b32_e32 v2, 1, v3
	v_add_nc_u32_e32 v8, 0x1000, v3
	s_mov_b32 s9, exec_lo
	s_waitcnt lgkmcnt(0)
	global_load_b128 v[4:7], v2, s[2:3]
	s_waitcnt vmcnt(0)
	ds_store_b128 v2, v[4:7]
	v_cmpx_gt_u32_e64 s8, v8
	s_xor_b32 s9, exec_lo, s9
	s_cbranch_execz .LBB170_9
; %bb.2:
	v_add_co_u32 v4, s2, s2, v2
	s_delay_alu instid0(VALU_DEP_1) | instskip(SKIP_1) | instid1(VALU_DEP_3)
	v_add_co_ci_u32_e64 v5, null, s3, 0, s2
	v_add_nc_u32_e32 v10, 0x2000, v3
	v_add_co_u32 v6, vcc_lo, 0x2000, v4
	s_delay_alu instid0(VALU_DEP_3)
	v_add_co_ci_u32_e32 v7, vcc_lo, 0, v5, vcc_lo
	s_mov_b32 s2, exec_lo
	global_load_b128 v[6:9], v[6:7], off
	s_waitcnt vmcnt(0)
	ds_store_b128 v2, v[6:9] offset:8192
	v_cmpx_gt_u32_e64 s8, v10
	s_xor_b32 s2, exec_lo, s2
	s_cbranch_execz .LBB170_9
; %bb.3:
	v_add_co_u32 v6, vcc_lo, 0x4000, v4
	v_add_co_ci_u32_e32 v7, vcc_lo, 0, v5, vcc_lo
	v_add_nc_u32_e32 v10, 0x3000, v3
	s_mov_b32 s2, exec_lo
	global_load_b128 v[6:9], v[6:7], off
	s_waitcnt vmcnt(0)
	ds_store_b128 v2, v[6:9] offset:16384
	v_cmpx_gt_u32_e64 s8, v10
	s_xor_b32 s2, exec_lo, s2
	s_cbranch_execz .LBB170_9
; %bb.4:
	v_add_co_u32 v6, vcc_lo, 0x6000, v4
	v_add_co_ci_u32_e32 v7, vcc_lo, 0, v5, vcc_lo
	v_add_nc_u32_e32 v10, 0x4000, v3
	;; [unrolled: 11-line block ×5, first 2 shown]
	s_mov_b32 s2, exec_lo
	global_load_b128 v[6:9], v[6:7], off
	s_waitcnt vmcnt(0)
	ds_store_b128 v2, v[6:9] offset:49152
	v_cmpx_gt_u32_e64 s8, v3
	s_xor_b32 s2, exec_lo, s2
	s_cbranch_execz .LBB170_9
; %bb.8:
	v_add_co_u32 v3, vcc_lo, 0xe000, v4
	v_add_co_ci_u32_e32 v4, vcc_lo, 0, v5, vcc_lo
	global_load_b128 v[3:6], v[3:4], off
	s_waitcnt vmcnt(0)
	ds_store_b128 v2, v[3:6] offset:57344
.LBB170_9:
	s_or_b32 exec_lo, exec_lo, s6
	s_load_b64 s[12:13], s[0:1], 0x38
	s_waitcnt lgkmcnt(0)
	s_barrier
	buffer_gl0_inv
	s_mov_b32 s2, exec_lo
	v_cmpx_gt_u32_e64 s12, v0
	s_cbranch_execz .LBB170_40
; %bb.10:
	s_load_b32 s6, s[0:1], 0x10
	s_mul_i32 s15, s15, s12
	s_delay_alu instid0(SALU_CYCLE_1) | instskip(NEXT) | instid1(VALU_DEP_1)
	v_add_lshl_u32 v40, s15, v0, 2
	v_cmp_gt_u32_e32 vcc_lo, s7, v40
	s_and_b32 exec_lo, exec_lo, vcc_lo
	s_cbranch_execz .LBB170_40
; %bb.11:
	s_waitcnt lgkmcnt(0)
	v_cvt_f32_u32_e32 v0, s6
	v_mbcnt_lo_u32_b32 v2, -1, 0
	s_clause 0x1
	s_load_b128 s[8:11], s[0:1], 0x28
	s_load_b64 s[2:3], s[0:1], 0x18
	s_cmp_lg_u32 s4, 0
	v_rcp_iflag_f32_e32 v0, v0
	v_xor_b32_e32 v4, 16, v2
	s_cselect_b32 s1, -1, 0
	s_add_i32 s14, s4, -8
	s_add_i32 s15, s7, -1
	v_mov_b32_e32 v42, 0
	v_cmp_gt_i32_e32 vcc_lo, 32, v4
	v_lshlrev_b32_e32 v52, 4, v1
	s_mul_i32 s13, s12, s13
	s_mov_b32 s12, 0
	v_cndmask_b32_e32 v2, v2, v4, vcc_lo
	s_waitcnt_depctr 0xfff
	v_dual_mul_f32 v0, 0x4f7ffffe, v0 :: v_dual_lshlrev_b32 v53, 2, v2
	s_delay_alu instid0(VALU_DEP_1)
	v_cvt_u32_f32_e32 v0, v0
	s_waitcnt lgkmcnt(0)
	s_cmp_lg_u64 s[8:9], 0
	s_cselect_b32 s16, -1, 0
	s_sub_i32 s0, 0, s6
	s_lshl_b32 s13, s13, 2
	v_mul_lo_u32 v3, s0, v0
	v_cmp_eq_u32_e64 s0, 31, v1
	s_delay_alu instid0(VALU_DEP_2) | instskip(NEXT) | instid1(VALU_DEP_1)
	v_mul_hi_u32 v3, v0, v3
	v_add_nc_u32_e32 v54, v0, v3
	s_branch .LBB170_14
.LBB170_12:                             ;   in Loop: Header=BB170_14 Depth=1
	s_or_b32 exec_lo, exec_lo, s18
	global_store_d16_hi_b16 v[0:1], v3, off offset:6
.LBB170_13:                             ;   in Loop: Header=BB170_14 Depth=1
	s_or_b32 exec_lo, exec_lo, s17
	v_add_nc_u32_e32 v40, s13, v40
	s_delay_alu instid0(VALU_DEP_1) | instskip(SKIP_1) | instid1(SALU_CYCLE_1)
	v_cmp_le_u32_e32 vcc_lo, s7, v40
	s_or_b32 s12, vcc_lo, s12
	s_and_not1_b32 exec_lo, exec_lo, s12
	s_cbranch_execz .LBB170_40
.LBB170_14:                             ; =>This Loop Header: Depth=1
                                        ;     Child Loop BB170_18 Depth 2
	v_mov_b32_e32 v56, v42
	v_mov_b32_e32 v57, v42
	;; [unrolled: 1-line block ×4, first 2 shown]
	s_and_not1_b32 vcc_lo, exec_lo, s1
	s_cbranch_vccnz .LBB170_21
; %bb.15:                               ;   in Loop: Header=BB170_14 Depth=1
	v_or_b32_e32 v0, 1, v40
	s_waitcnt lgkmcnt(2)
	v_or_b32_e32 v1, 2, v40
	v_or_b32_e32 v2, 3, v40
	s_waitcnt lgkmcnt(0)
	v_min_u32_e32 v3, s15, v40
	v_mov_b32_e32 v5, v42
	v_min_u32_e32 v0, s15, v0
	v_min_u32_e32 v1, s15, v1
	;; [unrolled: 1-line block ×3, first 2 shown]
	v_mul_lo_u32 v41, v3, s5
	v_dual_mov_b32 v3, v42 :: v_dual_mov_b32 v56, 0
	v_mul_lo_u32 v0, v0, s5
	v_mul_lo_u32 v2, v1, s5
	;; [unrolled: 1-line block ×3, first 2 shown]
	v_dual_mov_b32 v1, v42 :: v_dual_mov_b32 v58, 0
	v_lshlrev_b64 v[43:44], 1, v[41:42]
	v_mov_b32_e32 v59, 0
	v_mov_b32_e32 v55, v52
	s_delay_alu instid0(VALU_DEP_4)
	v_lshlrev_b64 v[45:46], 1, v[0:1]
	v_lshlrev_b64 v[47:48], 1, v[2:3]
	;; [unrolled: 1-line block ×3, first 2 shown]
	v_mov_b32_e32 v57, 0
	s_mov_b32 s17, 0
	s_branch .LBB170_18
.LBB170_16:                             ;   in Loop: Header=BB170_18 Depth=2
	s_or_b32 exec_lo, exec_lo, s19
.LBB170_17:                             ;   in Loop: Header=BB170_18 Depth=2
	s_delay_alu instid0(SALU_CYCLE_1)
	s_or_b32 exec_lo, exec_lo, s18
	s_waitcnt lgkmcnt(0)
	v_and_b32_e32 v61, 0xffff0000, v37
	s_waitcnt vmcnt(7)
	v_and_b32_e32 v62, 0xffff0000, v33
	v_and_b32_e32 v41, 0xffff0000, v36
	v_lshlrev_b32_e32 v36, 16, v36
	v_lshlrev_b32_e32 v37, 16, v37
	s_addk_i32 s17, 0x200
	v_mul_f32_e32 v62, v61, v62
	v_and_b32_e32 v63, 0xffff0000, v38
	v_lshlrev_b32_e32 v33, 16, v33
	s_cmp_ge_u32 s17, s4
	s_delay_alu instid0(VALU_DEP_1) | instskip(SKIP_3) | instid1(VALU_DEP_2)
	v_dual_fmac_f32 v62, v37, v33 :: v_dual_add_nc_u32 v55, 0x400, v55
	s_waitcnt vmcnt(6)
	v_and_b32_e32 v33, 0xffff0000, v28
	v_and_b32_e32 v60, 0xffff0000, v32
	v_dual_mul_f32 v33, v41, v33 :: v_dual_lshlrev_b32 v28, 16, v28
	v_lshlrev_b32_e32 v38, 16, v38
	s_delay_alu instid0(VALU_DEP_3) | instskip(NEXT) | instid1(VALU_DEP_3)
	v_mul_f32_e32 v60, v41, v60
	v_dual_fmac_f32 v33, v36, v28 :: v_dual_lshlrev_b32 v28, 16, v29
	s_delay_alu instid0(VALU_DEP_1) | instskip(NEXT) | instid1(VALU_DEP_1)
	v_dual_add_f32 v33, v58, v33 :: v_dual_lshlrev_b32 v32, 16, v32
	v_fmac_f32_e32 v60, v36, v32
	s_delay_alu instid0(VALU_DEP_1) | instskip(NEXT) | instid1(VALU_DEP_1)
	v_dual_add_f32 v59, v59, v60 :: v_dual_and_b32 v60, 0xffff0000, v29
	v_dual_mul_f32 v29, v61, v60 :: v_dual_and_b32 v32, 0xffff0000, v34
	v_lshlrev_b32_e32 v34, 16, v34
	s_delay_alu instid0(VALU_DEP_2) | instskip(NEXT) | instid1(VALU_DEP_1)
	v_mul_f32_e32 v32, v63, v32
	v_dual_fmac_f32 v29, v37, v28 :: v_dual_fmac_f32 v32, v38, v34
	v_dual_add_f32 v34, v59, v62 :: v_dual_and_b32 v59, 0xffff0000, v39
	s_delay_alu instid0(VALU_DEP_1) | instskip(SKIP_2) | instid1(VALU_DEP_1)
	v_dual_add_f32 v29, v33, v29 :: v_dual_add_f32 v32, v34, v32
	s_waitcnt vmcnt(5)
	v_and_b32_e32 v34, 0xffff0000, v24
	v_dual_mul_f32 v33, v41, v34 :: v_dual_lshlrev_b32 v24, 16, v24
	v_and_b32_e32 v62, 0xffff0000, v35
	s_delay_alu instid0(VALU_DEP_2) | instskip(SKIP_1) | instid1(VALU_DEP_3)
	v_dual_fmac_f32 v33, v36, v24 :: v_dual_and_b32 v34, 0xffff0000, v25
	v_and_b32_e32 v60, 0xffff0000, v30
	v_dual_mul_f32 v62, v59, v62 :: v_dual_lshlrev_b32 v39, 16, v39
	v_lshlrev_b32_e32 v35, 16, v35
	s_delay_alu instid0(VALU_DEP_4) | instskip(SKIP_2) | instid1(VALU_DEP_3)
	v_dual_mul_f32 v25, v61, v34 :: v_dual_lshlrev_b32 v24, 16, v25
	v_lshlrev_b32_e32 v28, 16, v30
	v_mul_f32_e32 v30, v63, v60
	v_dual_fmac_f32 v62, v39, v35 :: v_dual_fmac_f32 v25, v37, v24
	s_delay_alu instid0(VALU_DEP_2) | instskip(SKIP_1) | instid1(VALU_DEP_1)
	v_fmac_f32_e32 v30, v38, v28
	v_and_b32_e32 v28, 0xffff0000, v31
	v_dual_mul_f32 v28, v59, v28 :: v_dual_lshlrev_b32 v31, 16, v31
	s_delay_alu instid0(VALU_DEP_1) | instskip(NEXT) | instid1(VALU_DEP_1)
	v_dual_fmac_f32 v28, v39, v31 :: v_dual_add_f32 v31, v57, v33
	v_add_f32_e32 v25, v31, v25
	v_and_b32_e32 v31, 0xffff0000, v27
	v_add_f32_e32 v29, v29, v30
	v_lshlrev_b32_e32 v27, 16, v27
	s_delay_alu instid0(VALU_DEP_2) | instskip(SKIP_2) | instid1(VALU_DEP_2)
	v_dual_mul_f32 v31, v59, v31 :: v_dual_add_f32 v24, v29, v28
	s_waitcnt vmcnt(4)
	v_and_b32_e32 v28, 0xffff0000, v20
	v_dual_fmac_f32 v31, v39, v27 :: v_dual_lshlrev_b32 v20, 16, v20
	s_delay_alu instid0(VALU_DEP_2) | instskip(NEXT) | instid1(VALU_DEP_1)
	v_mul_f32_e32 v28, v41, v28
	v_fmac_f32_e32 v28, v36, v20
	v_lshlrev_b32_e32 v20, 16, v21
	v_add_f32_e32 v30, v32, v62
	v_and_b32_e32 v32, 0xffff0000, v26
	s_delay_alu instid0(VALU_DEP_4) | instskip(SKIP_4) | instid1(VALU_DEP_1)
	v_dual_add_f32 v27, v56, v28 :: v_dual_lshlrev_b32 v26, 16, v26
	s_waitcnt vmcnt(3)
	v_and_b32_e32 v28, 0xffff0000, v12
	v_lshlrev_b32_e32 v12, 16, v12
	v_mul_f32_e32 v29, v63, v32
	v_dual_fmac_f32 v29, v38, v26 :: v_dual_and_b32 v26, 0xffff0000, v21
	s_delay_alu instid0(VALU_DEP_1) | instskip(NEXT) | instid1(VALU_DEP_2)
	v_add_f32_e32 v25, v25, v29
	v_mul_f32_e32 v21, v61, v26
	v_and_b32_e32 v29, 0xffff0000, v13
	s_delay_alu instid0(VALU_DEP_3) | instskip(NEXT) | instid1(VALU_DEP_3)
	v_add_f32_e32 v25, v25, v31
	v_fmac_f32_e32 v21, v37, v20
	v_lshlrev_b32_e32 v13, 16, v13
	v_and_b32_e32 v26, 0xffff0000, v22
	v_lshlrev_b32_e32 v20, 16, v22
	v_and_b32_e32 v31, 0xffff0000, v14
	v_add_f32_e32 v21, v27, v21
	s_delay_alu instid0(VALU_DEP_4) | instskip(SKIP_2) | instid1(VALU_DEP_3)
	v_dual_mul_f32 v22, v63, v26 :: v_dual_and_b32 v27, 0xffff0000, v23
	v_lshlrev_b32_e32 v23, 16, v23
	v_and_b32_e32 v26, 0xffff0000, v16
	v_dual_mul_f32 v27, v59, v27 :: v_dual_lshlrev_b32 v16, 16, v16
	s_delay_alu instid0(VALU_DEP_4) | instskip(NEXT) | instid1(VALU_DEP_2)
	v_fmac_f32_e32 v22, v38, v20
	v_dual_mul_f32 v20, v26, v28 :: v_dual_fmac_f32 v27, v39, v23
	s_delay_alu instid0(VALU_DEP_1) | instskip(SKIP_2) | instid1(VALU_DEP_1)
	v_fmac_f32_e32 v20, v16, v12
	v_lshlrev_b32_e32 v12, 16, v17
	v_and_b32_e32 v28, 0xffff0000, v17
	v_dual_mul_f32 v17, v28, v29 :: v_dual_lshlrev_b32 v14, 16, v14
	v_and_b32_e32 v29, 0xffff0000, v18
	s_waitcnt vmcnt(2)
	v_dual_add_f32 v21, v21, v22 :: v_dual_and_b32 v22, 0xffff0000, v8
	s_delay_alu instid0(VALU_DEP_3) | instskip(SKIP_1) | instid1(VALU_DEP_1)
	v_fmac_f32_e32 v17, v12, v13
	v_dual_add_f32 v20, v30, v20 :: v_dual_lshlrev_b32 v13, 16, v18
	v_dual_mul_f32 v18, v29, v31 :: v_dual_add_f32 v17, v20, v17
	s_delay_alu instid0(VALU_DEP_4) | instskip(NEXT) | instid1(VALU_DEP_2)
	v_dual_add_f32 v20, v21, v27 :: v_dual_and_b32 v21, 0xffff0000, v9
	v_fmac_f32_e32 v18, v13, v14
	v_mul_f32_e32 v14, v26, v22
	v_and_b32_e32 v22, 0xffff0000, v15
	v_lshlrev_b32_e32 v15, 16, v15
	s_delay_alu instid0(VALU_DEP_4) | instskip(NEXT) | instid1(VALU_DEP_1)
	v_dual_add_f32 v17, v17, v18 :: v_dual_and_b32 v18, 0xffff0000, v19
	v_dual_mul_f32 v22, v18, v22 :: v_dual_lshlrev_b32 v19, 16, v19
	s_waitcnt vmcnt(0)
	s_delay_alu instid0(VALU_DEP_1) | instskip(NEXT) | instid1(VALU_DEP_1)
	v_dual_fmac_f32 v22, v19, v15 :: v_dual_and_b32 v15, 0xffff0000, v1
	v_dual_add_f32 v59, v17, v22 :: v_dual_lshlrev_b32 v8, 16, v8
	s_delay_alu instid0(VALU_DEP_1) | instskip(SKIP_3) | instid1(VALU_DEP_4)
	v_fmac_f32_e32 v14, v16, v8
	v_lshlrev_b32_e32 v8, 16, v9
	v_mul_f32_e32 v9, v28, v21
	v_and_b32_e32 v21, 0xffff0000, v10
	v_add_f32_e32 v14, v24, v14
	s_delay_alu instid0(VALU_DEP_3) | instskip(NEXT) | instid1(VALU_DEP_3)
	v_dual_fmac_f32 v9, v12, v8 :: v_dual_lshlrev_b32 v8, 16, v10
	v_dual_mul_f32 v10, v29, v21 :: v_dual_and_b32 v21, 0xffff0000, v4
	s_delay_alu instid0(VALU_DEP_2) | instskip(SKIP_1) | instid1(VALU_DEP_3)
	v_dual_add_f32 v9, v14, v9 :: v_dual_lshlrev_b32 v4, 16, v4
	v_and_b32_e32 v14, 0xffff0000, v5
	v_fmac_f32_e32 v10, v13, v8
	s_delay_alu instid0(VALU_DEP_1) | instskip(NEXT) | instid1(VALU_DEP_1)
	v_dual_mul_f32 v8, v26, v21 :: v_dual_add_f32 v9, v9, v10
	v_fmac_f32_e32 v8, v16, v4
	s_delay_alu instid0(VALU_DEP_4) | instskip(SKIP_2) | instid1(VALU_DEP_4)
	v_dual_mul_f32 v5, v28, v14 :: v_dual_lshlrev_b32 v4, 16, v5
	v_and_b32_e32 v14, 0xffff0000, v0
	v_lshlrev_b32_e32 v0, 16, v0
	v_add_f32_e32 v8, v25, v8
	s_delay_alu instid0(VALU_DEP_4) | instskip(SKIP_4) | instid1(VALU_DEP_4)
	v_dual_fmac_f32 v5, v12, v4 :: v_dual_and_b32 v10, 0xffff0000, v11
	v_and_b32_e32 v4, 0xffff0000, v6
	v_mul_f32_e32 v14, v26, v14
	v_lshlrev_b32_e32 v6, 16, v6
	v_lshlrev_b32_e32 v11, 16, v11
	v_dual_add_f32 v5, v8, v5 :: v_dual_mul_f32 v4, v29, v4
	s_delay_alu instid0(VALU_DEP_4) | instskip(SKIP_2) | instid1(VALU_DEP_4)
	v_fmac_f32_e32 v14, v16, v0
	v_dual_mul_f32 v1, v28, v15 :: v_dual_lshlrev_b32 v0, 16, v1
	v_and_b32_e32 v8, 0xffff0000, v7
	v_fmac_f32_e32 v4, v13, v6
	v_and_b32_e32 v6, 0xffff0000, v2
	v_add_f32_e32 v14, v20, v14
	v_dual_fmac_f32 v1, v12, v0 :: v_dual_lshlrev_b32 v0, 16, v2
	v_mul_f32_e32 v10, v18, v10
	s_delay_alu instid0(VALU_DEP_4) | instskip(SKIP_2) | instid1(VALU_DEP_3)
	v_mul_f32_e32 v2, v29, v6
	v_lshlrev_b32_e32 v6, 16, v7
	v_dual_mul_f32 v8, v18, v8 :: v_dual_and_b32 v7, 0xffff0000, v3
	v_dual_add_f32 v1, v14, v1 :: v_dual_fmac_f32 v2, v13, v0
	v_lshlrev_b32_e32 v0, 16, v3
	s_delay_alu instid0(VALU_DEP_3) | instskip(SKIP_4) | instid1(VALU_DEP_4)
	v_mul_f32_e32 v3, v18, v7
	v_fmac_f32_e32 v10, v19, v11
	v_add_f32_e32 v4, v5, v4
	v_fmac_f32_e32 v8, v19, v6
	v_add_f32_e32 v1, v1, v2
	v_dual_fmac_f32 v3, v19, v0 :: v_dual_add_f32 v58, v9, v10
	s_delay_alu instid0(VALU_DEP_1)
	v_dual_add_f32 v57, v4, v8 :: v_dual_add_f32 v56, v1, v3
	s_cbranch_scc1 .LBB170_21
.LBB170_18:                             ;   Parent Loop BB170_14 Depth=1
                                        ; =>  This Inner Loop Header: Depth=2
	v_add_nc_u32_e32 v36, s17, v51
	v_dual_mov_b32 v38, 0 :: v_dual_mov_b32 v39, 0
	v_mov_b32_e32 v37, 0
	s_delay_alu instid0(VALU_DEP_3) | instskip(SKIP_1) | instid1(VALU_DEP_2)
	v_min_u32_e32 v41, s14, v36
	v_add_nc_u32_e32 v60, 0x100, v36
	v_lshlrev_b64 v[0:1], 1, v[41:42]
	s_delay_alu instid0(VALU_DEP_2) | instskip(NEXT) | instid1(VALU_DEP_2)
	v_min_u32_e32 v41, s14, v60
	v_add_co_u32 v8, vcc_lo, s2, v0
	s_delay_alu instid0(VALU_DEP_3) | instskip(NEXT) | instid1(VALU_DEP_3)
	v_add_co_ci_u32_e32 v9, vcc_lo, s3, v1, vcc_lo
	v_lshlrev_b64 v[0:1], 1, v[41:42]
	s_delay_alu instid0(VALU_DEP_3) | instskip(NEXT) | instid1(VALU_DEP_3)
	v_add_co_u32 v2, vcc_lo, v8, v43
	v_add_co_ci_u32_e32 v3, vcc_lo, v9, v44, vcc_lo
	v_add_co_u32 v4, vcc_lo, v8, v45
	v_add_co_ci_u32_e32 v5, vcc_lo, v9, v46, vcc_lo
	;; [unrolled: 2-line block ×5, first 2 shown]
	s_clause 0x1
	global_load_b128 v[32:35], v[2:3], off slc dlc
	global_load_b128 v[28:31], v[4:5], off slc dlc
	v_add_co_u32 v2, vcc_lo, v10, v43
	v_add_co_ci_u32_e32 v3, vcc_lo, v11, v44, vcc_lo
	v_add_co_u32 v4, vcc_lo, v10, v45
	v_add_co_ci_u32_e32 v5, vcc_lo, v11, v46, vcc_lo
	;; [unrolled: 2-line block ×4, first 2 shown]
	s_clause 0x5
	global_load_b128 v[24:27], v[6:7], off slc dlc
	global_load_b128 v[20:23], v[0:1], off slc dlc
	;; [unrolled: 1-line block ×6, first 2 shown]
	v_mov_b32_e32 v17, 0
	v_mov_b32_e32 v19, 0
	v_cmp_gt_u32_e32 vcc_lo, s4, v36
	v_mov_b32_e32 v18, 0
	v_mov_b32_e32 v16, 0
	;; [unrolled: 1-line block ×3, first 2 shown]
	s_and_saveexec_b32 s18, vcc_lo
	s_cbranch_execz .LBB170_17
; %bb.19:                               ;   in Loop: Header=BB170_18 Depth=2
	ds_load_b128 v[36:39], v55
	v_dual_mov_b32 v16, 0 :: v_dual_mov_b32 v17, 0
	v_dual_mov_b32 v18, 0 :: v_dual_mov_b32 v19, 0
	s_mov_b32 s19, exec_lo
	v_cmpx_gt_u32_e64 s4, v60
	s_cbranch_execz .LBB170_16
; %bb.20:                               ;   in Loop: Header=BB170_18 Depth=2
	ds_load_b128 v[16:19], v55 offset:512
	s_branch .LBB170_16
.LBB170_21:                             ;   in Loop: Header=BB170_14 Depth=1
	; sched_barrier mask(0x00000000)
	s_delay_alu instid0(VALU_DEP_1)
	v_cvt_i32_f32_e32 v0, v59
	s_waitcnt lgkmcnt(2)
	v_cvt_i32_f32_e32 v1, v58
	v_cvt_i32_f32_e32 v2, v57
	s_waitcnt lgkmcnt(0)
	v_cvt_i32_f32_e32 v3, v56
	v_cvt_f32_i32_dpp v0, v0 row_shr:8 row_mask:0xf bank_mask:0xf bound_ctrl:1
	v_cvt_f32_i32_dpp v1, v1 row_shr:8 row_mask:0xf bank_mask:0xf bound_ctrl:1
	v_cvt_f32_i32_dpp v2, v2 row_shr:8 row_mask:0xf bank_mask:0xf bound_ctrl:1
	s_delay_alu instid0(VALU_DEP_4) | instskip(NEXT) | instid1(VALU_DEP_3)
	v_cvt_f32_i32_dpp v3, v3 row_shr:8 row_mask:0xf bank_mask:0xf bound_ctrl:1
	v_dual_add_f32 v0, v59, v0 :: v_dual_add_f32 v1, v58, v1
	s_delay_alu instid0(VALU_DEP_2) | instskip(NEXT) | instid1(VALU_DEP_2)
	v_dual_add_f32 v2, v57, v2 :: v_dual_add_f32 v3, v56, v3
	v_cvt_i32_f32_e32 v4, v0
	s_delay_alu instid0(VALU_DEP_3) | instskip(NEXT) | instid1(VALU_DEP_3)
	v_cvt_i32_f32_e32 v5, v1
	v_cvt_i32_f32_e32 v6, v2
	s_delay_alu instid0(VALU_DEP_4) | instskip(NEXT) | instid1(VALU_DEP_4)
	v_cvt_i32_f32_e32 v7, v3
	v_cvt_f32_i32_dpp v4, v4 row_shr:4 row_mask:0xf bank_mask:0xf bound_ctrl:1
	s_delay_alu instid0(VALU_DEP_4) | instskip(NEXT) | instid1(VALU_DEP_4)
	v_cvt_f32_i32_dpp v5, v5 row_shr:4 row_mask:0xf bank_mask:0xf bound_ctrl:1
	v_cvt_f32_i32_dpp v6, v6 row_shr:4 row_mask:0xf bank_mask:0xf bound_ctrl:1
	s_delay_alu instid0(VALU_DEP_4) | instskip(NEXT) | instid1(VALU_DEP_3)
	v_cvt_f32_i32_dpp v7, v7 row_shr:4 row_mask:0xf bank_mask:0xf bound_ctrl:1
	v_dual_add_f32 v0, v0, v4 :: v_dual_add_f32 v1, v1, v5
	s_delay_alu instid0(VALU_DEP_2) | instskip(NEXT) | instid1(VALU_DEP_2)
	v_dual_add_f32 v2, v2, v6 :: v_dual_add_f32 v3, v3, v7
	v_cvt_i32_f32_e32 v4, v0
	s_delay_alu instid0(VALU_DEP_3) | instskip(NEXT) | instid1(VALU_DEP_3)
	v_cvt_i32_f32_e32 v5, v1
	v_cvt_i32_f32_e32 v6, v2
	s_delay_alu instid0(VALU_DEP_4) | instskip(NEXT) | instid1(VALU_DEP_4)
	v_cvt_i32_f32_e32 v7, v3
	v_cvt_f32_i32_dpp v4, v4 row_shr:2 row_mask:0xf bank_mask:0xf bound_ctrl:1
	s_delay_alu instid0(VALU_DEP_4) | instskip(NEXT) | instid1(VALU_DEP_4)
	v_cvt_f32_i32_dpp v5, v5 row_shr:2 row_mask:0xf bank_mask:0xf bound_ctrl:1
	v_cvt_f32_i32_dpp v6, v6 row_shr:2 row_mask:0xf bank_mask:0xf bound_ctrl:1
	;; [unrolled: 15-line block ×3, first 2 shown]
	s_delay_alu instid0(VALU_DEP_4) | instskip(NEXT) | instid1(VALU_DEP_3)
	v_cvt_f32_i32_dpp v8, v7 row_shr:1 row_mask:0xf bank_mask:0xf bound_ctrl:1
	v_dual_add_f32 v7, v0, v4 :: v_dual_add_f32 v0, v1, v5
	s_delay_alu instid0(VALU_DEP_3) | instskip(NEXT) | instid1(VALU_DEP_3)
	v_add_f32_e32 v4, v2, v6
	v_add_f32_e32 v2, v3, v8
	ds_bpermute_b32 v8, v53, v7
	ds_bpermute_b32 v1, v53, v0
	ds_bpermute_b32 v5, v53, v4
	ds_bpermute_b32 v3, v53, v2
	s_and_saveexec_b32 s17, s0
	s_cbranch_execz .LBB170_13
; %bb.22:                               ;   in Loop: Header=BB170_14 Depth=1
	v_dual_mov_b32 v6, 0 :: v_dual_mov_b32 v9, 0
	v_dual_mov_b32 v10, 0 :: v_dual_mov_b32 v11, 0
	s_and_not1_b32 vcc_lo, exec_lo, s16
	s_cbranch_vccnz .LBB170_24
; %bb.23:                               ;   in Loop: Header=BB170_14 Depth=1
	v_mul_hi_u32 v6, v40, v54
	v_or_b32_e32 v9, 1, v40
	v_or_b32_e32 v10, 2, v40
	;; [unrolled: 1-line block ×3, first 2 shown]
	s_delay_alu instid0(VALU_DEP_3) | instskip(NEXT) | instid1(VALU_DEP_3)
	v_mul_hi_u32 v12, v9, v54
	v_mul_hi_u32 v13, v10, v54
	v_mul_lo_u32 v6, v6, s6
	s_delay_alu instid0(VALU_DEP_4) | instskip(NEXT) | instid1(VALU_DEP_4)
	v_mul_hi_u32 v14, v11, v54
	v_mul_lo_u32 v12, v12, s6
	s_delay_alu instid0(VALU_DEP_4) | instskip(NEXT) | instid1(VALU_DEP_4)
	v_mul_lo_u32 v13, v13, s6
	v_sub_nc_u32_e32 v6, v40, v6
	s_delay_alu instid0(VALU_DEP_4) | instskip(NEXT) | instid1(VALU_DEP_2)
	v_mul_lo_u32 v14, v14, s6
	v_subrev_nc_u32_e32 v15, s6, v6
	v_sub_nc_u32_e32 v9, v9, v12
	v_cmp_le_u32_e32 vcc_lo, s6, v6
	v_sub_nc_u32_e32 v10, v10, v13
	v_sub_nc_u32_e32 v11, v11, v14
	s_delay_alu instid0(VALU_DEP_4) | instskip(SKIP_4) | instid1(VALU_DEP_4)
	v_subrev_nc_u32_e32 v12, s6, v9
	v_cndmask_b32_e32 v6, v6, v15, vcc_lo
	v_cmp_le_u32_e32 vcc_lo, s6, v9
	v_subrev_nc_u32_e32 v13, s6, v10
	v_subrev_nc_u32_e32 v15, s6, v11
	;; [unrolled: 1-line block ×3, first 2 shown]
	v_cndmask_b32_e32 v12, v9, v12, vcc_lo
	v_cmp_le_u32_e32 vcc_lo, s6, v6
	s_delay_alu instid0(VALU_DEP_3)
	v_cndmask_b32_e32 v41, v6, v14, vcc_lo
	v_cmp_le_u32_e32 vcc_lo, s6, v10
	v_cndmask_b32_e32 v6, v10, v13, vcc_lo
	v_cmp_le_u32_e32 vcc_lo, s6, v11
	v_subrev_nc_u32_e32 v13, s6, v12
	v_lshlrev_b64 v[9:10], 1, v[41:42]
	v_cndmask_b32_e32 v15, v11, v15, vcc_lo
	v_cmp_le_u32_e32 vcc_lo, s6, v12
	s_delay_alu instid0(VALU_DEP_2) | instskip(SKIP_3) | instid1(VALU_DEP_3)
	v_subrev_nc_u32_e32 v16, s6, v15
	v_cndmask_b32_e32 v41, v12, v13, vcc_lo
	v_subrev_nc_u32_e32 v13, s6, v6
	v_cmp_le_u32_e32 vcc_lo, s6, v6
	v_lshlrev_b64 v[11:12], 1, v[41:42]
	s_delay_alu instid0(VALU_DEP_3) | instskip(SKIP_3) | instid1(VALU_DEP_4)
	v_cndmask_b32_e32 v41, v6, v13, vcc_lo
	v_add_co_u32 v9, vcc_lo, s8, v9
	v_add_co_ci_u32_e32 v10, vcc_lo, s9, v10, vcc_lo
	v_cmp_le_u32_e32 vcc_lo, s6, v15
	v_lshlrev_b64 v[13:14], 1, v[41:42]
	v_cndmask_b32_e32 v41, v15, v16, vcc_lo
	v_add_co_u32 v15, vcc_lo, s8, v11
	v_add_co_ci_u32_e32 v16, vcc_lo, s9, v12, vcc_lo
	s_delay_alu instid0(VALU_DEP_3) | instskip(SKIP_2) | instid1(VALU_DEP_3)
	v_lshlrev_b64 v[11:12], 1, v[41:42]
	v_add_co_u32 v13, vcc_lo, s8, v13
	v_add_co_ci_u32_e32 v14, vcc_lo, s9, v14, vcc_lo
	v_add_co_u32 v17, vcc_lo, s8, v11
	s_delay_alu instid0(VALU_DEP_4)
	v_add_co_ci_u32_e32 v18, vcc_lo, s9, v12, vcc_lo
	s_clause 0x3
	global_load_u16 v11, v[9:10], off
	global_load_u16 v10, v[15:16], off
	;; [unrolled: 1-line block ×4, first 2 shown]
.LBB170_24:                             ;   in Loop: Header=BB170_14 Depth=1
	s_waitcnt vmcnt(3) lgkmcnt(3)
	s_delay_alu instid0(VALU_DEP_1) | instskip(NEXT) | instid1(VALU_DEP_1)
	v_dual_add_f32 v7, v7, v8 :: v_dual_lshlrev_b32 v8, 16, v11
	v_add_f32_e32 v8, v7, v8
	s_delay_alu instid0(VALU_DEP_1) | instskip(NEXT) | instid1(VALU_DEP_1)
	v_and_b32_e32 v7, 0x7f800000, v8
	v_cmp_ne_u32_e32 vcc_lo, 0x7f800000, v7
                                        ; implicit-def: $vgpr7
	s_and_saveexec_b32 s18, vcc_lo
	s_delay_alu instid0(SALU_CYCLE_1)
	s_xor_b32 s18, exec_lo, s18
; %bb.25:                               ;   in Loop: Header=BB170_14 Depth=1
	v_bfe_u32 v7, v8, 16, 1
	s_delay_alu instid0(VALU_DEP_1)
	v_add3_u32 v7, v8, v7, 0x7fff
                                        ; implicit-def: $vgpr8
; %bb.26:                               ;   in Loop: Header=BB170_14 Depth=1
	s_and_not1_saveexec_b32 s18, s18
; %bb.27:                               ;   in Loop: Header=BB170_14 Depth=1
	v_and_b32_e32 v7, 0xffff, v8
	v_or_b32_e32 v11, 0x10000, v8
	s_delay_alu instid0(VALU_DEP_2) | instskip(NEXT) | instid1(VALU_DEP_2)
	v_cmp_eq_u32_e32 vcc_lo, 0, v7
	v_cndmask_b32_e32 v7, v11, v8, vcc_lo
; %bb.28:                               ;   in Loop: Header=BB170_14 Depth=1
	s_or_b32 exec_lo, exec_lo, s18
	s_waitcnt vmcnt(2) lgkmcnt(2)
	v_dual_add_f32 v0, v0, v1 :: v_dual_lshlrev_b32 v1, 16, v10
	v_mov_b32_e32 v41, v42
	s_mov_b32 s18, exec_lo
	s_delay_alu instid0(VALU_DEP_2) | instskip(NEXT) | instid1(VALU_DEP_2)
	v_add_f32_e32 v8, v0, v1
	v_lshlrev_b64 v[0:1], 1, v[40:41]
	s_delay_alu instid0(VALU_DEP_2) | instskip(NEXT) | instid1(VALU_DEP_2)
	v_and_b32_e32 v10, 0x7f800000, v8
	v_add_co_u32 v0, vcc_lo, s10, v0
	s_delay_alu instid0(VALU_DEP_3)
	v_add_co_ci_u32_e32 v1, vcc_lo, s11, v1, vcc_lo
	global_store_d16_hi_b16 v[0:1], v7, off
                                        ; implicit-def: $vgpr7
	v_cmpx_ne_u32_e32 0x7f800000, v10
	s_xor_b32 s18, exec_lo, s18
; %bb.29:                               ;   in Loop: Header=BB170_14 Depth=1
	v_bfe_u32 v7, v8, 16, 1
	s_delay_alu instid0(VALU_DEP_1)
	v_add3_u32 v7, v8, v7, 0x7fff
                                        ; implicit-def: $vgpr8
; %bb.30:                               ;   in Loop: Header=BB170_14 Depth=1
	s_and_not1_saveexec_b32 s18, s18
; %bb.31:                               ;   in Loop: Header=BB170_14 Depth=1
	v_and_b32_e32 v7, 0xffff, v8
	v_or_b32_e32 v10, 0x10000, v8
	s_delay_alu instid0(VALU_DEP_2) | instskip(NEXT) | instid1(VALU_DEP_2)
	v_cmp_eq_u32_e32 vcc_lo, 0, v7
	v_cndmask_b32_e32 v7, v10, v8, vcc_lo
; %bb.32:                               ;   in Loop: Header=BB170_14 Depth=1
	s_or_b32 exec_lo, exec_lo, s18
	s_waitcnt lgkmcnt(1)
	v_add_f32_e32 v4, v4, v5
	s_waitcnt vmcnt(1)
	v_lshlrev_b32_e32 v5, 16, v9
	global_store_d16_hi_b16 v[0:1], v7, off offset:2
	v_add_f32_e32 v5, v4, v5
	s_delay_alu instid0(VALU_DEP_1) | instskip(NEXT) | instid1(VALU_DEP_1)
	v_and_b32_e32 v4, 0x7f800000, v5
	v_cmp_ne_u32_e32 vcc_lo, 0x7f800000, v4
                                        ; implicit-def: $vgpr4
	s_and_saveexec_b32 s18, vcc_lo
	s_delay_alu instid0(SALU_CYCLE_1)
	s_xor_b32 s18, exec_lo, s18
; %bb.33:                               ;   in Loop: Header=BB170_14 Depth=1
	v_bfe_u32 v4, v5, 16, 1
	s_delay_alu instid0(VALU_DEP_1)
	v_add3_u32 v4, v5, v4, 0x7fff
                                        ; implicit-def: $vgpr5
; %bb.34:                               ;   in Loop: Header=BB170_14 Depth=1
	s_and_not1_saveexec_b32 s18, s18
; %bb.35:                               ;   in Loop: Header=BB170_14 Depth=1
	v_and_b32_e32 v4, 0xffff, v5
	v_or_b32_e32 v7, 0x10000, v5
	s_delay_alu instid0(VALU_DEP_2) | instskip(NEXT) | instid1(VALU_DEP_2)
	v_cmp_eq_u32_e32 vcc_lo, 0, v4
	v_cndmask_b32_e32 v4, v7, v5, vcc_lo
; %bb.36:                               ;   in Loop: Header=BB170_14 Depth=1
	s_or_b32 exec_lo, exec_lo, s18
	s_waitcnt vmcnt(0) lgkmcnt(0)
	v_dual_add_f32 v2, v2, v3 :: v_dual_lshlrev_b32 v3, 16, v6
	global_store_d16_hi_b16 v[0:1], v4, off offset:4
	v_add_f32_e32 v2, v2, v3
	s_delay_alu instid0(VALU_DEP_1) | instskip(NEXT) | instid1(VALU_DEP_1)
	v_and_b32_e32 v3, 0x7f800000, v2
	v_cmp_ne_u32_e32 vcc_lo, 0x7f800000, v3
                                        ; implicit-def: $vgpr3
	s_and_saveexec_b32 s18, vcc_lo
	s_delay_alu instid0(SALU_CYCLE_1)
	s_xor_b32 s18, exec_lo, s18
; %bb.37:                               ;   in Loop: Header=BB170_14 Depth=1
	v_bfe_u32 v3, v2, 16, 1
	s_delay_alu instid0(VALU_DEP_1)
	v_add3_u32 v3, v2, v3, 0x7fff
                                        ; implicit-def: $vgpr2
; %bb.38:                               ;   in Loop: Header=BB170_14 Depth=1
	s_and_not1_saveexec_b32 s18, s18
	s_cbranch_execz .LBB170_12
; %bb.39:                               ;   in Loop: Header=BB170_14 Depth=1
	v_and_b32_e32 v3, 0xffff, v2
	v_or_b32_e32 v4, 0x10000, v2
	s_delay_alu instid0(VALU_DEP_2) | instskip(NEXT) | instid1(VALU_DEP_2)
	v_cmp_eq_u32_e32 vcc_lo, 0, v3
	v_cndmask_b32_e32 v3, v4, v2, vcc_lo
	s_branch .LBB170_12
.LBB170_40:
	s_nop 0
	s_sendmsg sendmsg(MSG_DEALLOC_VGPRS)
	s_endpgm
	.section	.rodata,"a",@progbits
	.p2align	6, 0x0
	.amdhsa_kernel _Z16wvSplitK_hf_sml_I14__hip_bfloat16Li32ELi4ELi16ELi8ELi2ELi1EEviiiiiiPKT_S3_S3_PS1_ii
		.amdhsa_group_segment_fixed_size 65536
		.amdhsa_private_segment_fixed_size 0
		.amdhsa_kernarg_size 64
		.amdhsa_user_sgpr_count 15
		.amdhsa_user_sgpr_dispatch_ptr 0
		.amdhsa_user_sgpr_queue_ptr 0
		.amdhsa_user_sgpr_kernarg_segment_ptr 1
		.amdhsa_user_sgpr_dispatch_id 0
		.amdhsa_user_sgpr_private_segment_size 0
		.amdhsa_wavefront_size32 1
		.amdhsa_uses_dynamic_stack 0
		.amdhsa_enable_private_segment 0
		.amdhsa_system_sgpr_workgroup_id_x 1
		.amdhsa_system_sgpr_workgroup_id_y 0
		.amdhsa_system_sgpr_workgroup_id_z 0
		.amdhsa_system_sgpr_workgroup_info 0
		.amdhsa_system_vgpr_workitem_id 1
		.amdhsa_next_free_vgpr 64
		.amdhsa_next_free_sgpr 20
		.amdhsa_reserve_vcc 1
		.amdhsa_float_round_mode_32 0
		.amdhsa_float_round_mode_16_64 0
		.amdhsa_float_denorm_mode_32 3
		.amdhsa_float_denorm_mode_16_64 3
		.amdhsa_dx10_clamp 1
		.amdhsa_ieee_mode 1
		.amdhsa_fp16_overflow 0
		.amdhsa_workgroup_processor_mode 1
		.amdhsa_memory_ordered 1
		.amdhsa_forward_progress 0
		.amdhsa_shared_vgpr_count 0
		.amdhsa_exception_fp_ieee_invalid_op 0
		.amdhsa_exception_fp_denorm_src 0
		.amdhsa_exception_fp_ieee_div_zero 0
		.amdhsa_exception_fp_ieee_overflow 0
		.amdhsa_exception_fp_ieee_underflow 0
		.amdhsa_exception_fp_ieee_inexact 0
		.amdhsa_exception_int_div_zero 0
	.end_amdhsa_kernel
	.section	.text._Z16wvSplitK_hf_sml_I14__hip_bfloat16Li32ELi4ELi16ELi8ELi2ELi1EEviiiiiiPKT_S3_S3_PS1_ii,"axG",@progbits,_Z16wvSplitK_hf_sml_I14__hip_bfloat16Li32ELi4ELi16ELi8ELi2ELi1EEviiiiiiPKT_S3_S3_PS1_ii,comdat
.Lfunc_end170:
	.size	_Z16wvSplitK_hf_sml_I14__hip_bfloat16Li32ELi4ELi16ELi8ELi2ELi1EEviiiiiiPKT_S3_S3_PS1_ii, .Lfunc_end170-_Z16wvSplitK_hf_sml_I14__hip_bfloat16Li32ELi4ELi16ELi8ELi2ELi1EEviiiiiiPKT_S3_S3_PS1_ii
                                        ; -- End function
	.section	.AMDGPU.csdata,"",@progbits
; Kernel info:
; codeLenInByte = 3680
; NumSgprs: 22
; NumVgprs: 64
; ScratchSize: 0
; MemoryBound: 0
; FloatMode: 240
; IeeeMode: 1
; LDSByteSize: 65536 bytes/workgroup (compile time only)
; SGPRBlocks: 2
; VGPRBlocks: 7
; NumSGPRsForWavesPerEU: 22
; NumVGPRsForWavesPerEU: 64
; Occupancy: 8
; WaveLimiterHint : 0
; COMPUTE_PGM_RSRC2:SCRATCH_EN: 0
; COMPUTE_PGM_RSRC2:USER_SGPR: 15
; COMPUTE_PGM_RSRC2:TRAP_HANDLER: 0
; COMPUTE_PGM_RSRC2:TGID_X_EN: 1
; COMPUTE_PGM_RSRC2:TGID_Y_EN: 0
; COMPUTE_PGM_RSRC2:TGID_Z_EN: 0
; COMPUTE_PGM_RSRC2:TIDIG_COMP_CNT: 1
	.section	.text._Z12wvSplitK_hf_I14__hip_bfloat16Li32ELi4ELi16ELi8ELi2ELi1EEviiiiiiPKT_S3_S3_PS1_ii,"axG",@progbits,_Z12wvSplitK_hf_I14__hip_bfloat16Li32ELi4ELi16ELi8ELi2ELi1EEviiiiiiPKT_S3_S3_PS1_ii,comdat
	.protected	_Z12wvSplitK_hf_I14__hip_bfloat16Li32ELi4ELi16ELi8ELi2ELi1EEviiiiiiPKT_S3_S3_PS1_ii ; -- Begin function _Z12wvSplitK_hf_I14__hip_bfloat16Li32ELi4ELi16ELi8ELi2ELi1EEviiiiiiPKT_S3_S3_PS1_ii
	.globl	_Z12wvSplitK_hf_I14__hip_bfloat16Li32ELi4ELi16ELi8ELi2ELi1EEviiiiiiPKT_S3_S3_PS1_ii
	.p2align	8
	.type	_Z12wvSplitK_hf_I14__hip_bfloat16Li32ELi4ELi16ELi8ELi2ELi1EEviiiiiiPKT_S3_S3_PS1_ii,@function
_Z12wvSplitK_hf_I14__hip_bfloat16Li32ELi4ELi16ELi8ELi2ELi1EEviiiiiiPKT_S3_S3_PS1_ii: ; @_Z12wvSplitK_hf_I14__hip_bfloat16Li32ELi4ELi16ELi8ELi2ELi1EEviiiiiiPKT_S3_S3_PS1_ii
; %bb.0:
	s_clause 0x1
	s_load_b64 s[16:17], s[0:1], 0x38
	s_load_b128 s[4:7], s[0:1], 0x0
	v_bfe_u32 v5, v0, 10, 10
	s_clause 0x1
	s_load_b64 s[12:13], s[0:1], 0x20
	s_load_b32 s18, s[0:1], 0x10
	s_mov_b32 s8, 1
	s_delay_alu instid0(SALU_CYCLE_1) | instskip(SKIP_4) | instid1(SALU_CYCLE_1)
	s_mov_b32 s9, s8
	s_mov_b32 s10, s8
	;; [unrolled: 1-line block ×3, first 2 shown]
	s_waitcnt lgkmcnt(0)
	s_mul_i32 s15, s15, s16
	v_add_lshl_u32 v45, s15, v5, 2
	s_delay_alu instid0(VALU_DEP_1) | instskip(SKIP_1) | instid1(VALU_DEP_2)
	v_add_nc_u32_e32 v1, 4, v45
	v_cmp_gt_u32_e32 vcc_lo, s7, v45
	v_cmp_le_u32_e64 s2, s7, v1
	v_dual_mov_b32 v1, s8 :: v_dual_mov_b32 v4, s11
	v_dual_mov_b32 v2, s9 :: v_dual_mov_b32 v3, s10
	s_delay_alu instid0(VALU_DEP_3) | instskip(NEXT) | instid1(SALU_CYCLE_1)
	s_and_b32 s2, vcc_lo, s2
	s_and_saveexec_b32 s14, s2
	s_cbranch_execz .LBB171_6
; %bb.1:
	v_dual_mov_b32 v1, s8 :: v_dual_mov_b32 v2, s9
	v_dual_mov_b32 v3, s10 :: v_dual_mov_b32 v4, s11
	s_add_i32 s15, s7, -4
	s_mov_b32 s19, exec_lo
	v_cmpx_ne_u32_e64 s15, v45
	s_cbranch_execz .LBB171_5
; %bb.2:
	v_subrev_nc_u32_e32 v1, s15, v45
	s_mov_b32 s20, 0
	s_mov_b64 s[2:3], 0
	s_mov_b32 s9, s8
	s_mov_b32 s10, s8
	v_cmp_lt_u32_e32 vcc_lo, 1, v1
	s_mov_b32 s11, s8
	v_cndmask_b32_e32 v6, 1, v1, vcc_lo
	.p2align	6
.LBB171_3:                              ; =>This Inner Loop Header: Depth=1
	s_cmp_lg_u32 s2, 3
	s_cselect_b32 s11, s11, 0
	s_cmp_lg_u32 s2, 2
	s_cselect_b32 s10, s10, 0
	;; [unrolled: 2-line block ×4, first 2 shown]
	s_add_u32 s2, s2, 1
	v_dual_mov_b32 v1, s8 :: v_dual_mov_b32 v2, s9
	v_cmp_eq_u32_e32 vcc_lo, s2, v6
	v_dual_mov_b32 v3, s10 :: v_dual_mov_b32 v4, s11
	s_addc_u32 s3, s3, 0
	s_or_b32 s20, vcc_lo, s20
	s_delay_alu instid0(SALU_CYCLE_1)
	s_and_not1_b32 exec_lo, exec_lo, s20
	s_cbranch_execnz .LBB171_3
; %bb.4:
	s_or_b32 exec_lo, exec_lo, s20
	v_mov_b32_e32 v45, s15
.LBB171_5:
	s_or_b32 exec_lo, exec_lo, s19
.LBB171_6:
	s_delay_alu instid0(SALU_CYCLE_1) | instskip(SKIP_3) | instid1(VALU_DEP_1)
	s_or_b32 exec_lo, exec_lo, s14
	v_and_b32_e32 v6, 0x3ff, v0
	s_min_u32 s3, s6, 0x8000
	s_mov_b32 s2, exec_lo
	v_lshlrev_b32_e32 v0, 3, v6
	s_delay_alu instid0(VALU_DEP_1) | instskip(NEXT) | instid1(VALU_DEP_1)
	v_lshl_add_u32 v8, v5, 8, v0
	v_cmpx_gt_u32_e64 s3, v8
	s_cbranch_execz .LBB171_15
; %bb.7:
	v_lshlrev_b32_e32 v7, 1, v8
	v_add_nc_u32_e32 v13, 0x1000, v8
	s_mov_b32 s6, exec_lo
	global_load_b128 v[9:12], v7, s[12:13]
	s_waitcnt vmcnt(0)
	ds_store_b128 v7, v[9:12]
	v_cmpx_gt_u32_e64 s3, v13
	s_xor_b32 s6, exec_lo, s6
	s_cbranch_execz .LBB171_15
; %bb.8:
	v_add_co_u32 v9, s6, s12, v7
	s_delay_alu instid0(VALU_DEP_1) | instskip(SKIP_1) | instid1(VALU_DEP_3)
	v_add_co_ci_u32_e64 v10, null, s13, 0, s6
	v_add_nc_u32_e32 v15, 0x2000, v8
	v_add_co_u32 v11, vcc_lo, 0x2000, v9
	s_delay_alu instid0(VALU_DEP_3)
	v_add_co_ci_u32_e32 v12, vcc_lo, 0, v10, vcc_lo
	s_mov_b32 s6, exec_lo
	global_load_b128 v[11:14], v[11:12], off
	s_waitcnt vmcnt(0)
	ds_store_b128 v7, v[11:14] offset:8192
	v_cmpx_gt_u32_e64 s3, v15
	s_xor_b32 s6, exec_lo, s6
	s_cbranch_execz .LBB171_15
; %bb.9:
	v_add_co_u32 v11, vcc_lo, 0x4000, v9
	v_add_co_ci_u32_e32 v12, vcc_lo, 0, v10, vcc_lo
	v_add_nc_u32_e32 v15, 0x3000, v8
	s_mov_b32 s6, exec_lo
	global_load_b128 v[11:14], v[11:12], off
	s_waitcnt vmcnt(0)
	ds_store_b128 v7, v[11:14] offset:16384
	v_cmpx_gt_u32_e64 s3, v15
	s_xor_b32 s6, exec_lo, s6
	s_cbranch_execz .LBB171_15
; %bb.10:
	v_add_co_u32 v11, vcc_lo, 0x6000, v9
	v_add_co_ci_u32_e32 v12, vcc_lo, 0, v10, vcc_lo
	v_add_nc_u32_e32 v15, 0x4000, v8
	s_mov_b32 s6, exec_lo
	global_load_b128 v[11:14], v[11:12], off
	s_waitcnt vmcnt(0)
	ds_store_b128 v7, v[11:14] offset:24576
	v_cmpx_gt_u32_e64 s3, v15
	s_xor_b32 s6, exec_lo, s6
	s_cbranch_execz .LBB171_15
; %bb.11:
	v_add_co_u32 v11, vcc_lo, 0x8000, v9
	v_add_co_ci_u32_e32 v12, vcc_lo, 0, v10, vcc_lo
	v_add_nc_u32_e32 v15, 0x5000, v8
	s_mov_b32 s6, exec_lo
	global_load_b128 v[11:14], v[11:12], off
	s_waitcnt vmcnt(0)
	ds_store_b128 v7, v[11:14] offset:32768
	v_cmpx_gt_u32_e64 s3, v15
	s_xor_b32 s6, exec_lo, s6
	s_cbranch_execz .LBB171_15
; %bb.12:
	v_add_co_u32 v11, vcc_lo, 0xa000, v9
	v_add_co_ci_u32_e32 v12, vcc_lo, 0, v10, vcc_lo
	v_add_nc_u32_e32 v15, 0x6000, v8
	s_mov_b32 s6, exec_lo
	global_load_b128 v[11:14], v[11:12], off
	s_waitcnt vmcnt(0)
	ds_store_b128 v7, v[11:14] offset:40960
	v_cmpx_gt_u32_e64 s3, v15
	s_xor_b32 s6, exec_lo, s6
	s_cbranch_execz .LBB171_15
; %bb.13:
	v_add_co_u32 v11, vcc_lo, 0xc000, v9
	v_add_co_ci_u32_e32 v12, vcc_lo, 0, v10, vcc_lo
	v_add_nc_u32_e32 v8, 0x7000, v8
	global_load_b128 v[11:14], v[11:12], off
	v_cmp_gt_u32_e32 vcc_lo, s3, v8
	s_waitcnt vmcnt(0)
	ds_store_b128 v7, v[11:14] offset:49152
	s_and_saveexec_b32 s3, vcc_lo
	s_delay_alu instid0(SALU_CYCLE_1)
	s_xor_b32 s3, exec_lo, s3
	s_cbranch_execz .LBB171_15
; %bb.14:
	v_add_co_u32 v8, vcc_lo, 0xe000, v9
	v_add_co_ci_u32_e32 v9, vcc_lo, 0, v10, vcc_lo
	global_load_b128 v[8:11], v[8:9], off
	s_waitcnt vmcnt(0)
	ds_store_b128 v7, v[8:11] offset:57344
.LBB171_15:
	s_or_b32 exec_lo, exec_lo, s2
	v_cmp_gt_u32_e32 vcc_lo, s16, v5
	v_cmp_gt_u32_e64 s2, s7, v45
	s_waitcnt lgkmcnt(0)
	s_barrier
	buffer_gl0_inv
	s_and_b32 s2, vcc_lo, s2
	s_delay_alu instid0(SALU_CYCLE_1)
	s_and_saveexec_b32 s3, s2
	s_cbranch_execz .LBB171_66
; %bb.16:
	v_cvt_f32_u32_e32 v5, s18
	s_clause 0x1
	s_load_b128 s[8:11], s[0:1], 0x28
	s_load_b64 s[14:15], s[0:1], 0x18
	s_cmp_lg_u32 s4, 0
	v_mbcnt_lo_u32_b32 v7, -1, 0
	v_rcp_iflag_f32_e32 v5, v5
	s_cselect_b32 s6, -1, 0
	s_add_i32 s19, s4, -8
	s_add_i32 s20, s7, -1
	v_xor_b32_e32 v9, 16, v7
	v_mov_b32_e32 v47, 0
	s_mul_i32 s1, s16, s17
	s_mov_b32 s22, 0
	v_lshlrev_b32_e32 v62, 4, v6
	v_cmp_gt_i32_e32 vcc_lo, 32, v9
	s_waitcnt_depctr 0xfff
	v_mul_f32_e32 v5, 0x4f7ffffe, v5
	s_delay_alu instid0(VALU_DEP_1)
	v_cvt_u32_f32_e32 v5, v5
	s_waitcnt lgkmcnt(0)
	s_cmp_lg_u64 s[8:9], 0
	s_cselect_b32 s21, -1, 0
	s_sub_i32 s0, 0, s18
	s_lshl_b32 s23, s1, 2
	v_mul_lo_u32 v8, s0, v5
	v_cmp_eq_u32_e64 s0, 31, v6
	s_add_i32 s24, s7, -4
	s_delay_alu instid0(VALU_DEP_2) | instskip(NEXT) | instid1(VALU_DEP_1)
	v_mul_hi_u32 v8, v5, v8
	v_dual_cndmask_b32 v7, v7, v9 :: v_dual_add_nc_u32 v64, v5, v8
	s_delay_alu instid0(VALU_DEP_1)
	v_lshlrev_b32_e32 v63, 2, v7
	s_branch .LBB171_19
.LBB171_17:                             ;   in Loop: Header=BB171_19 Depth=1
	s_or_b32 exec_lo, exec_lo, s26
	v_mov_b32_e32 v45, s24
.LBB171_18:                             ;   in Loop: Header=BB171_19 Depth=1
	s_or_b32 exec_lo, exec_lo, s25
	s_delay_alu instid0(VALU_DEP_1) | instskip(SKIP_1) | instid1(SALU_CYCLE_1)
	v_cmp_le_u32_e32 vcc_lo, s7, v45
	s_or_b32 s22, vcc_lo, s22
	s_and_not1_b32 exec_lo, exec_lo, s22
	s_cbranch_execz .LBB171_66
.LBB171_19:                             ; =>This Loop Header: Depth=1
                                        ;     Child Loop BB171_24 Depth 2
                                        ;     Child Loop BB171_64 Depth 2
	v_dual_mov_b32 v67, v47 :: v_dual_add_nc_u32 v50, 1, v45
	v_dual_mov_b32 v66, v47 :: v_dual_add_nc_u32 v49, 2, v45
	;; [unrolled: 1-line block ×3, first 2 shown]
	v_mov_b32_e32 v68, v47
	s_and_not1_b32 vcc_lo, exec_lo, s6
	s_cbranch_vccnz .LBB171_34
; %bb.20:                               ;   in Loop: Header=BB171_19 Depth=1
	v_min_u32_e32 v5, s20, v45
	s_waitcnt lgkmcnt(0)
	v_min_u32_e32 v6, s20, v50
	v_min_u32_e32 v7, s20, v49
	;; [unrolled: 1-line block ×3, first 2 shown]
	v_dual_mov_b32 v10, v47 :: v_dual_mov_b32 v67, 0
	v_mul_lo_u32 v46, v5, s5
	v_mul_lo_u32 v5, v6, s5
	;; [unrolled: 1-line block ×4, first 2 shown]
	v_dual_mov_b32 v6, v47 :: v_dual_mov_b32 v69, 0
	v_dual_mov_b32 v8, v47 :: v_dual_mov_b32 v65, v62
	v_lshlrev_b64 v[51:52], 1, v[46:47]
	s_delay_alu instid0(VALU_DEP_3) | instskip(SKIP_1) | instid1(VALU_DEP_4)
	v_lshlrev_b64 v[53:54], 1, v[5:6]
	v_mov_b32_e32 v68, 0
	v_lshlrev_b64 v[55:56], 1, v[7:8]
	v_lshlrev_b64 v[57:58], 1, v[9:10]
	v_mov_b32_e32 v66, 0
	s_mov_b32 s1, 0
	s_branch .LBB171_24
.LBB171_21:                             ;   in Loop: Header=BB171_24 Depth=2
	s_or_b32 exec_lo, exec_lo, s16
.LBB171_22:                             ;   in Loop: Header=BB171_24 Depth=2
	s_delay_alu instid0(SALU_CYCLE_1)
	s_or_b32 exec_lo, exec_lo, s3
.LBB171_23:                             ;   in Loop: Header=BB171_24 Depth=2
	s_delay_alu instid0(SALU_CYCLE_1)
	s_or_b32 exec_lo, exec_lo, s2
	s_waitcnt vmcnt(0) lgkmcnt(0)
	v_and_b32_e32 v46, 0xffff0000, v41
	v_lshlrev_b32_e32 v41, 16, v41
	v_and_b32_e32 v60, 0xffff0000, v42
	v_and_b32_e32 v61, 0xffff0000, v38
	v_lshlrev_b32_e32 v42, 16, v42
	v_lshlrev_b32_e32 v38, 16, v38
	v_add_nc_u32_e32 v65, 0x400, v65
	s_addk_i32 s1, 0x200
	v_dual_mul_f32 v61, v60, v61 :: v_dual_and_b32 v70, 0xffff0000, v43
	s_cmp_ge_u32 s1, s4
	s_delay_alu instid0(VALU_DEP_1) | instskip(SKIP_2) | instid1(VALU_DEP_2)
	v_dual_fmac_f32 v61, v42, v38 :: v_dual_and_b32 v38, 0xffff0000, v33
	v_and_b32_e32 v59, 0xffff0000, v37
	v_lshlrev_b32_e32 v37, 16, v37
	v_mul_f32_e32 v59, v46, v59
	s_delay_alu instid0(VALU_DEP_1) | instskip(SKIP_1) | instid1(VALU_DEP_2)
	v_fmac_f32_e32 v59, v41, v37
	v_and_b32_e32 v37, 0xffff0000, v39
	v_add_f32_e32 v59, v69, v59
	v_dual_mul_f32 v38, v46, v38 :: v_dual_lshlrev_b32 v33, 16, v33
	s_delay_alu instid0(VALU_DEP_3) | instskip(SKIP_2) | instid1(VALU_DEP_4)
	v_mul_f32_e32 v37, v70, v37
	v_and_b32_e32 v69, 0xffff0000, v40
	v_lshlrev_b32_e32 v40, 16, v40
	v_dual_fmac_f32 v38, v41, v33 :: v_dual_lshlrev_b32 v33, 16, v34
	s_delay_alu instid0(VALU_DEP_1) | instskip(SKIP_1) | instid1(VALU_DEP_1)
	v_dual_add_f32 v38, v68, v38 :: v_dual_lshlrev_b32 v43, 16, v43
	v_lshlrev_b32_e32 v39, 16, v39
	v_fmac_f32_e32 v37, v43, v39
	v_add_f32_e32 v39, v59, v61
	v_and_b32_e32 v61, 0xffff0000, v34
	s_delay_alu instid0(VALU_DEP_2) | instskip(NEXT) | instid1(VALU_DEP_2)
	v_add_f32_e32 v37, v39, v37
	v_dual_mul_f32 v34, v60, v61 :: v_dual_and_b32 v61, 0xffff0000, v35
	v_and_b32_e32 v39, 0xffff0000, v29
	s_delay_alu instid0(VALU_DEP_2) | instskip(NEXT) | instid1(VALU_DEP_3)
	v_dual_fmac_f32 v34, v42, v33 :: v_dual_lshlrev_b32 v33, 16, v35
	v_mul_f32_e32 v35, v70, v61
	s_delay_alu instid0(VALU_DEP_2) | instskip(NEXT) | instid1(VALU_DEP_2)
	v_add_f32_e32 v34, v38, v34
	v_dual_mul_f32 v38, v46, v39 :: v_dual_fmac_f32 v35, v43, v33
	v_and_b32_e32 v59, 0xffff0000, v44
	v_and_b32_e32 v33, 0xffff0000, v36
	v_lshlrev_b32_e32 v44, 16, v44
	v_lshlrev_b32_e32 v29, 16, v29
	;; [unrolled: 1-line block ×3, first 2 shown]
	v_dual_add_f32 v34, v34, v35 :: v_dual_and_b32 v39, 0xffff0000, v30
	v_mul_f32_e32 v33, v59, v33
	s_delay_alu instid0(VALU_DEP_4) | instskip(NEXT) | instid1(VALU_DEP_3)
	v_dual_fmac_f32 v38, v41, v29 :: v_dual_lshlrev_b32 v29, 16, v30
	v_mul_f32_e32 v30, v60, v39
	s_delay_alu instid0(VALU_DEP_2) | instskip(NEXT) | instid1(VALU_DEP_2)
	v_dual_fmac_f32 v33, v44, v36 :: v_dual_add_f32 v36, v67, v38
	v_fmac_f32_e32 v30, v42, v29
	v_mul_f32_e32 v69, v59, v69
	s_delay_alu instid0(VALU_DEP_3) | instskip(SKIP_1) | instid1(VALU_DEP_4)
	v_add_f32_e32 v29, v34, v33
	v_and_b32_e32 v33, 0xffff0000, v21
	v_dual_add_f32 v30, v36, v30 :: v_dual_lshlrev_b32 v21, 16, v21
	v_and_b32_e32 v36, 0xffff0000, v32
	v_fmac_f32_e32 v69, v44, v40
	s_delay_alu instid0(VALU_DEP_4) | instskip(NEXT) | instid1(VALU_DEP_1)
	v_dual_mul_f32 v33, v46, v33 :: v_dual_lshlrev_b32 v32, 16, v32
	v_dual_mul_f32 v36, v59, v36 :: v_dual_fmac_f32 v33, v41, v21
	s_delay_alu instid0(VALU_DEP_1) | instskip(NEXT) | instid1(VALU_DEP_2)
	v_dual_fmac_f32 v36, v44, v32 :: v_dual_lshlrev_b32 v21, 16, v22
	v_add_f32_e32 v32, v66, v33
	v_add_f32_e32 v35, v37, v69
	v_and_b32_e32 v37, 0xffff0000, v31
	v_lshlrev_b32_e32 v31, 16, v31
	v_and_b32_e32 v33, 0xffff0000, v17
	v_lshlrev_b32_e32 v17, 16, v17
	s_delay_alu instid0(VALU_DEP_4) | instskip(NEXT) | instid1(VALU_DEP_1)
	v_mul_f32_e32 v34, v70, v37
	v_dual_fmac_f32 v34, v43, v31 :: v_dual_and_b32 v31, 0xffff0000, v22
	s_delay_alu instid0(VALU_DEP_1) | instskip(NEXT) | instid1(VALU_DEP_2)
	v_add_f32_e32 v30, v30, v34
	v_mul_f32_e32 v22, v60, v31
	v_and_b32_e32 v31, 0xffff0000, v23
	v_and_b32_e32 v34, 0xffff0000, v18
	v_lshlrev_b32_e32 v18, 16, v18
	v_add_f32_e32 v30, v30, v36
	v_dual_fmac_f32 v22, v42, v21 :: v_dual_lshlrev_b32 v21, 16, v23
	v_mul_f32_e32 v23, v70, v31
	v_and_b32_e32 v31, 0xffff0000, v25
	v_and_b32_e32 v36, 0xffff0000, v19
	s_delay_alu instid0(VALU_DEP_4) | instskip(NEXT) | instid1(VALU_DEP_4)
	v_add_f32_e32 v22, v32, v22
	v_dual_fmac_f32 v23, v43, v21 :: v_dual_and_b32 v32, 0xffff0000, v24
	v_lshlrev_b32_e32 v21, 16, v25
	v_dual_mul_f32 v25, v31, v33 :: v_dual_lshlrev_b32 v24, 16, v24
	s_delay_alu instid0(VALU_DEP_3) | instskip(NEXT) | instid1(VALU_DEP_2)
	v_dual_mul_f32 v32, v59, v32 :: v_dual_lshlrev_b32 v19, 16, v19
	v_fmac_f32_e32 v25, v21, v17
	v_lshlrev_b32_e32 v17, 16, v26
	s_delay_alu instid0(VALU_DEP_3) | instskip(NEXT) | instid1(VALU_DEP_1)
	v_dual_fmac_f32 v32, v44, v24 :: v_dual_and_b32 v33, 0xffff0000, v26
	v_mul_f32_e32 v26, v33, v34
	v_and_b32_e32 v34, 0xffff0000, v27
	v_dual_add_f32 v22, v22, v23 :: v_dual_and_b32 v23, 0xffff0000, v13
	s_delay_alu instid0(VALU_DEP_3) | instskip(SKIP_1) | instid1(VALU_DEP_4)
	v_dual_fmac_f32 v26, v17, v18 :: v_dual_lshlrev_b32 v13, 16, v13
	v_dual_add_f32 v25, v35, v25 :: v_dual_lshlrev_b32 v18, 16, v27
	v_mul_f32_e32 v27, v34, v36
	s_delay_alu instid0(VALU_DEP_4) | instskip(NEXT) | instid1(VALU_DEP_2)
	v_add_f32_e32 v22, v22, v32
	v_dual_add_f32 v24, v25, v26 :: v_dual_fmac_f32 v27, v18, v19
	v_and_b32_e32 v25, 0xffff0000, v28
	v_and_b32_e32 v26, 0xffff0000, v15
	s_delay_alu instid0(VALU_DEP_3) | instskip(SKIP_2) | instid1(VALU_DEP_2)
	v_add_f32_e32 v24, v24, v27
	v_mul_f32_e32 v19, v31, v23
	v_and_b32_e32 v23, 0xffff0000, v14
	v_fmac_f32_e32 v19, v21, v13
	s_delay_alu instid0(VALU_DEP_2) | instskip(NEXT) | instid1(VALU_DEP_2)
	v_dual_mul_f32 v14, v33, v23 :: v_dual_lshlrev_b32 v13, 16, v14
	v_add_f32_e32 v19, v29, v19
	s_delay_alu instid0(VALU_DEP_2) | instskip(SKIP_1) | instid1(VALU_DEP_2)
	v_dual_fmac_f32 v14, v17, v13 :: v_dual_lshlrev_b32 v13, 16, v15
	v_dual_mul_f32 v15, v34, v26 :: v_dual_and_b32 v26, 0xffff0000, v9
	v_dual_add_f32 v14, v19, v14 :: v_dual_lshlrev_b32 v9, 16, v9
	v_and_b32_e32 v19, 0xffff0000, v10
	s_delay_alu instid0(VALU_DEP_3) | instskip(NEXT) | instid1(VALU_DEP_1)
	v_fmac_f32_e32 v15, v18, v13
	v_dual_mul_f32 v13, v31, v26 :: v_dual_add_f32 v14, v14, v15
	v_lshlrev_b32_e32 v23, 16, v28
	v_and_b32_e32 v27, 0xffff0000, v20
	s_delay_alu instid0(VALU_DEP_3) | instskip(SKIP_1) | instid1(VALU_DEP_3)
	v_fmac_f32_e32 v13, v21, v9
	v_dual_mul_f32 v10, v33, v19 :: v_dual_lshlrev_b32 v9, 16, v10
	v_dual_mul_f32 v27, v25, v27 :: v_dual_lshlrev_b32 v20, 16, v20
	v_and_b32_e32 v19, 0xffff0000, v5
	v_lshlrev_b32_e32 v5, 16, v5
	s_delay_alu instid0(VALU_DEP_4) | instskip(NEXT) | instid1(VALU_DEP_4)
	v_dual_fmac_f32 v10, v17, v9 :: v_dual_and_b32 v9, 0xffff0000, v11
	v_fmac_f32_e32 v27, v23, v20
	s_delay_alu instid0(VALU_DEP_4) | instskip(SKIP_1) | instid1(VALU_DEP_4)
	v_mul_f32_e32 v19, v31, v19
	v_lshlrev_b32_e32 v11, 16, v11
	v_dual_mul_f32 v9, v34, v9 :: v_dual_and_b32 v20, 0xffff0000, v6
	v_and_b32_e32 v15, 0xffff0000, v16
	s_delay_alu instid0(VALU_DEP_4) | instskip(NEXT) | instid1(VALU_DEP_3)
	v_fmac_f32_e32 v19, v21, v5
	v_dual_mul_f32 v6, v33, v20 :: v_dual_lshlrev_b32 v5, 16, v6
	s_delay_alu instid0(VALU_DEP_4) | instskip(SKIP_1) | instid1(VALU_DEP_4)
	v_fmac_f32_e32 v9, v18, v11
	v_and_b32_e32 v11, 0xffff0000, v7
	v_add_f32_e32 v19, v22, v19
	v_add_f32_e32 v13, v30, v13
	v_dual_fmac_f32 v6, v17, v5 :: v_dual_lshlrev_b32 v5, 16, v7
	s_delay_alu instid0(VALU_DEP_4) | instskip(NEXT) | instid1(VALU_DEP_3)
	v_dual_mul_f32 v7, v34, v11 :: v_dual_lshlrev_b32 v16, 16, v16
	v_add_f32_e32 v10, v13, v10
	s_delay_alu instid0(VALU_DEP_3) | instskip(NEXT) | instid1(VALU_DEP_3)
	v_dual_add_f32 v6, v19, v6 :: v_dual_and_b32 v13, 0xffff0000, v12
	v_fmac_f32_e32 v7, v18, v5
	v_lshlrev_b32_e32 v11, 16, v12
	v_and_b32_e32 v12, 0xffff0000, v8
	v_lshlrev_b32_e32 v5, 16, v8
	v_add_f32_e32 v9, v10, v9
	v_add_f32_e32 v6, v6, v7
	v_mul_f32_e32 v15, v25, v15
	v_mul_f32_e32 v13, v25, v13
	v_dual_mul_f32 v8, v25, v12 :: v_dual_add_f32 v69, v24, v27
	s_delay_alu instid0(VALU_DEP_3) | instskip(NEXT) | instid1(VALU_DEP_1)
	v_fmac_f32_e32 v15, v23, v16
	v_add_f32_e32 v68, v14, v15
	s_delay_alu instid0(VALU_DEP_3) | instskip(NEXT) | instid1(VALU_DEP_1)
	v_fmac_f32_e32 v8, v23, v5
	v_dual_fmac_f32 v13, v23, v11 :: v_dual_add_f32 v66, v6, v8
	s_delay_alu instid0(VALU_DEP_1)
	v_add_f32_e32 v67, v9, v13
	s_cbranch_scc1 .LBB171_34
.LBB171_24:                             ;   Parent Loop BB171_19 Depth=1
                                        ; =>  This Inner Loop Header: Depth=2
	v_add_nc_u32_e32 v60, s1, v0
	v_dual_mov_b32 v44, 0 :: v_dual_mov_b32 v43, 0
	v_dual_mov_b32 v42, 0 :: v_dual_mov_b32 v41, 0
	s_delay_alu instid0(VALU_DEP_3) | instskip(SKIP_2) | instid1(VALU_DEP_2)
	v_min_u32_e32 v46, s19, v60
	v_add_nc_u32_e32 v59, 0x100, v60
	s_mov_b32 s2, exec_lo
	v_lshlrev_b64 v[5:6], 1, v[46:47]
	s_delay_alu instid0(VALU_DEP_2) | instskip(NEXT) | instid1(VALU_DEP_2)
	v_min_u32_e32 v46, s19, v59
	v_add_co_u32 v13, vcc_lo, s14, v5
	s_waitcnt vmcnt(1)
	s_delay_alu instid0(VALU_DEP_3) | instskip(NEXT) | instid1(VALU_DEP_3)
	v_add_co_ci_u32_e32 v14, vcc_lo, s15, v6, vcc_lo
	v_lshlrev_b64 v[5:6], 1, v[46:47]
	s_delay_alu instid0(VALU_DEP_3) | instskip(NEXT) | instid1(VALU_DEP_3)
	v_add_co_u32 v7, vcc_lo, v13, v51
	v_add_co_ci_u32_e32 v8, vcc_lo, v14, v52, vcc_lo
	v_add_co_u32 v9, vcc_lo, v13, v53
	v_add_co_ci_u32_e32 v10, vcc_lo, v14, v54, vcc_lo
	s_waitcnt vmcnt(0)
	v_add_co_u32 v11, vcc_lo, v13, v55
	v_add_co_ci_u32_e32 v12, vcc_lo, v14, v56, vcc_lo
	v_add_co_u32 v15, vcc_lo, s14, v5
	v_add_co_ci_u32_e32 v16, vcc_lo, s15, v6, vcc_lo
	;; [unrolled: 2-line block ×3, first 2 shown]
	s_clause 0x1
	global_load_b128 v[37:40], v[7:8], off slc dlc
	global_load_b128 v[33:36], v[9:10], off slc dlc
	v_add_co_u32 v7, vcc_lo, v15, v51
	v_add_co_ci_u32_e32 v8, vcc_lo, v16, v52, vcc_lo
	v_add_co_u32 v9, vcc_lo, v15, v53
	v_add_co_ci_u32_e32 v10, vcc_lo, v16, v54, vcc_lo
	;; [unrolled: 2-line block ×4, first 2 shown]
	s_clause 0x5
	global_load_b128 v[29:32], v[11:12], off slc dlc
	global_load_b128 v[21:24], v[5:6], off slc dlc
	;; [unrolled: 1-line block ×6, first 2 shown]
	v_dual_mov_b32 v28, 0 :: v_dual_mov_b32 v27, 0
	v_dual_mov_b32 v26, 0 :: v_dual_mov_b32 v25, 0
	v_cmpx_gt_u32_e64 s4, v60
	s_cbranch_execz .LBB171_23
; %bb.25:                               ;   in Loop: Header=BB171_24 Depth=2
	s_mov_b32 s3, exec_lo
                                        ; implicit-def: $vgpr44
	v_cmpx_lt_u32_e32 0x7fff, v60
	s_xor_b32 s3, exec_lo, s3
	s_cbranch_execz .LBB171_27
; %bb.26:                               ;   in Loop: Header=BB171_24 Depth=2
	v_mov_b32_e32 v61, v47
	s_delay_alu instid0(VALU_DEP_1) | instskip(NEXT) | instid1(VALU_DEP_1)
	v_lshlrev_b64 v[25:26], 1, v[60:61]
	v_add_co_u32 v25, vcc_lo, s12, v25
	s_delay_alu instid0(VALU_DEP_2)
	v_add_co_ci_u32_e32 v26, vcc_lo, s13, v26, vcc_lo
	global_load_b128 v[41:44], v[25:26], off
.LBB171_27:                             ;   in Loop: Header=BB171_24 Depth=2
	s_and_not1_saveexec_b32 s3, s3
	s_cbranch_execz .LBB171_29
; %bb.28:                               ;   in Loop: Header=BB171_24 Depth=2
	s_waitcnt vmcnt(0)
	ds_load_b128 v[41:44], v65
.LBB171_29:                             ;   in Loop: Header=BB171_24 Depth=2
	s_or_b32 exec_lo, exec_lo, s3
	v_dual_mov_b32 v28, 0 :: v_dual_mov_b32 v27, 0
	v_dual_mov_b32 v26, 0 :: v_dual_mov_b32 v25, 0
	s_mov_b32 s3, exec_lo
	v_cmpx_gt_u32_e64 s4, v59
	s_cbranch_execz .LBB171_22
; %bb.30:                               ;   in Loop: Header=BB171_24 Depth=2
	s_mov_b32 s16, exec_lo
                                        ; implicit-def: $vgpr28
	v_cmpx_lt_u32_e32 0x7fff, v59
	s_xor_b32 s16, exec_lo, s16
	s_cbranch_execz .LBB171_32
; %bb.31:                               ;   in Loop: Header=BB171_24 Depth=2
	v_mov_b32_e32 v60, v47
	s_delay_alu instid0(VALU_DEP_1) | instskip(NEXT) | instid1(VALU_DEP_1)
	v_lshlrev_b64 v[25:26], 1, v[59:60]
	v_add_co_u32 v25, vcc_lo, s12, v25
	s_delay_alu instid0(VALU_DEP_2)
	v_add_co_ci_u32_e32 v26, vcc_lo, s13, v26, vcc_lo
	global_load_b128 v[25:28], v[25:26], off
.LBB171_32:                             ;   in Loop: Header=BB171_24 Depth=2
	s_and_not1_saveexec_b32 s16, s16
	s_cbranch_execz .LBB171_21
; %bb.33:                               ;   in Loop: Header=BB171_24 Depth=2
	s_waitcnt vmcnt(0)
	ds_load_b128 v[25:28], v65 offset:512
	s_branch .LBB171_21
.LBB171_34:                             ;   in Loop: Header=BB171_19 Depth=1
	s_delay_alu instid0(VALU_DEP_2)
	v_cvt_i32_f32_e32 v5, v69
	s_waitcnt lgkmcnt(0)
	v_cvt_i32_f32_e32 v6, v68
	v_cvt_i32_f32_e32 v7, v67
	;; [unrolled: 1-line block ×3, first 2 shown]
	v_cvt_f32_i32_dpp v5, v5 row_shr:8 row_mask:0xf bank_mask:0xf bound_ctrl:1
	s_delay_alu instid0(VALU_DEP_4) | instskip(NEXT) | instid1(VALU_DEP_4)
	v_cvt_f32_i32_dpp v6, v6 row_shr:8 row_mask:0xf bank_mask:0xf bound_ctrl:1
	v_cvt_f32_i32_dpp v7, v7 row_shr:8 row_mask:0xf bank_mask:0xf bound_ctrl:1
	s_delay_alu instid0(VALU_DEP_4) | instskip(NEXT) | instid1(VALU_DEP_3)
	v_cvt_f32_i32_dpp v8, v8 row_shr:8 row_mask:0xf bank_mask:0xf bound_ctrl:1
	v_dual_add_f32 v5, v69, v5 :: v_dual_add_f32 v6, v68, v6
	s_delay_alu instid0(VALU_DEP_2) | instskip(NEXT) | instid1(VALU_DEP_2)
	v_dual_add_f32 v7, v67, v7 :: v_dual_add_f32 v8, v66, v8
	v_cvt_i32_f32_e32 v9, v5
	s_delay_alu instid0(VALU_DEP_3) | instskip(SKIP_1) | instid1(VALU_DEP_3)
	v_cvt_i32_f32_e32 v10, v6
	s_waitcnt vmcnt(0)
	v_cvt_i32_f32_e32 v11, v7
	v_cvt_i32_f32_e32 v12, v8
	v_cvt_f32_i32_dpp v9, v9 row_shr:4 row_mask:0xf bank_mask:0xf bound_ctrl:1
	v_cvt_f32_i32_dpp v10, v10 row_shr:4 row_mask:0xf bank_mask:0xf bound_ctrl:1
	s_delay_alu instid0(VALU_DEP_4) | instskip(NEXT) | instid1(VALU_DEP_4)
	v_cvt_f32_i32_dpp v11, v11 row_shr:4 row_mask:0xf bank_mask:0xf bound_ctrl:1
	v_cvt_f32_i32_dpp v12, v12 row_shr:4 row_mask:0xf bank_mask:0xf bound_ctrl:1
	s_delay_alu instid0(VALU_DEP_3) | instskip(NEXT) | instid1(VALU_DEP_2)
	v_dual_add_f32 v5, v5, v9 :: v_dual_add_f32 v6, v6, v10
	v_dual_add_f32 v7, v7, v11 :: v_dual_add_f32 v8, v8, v12
	s_delay_alu instid0(VALU_DEP_2) | instskip(NEXT) | instid1(VALU_DEP_3)
	v_cvt_i32_f32_e32 v9, v5
	v_cvt_i32_f32_e32 v10, v6
	s_delay_alu instid0(VALU_DEP_3) | instskip(NEXT) | instid1(VALU_DEP_4)
	v_cvt_i32_f32_e32 v11, v7
	v_cvt_i32_f32_e32 v12, v8
	s_delay_alu instid0(VALU_DEP_4) | instskip(NEXT) | instid1(VALU_DEP_4)
	v_cvt_f32_i32_dpp v9, v9 row_shr:2 row_mask:0xf bank_mask:0xf bound_ctrl:1
	v_cvt_f32_i32_dpp v10, v10 row_shr:2 row_mask:0xf bank_mask:0xf bound_ctrl:1
	s_delay_alu instid0(VALU_DEP_4) | instskip(NEXT) | instid1(VALU_DEP_4)
	v_cvt_f32_i32_dpp v11, v11 row_shr:2 row_mask:0xf bank_mask:0xf bound_ctrl:1
	v_cvt_f32_i32_dpp v12, v12 row_shr:2 row_mask:0xf bank_mask:0xf bound_ctrl:1
	s_delay_alu instid0(VALU_DEP_3) | instskip(NEXT) | instid1(VALU_DEP_2)
	v_dual_add_f32 v5, v5, v9 :: v_dual_add_f32 v6, v6, v10
	v_dual_add_f32 v7, v7, v11 :: v_dual_add_f32 v8, v8, v12
	s_delay_alu instid0(VALU_DEP_2) | instskip(NEXT) | instid1(VALU_DEP_3)
	v_cvt_i32_f32_e32 v9, v5
	v_cvt_i32_f32_e32 v10, v6
	s_delay_alu instid0(VALU_DEP_3) | instskip(NEXT) | instid1(VALU_DEP_4)
	v_cvt_i32_f32_e32 v11, v7
	v_cvt_i32_f32_e32 v12, v8
	s_delay_alu instid0(VALU_DEP_4) | instskip(NEXT) | instid1(VALU_DEP_4)
	v_cvt_f32_i32_dpp v9, v9 row_shr:1 row_mask:0xf bank_mask:0xf bound_ctrl:1
	v_cvt_f32_i32_dpp v10, v10 row_shr:1 row_mask:0xf bank_mask:0xf bound_ctrl:1
	s_delay_alu instid0(VALU_DEP_4) | instskip(NEXT) | instid1(VALU_DEP_4)
	v_cvt_f32_i32_dpp v11, v11 row_shr:1 row_mask:0xf bank_mask:0xf bound_ctrl:1
	v_cvt_f32_i32_dpp v13, v12 row_shr:1 row_mask:0xf bank_mask:0xf bound_ctrl:1
	s_delay_alu instid0(VALU_DEP_3) | instskip(NEXT) | instid1(VALU_DEP_3)
	v_dual_add_f32 v12, v5, v9 :: v_dual_add_f32 v9, v6, v10
	v_add_f32_e32 v7, v7, v11
	s_delay_alu instid0(VALU_DEP_3)
	v_add_f32_e32 v5, v8, v13
	ds_bpermute_b32 v13, v63, v12
	ds_bpermute_b32 v10, v63, v9
	;; [unrolled: 1-line block ×4, first 2 shown]
	s_and_saveexec_b32 s1, s0
	s_cbranch_execz .LBB171_61
; %bb.35:                               ;   in Loop: Header=BB171_19 Depth=1
	v_dual_mov_b32 v11, 0 :: v_dual_mov_b32 v14, 0
	v_dual_mov_b32 v15, 0 :: v_dual_mov_b32 v16, 0
	s_and_not1_b32 vcc_lo, exec_lo, s21
	s_cbranch_vccnz .LBB171_37
; %bb.36:                               ;   in Loop: Header=BB171_19 Depth=1
	v_mul_hi_u32 v11, v45, v64
	v_mul_hi_u32 v14, v50, v64
	;; [unrolled: 1-line block ×4, first 2 shown]
	s_delay_alu instid0(VALU_DEP_4) | instskip(NEXT) | instid1(VALU_DEP_4)
	v_mul_lo_u32 v11, v11, s18
	v_mul_lo_u32 v14, v14, s18
	s_delay_alu instid0(VALU_DEP_4) | instskip(NEXT) | instid1(VALU_DEP_4)
	v_mul_lo_u32 v16, v16, s18
	v_mul_lo_u32 v15, v15, s18
	s_delay_alu instid0(VALU_DEP_4) | instskip(NEXT) | instid1(VALU_DEP_4)
	v_sub_nc_u32_e32 v11, v45, v11
	v_sub_nc_u32_e32 v14, v50, v14
	s_delay_alu instid0(VALU_DEP_4) | instskip(NEXT) | instid1(VALU_DEP_4)
	v_sub_nc_u32_e32 v16, v48, v16
	v_sub_nc_u32_e32 v15, v49, v15
	s_delay_alu instid0(VALU_DEP_4) | instskip(SKIP_1) | instid1(VALU_DEP_4)
	v_subrev_nc_u32_e32 v17, s18, v11
	v_cmp_le_u32_e32 vcc_lo, s18, v11
	v_subrev_nc_u32_e32 v20, s18, v16
	s_delay_alu instid0(VALU_DEP_4) | instskip(NEXT) | instid1(VALU_DEP_4)
	v_subrev_nc_u32_e32 v18, s18, v15
	v_cndmask_b32_e32 v11, v11, v17, vcc_lo
	v_subrev_nc_u32_e32 v17, s18, v14
	v_cmp_le_u32_e32 vcc_lo, s18, v14
	s_delay_alu instid0(VALU_DEP_3) | instskip(NEXT) | instid1(VALU_DEP_3)
	v_subrev_nc_u32_e32 v19, s18, v11
	v_cndmask_b32_e32 v17, v14, v17, vcc_lo
	v_cmp_le_u32_e32 vcc_lo, s18, v11
	s_delay_alu instid0(VALU_DEP_3)
	v_cndmask_b32_e32 v46, v11, v19, vcc_lo
	v_cmp_le_u32_e32 vcc_lo, s18, v15
	v_cndmask_b32_e32 v11, v15, v18, vcc_lo
	v_cmp_le_u32_e32 vcc_lo, s18, v16
	v_subrev_nc_u32_e32 v18, s18, v17
	v_lshlrev_b64 v[14:15], 1, v[46:47]
	v_cndmask_b32_e32 v20, v16, v20, vcc_lo
	v_cmp_le_u32_e32 vcc_lo, s18, v17
	s_delay_alu instid0(VALU_DEP_2) | instskip(SKIP_3) | instid1(VALU_DEP_3)
	v_subrev_nc_u32_e32 v21, s18, v20
	v_cndmask_b32_e32 v46, v17, v18, vcc_lo
	v_subrev_nc_u32_e32 v18, s18, v11
	v_cmp_le_u32_e32 vcc_lo, s18, v11
	v_lshlrev_b64 v[16:17], 1, v[46:47]
	s_delay_alu instid0(VALU_DEP_3) | instskip(SKIP_3) | instid1(VALU_DEP_4)
	v_cndmask_b32_e32 v46, v11, v18, vcc_lo
	v_add_co_u32 v14, vcc_lo, s8, v14
	v_add_co_ci_u32_e32 v15, vcc_lo, s9, v15, vcc_lo
	v_cmp_le_u32_e32 vcc_lo, s18, v20
	v_lshlrev_b64 v[18:19], 1, v[46:47]
	v_cndmask_b32_e32 v46, v20, v21, vcc_lo
	v_add_co_u32 v20, vcc_lo, s8, v16
	v_add_co_ci_u32_e32 v21, vcc_lo, s9, v17, vcc_lo
	s_delay_alu instid0(VALU_DEP_3) | instskip(SKIP_2) | instid1(VALU_DEP_3)
	v_lshlrev_b64 v[16:17], 1, v[46:47]
	v_add_co_u32 v18, vcc_lo, s8, v18
	v_add_co_ci_u32_e32 v19, vcc_lo, s9, v19, vcc_lo
	v_add_co_u32 v22, vcc_lo, s8, v16
	s_delay_alu instid0(VALU_DEP_4)
	v_add_co_ci_u32_e32 v23, vcc_lo, s9, v17, vcc_lo
	s_clause 0x3
	global_load_u16 v16, v[14:15], off
	global_load_u16 v15, v[20:21], off
	;; [unrolled: 1-line block ×4, first 2 shown]
.LBB171_37:                             ;   in Loop: Header=BB171_19 Depth=1
	s_mov_b32 s2, exec_lo
	v_cmpx_ne_u32_e32 0, v1
	s_cbranch_execz .LBB171_43
; %bb.38:                               ;   in Loop: Header=BB171_19 Depth=1
	s_waitcnt vmcnt(3) lgkmcnt(3)
	v_dual_add_f32 v12, v12, v13 :: v_dual_lshlrev_b32 v13, 16, v16
	s_delay_alu instid0(VALU_DEP_1) | instskip(NEXT) | instid1(VALU_DEP_1)
	v_add_f32_e32 v13, v12, v13
	v_and_b32_e32 v12, 0x7f800000, v13
	s_delay_alu instid0(VALU_DEP_1) | instskip(SKIP_1) | instid1(SALU_CYCLE_1)
	v_cmp_ne_u32_e32 vcc_lo, 0x7f800000, v12
                                        ; implicit-def: $vgpr12
	s_and_saveexec_b32 s3, vcc_lo
	s_xor_b32 s3, exec_lo, s3
; %bb.39:                               ;   in Loop: Header=BB171_19 Depth=1
	v_bfe_u32 v12, v13, 16, 1
	s_delay_alu instid0(VALU_DEP_1)
	v_add3_u32 v12, v13, v12, 0x7fff
                                        ; implicit-def: $vgpr13
; %bb.40:                               ;   in Loop: Header=BB171_19 Depth=1
	s_and_not1_saveexec_b32 s3, s3
; %bb.41:                               ;   in Loop: Header=BB171_19 Depth=1
	v_and_b32_e32 v12, 0xffff, v13
	v_or_b32_e32 v16, 0x10000, v13
	s_delay_alu instid0(VALU_DEP_2) | instskip(NEXT) | instid1(VALU_DEP_2)
	v_cmp_eq_u32_e32 vcc_lo, 0, v12
	v_cndmask_b32_e32 v12, v16, v13, vcc_lo
; %bb.42:                               ;   in Loop: Header=BB171_19 Depth=1
	s_or_b32 exec_lo, exec_lo, s3
	v_mov_b32_e32 v46, v47
	s_delay_alu instid0(VALU_DEP_1) | instskip(NEXT) | instid1(VALU_DEP_1)
	v_lshlrev_b64 v[16:17], 1, v[45:46]
	v_add_co_u32 v16, vcc_lo, s10, v16
	s_delay_alu instid0(VALU_DEP_2)
	v_add_co_ci_u32_e32 v17, vcc_lo, s11, v17, vcc_lo
	global_store_d16_hi_b16 v[16:17], v12, off
.LBB171_43:                             ;   in Loop: Header=BB171_19 Depth=1
	s_or_b32 exec_lo, exec_lo, s2
	s_delay_alu instid0(SALU_CYCLE_1)
	s_mov_b32 s2, exec_lo
	v_cmpx_ne_u32_e32 0, v2
	s_cbranch_execz .LBB171_49
; %bb.44:                               ;   in Loop: Header=BB171_19 Depth=1
	s_waitcnt vmcnt(2) lgkmcnt(2)
	v_dual_add_f32 v9, v9, v10 :: v_dual_lshlrev_b32 v10, 16, v15
	s_delay_alu instid0(VALU_DEP_1) | instskip(NEXT) | instid1(VALU_DEP_1)
	v_add_f32_e32 v10, v9, v10
	v_and_b32_e32 v9, 0x7f800000, v10
	s_delay_alu instid0(VALU_DEP_1) | instskip(SKIP_1) | instid1(SALU_CYCLE_1)
	v_cmp_ne_u32_e32 vcc_lo, 0x7f800000, v9
                                        ; implicit-def: $vgpr9
	s_and_saveexec_b32 s3, vcc_lo
	s_xor_b32 s3, exec_lo, s3
; %bb.45:                               ;   in Loop: Header=BB171_19 Depth=1
	v_bfe_u32 v9, v10, 16, 1
	s_delay_alu instid0(VALU_DEP_1)
	v_add3_u32 v9, v10, v9, 0x7fff
                                        ; implicit-def: $vgpr10
; %bb.46:                               ;   in Loop: Header=BB171_19 Depth=1
	s_and_not1_saveexec_b32 s3, s3
; %bb.47:                               ;   in Loop: Header=BB171_19 Depth=1
	v_and_b32_e32 v9, 0xffff, v10
	v_or_b32_e32 v12, 0x10000, v10
	s_delay_alu instid0(VALU_DEP_2) | instskip(NEXT) | instid1(VALU_DEP_2)
	v_cmp_eq_u32_e32 vcc_lo, 0, v9
	v_cndmask_b32_e32 v9, v12, v10, vcc_lo
; %bb.48:                               ;   in Loop: Header=BB171_19 Depth=1
	s_or_b32 exec_lo, exec_lo, s3
	v_mov_b32_e32 v51, v47
	s_delay_alu instid0(VALU_DEP_1) | instskip(NEXT) | instid1(VALU_DEP_1)
	v_lshlrev_b64 v[12:13], 1, v[50:51]
	v_add_co_u32 v12, vcc_lo, s10, v12
	s_delay_alu instid0(VALU_DEP_2)
	v_add_co_ci_u32_e32 v13, vcc_lo, s11, v13, vcc_lo
	global_store_d16_hi_b16 v[12:13], v9, off
.LBB171_49:                             ;   in Loop: Header=BB171_19 Depth=1
	s_or_b32 exec_lo, exec_lo, s2
	s_delay_alu instid0(SALU_CYCLE_1)
	s_mov_b32 s2, exec_lo
	v_cmpx_ne_u32_e32 0, v3
	s_cbranch_execz .LBB171_55
; %bb.50:                               ;   in Loop: Header=BB171_19 Depth=1
	s_waitcnt vmcnt(1) lgkmcnt(1)
	v_dual_add_f32 v7, v7, v8 :: v_dual_lshlrev_b32 v8, 16, v14
	s_delay_alu instid0(VALU_DEP_1) | instskip(NEXT) | instid1(VALU_DEP_1)
	v_add_f32_e32 v8, v7, v8
	v_and_b32_e32 v7, 0x7f800000, v8
	s_delay_alu instid0(VALU_DEP_1) | instskip(SKIP_1) | instid1(SALU_CYCLE_1)
	v_cmp_ne_u32_e32 vcc_lo, 0x7f800000, v7
                                        ; implicit-def: $vgpr7
	s_and_saveexec_b32 s3, vcc_lo
	s_xor_b32 s3, exec_lo, s3
; %bb.51:                               ;   in Loop: Header=BB171_19 Depth=1
	v_bfe_u32 v7, v8, 16, 1
	s_delay_alu instid0(VALU_DEP_1)
	v_add3_u32 v7, v8, v7, 0x7fff
                                        ; implicit-def: $vgpr8
; %bb.52:                               ;   in Loop: Header=BB171_19 Depth=1
	s_and_not1_saveexec_b32 s3, s3
; %bb.53:                               ;   in Loop: Header=BB171_19 Depth=1
	v_and_b32_e32 v7, 0xffff, v8
	v_or_b32_e32 v9, 0x10000, v8
	s_delay_alu instid0(VALU_DEP_2) | instskip(NEXT) | instid1(VALU_DEP_2)
	v_cmp_eq_u32_e32 vcc_lo, 0, v7
	v_cndmask_b32_e32 v7, v9, v8, vcc_lo
; %bb.54:                               ;   in Loop: Header=BB171_19 Depth=1
	s_or_b32 exec_lo, exec_lo, s3
	v_mov_b32_e32 v50, v47
	s_delay_alu instid0(VALU_DEP_1) | instskip(NEXT) | instid1(VALU_DEP_1)
	v_lshlrev_b64 v[8:9], 1, v[49:50]
	v_add_co_u32 v8, vcc_lo, s10, v8
	s_delay_alu instid0(VALU_DEP_2)
	v_add_co_ci_u32_e32 v9, vcc_lo, s11, v9, vcc_lo
	global_store_d16_hi_b16 v[8:9], v7, off
.LBB171_55:                             ;   in Loop: Header=BB171_19 Depth=1
	s_or_b32 exec_lo, exec_lo, s2
	v_cmp_ne_u32_e32 vcc_lo, 0, v4
	s_and_b32 exec_lo, exec_lo, vcc_lo
	s_cbranch_execz .LBB171_61
; %bb.56:                               ;   in Loop: Header=BB171_19 Depth=1
	s_waitcnt vmcnt(0) lgkmcnt(0)
	v_dual_add_f32 v5, v5, v6 :: v_dual_lshlrev_b32 v6, 16, v11
	s_delay_alu instid0(VALU_DEP_1) | instskip(NEXT) | instid1(VALU_DEP_1)
	v_add_f32_e32 v6, v5, v6
	v_and_b32_e32 v5, 0x7f800000, v6
	s_delay_alu instid0(VALU_DEP_1) | instskip(SKIP_1) | instid1(SALU_CYCLE_1)
	v_cmp_ne_u32_e32 vcc_lo, 0x7f800000, v5
                                        ; implicit-def: $vgpr5
	s_and_saveexec_b32 s2, vcc_lo
	s_xor_b32 s2, exec_lo, s2
; %bb.57:                               ;   in Loop: Header=BB171_19 Depth=1
	v_bfe_u32 v5, v6, 16, 1
	s_delay_alu instid0(VALU_DEP_1)
	v_add3_u32 v5, v6, v5, 0x7fff
                                        ; implicit-def: $vgpr6
; %bb.58:                               ;   in Loop: Header=BB171_19 Depth=1
	s_and_not1_saveexec_b32 s2, s2
; %bb.59:                               ;   in Loop: Header=BB171_19 Depth=1
	v_and_b32_e32 v5, 0xffff, v6
	v_or_b32_e32 v7, 0x10000, v6
	s_delay_alu instid0(VALU_DEP_2) | instskip(NEXT) | instid1(VALU_DEP_2)
	v_cmp_eq_u32_e32 vcc_lo, 0, v5
	v_cndmask_b32_e32 v5, v7, v6, vcc_lo
; %bb.60:                               ;   in Loop: Header=BB171_19 Depth=1
	s_or_b32 exec_lo, exec_lo, s2
	v_mov_b32_e32 v49, v47
	s_delay_alu instid0(VALU_DEP_1) | instskip(NEXT) | instid1(VALU_DEP_1)
	v_lshlrev_b64 v[6:7], 1, v[48:49]
	v_add_co_u32 v6, vcc_lo, s10, v6
	s_delay_alu instid0(VALU_DEP_2)
	v_add_co_ci_u32_e32 v7, vcc_lo, s11, v7, vcc_lo
	global_store_d16_hi_b16 v[6:7], v5, off
.LBB171_61:                             ;   in Loop: Header=BB171_19 Depth=1
	s_or_b32 exec_lo, exec_lo, s1
	v_add_nc_u32_e32 v45, s23, v45
	s_delay_alu instid0(VALU_DEP_1) | instskip(SKIP_1) | instid1(VALU_DEP_2)
	v_add_nc_u32_e32 v5, 4, v45
	v_cmp_gt_u32_e32 vcc_lo, s7, v45
	v_cmp_le_u32_e64 s1, s7, v5
	s_delay_alu instid0(VALU_DEP_1) | instskip(NEXT) | instid1(SALU_CYCLE_1)
	s_and_b32 s1, vcc_lo, s1
	s_and_saveexec_b32 s25, s1
	s_cbranch_execz .LBB171_18
; %bb.62:                               ;   in Loop: Header=BB171_19 Depth=1
	s_mov_b32 s26, exec_lo
	v_cmpx_ne_u32_e64 s24, v45
	s_cbranch_execz .LBB171_17
; %bb.63:                               ;   in Loop: Header=BB171_19 Depth=1
	v_subrev_nc_u32_e32 v5, s24, v45
	s_mov_b32 s27, 0
	s_mov_b64 s[16:17], 0
	s_delay_alu instid0(VALU_DEP_1)
	v_cmp_lt_u32_e32 vcc_lo, 1, v5
	v_cndmask_b32_e32 v5, 1, v5, vcc_lo
	.p2align	6
.LBB171_64:                             ;   Parent Loop BB171_19 Depth=1
                                        ; =>  This Inner Loop Header: Depth=2
	s_cmp_lg_u32 s16, 3
	s_cselect_b32 vcc_lo, -1, 0
	s_cmp_lg_u32 s16, 2
	v_cndmask_b32_e32 v4, 0, v4, vcc_lo
	s_cselect_b32 s1, -1, 0
	s_cmp_lg_u32 s16, 1
	v_cndmask_b32_e64 v3, 0, v3, s1
	s_cselect_b32 s2, -1, 0
	s_cmp_lg_u32 s16, 0
	v_cndmask_b32_e64 v2, 0, v2, s2
	s_cselect_b32 s3, -1, 0
	s_add_u32 s16, s16, 1
	v_cndmask_b32_e64 v1, 0, v1, s3
	v_cmp_eq_u32_e32 vcc_lo, s16, v5
	s_addc_u32 s17, s17, 0
	s_or_b32 s27, vcc_lo, s27
	s_delay_alu instid0(SALU_CYCLE_1)
	s_and_not1_b32 exec_lo, exec_lo, s27
	s_cbranch_execnz .LBB171_64
; %bb.65:                               ;   in Loop: Header=BB171_19 Depth=1
	s_or_b32 exec_lo, exec_lo, s27
	s_branch .LBB171_17
.LBB171_66:
	s_nop 0
	s_sendmsg sendmsg(MSG_DEALLOC_VGPRS)
	s_endpgm
	.section	.rodata,"a",@progbits
	.p2align	6, 0x0
	.amdhsa_kernel _Z12wvSplitK_hf_I14__hip_bfloat16Li32ELi4ELi16ELi8ELi2ELi1EEviiiiiiPKT_S3_S3_PS1_ii
		.amdhsa_group_segment_fixed_size 65536
		.amdhsa_private_segment_fixed_size 0
		.amdhsa_kernarg_size 64
		.amdhsa_user_sgpr_count 15
		.amdhsa_user_sgpr_dispatch_ptr 0
		.amdhsa_user_sgpr_queue_ptr 0
		.amdhsa_user_sgpr_kernarg_segment_ptr 1
		.amdhsa_user_sgpr_dispatch_id 0
		.amdhsa_user_sgpr_private_segment_size 0
		.amdhsa_wavefront_size32 1
		.amdhsa_uses_dynamic_stack 0
		.amdhsa_enable_private_segment 0
		.amdhsa_system_sgpr_workgroup_id_x 1
		.amdhsa_system_sgpr_workgroup_id_y 0
		.amdhsa_system_sgpr_workgroup_id_z 0
		.amdhsa_system_sgpr_workgroup_info 0
		.amdhsa_system_vgpr_workitem_id 1
		.amdhsa_next_free_vgpr 71
		.amdhsa_next_free_sgpr 28
		.amdhsa_reserve_vcc 1
		.amdhsa_float_round_mode_32 0
		.amdhsa_float_round_mode_16_64 0
		.amdhsa_float_denorm_mode_32 3
		.amdhsa_float_denorm_mode_16_64 3
		.amdhsa_dx10_clamp 1
		.amdhsa_ieee_mode 1
		.amdhsa_fp16_overflow 0
		.amdhsa_workgroup_processor_mode 1
		.amdhsa_memory_ordered 1
		.amdhsa_forward_progress 0
		.amdhsa_shared_vgpr_count 0
		.amdhsa_exception_fp_ieee_invalid_op 0
		.amdhsa_exception_fp_denorm_src 0
		.amdhsa_exception_fp_ieee_div_zero 0
		.amdhsa_exception_fp_ieee_overflow 0
		.amdhsa_exception_fp_ieee_underflow 0
		.amdhsa_exception_fp_ieee_inexact 0
		.amdhsa_exception_int_div_zero 0
	.end_amdhsa_kernel
	.section	.text._Z12wvSplitK_hf_I14__hip_bfloat16Li32ELi4ELi16ELi8ELi2ELi1EEviiiiiiPKT_S3_S3_PS1_ii,"axG",@progbits,_Z12wvSplitK_hf_I14__hip_bfloat16Li32ELi4ELi16ELi8ELi2ELi1EEviiiiiiPKT_S3_S3_PS1_ii,comdat
.Lfunc_end171:
	.size	_Z12wvSplitK_hf_I14__hip_bfloat16Li32ELi4ELi16ELi8ELi2ELi1EEviiiiiiPKT_S3_S3_PS1_ii, .Lfunc_end171-_Z12wvSplitK_hf_I14__hip_bfloat16Li32ELi4ELi16ELi8ELi2ELi1EEviiiiiiPKT_S3_S3_PS1_ii
                                        ; -- End function
	.section	.AMDGPU.csdata,"",@progbits
; Kernel info:
; codeLenInByte = 4388
; NumSgprs: 30
; NumVgprs: 71
; ScratchSize: 0
; MemoryBound: 0
; FloatMode: 240
; IeeeMode: 1
; LDSByteSize: 65536 bytes/workgroup (compile time only)
; SGPRBlocks: 3
; VGPRBlocks: 8
; NumSGPRsForWavesPerEU: 30
; NumVGPRsForWavesPerEU: 71
; Occupancy: 8
; WaveLimiterHint : 0
; COMPUTE_PGM_RSRC2:SCRATCH_EN: 0
; COMPUTE_PGM_RSRC2:USER_SGPR: 15
; COMPUTE_PGM_RSRC2:TRAP_HANDLER: 0
; COMPUTE_PGM_RSRC2:TGID_X_EN: 1
; COMPUTE_PGM_RSRC2:TGID_Y_EN: 0
; COMPUTE_PGM_RSRC2:TGID_Z_EN: 0
; COMPUTE_PGM_RSRC2:TIDIG_COMP_CNT: 1
	.section	.text._Z16wvSplitK_hf_big_I14__hip_bfloat16Li32ELi4ELi16ELi8ELi2ELi1EEviiiiiiPKT_S3_S3_PS1_ii,"axG",@progbits,_Z16wvSplitK_hf_big_I14__hip_bfloat16Li32ELi4ELi16ELi8ELi2ELi1EEviiiiiiPKT_S3_S3_PS1_ii,comdat
	.protected	_Z16wvSplitK_hf_big_I14__hip_bfloat16Li32ELi4ELi16ELi8ELi2ELi1EEviiiiiiPKT_S3_S3_PS1_ii ; -- Begin function _Z16wvSplitK_hf_big_I14__hip_bfloat16Li32ELi4ELi16ELi8ELi2ELi1EEviiiiiiPKT_S3_S3_PS1_ii
	.globl	_Z16wvSplitK_hf_big_I14__hip_bfloat16Li32ELi4ELi16ELi8ELi2ELi1EEviiiiiiPKT_S3_S3_PS1_ii
	.p2align	8
	.type	_Z16wvSplitK_hf_big_I14__hip_bfloat16Li32ELi4ELi16ELi8ELi2ELi1EEviiiiiiPKT_S3_S3_PS1_ii,@function
_Z16wvSplitK_hf_big_I14__hip_bfloat16Li32ELi4ELi16ELi8ELi2ELi1EEviiiiiiPKT_S3_S3_PS1_ii: ; @_Z16wvSplitK_hf_big_I14__hip_bfloat16Li32ELi4ELi16ELi8ELi2ELi1EEviiiiiiPKT_S3_S3_PS1_ii
; %bb.0:
	s_load_b64 s[12:13], s[0:1], 0x38
	v_bfe_u32 v5, v0, 10, 10
	s_mov_b32 s2, exec_lo
	s_waitcnt lgkmcnt(0)
	s_delay_alu instid0(VALU_DEP_1)
	v_cmpx_gt_u32_e64 s12, v5
	s_cbranch_execz .LBB172_64
; %bb.1:
	s_load_b128 s[16:19], s[0:1], 0x0
	s_mul_i32 s15, s15, s12
	s_mov_b32 s4, 1
	v_add_lshl_u32 v45, s15, v5, 2
	s_mov_b32 s5, s4
	s_mov_b32 s6, s4
	;; [unrolled: 1-line block ×3, first 2 shown]
	s_delay_alu instid0(VALU_DEP_1) | instskip(SKIP_2) | instid1(VALU_DEP_2)
	v_add_nc_u32_e32 v1, 4, v45
	s_waitcnt lgkmcnt(0)
	v_cmp_gt_u32_e32 vcc_lo, s19, v45
	v_cmp_le_u32_e64 s2, s19, v1
	v_dual_mov_b32 v1, s4 :: v_dual_mov_b32 v4, s7
	v_dual_mov_b32 v2, s5 :: v_dual_mov_b32 v3, s6
	s_delay_alu instid0(VALU_DEP_3) | instskip(NEXT) | instid1(SALU_CYCLE_1)
	s_and_b32 s2, vcc_lo, s2
	s_and_saveexec_b32 s8, s2
	s_cbranch_execz .LBB172_7
; %bb.2:
	v_dual_mov_b32 v1, s4 :: v_dual_mov_b32 v2, s5
	v_dual_mov_b32 v3, s6 :: v_dual_mov_b32 v4, s7
	s_add_i32 s9, s19, -4
	s_mov_b32 s10, exec_lo
	v_cmpx_ne_u32_e64 s9, v45
	s_cbranch_execz .LBB172_6
; %bb.3:
	v_subrev_nc_u32_e32 v1, s9, v45
	s_mov_b32 s11, 0
	s_mov_b64 s[2:3], 0
	s_mov_b32 s5, s4
	s_mov_b32 s6, s4
	v_cmp_lt_u32_e32 vcc_lo, 1, v1
	s_mov_b32 s7, s4
	v_cndmask_b32_e32 v6, 1, v1, vcc_lo
	.p2align	6
.LBB172_4:                              ; =>This Inner Loop Header: Depth=1
	s_cmp_lg_u32 s2, 3
	s_cselect_b32 s7, s7, 0
	s_cmp_lg_u32 s2, 2
	s_cselect_b32 s6, s6, 0
	;; [unrolled: 2-line block ×4, first 2 shown]
	s_add_u32 s2, s2, 1
	v_dual_mov_b32 v1, s4 :: v_dual_mov_b32 v2, s5
	v_cmp_eq_u32_e32 vcc_lo, s2, v6
	v_dual_mov_b32 v3, s6 :: v_dual_mov_b32 v4, s7
	s_addc_u32 s3, s3, 0
	s_or_b32 s11, vcc_lo, s11
	s_delay_alu instid0(SALU_CYCLE_1)
	s_and_not1_b32 exec_lo, exec_lo, s11
	s_cbranch_execnz .LBB172_4
; %bb.5:
	s_or_b32 exec_lo, exec_lo, s11
	v_mov_b32_e32 v45, s9
.LBB172_6:
	s_or_b32 exec_lo, exec_lo, s10
.LBB172_7:
	s_delay_alu instid0(SALU_CYCLE_1)
	s_or_b32 exec_lo, exec_lo, s8
	s_lshl_b32 s2, s12, 2
	s_abs_i32 s6, s19
	s_abs_i32 s3, s2
	s_mov_b32 s15, 0
	v_cvt_f32_u32_e32 v6, s3
	s_sub_i32 s5, 0, s3
	s_delay_alu instid0(VALU_DEP_1) | instskip(SKIP_2) | instid1(VALU_DEP_1)
	v_rcp_iflag_f32_e32 v6, v6
	s_waitcnt_depctr 0xfff
	v_mul_f32_e32 v6, 0x4f7ffffe, v6
	v_cvt_u32_f32_e32 v6, v6
	s_delay_alu instid0(VALU_DEP_1) | instskip(NEXT) | instid1(VALU_DEP_1)
	v_readfirstlane_b32 s4, v6
	s_mul_i32 s5, s5, s4
	s_delay_alu instid0(SALU_CYCLE_1) | instskip(NEXT) | instid1(SALU_CYCLE_1)
	s_mul_hi_u32 s5, s4, s5
	s_add_i32 s4, s4, s5
	s_ashr_i32 s5, s19, 31
	s_mul_hi_u32 s4, s6, s4
	s_delay_alu instid0(SALU_CYCLE_1) | instskip(NEXT) | instid1(SALU_CYCLE_1)
	s_mul_i32 s4, s4, s3
	s_sub_i32 s4, s6, s4
	s_delay_alu instid0(SALU_CYCLE_1) | instskip(SKIP_2) | instid1(SALU_CYCLE_1)
	s_sub_i32 s6, s4, s3
	s_cmp_ge_u32 s4, s3
	s_cselect_b32 s4, s6, s4
	s_sub_i32 s6, s4, s3
	s_cmp_ge_u32 s4, s3
	s_cselect_b32 s3, s6, s4
	s_add_i32 s2, s2, s19
	s_xor_b32 s3, s3, s5
	s_delay_alu instid0(SALU_CYCLE_1) | instskip(NEXT) | instid1(SALU_CYCLE_1)
	s_sub_i32 s3, s3, s5
	s_sub_i32 s2, s2, s3
	s_cmp_eq_u32 s3, 0
	s_cselect_b32 s14, s19, s2
	s_delay_alu instid0(SALU_CYCLE_1)
	v_cmp_gt_u32_e32 vcc_lo, s14, v45
	s_and_b32 exec_lo, exec_lo, vcc_lo
	s_cbranch_execz .LBB172_64
; %bb.8:
	s_clause 0x1
	s_load_b32 s20, s[0:1], 0x10
	s_load_b256 s[4:11], s[0:1], 0x18
	s_min_u32 s21, s18, 0x8000
	v_and_b32_e32 v8, 0x3ff, v0
	s_cmp_lg_u32 s16, 0
	s_mul_i32 s0, s13, s12
	s_cselect_b32 s22, -1, 0
	s_cmp_lg_u32 s18, 0
	v_dual_mov_b32 v48, 0 :: v_dual_lshlrev_b32 v57, 3, v8
	s_cselect_b32 s23, -1, 0
	s_lshl_b32 s24, s12, 8
	s_add_i32 s25, s16, -8
	s_add_i32 s26, s19, -1
	s_lshl_b32 s27, s0, 2
	v_mbcnt_lo_u32_b32 v0, -1, 0
	v_lshl_add_u32 v60, v5, 8, v57
	v_lshlrev_b32_e32 v9, 4, v8
	s_waitcnt lgkmcnt(0)
	v_cvt_f32_u32_e32 v6, s20
	s_cmp_lg_u64 s[8:9], 0
	v_xor_b32_e32 v58, 16, v0
	s_cselect_b32 s28, -1, 0
	s_sub_i32 s0, 0, s20
	v_rcp_iflag_f32_e32 v6, v6
	s_add_i32 s29, s19, -4
	s_add_u32 s30, s10, 2
	s_addc_u32 s31, s11, 0
	s_lshl_b32 s33, s12, 9
	v_lshl_add_u32 v59, v5, 9, v9
	s_waitcnt_depctr 0xfff
	v_mul_f32_e32 v6, 0x4f7ffffe, v6
	s_delay_alu instid0(VALU_DEP_1) | instskip(NEXT) | instid1(VALU_DEP_1)
	v_cvt_u32_f32_e32 v6, v6
	v_mul_lo_u32 v7, s0, v6
	v_cmp_eq_u32_e64 s0, 31, v8
	s_delay_alu instid0(VALU_DEP_2) | instskip(NEXT) | instid1(VALU_DEP_1)
	v_mul_hi_u32 v7, v6, v7
	v_add_nc_u32_e32 v61, v6, v7
	s_branch .LBB172_12
.LBB172_9:                              ;   in Loop: Header=BB172_12 Depth=1
	s_or_b32 exec_lo, exec_lo, s36
	v_mov_b32_e32 v45, s29
.LBB172_10:                             ;   in Loop: Header=BB172_12 Depth=1
	s_or_b32 exec_lo, exec_lo, s35
.LBB172_11:                             ;   in Loop: Header=BB172_12 Depth=1
	s_delay_alu instid0(SALU_CYCLE_1) | instskip(NEXT) | instid1(VALU_DEP_1)
	s_or_b32 exec_lo, exec_lo, s34
	v_cmp_le_u32_e32 vcc_lo, s14, v45
	s_or_b32 s15, vcc_lo, s15
	s_delay_alu instid0(SALU_CYCLE_1)
	s_and_not1_b32 exec_lo, exec_lo, s15
	s_cbranch_execz .LBB172_64
.LBB172_12:                             ; =>This Loop Header: Depth=1
                                        ;     Child Loop BB172_17 Depth 2
                                        ;       Child Loop BB172_22 Depth 3
                                        ;     Child Loop BB172_62 Depth 2
	v_mov_b32_e32 v46, v48
	v_mov_b32_e32 v62, v48
	;; [unrolled: 1-line block ×4, first 2 shown]
	s_and_not1_b32 vcc_lo, exec_lo, s22
	s_mov_b32 s3, 0
	s_cbranch_vccnz .LBB172_29
; %bb.13:                               ;   in Loop: Header=BB172_12 Depth=1
	v_dual_mov_b32 v63, 0 :: v_dual_add_nc_u32 v6, 2, v45
	v_add_nc_u32_e32 v5, 1, v45
	s_waitcnt lgkmcnt(0)
	v_add_nc_u32_e32 v7, 3, v45
	v_min_u32_e32 v8, s26, v45
	v_min_u32_e32 v6, s26, v6
	v_mov_b32_e32 v10, v48
	v_cmp_gt_u32_e64 s1, s19, v45
	v_mov_b32_e32 v64, 0
	v_mul_lo_u32 v47, v8, s17
	v_mov_b32_e32 v8, v48
	v_min_u32_e32 v9, s26, v7
	v_mul_lo_u32 v7, v6, s17
	v_mov_b32_e32 v6, v48
	v_min_u32_e32 v5, s26, v5
	v_mov_b32_e32 v62, 0
	v_mul_lo_u32 v9, v9, s17
	v_lshlrev_b64 v[49:50], 1, v[47:48]
	v_mov_b32_e32 v46, 0
	v_mul_lo_u32 v5, v5, s17
	v_lshlrev_b64 v[53:54], 1, v[7:8]
	s_mov_b32 s12, 0
	v_lshlrev_b64 v[55:56], 1, v[9:10]
	s_delay_alu instid0(VALU_DEP_3)
	v_lshlrev_b64 v[51:52], 1, v[5:6]
	s_branch .LBB172_17
.LBB172_14:                             ;   in Loop: Header=BB172_17 Depth=2
	s_or_b32 exec_lo, exec_lo, s34
.LBB172_15:                             ;   in Loop: Header=BB172_17 Depth=2
	s_delay_alu instid0(SALU_CYCLE_1)
	s_or_b32 exec_lo, exec_lo, s13
	s_waitcnt lgkmcnt(0)
	v_and_b32_e32 v47, 0xffff0000, v41
	v_and_b32_e32 v66, 0xffff0000, v42
	s_waitcnt vmcnt(7)
	v_and_b32_e32 v67, 0xffff0000, v38
	v_lshlrev_b32_e32 v41, 16, v41
	v_lshlrev_b32_e32 v42, 16, v42
	s_delay_alu instid0(VALU_DEP_3) | instskip(NEXT) | instid1(VALU_DEP_1)
	v_dual_mul_f32 v67, v66, v67 :: v_dual_lshlrev_b32 v38, 16, v38
	v_dual_fmac_f32 v67, v42, v38 :: v_dual_and_b32 v68, 0xffff0000, v43
	s_waitcnt vmcnt(6)
	v_and_b32_e32 v38, 0xffff0000, v33
	v_and_b32_e32 v65, 0xffff0000, v37
	v_lshlrev_b32_e32 v33, 16, v33
	s_delay_alu instid0(VALU_DEP_3) | instskip(NEXT) | instid1(VALU_DEP_1)
	v_dual_mul_f32 v38, v47, v38 :: v_dual_lshlrev_b32 v37, 16, v37
	v_dual_fmac_f32 v38, v41, v33 :: v_dual_lshlrev_b32 v43, 16, v43
	s_delay_alu instid0(VALU_DEP_1) | instskip(SKIP_1) | instid1(VALU_DEP_1)
	v_add_f32_e32 v38, v63, v38
	v_mul_f32_e32 v65, v47, v65
	v_fmac_f32_e32 v65, v41, v37
	s_delay_alu instid0(VALU_DEP_1) | instskip(SKIP_1) | instid1(VALU_DEP_1)
	v_dual_add_f32 v64, v64, v65 :: v_dual_lshlrev_b32 v33, 16, v34
	v_and_b32_e32 v65, 0xffff0000, v34
	v_dual_mul_f32 v34, v66, v65 :: v_dual_and_b32 v37, 0xffff0000, v39
	v_lshlrev_b32_e32 v39, 16, v39
	s_delay_alu instid0(VALU_DEP_2) | instskip(NEXT) | instid1(VALU_DEP_3)
	v_mul_f32_e32 v37, v68, v37
	v_dual_fmac_f32 v34, v42, v33 :: v_dual_lshlrev_b32 v33, 16, v35
	s_delay_alu instid0(VALU_DEP_2) | instskip(SKIP_2) | instid1(VALU_DEP_2)
	v_fmac_f32_e32 v37, v43, v39
	v_dual_add_f32 v39, v64, v67 :: v_dual_and_b32 v64, 0xffff0000, v44
	v_lshlrev_b32_e32 v44, 16, v44
	v_dual_add_f32 v34, v38, v34 :: v_dual_add_f32 v37, v39, v37
	s_waitcnt vmcnt(5)
	v_and_b32_e32 v39, 0xffff0000, v29
	s_delay_alu instid0(VALU_DEP_1) | instskip(SKIP_1) | instid1(VALU_DEP_2)
	v_dual_mul_f32 v38, v47, v39 :: v_dual_lshlrev_b32 v29, 16, v29
	v_and_b32_e32 v39, 0xffff0000, v30
	v_dual_fmac_f32 v38, v41, v29 :: v_dual_and_b32 v67, 0xffff0000, v40
	v_and_b32_e32 v65, 0xffff0000, v35
	s_delay_alu instid0(VALU_DEP_3) | instskip(NEXT) | instid1(VALU_DEP_3)
	v_dual_mul_f32 v30, v66, v39 :: v_dual_lshlrev_b32 v29, 16, v30
	v_dual_mul_f32 v67, v64, v67 :: v_dual_lshlrev_b32 v40, 16, v40
	s_delay_alu instid0(VALU_DEP_3) | instskip(NEXT) | instid1(VALU_DEP_2)
	v_mul_f32_e32 v35, v68, v65
	v_dual_fmac_f32 v30, v42, v29 :: v_dual_fmac_f32 v67, v44, v40
	s_delay_alu instid0(VALU_DEP_2) | instskip(SKIP_1) | instid1(VALU_DEP_1)
	v_fmac_f32_e32 v35, v43, v33
	v_and_b32_e32 v33, 0xffff0000, v36
	v_dual_mul_f32 v33, v64, v33 :: v_dual_lshlrev_b32 v36, 16, v36
	s_delay_alu instid0(VALU_DEP_1) | instskip(NEXT) | instid1(VALU_DEP_1)
	v_dual_fmac_f32 v33, v44, v36 :: v_dual_add_f32 v36, v62, v38
	v_add_f32_e32 v30, v36, v30
	v_and_b32_e32 v36, 0xffff0000, v32
	v_add_f32_e32 v34, v34, v35
	v_lshlrev_b32_e32 v32, 16, v32
	s_delay_alu instid0(VALU_DEP_2) | instskip(SKIP_2) | instid1(VALU_DEP_2)
	v_dual_mul_f32 v36, v64, v36 :: v_dual_add_f32 v29, v34, v33
	s_waitcnt vmcnt(4)
	v_and_b32_e32 v33, 0xffff0000, v25
	v_dual_fmac_f32 v36, v44, v32 :: v_dual_lshlrev_b32 v25, 16, v25
	v_add_f32_e32 v35, v37, v67
	s_delay_alu instid0(VALU_DEP_3) | instskip(NEXT) | instid1(VALU_DEP_1)
	v_mul_f32_e32 v33, v47, v33
	v_fmac_f32_e32 v33, v41, v25
	s_delay_alu instid0(VALU_DEP_1) | instskip(SKIP_4) | instid1(VALU_DEP_3)
	v_dual_add_f32 v32, v46, v33 :: v_dual_lshlrev_b32 v25, 16, v26
	v_and_b32_e32 v37, 0xffff0000, v31
	v_lshlrev_b32_e32 v31, 16, v31
	s_waitcnt vmcnt(3)
	v_and_b32_e32 v33, 0xffff0000, v17
	v_mul_f32_e32 v34, v68, v37
	s_delay_alu instid0(VALU_DEP_1) | instskip(NEXT) | instid1(VALU_DEP_1)
	v_dual_fmac_f32 v34, v43, v31 :: v_dual_and_b32 v31, 0xffff0000, v26
	v_add_f32_e32 v30, v30, v34
	s_delay_alu instid0(VALU_DEP_2)
	v_mul_f32_e32 v26, v66, v31
	v_and_b32_e32 v31, 0xffff0000, v27
	v_and_b32_e32 v34, 0xffff0000, v18
	v_lshlrev_b32_e32 v18, 16, v18
	v_add_f32_e32 v30, v30, v36
	v_dual_fmac_f32 v26, v42, v25 :: v_dual_lshlrev_b32 v25, 16, v27
	v_mul_f32_e32 v27, v68, v31
	v_and_b32_e32 v31, 0xffff0000, v21
	s_delay_alu instid0(VALU_DEP_3) | instskip(NEXT) | instid1(VALU_DEP_3)
	v_dual_add_f32 v26, v32, v26 :: v_dual_lshlrev_b32 v21, 16, v21
	v_dual_fmac_f32 v27, v43, v25 :: v_dual_and_b32 v32, 0xffff0000, v28
	s_delay_alu instid0(VALU_DEP_3) | instskip(SKIP_3) | instid1(VALU_DEP_2)
	v_dual_mul_f32 v25, v31, v33 :: v_dual_and_b32 v36, 0xffff0000, v19
	v_and_b32_e32 v33, 0xffff0000, v22
	v_lshlrev_b32_e32 v17, 16, v17
	v_lshlrev_b32_e32 v28, 16, v28
	v_dual_mul_f32 v32, v64, v32 :: v_dual_fmac_f32 v25, v21, v17
	v_lshlrev_b32_e32 v17, 16, v22
	v_mul_f32_e32 v22, v33, v34
	v_and_b32_e32 v34, 0xffff0000, v23
	v_lshlrev_b32_e32 v19, 16, v19
	s_waitcnt vmcnt(2)
	v_dual_add_f32 v26, v26, v27 :: v_dual_and_b32 v27, 0xffff0000, v13
	v_fmac_f32_e32 v22, v17, v18
	v_dual_add_f32 v25, v35, v25 :: v_dual_lshlrev_b32 v18, 16, v23
	v_mul_f32_e32 v23, v34, v36
	v_dual_fmac_f32 v32, v44, v28 :: v_dual_lshlrev_b32 v13, 16, v13
	s_delay_alu instid0(VALU_DEP_2) | instskip(NEXT) | instid1(VALU_DEP_2)
	v_dual_add_f32 v22, v25, v22 :: v_dual_fmac_f32 v23, v18, v19
	v_dual_add_f32 v25, v26, v32 :: v_dual_and_b32 v26, 0xffff0000, v14
	s_delay_alu instid0(VALU_DEP_2) | instskip(SKIP_2) | instid1(VALU_DEP_2)
	v_add_f32_e32 v22, v22, v23
	v_mul_f32_e32 v19, v31, v27
	v_and_b32_e32 v27, 0xffff0000, v20
	v_dual_fmac_f32 v19, v21, v13 :: v_dual_lshlrev_b32 v20, 16, v20
	v_lshlrev_b32_e32 v13, 16, v14
	v_mul_f32_e32 v14, v33, v26
	v_and_b32_e32 v26, 0xffff0000, v15
	s_delay_alu instid0(VALU_DEP_4) | instskip(NEXT) | instid1(VALU_DEP_3)
	v_add_f32_e32 v19, v29, v19
	v_dual_fmac_f32 v14, v17, v13 :: v_dual_lshlrev_b32 v13, 16, v15
	s_waitcnt vmcnt(1)
	s_delay_alu instid0(VALU_DEP_3) | instskip(NEXT) | instid1(VALU_DEP_2)
	v_dual_mul_f32 v15, v34, v26 :: v_dual_and_b32 v26, 0xffff0000, v9
	v_dual_add_f32 v14, v19, v14 :: v_dual_lshlrev_b32 v9, 16, v9
	v_and_b32_e32 v19, 0xffff0000, v10
	s_delay_alu instid0(VALU_DEP_3) | instskip(NEXT) | instid1(VALU_DEP_1)
	v_fmac_f32_e32 v15, v18, v13
	v_dual_mul_f32 v13, v31, v26 :: v_dual_add_f32 v14, v14, v15
	s_delay_alu instid0(VALU_DEP_1) | instskip(NEXT) | instid1(VALU_DEP_4)
	v_fmac_f32_e32 v13, v21, v9
	v_dual_mul_f32 v10, v33, v19 :: v_dual_lshlrev_b32 v9, 16, v10
	s_waitcnt vmcnt(0)
	v_and_b32_e32 v19, 0xffff0000, v5
	v_lshlrev_b32_e32 v5, 16, v5
	v_add_f32_e32 v13, v30, v13
	v_and_b32_e32 v15, 0xffff0000, v16
	s_delay_alu instid0(VALU_DEP_4) | instskip(NEXT) | instid1(VALU_DEP_1)
	v_dual_mul_f32 v19, v31, v19 :: v_dual_lshlrev_b32 v16, 16, v16
	v_fmac_f32_e32 v19, v21, v5
	v_lshlrev_b32_e32 v5, 16, v6
	v_and_b32_e32 v23, 0xffff0000, v24
	s_delay_alu instid0(VALU_DEP_3) | instskip(NEXT) | instid1(VALU_DEP_2)
	v_dual_add_f32 v19, v25, v19 :: v_dual_lshlrev_b32 v24, 16, v24
	v_mul_f32_e32 v27, v23, v27
	s_delay_alu instid0(VALU_DEP_1) | instskip(NEXT) | instid1(VALU_DEP_1)
	v_dual_fmac_f32 v27, v24, v20 :: v_dual_and_b32 v20, 0xffff0000, v6
	v_add_f32_e32 v64, v22, v27
	s_delay_alu instid0(VALU_DEP_2) | instskip(SKIP_1) | instid1(VALU_DEP_2)
	v_mul_f32_e32 v6, v33, v20
	v_dual_fmac_f32 v10, v17, v9 :: v_dual_and_b32 v9, 0xffff0000, v11
	v_dual_fmac_f32 v6, v17, v5 :: v_dual_lshlrev_b32 v11, 16, v11
	s_delay_alu instid0(VALU_DEP_2) | instskip(SKIP_3) | instid1(VALU_DEP_4)
	v_dual_add_f32 v10, v13, v10 :: v_dual_mul_f32 v9, v34, v9
	v_and_b32_e32 v13, 0xffff0000, v12
	v_lshlrev_b32_e32 v5, 16, v7
	v_mul_f32_e32 v15, v23, v15
	v_dual_add_f32 v6, v19, v6 :: v_dual_fmac_f32 v9, v18, v11
	v_and_b32_e32 v11, 0xffff0000, v7
	v_mul_f32_e32 v13, v23, v13
	s_delay_alu instid0(VALU_DEP_4) | instskip(NEXT) | instid1(VALU_DEP_4)
	v_fmac_f32_e32 v15, v24, v16
	v_add_f32_e32 v9, v10, v9
	s_delay_alu instid0(VALU_DEP_4) | instskip(SKIP_1) | instid1(VALU_DEP_4)
	v_mul_f32_e32 v7, v34, v11
	v_lshlrev_b32_e32 v11, 16, v12
	v_dual_add_f32 v63, v14, v15 :: v_dual_and_b32 v12, 0xffff0000, v8
	s_delay_alu instid0(VALU_DEP_3) | instskip(SKIP_1) | instid1(VALU_DEP_3)
	v_fmac_f32_e32 v7, v18, v5
	v_lshlrev_b32_e32 v5, 16, v8
	v_dual_mul_f32 v8, v23, v12 :: v_dual_fmac_f32 v13, v24, v11
	s_delay_alu instid0(VALU_DEP_3) | instskip(NEXT) | instid1(VALU_DEP_2)
	v_add_f32_e32 v6, v6, v7
	v_fmac_f32_e32 v8, v24, v5
	s_delay_alu instid0(VALU_DEP_3) | instskip(NEXT) | instid1(VALU_DEP_2)
	v_add_f32_e32 v62, v9, v13
	v_add_f32_e32 v46, v6, v8
.LBB172_16:                             ;   in Loop: Header=BB172_17 Depth=2
	s_or_b32 exec_lo, exec_lo, s2
	s_addk_i32 s12, 0x200
	s_delay_alu instid0(SALU_CYCLE_1)
	s_cmp_ge_u32 s12, s16
	s_cbranch_scc1 .LBB172_29
.LBB172_17:                             ;   Parent Loop BB172_12 Depth=1
                                        ; =>  This Loop Header: Depth=2
                                        ;       Child Loop BB172_22 Depth 3
	s_cmp_eq_u32 s12, 0
	s_cselect_b32 s13, -1, 0
	s_add_i32 s2, s3, s21
	s_delay_alu instid0(SALU_CYCLE_1) | instskip(SKIP_1) | instid1(SALU_CYCLE_1)
	s_cmp_eq_u32 s12, s2
	s_cselect_b32 s34, -1, 0
	s_or_b32 s34, s13, s34
	s_delay_alu instid0(SALU_CYCLE_1)
	s_and_not1_b32 vcc_lo, exec_lo, s34
	s_cbranch_vccz .LBB172_19
; %bb.18:                               ;   in Loop: Header=BB172_17 Depth=2
	s_and_saveexec_b32 s2, s1
	s_cbranch_execz .LBB172_16
	s_branch .LBB172_26
.LBB172_19:                             ;   in Loop: Header=BB172_17 Depth=2
	s_and_b32 s13, s13, exec_lo
	s_cselect_b32 s3, s3, s2
	s_and_not1_b32 vcc_lo, exec_lo, s23
	s_waitcnt vmcnt(0)
	s_waitcnt_vscnt null, 0x0
	s_barrier
	buffer_gl0_inv
	s_cbranch_vccnz .LBB172_25
; %bb.20:                               ;   in Loop: Header=BB172_17 Depth=2
	v_dual_mov_b32 v6, v59 :: v_dual_add_nc_u32 v5, s3, v60
	s_mov_b32 s13, 0
	s_mov_b32 s34, 0
                                        ; implicit-def: $sgpr35
	s_set_inst_prefetch_distance 0x1
	s_branch .LBB172_22
	.p2align	6
.LBB172_21:                             ;   in Loop: Header=BB172_22 Depth=3
	s_or_b32 exec_lo, exec_lo, s2
	s_delay_alu instid0(SALU_CYCLE_1) | instskip(NEXT) | instid1(SALU_CYCLE_1)
	s_and_b32 s2, exec_lo, s35
	s_or_b32 s13, s2, s13
	s_delay_alu instid0(SALU_CYCLE_1)
	s_and_not1_b32 exec_lo, exec_lo, s13
	s_cbranch_execz .LBB172_24
.LBB172_22:                             ;   Parent Loop BB172_12 Depth=1
                                        ;     Parent Loop BB172_17 Depth=2
                                        ; =>    This Inner Loop Header: Depth=3
	v_add_nc_u32_e32 v47, s34, v5
	v_add_nc_u32_e32 v7, s34, v60
	s_or_b32 s35, s35, exec_lo
	s_delay_alu instid0(VALU_DEP_2) | instskip(NEXT) | instid1(VALU_DEP_2)
	v_cmp_gt_u32_e32 vcc_lo, s18, v47
	v_cmp_gt_u32_e64 s2, s21, v7
	s_delay_alu instid0(VALU_DEP_1) | instskip(NEXT) | instid1(SALU_CYCLE_1)
	s_and_b32 s36, s2, vcc_lo
	s_and_saveexec_b32 s2, s36
	s_cbranch_execz .LBB172_21
; %bb.23:                               ;   in Loop: Header=BB172_22 Depth=3
	v_lshlrev_b64 v[7:8], 1, v[47:48]
	s_add_i32 s34, s34, s24
	s_delay_alu instid0(SALU_CYCLE_1) | instskip(SKIP_1) | instid1(VALU_DEP_1)
	s_cmp_ge_u32 s34, s21
	s_cselect_b32 s36, -1, 0
	v_add_co_u32 v7, vcc_lo, s6, v7
	s_delay_alu instid0(VALU_DEP_2) | instskip(SKIP_2) | instid1(SALU_CYCLE_1)
	v_add_co_ci_u32_e32 v8, vcc_lo, s7, v8, vcc_lo
	s_and_not1_b32 s35, s35, exec_lo
	s_and_b32 s36, s36, exec_lo
	s_or_b32 s35, s35, s36
	global_load_b128 v[7:10], v[7:8], off
	s_waitcnt vmcnt(0)
	ds_store_b128 v6, v[7:10]
	v_add_nc_u32_e32 v6, s33, v6
	s_branch .LBB172_21
.LBB172_24:                             ;   in Loop: Header=BB172_17 Depth=2
	s_set_inst_prefetch_distance 0x2
	s_or_b32 exec_lo, exec_lo, s13
.LBB172_25:                             ;   in Loop: Header=BB172_17 Depth=2
	s_waitcnt lgkmcnt(0)
	s_barrier
	buffer_gl0_inv
	s_and_saveexec_b32 s2, s1
	s_cbranch_execz .LBB172_16
.LBB172_26:                             ;   in Loop: Header=BB172_17 Depth=2
	v_dual_mov_b32 v44, 0 :: v_dual_add_nc_u32 v65, s12, v57
	v_dual_mov_b32 v43, 0 :: v_dual_mov_b32 v42, 0
	v_mov_b32_e32 v41, 0
	s_delay_alu instid0(VALU_DEP_3) | instskip(SKIP_2) | instid1(VALU_DEP_2)
	v_min_u32_e32 v47, s25, v65
	v_add_nc_u32_e32 v66, 0x100, v65
	s_mov_b32 s13, exec_lo
	v_lshlrev_b64 v[5:6], 1, v[47:48]
	s_delay_alu instid0(VALU_DEP_2) | instskip(NEXT) | instid1(VALU_DEP_2)
	v_min_u32_e32 v47, s25, v66
	v_add_co_u32 v13, vcc_lo, s4, v5
	s_delay_alu instid0(VALU_DEP_3) | instskip(NEXT) | instid1(VALU_DEP_3)
	v_add_co_ci_u32_e32 v14, vcc_lo, s5, v6, vcc_lo
	v_lshlrev_b64 v[5:6], 1, v[47:48]
	s_delay_alu instid0(VALU_DEP_3) | instskip(NEXT) | instid1(VALU_DEP_3)
	v_add_co_u32 v7, vcc_lo, v13, v49
	v_add_co_ci_u32_e32 v8, vcc_lo, v14, v50, vcc_lo
	v_add_co_u32 v9, vcc_lo, v13, v51
	v_add_co_ci_u32_e32 v10, vcc_lo, v14, v52, vcc_lo
	v_add_co_u32 v11, vcc_lo, v13, v53
	s_waitcnt vmcnt(0)
	v_add_co_ci_u32_e32 v12, vcc_lo, v14, v54, vcc_lo
	v_add_co_u32 v15, vcc_lo, s4, v5
	v_add_co_ci_u32_e32 v16, vcc_lo, s5, v6, vcc_lo
	v_add_co_u32 v5, vcc_lo, v13, v55
	v_add_co_ci_u32_e32 v6, vcc_lo, v14, v56, vcc_lo
	s_clause 0x1
	global_load_b128 v[37:40], v[7:8], off slc dlc
	global_load_b128 v[33:36], v[9:10], off slc dlc
	v_add_co_u32 v7, vcc_lo, v15, v49
	v_add_co_ci_u32_e32 v8, vcc_lo, v16, v50, vcc_lo
	v_add_co_u32 v9, vcc_lo, v15, v51
	v_add_co_ci_u32_e32 v10, vcc_lo, v16, v52, vcc_lo
	;; [unrolled: 2-line block ×4, first 2 shown]
	s_clause 0x5
	global_load_b128 v[29:32], v[11:12], off slc dlc
	global_load_b128 v[25:28], v[5:6], off slc dlc
	;; [unrolled: 1-line block ×6, first 2 shown]
	v_dual_mov_b32 v23, 0 :: v_dual_mov_b32 v24, 0
	v_dual_mov_b32 v22, 0 :: v_dual_mov_b32 v21, 0
	v_cmpx_gt_u32_e64 s16, v65
	s_cbranch_execz .LBB172_15
; %bb.27:                               ;   in Loop: Header=BB172_17 Depth=2
	v_subrev_nc_u32_e32 v21, s3, v65
	v_mov_b32_e32 v23, 0
	s_mov_b32 s34, exec_lo
	v_mov_b32_e32 v22, 0
	s_delay_alu instid0(VALU_DEP_3)
	v_dual_mov_b32 v24, 0 :: v_dual_lshlrev_b32 v47, 1, v21
	v_mov_b32_e32 v21, 0
	ds_load_b128 v[41:44], v47
	v_cmpx_gt_u32_e64 s16, v66
	s_cbranch_execz .LBB172_14
; %bb.28:                               ;   in Loop: Header=BB172_17 Depth=2
	ds_load_b128 v[21:24], v47 offset:512
	s_branch .LBB172_14
.LBB172_29:                             ;   in Loop: Header=BB172_12 Depth=1
	s_mov_b32 s1, exec_lo
	v_cmpx_le_u32_e64 s19, v45
	s_xor_b32 s1, exec_lo, s1
; %bb.30:                               ;   in Loop: Header=BB172_12 Depth=1
	v_add_nc_u32_e32 v45, s27, v45
                                        ; implicit-def: $vgpr64
                                        ; implicit-def: $vgpr63
                                        ; implicit-def: $vgpr62
                                        ; implicit-def: $vgpr46
; %bb.31:                               ;   in Loop: Header=BB172_12 Depth=1
	s_and_not1_saveexec_b32 s34, s1
	s_cbranch_execz .LBB172_11
; %bb.32:                               ;   in Loop: Header=BB172_12 Depth=1
	v_cvt_i32_f32_e32 v5, v64
	v_cvt_i32_f32_e32 v6, v63
	;; [unrolled: 1-line block ×3, first 2 shown]
	s_waitcnt lgkmcnt(0)
	v_cvt_i32_f32_e32 v7, v62
	v_cmp_gt_i32_e32 vcc_lo, 32, v58
	v_cvt_f32_i32_dpp v5, v5 row_shr:8 row_mask:0xf bank_mask:0xf bound_ctrl:1
	v_cvt_f32_i32_dpp v6, v6 row_shr:8 row_mask:0xf bank_mask:0xf bound_ctrl:1
	;; [unrolled: 1-line block ×4, first 2 shown]
	s_delay_alu instid0(VALU_DEP_3) | instskip(NEXT) | instid1(VALU_DEP_1)
	v_dual_add_f32 v5, v64, v5 :: v_dual_add_f32 v6, v63, v6
	v_cvt_i32_f32_e32 v9, v5
	s_delay_alu instid0(VALU_DEP_2) | instskip(NEXT) | instid1(VALU_DEP_2)
	v_cvt_i32_f32_e32 v10, v6
	v_cvt_f32_i32_dpp v9, v9 row_shr:4 row_mask:0xf bank_mask:0xf bound_ctrl:1
	v_add_f32_e32 v8, v46, v8
	s_delay_alu instid0(VALU_DEP_3) | instskip(NEXT) | instid1(VALU_DEP_3)
	v_cvt_f32_i32_dpp v10, v10 row_shr:4 row_mask:0xf bank_mask:0xf bound_ctrl:1
	v_add_f32_e32 v5, v5, v9
	s_waitcnt vmcnt(0)
	s_delay_alu instid0(VALU_DEP_3) | instskip(NEXT) | instid1(VALU_DEP_2)
	v_cvt_i32_f32_e32 v12, v8
	v_cvt_i32_f32_e32 v9, v5
	s_delay_alu instid0(VALU_DEP_2) | instskip(SKIP_1) | instid1(VALU_DEP_3)
	v_cvt_f32_i32_dpp v12, v12 row_shr:4 row_mask:0xf bank_mask:0xf bound_ctrl:1
	v_add_f32_e32 v7, v62, v7
	v_cvt_f32_i32_dpp v9, v9 row_shr:2 row_mask:0xf bank_mask:0xf bound_ctrl:1
	s_delay_alu instid0(VALU_DEP_3) | instskip(NEXT) | instid1(VALU_DEP_3)
	v_add_f32_e32 v8, v8, v12
	v_cvt_i32_f32_e32 v11, v7
	s_delay_alu instid0(VALU_DEP_2) | instskip(NEXT) | instid1(VALU_DEP_2)
	v_cvt_i32_f32_e32 v12, v8
	v_cvt_f32_i32_dpp v11, v11 row_shr:4 row_mask:0xf bank_mask:0xf bound_ctrl:1
	v_add_f32_e32 v6, v6, v10
	s_delay_alu instid0(VALU_DEP_3) | instskip(NEXT) | instid1(VALU_DEP_3)
	v_cvt_f32_i32_dpp v12, v12 row_shr:2 row_mask:0xf bank_mask:0xf bound_ctrl:1
	v_add_f32_e32 v7, v7, v11
	s_delay_alu instid0(VALU_DEP_3) | instskip(NEXT) | instid1(VALU_DEP_2)
	v_cvt_i32_f32_e32 v10, v6
	v_cvt_i32_f32_e32 v11, v7
	s_delay_alu instid0(VALU_DEP_2) | instskip(SKIP_1) | instid1(VALU_DEP_3)
	v_cvt_f32_i32_dpp v10, v10 row_shr:2 row_mask:0xf bank_mask:0xf bound_ctrl:1
	v_add_f32_e32 v5, v5, v9
	v_cvt_f32_i32_dpp v11, v11 row_shr:2 row_mask:0xf bank_mask:0xf bound_ctrl:1
	s_delay_alu instid0(VALU_DEP_3) | instskip(NEXT) | instid1(VALU_DEP_1)
	v_add_f32_e32 v6, v6, v10
	v_cvt_i32_f32_e32 v10, v6
	s_delay_alu instid0(VALU_DEP_1) | instskip(NEXT) | instid1(VALU_DEP_1)
	v_cvt_f32_i32_dpp v10, v10 row_shr:1 row_mask:0xf bank_mask:0xf bound_ctrl:1
	v_dual_add_f32 v7, v7, v11 :: v_dual_add_f32 v10, v6, v10
	s_delay_alu instid0(VALU_DEP_1) | instskip(NEXT) | instid1(VALU_DEP_1)
	v_cvt_i32_f32_e32 v11, v7
	v_cvt_f32_i32_dpp v11, v11 row_shr:1 row_mask:0xf bank_mask:0xf bound_ctrl:1
	v_add_f32_e32 v9, v8, v12
	v_cvt_i32_f32_e32 v8, v5
	v_cndmask_b32_e32 v13, v0, v58, vcc_lo
	s_delay_alu instid0(VALU_DEP_2) | instskip(NEXT) | instid1(VALU_DEP_2)
	v_cvt_f32_i32_dpp v8, v8 row_shr:1 row_mask:0xf bank_mask:0xf bound_ctrl:1
	v_lshlrev_b32_e32 v15, 2, v13
	s_delay_alu instid0(VALU_DEP_2) | instskip(SKIP_4) | instid1(VALU_DEP_1)
	v_dual_add_f32 v13, v5, v8 :: v_dual_add_f32 v8, v7, v11
	v_cvt_i32_f32_e32 v12, v9
	ds_bpermute_b32 v11, v15, v10
	ds_bpermute_b32 v14, v15, v13
	v_cvt_f32_i32_dpp v12, v12 row_shr:1 row_mask:0xf bank_mask:0xf bound_ctrl:1
	v_add_f32_e32 v6, v9, v12
	ds_bpermute_b32 v9, v15, v8
	ds_bpermute_b32 v7, v15, v6
	s_and_saveexec_b32 s1, s0
	s_cbranch_execz .LBB172_59
; %bb.33:                               ;   in Loop: Header=BB172_12 Depth=1
	v_dual_mov_b32 v12, 0 :: v_dual_add_nc_u32 v47, 2, v45
	v_dual_mov_b32 v16, 0 :: v_dual_add_nc_u32 v5, 3, v45
	v_mov_b32_e32 v15, 0
	v_mov_b32_e32 v17, 0
	s_and_not1_b32 vcc_lo, exec_lo, s28
	s_cbranch_vccnz .LBB172_35
; %bb.34:                               ;   in Loop: Header=BB172_12 Depth=1
	v_mul_hi_u32 v12, v45, v61
	v_mul_hi_u32 v16, v47, v61
	v_add_nc_u32_e32 v15, 1, v45
	v_mul_hi_u32 v17, v5, v61
	s_delay_alu instid0(VALU_DEP_4) | instskip(NEXT) | instid1(VALU_DEP_4)
	v_mul_lo_u32 v12, v12, s20
	v_mul_lo_u32 v19, v16, s20
	v_mov_b32_e32 v16, v48
	v_mul_hi_u32 v18, v15, v61
	v_mul_lo_u32 v17, v17, s20
	v_sub_nc_u32_e32 v12, v45, v12
	v_sub_nc_u32_e32 v19, v47, v19
	s_delay_alu instid0(VALU_DEP_4) | instskip(NEXT) | instid1(VALU_DEP_4)
	v_mul_lo_u32 v21, v18, s20
	v_sub_nc_u32_e32 v17, v5, v17
	s_delay_alu instid0(VALU_DEP_4) | instskip(SKIP_1) | instid1(VALU_DEP_3)
	v_subrev_nc_u32_e32 v23, s20, v12
	v_cmp_le_u32_e32 vcc_lo, s20, v12
	v_subrev_nc_u32_e32 v24, s20, v17
	v_sub_nc_u32_e32 v15, v15, v21
	v_subrev_nc_u32_e32 v21, s20, v19
	v_cndmask_b32_e32 v12, v12, v23, vcc_lo
	v_cmp_le_u32_e32 vcc_lo, s20, v19
	v_mov_b32_e32 v18, v48
	v_subrev_nc_u32_e32 v23, s20, v15
	v_cndmask_b32_e32 v19, v19, v21, vcc_lo
	v_cmp_le_u32_e32 vcc_lo, s20, v17
	v_mov_b32_e32 v20, v48
	;; [unrolled: 4-line block ×3, first 2 shown]
	v_subrev_nc_u32_e32 v24, s20, v19
	s_delay_alu instid0(VALU_DEP_4) | instskip(SKIP_4) | instid1(VALU_DEP_4)
	v_subrev_nc_u32_e32 v25, s20, v17
	v_cndmask_b32_e32 v23, v15, v23, vcc_lo
	v_cmp_le_u32_e32 vcc_lo, s20, v12
	v_cndmask_b32_e32 v15, v12, v21, vcc_lo
	v_cmp_le_u32_e32 vcc_lo, s20, v19
	v_subrev_nc_u32_e32 v12, s20, v23
	s_delay_alu instid0(VALU_DEP_3) | instskip(SKIP_2) | instid1(VALU_DEP_2)
	v_lshlrev_b64 v[15:16], 1, v[15:16]
	v_cndmask_b32_e32 v19, v19, v24, vcc_lo
	v_cmp_le_u32_e32 vcc_lo, s20, v17
	v_lshlrev_b64 v[19:20], 1, v[19:20]
	v_cndmask_b32_e32 v21, v17, v25, vcc_lo
	v_cmp_le_u32_e32 vcc_lo, s20, v23
	s_delay_alu instid0(VALU_DEP_2) | instskip(SKIP_3) | instid1(VALU_DEP_3)
	v_lshlrev_b64 v[21:22], 1, v[21:22]
	v_cndmask_b32_e32 v17, v23, v12, vcc_lo
	v_add_co_u32 v15, vcc_lo, s8, v15
	v_add_co_ci_u32_e32 v16, vcc_lo, s9, v16, vcc_lo
	v_lshlrev_b64 v[17:18], 1, v[17:18]
	s_delay_alu instid0(VALU_DEP_1) | instskip(NEXT) | instid1(VALU_DEP_2)
	v_add_co_u32 v23, vcc_lo, s8, v17
	v_add_co_ci_u32_e32 v24, vcc_lo, s9, v18, vcc_lo
	v_add_co_u32 v18, vcc_lo, s8, v19
	v_add_co_ci_u32_e32 v19, vcc_lo, s9, v20, vcc_lo
	;; [unrolled: 2-line block ×3, first 2 shown]
	s_clause 0x3
	global_load_u16 v17, v[15:16], off
	global_load_u16 v16, v[23:24], off
	global_load_u16 v15, v[18:19], off
	global_load_u16 v12, v[20:21], off
.LBB172_35:                             ;   in Loop: Header=BB172_12 Depth=1
	s_mov_b32 s2, exec_lo
	v_cmpx_ne_u32_e32 0, v1
	s_cbranch_execz .LBB172_41
; %bb.36:                               ;   in Loop: Header=BB172_12 Depth=1
	s_waitcnt vmcnt(3) lgkmcnt(2)
	v_dual_add_f32 v13, v13, v14 :: v_dual_lshlrev_b32 v14, 16, v17
	s_delay_alu instid0(VALU_DEP_1) | instskip(NEXT) | instid1(VALU_DEP_1)
	v_add_f32_e32 v14, v13, v14
	v_and_b32_e32 v13, 0x7f800000, v14
	s_delay_alu instid0(VALU_DEP_1) | instskip(SKIP_1) | instid1(SALU_CYCLE_1)
	v_cmp_ne_u32_e32 vcc_lo, 0x7f800000, v13
                                        ; implicit-def: $vgpr13
	s_and_saveexec_b32 s3, vcc_lo
	s_xor_b32 s3, exec_lo, s3
; %bb.37:                               ;   in Loop: Header=BB172_12 Depth=1
	v_bfe_u32 v13, v14, 16, 1
	s_delay_alu instid0(VALU_DEP_1)
	v_add3_u32 v13, v14, v13, 0x7fff
                                        ; implicit-def: $vgpr14
; %bb.38:                               ;   in Loop: Header=BB172_12 Depth=1
	s_and_not1_saveexec_b32 s3, s3
; %bb.39:                               ;   in Loop: Header=BB172_12 Depth=1
	v_and_b32_e32 v13, 0xffff, v14
	v_or_b32_e32 v17, 0x10000, v14
	s_delay_alu instid0(VALU_DEP_2) | instskip(NEXT) | instid1(VALU_DEP_2)
	v_cmp_eq_u32_e32 vcc_lo, 0, v13
	v_cndmask_b32_e32 v13, v17, v14, vcc_lo
; %bb.40:                               ;   in Loop: Header=BB172_12 Depth=1
	s_or_b32 exec_lo, exec_lo, s3
	v_mov_b32_e32 v46, v48
	s_delay_alu instid0(VALU_DEP_1) | instskip(NEXT) | instid1(VALU_DEP_1)
	v_lshlrev_b64 v[17:18], 1, v[45:46]
	v_add_co_u32 v17, vcc_lo, s10, v17
	s_delay_alu instid0(VALU_DEP_2)
	v_add_co_ci_u32_e32 v18, vcc_lo, s11, v18, vcc_lo
	global_store_d16_hi_b16 v[17:18], v13, off
.LBB172_41:                             ;   in Loop: Header=BB172_12 Depth=1
	s_or_b32 exec_lo, exec_lo, s2
	s_delay_alu instid0(SALU_CYCLE_1)
	s_mov_b32 s2, exec_lo
	v_cmpx_ne_u32_e32 0, v2
	s_cbranch_execz .LBB172_47
; %bb.42:                               ;   in Loop: Header=BB172_12 Depth=1
	s_waitcnt vmcnt(2) lgkmcnt(3)
	v_dual_add_f32 v10, v10, v11 :: v_dual_lshlrev_b32 v11, 16, v16
	s_delay_alu instid0(VALU_DEP_1) | instskip(NEXT) | instid1(VALU_DEP_1)
	v_add_f32_e32 v11, v10, v11
	v_and_b32_e32 v10, 0x7f800000, v11
	s_delay_alu instid0(VALU_DEP_1) | instskip(SKIP_1) | instid1(SALU_CYCLE_1)
	v_cmp_ne_u32_e32 vcc_lo, 0x7f800000, v10
                                        ; implicit-def: $vgpr10
	s_and_saveexec_b32 s3, vcc_lo
	s_xor_b32 s3, exec_lo, s3
; %bb.43:                               ;   in Loop: Header=BB172_12 Depth=1
	v_bfe_u32 v10, v11, 16, 1
	s_delay_alu instid0(VALU_DEP_1)
	v_add3_u32 v10, v11, v10, 0x7fff
                                        ; implicit-def: $vgpr11
; %bb.44:                               ;   in Loop: Header=BB172_12 Depth=1
	s_and_not1_saveexec_b32 s3, s3
; %bb.45:                               ;   in Loop: Header=BB172_12 Depth=1
	v_and_b32_e32 v10, 0xffff, v11
	v_or_b32_e32 v13, 0x10000, v11
	s_delay_alu instid0(VALU_DEP_2) | instskip(NEXT) | instid1(VALU_DEP_2)
	v_cmp_eq_u32_e32 vcc_lo, 0, v10
	v_cndmask_b32_e32 v10, v13, v11, vcc_lo
; %bb.46:                               ;   in Loop: Header=BB172_12 Depth=1
	s_or_b32 exec_lo, exec_lo, s3
	v_mov_b32_e32 v46, v48
	s_waitcnt lgkmcnt(2)
	s_delay_alu instid0(VALU_DEP_1) | instskip(NEXT) | instid1(VALU_DEP_1)
	v_lshlrev_b64 v[13:14], 1, v[45:46]
	v_add_co_u32 v13, vcc_lo, s30, v13
	s_delay_alu instid0(VALU_DEP_2)
	v_add_co_ci_u32_e32 v14, vcc_lo, s31, v14, vcc_lo
	global_store_d16_hi_b16 v[13:14], v10, off
.LBB172_47:                             ;   in Loop: Header=BB172_12 Depth=1
	s_or_b32 exec_lo, exec_lo, s2
	s_delay_alu instid0(SALU_CYCLE_1)
	s_mov_b32 s2, exec_lo
	v_cmpx_ne_u32_e32 0, v3
	s_cbranch_execz .LBB172_53
; %bb.48:                               ;   in Loop: Header=BB172_12 Depth=1
	s_waitcnt vmcnt(1) lgkmcnt(1)
	v_dual_add_f32 v8, v8, v9 :: v_dual_lshlrev_b32 v9, 16, v15
	s_delay_alu instid0(VALU_DEP_1) | instskip(NEXT) | instid1(VALU_DEP_1)
	v_add_f32_e32 v9, v8, v9
	v_and_b32_e32 v8, 0x7f800000, v9
	s_delay_alu instid0(VALU_DEP_1) | instskip(SKIP_1) | instid1(SALU_CYCLE_1)
	v_cmp_ne_u32_e32 vcc_lo, 0x7f800000, v8
                                        ; implicit-def: $vgpr8
	s_and_saveexec_b32 s3, vcc_lo
	s_xor_b32 s3, exec_lo, s3
; %bb.49:                               ;   in Loop: Header=BB172_12 Depth=1
	v_bfe_u32 v8, v9, 16, 1
	s_delay_alu instid0(VALU_DEP_1)
	v_add3_u32 v8, v9, v8, 0x7fff
                                        ; implicit-def: $vgpr9
; %bb.50:                               ;   in Loop: Header=BB172_12 Depth=1
	s_and_not1_saveexec_b32 s3, s3
; %bb.51:                               ;   in Loop: Header=BB172_12 Depth=1
	v_and_b32_e32 v8, 0xffff, v9
	v_or_b32_e32 v10, 0x10000, v9
	s_delay_alu instid0(VALU_DEP_2) | instskip(NEXT) | instid1(VALU_DEP_2)
	v_cmp_eq_u32_e32 vcc_lo, 0, v8
	v_cndmask_b32_e32 v8, v10, v9, vcc_lo
; %bb.52:                               ;   in Loop: Header=BB172_12 Depth=1
	s_or_b32 exec_lo, exec_lo, s3
	v_lshlrev_b64 v[9:10], 1, v[47:48]
	s_delay_alu instid0(VALU_DEP_1) | instskip(NEXT) | instid1(VALU_DEP_2)
	v_add_co_u32 v9, vcc_lo, s10, v9
	v_add_co_ci_u32_e32 v10, vcc_lo, s11, v10, vcc_lo
	global_store_d16_hi_b16 v[9:10], v8, off
.LBB172_53:                             ;   in Loop: Header=BB172_12 Depth=1
	s_or_b32 exec_lo, exec_lo, s2
	v_cmp_ne_u32_e32 vcc_lo, 0, v4
	s_and_b32 exec_lo, exec_lo, vcc_lo
	s_cbranch_execz .LBB172_59
; %bb.54:                               ;   in Loop: Header=BB172_12 Depth=1
	s_waitcnt vmcnt(0) lgkmcnt(0)
	v_dual_add_f32 v6, v6, v7 :: v_dual_lshlrev_b32 v7, 16, v12
	s_delay_alu instid0(VALU_DEP_1) | instskip(NEXT) | instid1(VALU_DEP_1)
	v_add_f32_e32 v6, v6, v7
	v_and_b32_e32 v7, 0x7f800000, v6
	s_delay_alu instid0(VALU_DEP_1) | instskip(SKIP_1) | instid1(SALU_CYCLE_1)
	v_cmp_ne_u32_e32 vcc_lo, 0x7f800000, v7
                                        ; implicit-def: $vgpr7
	s_and_saveexec_b32 s2, vcc_lo
	s_xor_b32 s2, exec_lo, s2
; %bb.55:                               ;   in Loop: Header=BB172_12 Depth=1
	v_bfe_u32 v7, v6, 16, 1
	s_delay_alu instid0(VALU_DEP_1)
	v_add3_u32 v7, v6, v7, 0x7fff
                                        ; implicit-def: $vgpr6
; %bb.56:                               ;   in Loop: Header=BB172_12 Depth=1
	s_and_not1_saveexec_b32 s2, s2
; %bb.57:                               ;   in Loop: Header=BB172_12 Depth=1
	v_and_b32_e32 v7, 0xffff, v6
	v_or_b32_e32 v8, 0x10000, v6
	s_delay_alu instid0(VALU_DEP_2) | instskip(NEXT) | instid1(VALU_DEP_2)
	v_cmp_eq_u32_e32 vcc_lo, 0, v7
	v_cndmask_b32_e32 v7, v8, v6, vcc_lo
; %bb.58:                               ;   in Loop: Header=BB172_12 Depth=1
	s_or_b32 exec_lo, exec_lo, s2
	v_mov_b32_e32 v6, v48
	s_delay_alu instid0(VALU_DEP_1) | instskip(NEXT) | instid1(VALU_DEP_1)
	v_lshlrev_b64 v[5:6], 1, v[5:6]
	v_add_co_u32 v5, vcc_lo, s10, v5
	s_delay_alu instid0(VALU_DEP_2)
	v_add_co_ci_u32_e32 v6, vcc_lo, s11, v6, vcc_lo
	global_store_d16_hi_b16 v[5:6], v7, off
.LBB172_59:                             ;   in Loop: Header=BB172_12 Depth=1
	s_or_b32 exec_lo, exec_lo, s1
	v_add_nc_u32_e32 v45, s27, v45
	s_delay_alu instid0(VALU_DEP_1) | instskip(SKIP_1) | instid1(VALU_DEP_2)
	v_add_nc_u32_e32 v5, 4, v45
	v_cmp_gt_u32_e32 vcc_lo, s19, v45
	v_cmp_le_u32_e64 s1, s19, v5
	s_delay_alu instid0(VALU_DEP_1) | instskip(NEXT) | instid1(SALU_CYCLE_1)
	s_and_b32 s1, vcc_lo, s1
	s_and_saveexec_b32 s35, s1
	s_cbranch_execz .LBB172_10
; %bb.60:                               ;   in Loop: Header=BB172_12 Depth=1
	s_mov_b32 s36, exec_lo
	v_cmpx_ne_u32_e64 s29, v45
	s_cbranch_execz .LBB172_9
; %bb.61:                               ;   in Loop: Header=BB172_12 Depth=1
	v_subrev_nc_u32_e32 v5, s29, v45
	s_mov_b32 s37, 0
	s_mov_b64 s[12:13], 0
	s_delay_alu instid0(VALU_DEP_1)
	v_cmp_lt_u32_e32 vcc_lo, 1, v5
	v_cndmask_b32_e32 v5, 1, v5, vcc_lo
	.p2align	6
.LBB172_62:                             ;   Parent Loop BB172_12 Depth=1
                                        ; =>  This Inner Loop Header: Depth=2
	s_cmp_lg_u32 s12, 3
	s_cselect_b32 vcc_lo, -1, 0
	s_cmp_lg_u32 s12, 2
	v_cndmask_b32_e32 v4, 0, v4, vcc_lo
	s_cselect_b32 s1, -1, 0
	s_cmp_lg_u32 s12, 1
	v_cndmask_b32_e64 v3, 0, v3, s1
	s_cselect_b32 s2, -1, 0
	s_cmp_lg_u32 s12, 0
	v_cndmask_b32_e64 v2, 0, v2, s2
	s_cselect_b32 s3, -1, 0
	s_add_u32 s12, s12, 1
	v_cndmask_b32_e64 v1, 0, v1, s3
	v_cmp_eq_u32_e32 vcc_lo, s12, v5
	s_addc_u32 s13, s13, 0
	s_or_b32 s37, vcc_lo, s37
	s_delay_alu instid0(SALU_CYCLE_1)
	s_and_not1_b32 exec_lo, exec_lo, s37
	s_cbranch_execnz .LBB172_62
; %bb.63:                               ;   in Loop: Header=BB172_12 Depth=1
	s_or_b32 exec_lo, exec_lo, s37
	s_branch .LBB172_9
.LBB172_64:
	s_nop 0
	s_sendmsg sendmsg(MSG_DEALLOC_VGPRS)
	s_endpgm
	.section	.rodata,"a",@progbits
	.p2align	6, 0x0
	.amdhsa_kernel _Z16wvSplitK_hf_big_I14__hip_bfloat16Li32ELi4ELi16ELi8ELi2ELi1EEviiiiiiPKT_S3_S3_PS1_ii
		.amdhsa_group_segment_fixed_size 65536
		.amdhsa_private_segment_fixed_size 0
		.amdhsa_kernarg_size 64
		.amdhsa_user_sgpr_count 15
		.amdhsa_user_sgpr_dispatch_ptr 0
		.amdhsa_user_sgpr_queue_ptr 0
		.amdhsa_user_sgpr_kernarg_segment_ptr 1
		.amdhsa_user_sgpr_dispatch_id 0
		.amdhsa_user_sgpr_private_segment_size 0
		.amdhsa_wavefront_size32 1
		.amdhsa_uses_dynamic_stack 0
		.amdhsa_enable_private_segment 0
		.amdhsa_system_sgpr_workgroup_id_x 1
		.amdhsa_system_sgpr_workgroup_id_y 0
		.amdhsa_system_sgpr_workgroup_id_z 0
		.amdhsa_system_sgpr_workgroup_info 0
		.amdhsa_system_vgpr_workitem_id 1
		.amdhsa_next_free_vgpr 69
		.amdhsa_next_free_sgpr 38
		.amdhsa_reserve_vcc 1
		.amdhsa_float_round_mode_32 0
		.amdhsa_float_round_mode_16_64 0
		.amdhsa_float_denorm_mode_32 3
		.amdhsa_float_denorm_mode_16_64 3
		.amdhsa_dx10_clamp 1
		.amdhsa_ieee_mode 1
		.amdhsa_fp16_overflow 0
		.amdhsa_workgroup_processor_mode 1
		.amdhsa_memory_ordered 1
		.amdhsa_forward_progress 0
		.amdhsa_shared_vgpr_count 0
		.amdhsa_exception_fp_ieee_invalid_op 0
		.amdhsa_exception_fp_denorm_src 0
		.amdhsa_exception_fp_ieee_div_zero 0
		.amdhsa_exception_fp_ieee_overflow 0
		.amdhsa_exception_fp_ieee_underflow 0
		.amdhsa_exception_fp_ieee_inexact 0
		.amdhsa_exception_int_div_zero 0
	.end_amdhsa_kernel
	.section	.text._Z16wvSplitK_hf_big_I14__hip_bfloat16Li32ELi4ELi16ELi8ELi2ELi1EEviiiiiiPKT_S3_S3_PS1_ii,"axG",@progbits,_Z16wvSplitK_hf_big_I14__hip_bfloat16Li32ELi4ELi16ELi8ELi2ELi1EEviiiiiiPKT_S3_S3_PS1_ii,comdat
.Lfunc_end172:
	.size	_Z16wvSplitK_hf_big_I14__hip_bfloat16Li32ELi4ELi16ELi8ELi2ELi1EEviiiiiiPKT_S3_S3_PS1_ii, .Lfunc_end172-_Z16wvSplitK_hf_big_I14__hip_bfloat16Li32ELi4ELi16ELi8ELi2ELi1EEviiiiiiPKT_S3_S3_PS1_ii
                                        ; -- End function
	.section	.AMDGPU.csdata,"",@progbits
; Kernel info:
; codeLenInByte = 4228
; NumSgprs: 40
; NumVgprs: 69
; ScratchSize: 0
; MemoryBound: 0
; FloatMode: 240
; IeeeMode: 1
; LDSByteSize: 65536 bytes/workgroup (compile time only)
; SGPRBlocks: 4
; VGPRBlocks: 8
; NumSGPRsForWavesPerEU: 40
; NumVGPRsForWavesPerEU: 69
; Occupancy: 8
; WaveLimiterHint : 0
; COMPUTE_PGM_RSRC2:SCRATCH_EN: 0
; COMPUTE_PGM_RSRC2:USER_SGPR: 15
; COMPUTE_PGM_RSRC2:TRAP_HANDLER: 0
; COMPUTE_PGM_RSRC2:TGID_X_EN: 1
; COMPUTE_PGM_RSRC2:TGID_Y_EN: 0
; COMPUTE_PGM_RSRC2:TGID_Z_EN: 0
; COMPUTE_PGM_RSRC2:TIDIG_COMP_CNT: 1
	.section	.text._Z16wvSplitK_hf_sml_I14__hip_bfloat16Li64ELi1ELi16ELi8ELi4ELi1EEviiiiiiPKT_S3_S3_PS1_ii,"axG",@progbits,_Z16wvSplitK_hf_sml_I14__hip_bfloat16Li64ELi1ELi16ELi8ELi4ELi1EEviiiiiiPKT_S3_S3_PS1_ii,comdat
	.protected	_Z16wvSplitK_hf_sml_I14__hip_bfloat16Li64ELi1ELi16ELi8ELi4ELi1EEviiiiiiPKT_S3_S3_PS1_ii ; -- Begin function _Z16wvSplitK_hf_sml_I14__hip_bfloat16Li64ELi1ELi16ELi8ELi4ELi1EEviiiiiiPKT_S3_S3_PS1_ii
	.globl	_Z16wvSplitK_hf_sml_I14__hip_bfloat16Li64ELi1ELi16ELi8ELi4ELi1EEviiiiiiPKT_S3_S3_PS1_ii
	.p2align	8
	.type	_Z16wvSplitK_hf_sml_I14__hip_bfloat16Li64ELi1ELi16ELi8ELi4ELi1EEviiiiiiPKT_S3_S3_PS1_ii,@function
_Z16wvSplitK_hf_sml_I14__hip_bfloat16Li64ELi1ELi16ELi8ELi4ELi1EEviiiiiiPKT_S3_S3_PS1_ii: ; @_Z16wvSplitK_hf_sml_I14__hip_bfloat16Li64ELi1ELi16ELi8ELi4ELi1EEviiiiiiPKT_S3_S3_PS1_ii
; %bb.0:
	s_clause 0x2
	s_load_b128 s[4:7], s[0:1], 0x0
	s_load_b32 s14, s[0:1], 0x10
	s_load_b64 s[8:9], s[0:1], 0x28
	v_and_b32_e32 v3, 0x3ff, v0
	v_bfe_u32 v0, v0, 10, 10
	s_delay_alu instid0(VALU_DEP_2) | instskip(NEXT) | instid1(VALU_DEP_1)
	v_lshlrev_b32_e32 v35, 3, v3
	v_lshl_add_u32 v4, v0, 9, v35
	s_waitcnt lgkmcnt(0)
	s_min_u32 s3, s6, 0x8000
	s_mov_b32 s6, exec_lo
	s_delay_alu instid0(VALU_DEP_1)
	v_cmpx_gt_u32_e64 s3, v4
	s_cbranch_execz .LBB173_3
; %bb.1:
	s_load_b64 s[10:11], s[0:1], 0x20
	v_lshlrev_b32_e32 v5, 10, v0
	v_lshlrev_b32_e32 v6, 4, v3
	s_delay_alu instid0(VALU_DEP_1) | instskip(NEXT) | instid1(VALU_DEP_1)
	v_add_co_u32 v1, s2, v5, v6
	v_add_co_ci_u32_e64 v2, null, 0, 0, s2
	v_add_nc_u32_e32 v5, v5, v6
	s_waitcnt lgkmcnt(0)
	s_delay_alu instid0(VALU_DEP_3) | instskip(NEXT) | instid1(VALU_DEP_3)
	v_add_co_u32 v1, vcc_lo, s10, v1
	v_add_co_ci_u32_e32 v2, vcc_lo, s11, v2, vcc_lo
	s_mov_b32 s10, 0
	.p2align	6
.LBB173_2:                              ; =>This Inner Loop Header: Depth=1
	global_load_b128 v[6:9], v[1:2], off
	v_add_nc_u32_e32 v4, 0x2000, v4
	v_add_co_u32 v1, vcc_lo, 0x4000, v1
	v_add_co_ci_u32_e32 v2, vcc_lo, 0, v2, vcc_lo
	s_delay_alu instid0(VALU_DEP_3) | instskip(NEXT) | instid1(VALU_DEP_1)
	v_cmp_le_u32_e64 s2, s3, v4
	s_or_b32 s10, s2, s10
	s_waitcnt vmcnt(0)
	ds_store_b128 v5, v[6:9]
	v_add_nc_u32_e32 v5, 0x4000, v5
	s_and_not1_b32 exec_lo, exec_lo, s10
	s_cbranch_execnz .LBB173_2
.LBB173_3:
	s_or_b32 exec_lo, exec_lo, s6
	s_load_b64 s[12:13], s[0:1], 0x38
	s_waitcnt lgkmcnt(0)
	s_barrier
	buffer_gl0_inv
	s_mov_b32 s2, exec_lo
	v_cmpx_gt_u32_e64 s12, v0
	s_cbranch_execz .LBB173_27
; %bb.4:
	v_mad_u64_u32 v[32:33], null, s15, s12, v[0:1]
	s_delay_alu instid0(VALU_DEP_1)
	v_cmp_gt_u32_e32 vcc_lo, s7, v32
	s_and_b32 exec_lo, exec_lo, vcc_lo
	s_cbranch_execz .LBB173_27
; %bb.5:
	v_cvt_f32_u32_e32 v0, s14
	v_mbcnt_lo_u32_b32 v1, -1, 0
	s_cmp_lg_u32 s4, 0
	v_lshlrev_b32_e32 v36, 4, v3
	s_cselect_b32 s6, -1, 0
	v_rcp_iflag_f32_e32 v0, v0
	v_xor_b32_e32 v4, 16, v1
	s_add_i32 s15, s4, -8
	s_add_i32 s16, s7, -1
	s_cmp_lg_u64 s[8:9], 0
	s_mul_i32 s12, s13, s12
	v_cmp_gt_i32_e32 vcc_lo, 32, v4
	s_cselect_b32 s17, -1, 0
	s_sub_i32 s2, 0, s14
	v_dual_mov_b32 v34, 0 :: v_dual_cndmask_b32 v1, v1, v4
	s_waitcnt_depctr 0xfff
	v_dual_mul_f32 v0, 0x4f7ffffe, v0 :: v_dual_lshlrev_b32 v37, 2, v1
	s_delay_alu instid0(VALU_DEP_1) | instskip(NEXT) | instid1(VALU_DEP_1)
	v_cvt_u32_f32_e32 v0, v0
	v_mul_lo_u32 v2, s2, v0
	s_clause 0x1
	s_load_b64 s[2:3], s[0:1], 0x18
	s_load_b64 s[10:11], s[0:1], 0x30
	v_cmp_eq_u32_e64 s0, 63, v3
	s_mov_b32 s1, 0
	s_delay_alu instid0(VALU_DEP_2) | instskip(NEXT) | instid1(VALU_DEP_1)
	v_mul_hi_u32 v2, v0, v2
	v_add_nc_u32_e32 v38, v0, v2
	s_branch .LBB173_8
.LBB173_6:                              ;   in Loop: Header=BB173_8 Depth=1
	s_or_b32 exec_lo, exec_lo, s18
	v_mov_b32_e32 v33, v34
	s_delay_alu instid0(VALU_DEP_1) | instskip(NEXT) | instid1(VALU_DEP_1)
	v_lshlrev_b64 v[1:2], 1, v[32:33]
	v_add_co_u32 v1, vcc_lo, s10, v1
	s_delay_alu instid0(VALU_DEP_2)
	v_add_co_ci_u32_e32 v2, vcc_lo, s11, v2, vcc_lo
	global_store_d16_hi_b16 v[1:2], v0, off
.LBB173_7:                              ;   in Loop: Header=BB173_8 Depth=1
	s_or_b32 exec_lo, exec_lo, s13
	v_add_nc_u32_e32 v32, s12, v32
	s_delay_alu instid0(VALU_DEP_1) | instskip(SKIP_1) | instid1(SALU_CYCLE_1)
	v_cmp_le_u32_e32 vcc_lo, s7, v32
	s_or_b32 s1, vcc_lo, s1
	s_and_not1_b32 exec_lo, exec_lo, s1
	s_cbranch_execz .LBB173_27
.LBB173_8:                              ; =>This Loop Header: Depth=1
                                        ;     Child Loop BB173_14 Depth 2
	v_mov_b32_e32 v42, v34
	s_and_not1_b32 vcc_lo, exec_lo, s6
	s_cbranch_vccnz .LBB173_19
; %bb.9:                                ;   in Loop: Header=BB173_8 Depth=1
	v_min_u32_e32 v0, s16, v32
	v_dual_mov_b32 v42, 0 :: v_dual_mov_b32 v41, v36
	s_mov_b32 s13, 0
	s_delay_alu instid0(VALU_DEP_2) | instskip(SKIP_1) | instid1(VALU_DEP_1)
	v_mul_lo_u32 v33, v0, s5
	s_waitcnt lgkmcnt(0)
	v_lshlrev_b64 v[0:1], 1, v[33:34]
	s_waitcnt lgkmcnt(0)
	s_delay_alu instid0(VALU_DEP_1) | instskip(NEXT) | instid1(VALU_DEP_2)
	v_add_co_u32 v39, vcc_lo, s2, v0
	v_add_co_ci_u32_e32 v40, vcc_lo, s3, v1, vcc_lo
	s_branch .LBB173_14
.LBB173_10:                             ;   in Loop: Header=BB173_14 Depth=2
	s_or_b32 exec_lo, exec_lo, s21
.LBB173_11:                             ;   in Loop: Header=BB173_14 Depth=2
	s_delay_alu instid0(SALU_CYCLE_1)
	s_or_b32 exec_lo, exec_lo, s20
.LBB173_12:                             ;   in Loop: Header=BB173_14 Depth=2
	s_delay_alu instid0(SALU_CYCLE_1)
	s_or_b32 exec_lo, exec_lo, s19
.LBB173_13:                             ;   in Loop: Header=BB173_14 Depth=2
	s_delay_alu instid0(SALU_CYCLE_1)
	s_or_b32 exec_lo, exec_lo, s18
	s_waitcnt lgkmcnt(0)
	v_and_b32_e32 v33, 0xffff0000, v28
	s_waitcnt vmcnt(3)
	v_and_b32_e32 v43, 0xffff0000, v24
	v_lshlrev_b32_e32 v28, 16, v28
	v_and_b32_e32 v45, 0xffff0000, v25
	s_addk_i32 s13, 0x800
	v_add_nc_u32_e32 v41, 0x1000, v41
	v_dual_mul_f32 v33, v33, v43 :: v_dual_and_b32 v44, 0xffff0000, v29
	v_lshlrev_b32_e32 v24, 16, v24
	s_cmp_ge_u32 s13, s4
	s_delay_alu instid0(VALU_DEP_2) | instskip(NEXT) | instid1(VALU_DEP_2)
	v_mul_f32_e32 v43, v44, v45
	v_dual_fmac_f32 v33, v28, v24 :: v_dual_and_b32 v24, 0xffff0000, v30
	v_and_b32_e32 v28, 0xffff0000, v26
	v_lshlrev_b32_e32 v30, 16, v30
	v_lshlrev_b32_e32 v26, 16, v26
	s_delay_alu instid0(VALU_DEP_3) | instskip(NEXT) | instid1(VALU_DEP_1)
	v_mul_f32_e32 v24, v24, v28
	v_dual_fmac_f32 v24, v30, v26 :: v_dual_lshlrev_b32 v29, 16, v29
	v_lshlrev_b32_e32 v26, 16, v31
	v_lshlrev_b32_e32 v25, 16, v25
	s_waitcnt vmcnt(2)
	v_and_b32_e32 v30, 0xffff0000, v16
	v_and_b32_e32 v28, 0xffff0000, v31
	s_delay_alu instid0(VALU_DEP_3) | instskip(SKIP_1) | instid1(VALU_DEP_1)
	v_dual_fmac_f32 v43, v29, v25 :: v_dual_lshlrev_b32 v16, 16, v16
	v_add_f32_e32 v25, v42, v33
	v_add_f32_e32 v25, v25, v43
	s_delay_alu instid0(VALU_DEP_1) | instskip(NEXT) | instid1(VALU_DEP_1)
	v_dual_add_f32 v24, v25, v24 :: v_dual_and_b32 v29, 0xffff0000, v27
	v_dual_mul_f32 v28, v28, v29 :: v_dual_and_b32 v29, 0xffff0000, v20
	s_delay_alu instid0(VALU_DEP_1) | instskip(NEXT) | instid1(VALU_DEP_1)
	v_dual_mul_f32 v25, v29, v30 :: v_dual_lshlrev_b32 v20, 16, v20
	v_fmac_f32_e32 v25, v20, v16
	v_lshlrev_b32_e32 v27, 16, v27
	v_lshlrev_b32_e32 v16, 16, v21
	s_delay_alu instid0(VALU_DEP_2) | instskip(SKIP_2) | instid1(VALU_DEP_3)
	v_fmac_f32_e32 v28, v26, v27
	v_and_b32_e32 v26, 0xffff0000, v21
	v_and_b32_e32 v21, 0xffff0000, v22
	v_dual_add_f32 v24, v24, v28 :: v_dual_and_b32 v27, 0xffff0000, v17
	s_delay_alu instid0(VALU_DEP_1) | instskip(SKIP_1) | instid1(VALU_DEP_3)
	v_mul_f32_e32 v20, v26, v27
	v_and_b32_e32 v26, 0xffff0000, v18
	v_add_f32_e32 v24, v24, v25
	v_lshlrev_b32_e32 v17, 16, v17
	s_delay_alu instid0(VALU_DEP_1)
	v_fmac_f32_e32 v20, v16, v17
	v_lshlrev_b32_e32 v16, 16, v22
	v_lshlrev_b32_e32 v17, 16, v18
	v_dual_mul_f32 v18, v21, v26 :: v_dual_and_b32 v21, 0xffff0000, v23
	v_and_b32_e32 v22, 0xffff0000, v19
	v_add_f32_e32 v20, v24, v20
	s_delay_alu instid0(VALU_DEP_3)
	v_fmac_f32_e32 v18, v16, v17
	v_lshlrev_b32_e32 v16, 16, v23
	v_lshlrev_b32_e32 v17, 16, v19
	s_waitcnt vmcnt(1)
	v_dual_mul_f32 v19, v21, v22 :: v_dual_and_b32 v22, 0xffff0000, v8
	v_add_f32_e32 v18, v20, v18
	v_and_b32_e32 v20, 0xffff0000, v9
	v_lshlrev_b32_e32 v9, 16, v9
	v_and_b32_e32 v21, 0xffff0000, v12
	v_dual_fmac_f32 v19, v16, v17 :: v_dual_lshlrev_b32 v12, 16, v12
	v_lshlrev_b32_e32 v8, 16, v8
	s_delay_alu instid0(VALU_DEP_3) | instskip(NEXT) | instid1(VALU_DEP_3)
	v_dual_mul_f32 v16, v21, v22 :: v_dual_and_b32 v17, 0xffff0000, v13
	v_add_f32_e32 v18, v18, v19
	s_delay_alu instid0(VALU_DEP_2) | instskip(SKIP_1) | instid1(VALU_DEP_4)
	v_fmac_f32_e32 v16, v12, v8
	v_lshlrev_b32_e32 v8, 16, v13
	v_dual_mul_f32 v12, v17, v20 :: v_dual_and_b32 v13, 0xffff0000, v14
	s_delay_alu instid0(VALU_DEP_3) | instskip(NEXT) | instid1(VALU_DEP_2)
	v_dual_add_f32 v16, v18, v16 :: v_dual_and_b32 v17, 0xffff0000, v10
	v_fmac_f32_e32 v12, v8, v9
	v_lshlrev_b32_e32 v8, 16, v14
	s_delay_alu instid0(VALU_DEP_3) | instskip(NEXT) | instid1(VALU_DEP_3)
	v_dual_mul_f32 v10, v13, v17 :: v_dual_lshlrev_b32 v9, 16, v10
	v_dual_add_f32 v12, v16, v12 :: v_dual_and_b32 v13, 0xffff0000, v15
	v_and_b32_e32 v14, 0xffff0000, v11
	s_delay_alu instid0(VALU_DEP_3) | instskip(NEXT) | instid1(VALU_DEP_2)
	v_dual_fmac_f32 v10, v8, v9 :: v_dual_lshlrev_b32 v9, 16, v11
	v_dual_mul_f32 v11, v13, v14 :: v_dual_lshlrev_b32 v8, 16, v15
	s_delay_alu instid0(VALU_DEP_2) | instskip(SKIP_2) | instid1(VALU_DEP_3)
	v_dual_add_f32 v10, v12, v10 :: v_dual_and_b32 v13, 0xffff0000, v4
	s_waitcnt vmcnt(0)
	v_and_b32_e32 v14, 0xffff0000, v0
	v_dual_fmac_f32 v11, v8, v9 :: v_dual_lshlrev_b32 v4, 16, v4
	v_lshlrev_b32_e32 v0, 16, v0
	s_delay_alu instid0(VALU_DEP_3) | instskip(SKIP_1) | instid1(VALU_DEP_4)
	v_dual_mul_f32 v8, v13, v14 :: v_dual_and_b32 v9, 0xffff0000, v5
	v_and_b32_e32 v12, 0xffff0000, v1
	v_dual_add_f32 v10, v10, v11 :: v_dual_lshlrev_b32 v1, 16, v1
	s_delay_alu instid0(VALU_DEP_3) | instskip(SKIP_1) | instid1(VALU_DEP_4)
	v_fmac_f32_e32 v8, v4, v0
	v_lshlrev_b32_e32 v0, 16, v5
	v_dual_mul_f32 v4, v9, v12 :: v_dual_and_b32 v5, 0xffff0000, v6
	s_delay_alu instid0(VALU_DEP_3) | instskip(NEXT) | instid1(VALU_DEP_2)
	v_dual_add_f32 v8, v10, v8 :: v_dual_and_b32 v9, 0xffff0000, v2
	v_fmac_f32_e32 v4, v0, v1
	v_lshlrev_b32_e32 v0, 16, v6
	s_delay_alu instid0(VALU_DEP_3) | instskip(SKIP_3) | instid1(VALU_DEP_4)
	v_dual_mul_f32 v2, v5, v9 :: v_dual_lshlrev_b32 v1, 16, v2
	v_and_b32_e32 v5, 0xffff0000, v7
	v_and_b32_e32 v6, 0xffff0000, v3
	v_add_f32_e32 v4, v8, v4
	v_fmac_f32_e32 v2, v0, v1
	v_lshlrev_b32_e32 v0, 16, v7
	v_lshlrev_b32_e32 v1, 16, v3
	v_mul_f32_e32 v3, v5, v6
	s_delay_alu instid0(VALU_DEP_4) | instskip(NEXT) | instid1(VALU_DEP_2)
	v_add_f32_e32 v2, v4, v2
	v_fmac_f32_e32 v3, v0, v1
	s_delay_alu instid0(VALU_DEP_1)
	v_add_f32_e32 v42, v2, v3
	s_cbranch_scc1 .LBB173_19
.LBB173_14:                             ;   Parent Loop BB173_8 Depth=1
                                        ; =>  This Inner Loop Header: Depth=2
	v_dual_mov_b32 v15, 0 :: v_dual_add_nc_u32 v12, s13, v35
	v_dual_mov_b32 v14, 0 :: v_dual_mov_b32 v13, 0
	v_dual_mov_b32 v23, 0 :: v_dual_mov_b32 v22, 0
	s_delay_alu instid0(VALU_DEP_3)
	v_min_u32_e32 v33, s15, v12
	v_add_nc_u32_e32 v45, 0x200, v12
	v_add_nc_u32_e32 v44, 0x400, v12
	;; [unrolled: 1-line block ×3, first 2 shown]
	v_dual_mov_b32 v21, 0 :: v_dual_mov_b32 v20, 0
	v_lshlrev_b64 v[0:1], 1, v[33:34]
	v_min_u32_e32 v33, s15, v45
	v_dual_mov_b32 v31, 0 :: v_dual_mov_b32 v30, 0
	v_dual_mov_b32 v29, 0 :: v_dual_mov_b32 v28, 0
	s_delay_alu instid0(VALU_DEP_3) | instskip(SKIP_3) | instid1(VALU_DEP_3)
	v_lshlrev_b64 v[2:3], 1, v[33:34]
	v_min_u32_e32 v33, s15, v44
	v_add_co_u32 v0, vcc_lo, v39, v0
	v_add_co_ci_u32_e32 v1, vcc_lo, v40, v1, vcc_lo
	v_lshlrev_b64 v[4:5], 1, v[33:34]
	v_min_u32_e32 v33, s15, v43
	v_add_co_u32 v2, vcc_lo, v39, v2
	v_add_co_ci_u32_e32 v3, vcc_lo, v40, v3, vcc_lo
	s_delay_alu instid0(VALU_DEP_3) | instskip(SKIP_2) | instid1(VALU_DEP_3)
	v_lshlrev_b64 v[6:7], 1, v[33:34]
	v_add_co_u32 v4, vcc_lo, v39, v4
	v_add_co_ci_u32_e32 v5, vcc_lo, v40, v5, vcc_lo
	v_add_co_u32 v6, vcc_lo, v39, v6
	s_delay_alu instid0(VALU_DEP_4)
	v_add_co_ci_u32_e32 v7, vcc_lo, v40, v7, vcc_lo
	s_clause 0x3
	global_load_b128 v[24:27], v[0:1], off slc dlc
	global_load_b128 v[16:19], v[2:3], off slc dlc
	;; [unrolled: 1-line block ×4, first 2 shown]
	v_mov_b32_e32 v7, 0
	v_cmp_gt_u32_e32 vcc_lo, s4, v12
	v_dual_mov_b32 v6, 0 :: v_dual_mov_b32 v5, 0
	v_mov_b32_e32 v4, 0
	v_mov_b32_e32 v12, 0
	s_and_saveexec_b32 s18, vcc_lo
	s_cbranch_execz .LBB173_13
; %bb.15:                               ;   in Loop: Header=BB173_14 Depth=2
	ds_load_b128 v[28:31], v41
	v_dual_mov_b32 v20, 0 :: v_dual_mov_b32 v21, 0
	v_dual_mov_b32 v22, 0 :: v_dual_mov_b32 v23, 0
	;; [unrolled: 1-line block ×6, first 2 shown]
	s_mov_b32 s19, exec_lo
	v_cmpx_gt_u32_e64 s4, v45
	s_cbranch_execz .LBB173_12
; %bb.16:                               ;   in Loop: Header=BB173_14 Depth=2
	ds_load_b128 v[20:23], v41 offset:1024
	v_dual_mov_b32 v12, 0 :: v_dual_mov_b32 v13, 0
	v_dual_mov_b32 v14, 0 :: v_dual_mov_b32 v15, 0
	;; [unrolled: 1-line block ×4, first 2 shown]
	s_mov_b32 s20, exec_lo
	v_cmpx_gt_u32_e64 s4, v44
	s_cbranch_execz .LBB173_11
; %bb.17:                               ;   in Loop: Header=BB173_14 Depth=2
	ds_load_b128 v[12:15], v41 offset:2048
	v_dual_mov_b32 v4, 0 :: v_dual_mov_b32 v5, 0
	v_dual_mov_b32 v6, 0 :: v_dual_mov_b32 v7, 0
	s_mov_b32 s21, exec_lo
	v_cmpx_gt_u32_e64 s4, v43
	s_cbranch_execz .LBB173_10
; %bb.18:                               ;   in Loop: Header=BB173_14 Depth=2
	ds_load_b128 v[4:7], v41 offset:3072
	s_branch .LBB173_10
.LBB173_19:                             ;   in Loop: Header=BB173_8 Depth=1
	; sched_barrier mask(0x00000000)
	s_delay_alu instid0(VALU_DEP_1) | instskip(NEXT) | instid1(VALU_DEP_1)
	v_cvt_i32_f32_e32 v0, v42
	v_cvt_f32_i32_dpp v0, v0 row_shr:8 row_mask:0xf bank_mask:0xf bound_ctrl:1
	s_delay_alu instid0(VALU_DEP_1) | instskip(SKIP_1) | instid1(VALU_DEP_1)
	v_add_f32_e32 v0, v42, v0
	s_waitcnt lgkmcnt(0)
	v_cvt_i32_f32_e32 v1, v0
	s_delay_alu instid0(VALU_DEP_1) | instskip(NEXT) | instid1(VALU_DEP_1)
	v_cvt_f32_i32_dpp v1, v1 row_shr:4 row_mask:0xf bank_mask:0xf bound_ctrl:1
	v_add_f32_e32 v0, v0, v1
	s_delay_alu instid0(VALU_DEP_1) | instskip(NEXT) | instid1(VALU_DEP_1)
	v_cvt_i32_f32_e32 v1, v0
	v_cvt_f32_i32_dpp v1, v1 row_shr:2 row_mask:0xf bank_mask:0xf bound_ctrl:1
	s_delay_alu instid0(VALU_DEP_1) | instskip(NEXT) | instid1(VALU_DEP_1)
	v_add_f32_e32 v0, v0, v1
	v_cvt_i32_f32_e32 v1, v0
	s_delay_alu instid0(VALU_DEP_1) | instskip(NEXT) | instid1(VALU_DEP_1)
	v_cvt_f32_i32_dpp v1, v1 row_shr:1 row_mask:0xf bank_mask:0xf bound_ctrl:1
	v_add_f32_e32 v0, v0, v1
	ds_bpermute_b32 v1, v37, v0
	s_and_saveexec_b32 s13, s0
	s_cbranch_execz .LBB173_7
; %bb.20:                               ;   in Loop: Header=BB173_8 Depth=1
	s_and_not1_b32 vcc_lo, exec_lo, s17
	s_cbranch_vccnz .LBB173_22
; %bb.21:                               ;   in Loop: Header=BB173_8 Depth=1
	v_mul_hi_u32 v2, v32, v38
	s_delay_alu instid0(VALU_DEP_1) | instskip(NEXT) | instid1(VALU_DEP_1)
	v_mul_lo_u32 v2, v2, s14
	v_sub_nc_u32_e32 v2, v32, v2
	s_delay_alu instid0(VALU_DEP_1) | instskip(SKIP_1) | instid1(VALU_DEP_2)
	v_subrev_nc_u32_e32 v3, s14, v2
	v_cmp_le_u32_e32 vcc_lo, s14, v2
	v_cndmask_b32_e32 v2, v2, v3, vcc_lo
	s_delay_alu instid0(VALU_DEP_1) | instskip(SKIP_1) | instid1(VALU_DEP_2)
	v_subrev_nc_u32_e32 v3, s14, v2
	v_cmp_le_u32_e32 vcc_lo, s14, v2
	v_cndmask_b32_e32 v33, v2, v3, vcc_lo
	s_delay_alu instid0(VALU_DEP_1) | instskip(NEXT) | instid1(VALU_DEP_1)
	v_lshlrev_b64 v[2:3], 1, v[33:34]
	v_add_co_u32 v2, vcc_lo, s8, v2
	s_delay_alu instid0(VALU_DEP_2)
	v_add_co_ci_u32_e32 v3, vcc_lo, s9, v3, vcc_lo
	global_load_u16 v2, v[2:3], off
	s_branch .LBB173_23
.LBB173_22:                             ;   in Loop: Header=BB173_8 Depth=1
	v_mov_b32_e32 v2, 0
.LBB173_23:                             ;   in Loop: Header=BB173_8 Depth=1
	s_waitcnt vmcnt(0) lgkmcnt(0)
	s_delay_alu instid0(VALU_DEP_1) | instskip(NEXT) | instid1(VALU_DEP_1)
	v_dual_add_f32 v0, v0, v1 :: v_dual_lshlrev_b32 v1, 16, v2
	v_add_f32_e32 v1, v0, v1
	s_delay_alu instid0(VALU_DEP_1) | instskip(NEXT) | instid1(VALU_DEP_1)
	v_and_b32_e32 v0, 0x7f800000, v1
	v_cmp_ne_u32_e32 vcc_lo, 0x7f800000, v0
                                        ; implicit-def: $vgpr0
	s_and_saveexec_b32 s18, vcc_lo
	s_delay_alu instid0(SALU_CYCLE_1)
	s_xor_b32 s18, exec_lo, s18
; %bb.24:                               ;   in Loop: Header=BB173_8 Depth=1
	v_bfe_u32 v0, v1, 16, 1
	s_delay_alu instid0(VALU_DEP_1)
	v_add3_u32 v0, v1, v0, 0x7fff
                                        ; implicit-def: $vgpr1
; %bb.25:                               ;   in Loop: Header=BB173_8 Depth=1
	s_and_not1_saveexec_b32 s18, s18
	s_cbranch_execz .LBB173_6
; %bb.26:                               ;   in Loop: Header=BB173_8 Depth=1
	v_and_b32_e32 v0, 0xffff, v1
	v_or_b32_e32 v2, 0x10000, v1
	s_delay_alu instid0(VALU_DEP_2) | instskip(NEXT) | instid1(VALU_DEP_2)
	v_cmp_eq_u32_e32 vcc_lo, 0, v0
	v_cndmask_b32_e32 v0, v2, v1, vcc_lo
	s_branch .LBB173_6
.LBB173_27:
	s_nop 0
	s_sendmsg sendmsg(MSG_DEALLOC_VGPRS)
	s_endpgm
	.section	.rodata,"a",@progbits
	.p2align	6, 0x0
	.amdhsa_kernel _Z16wvSplitK_hf_sml_I14__hip_bfloat16Li64ELi1ELi16ELi8ELi4ELi1EEviiiiiiPKT_S3_S3_PS1_ii
		.amdhsa_group_segment_fixed_size 65536
		.amdhsa_private_segment_fixed_size 0
		.amdhsa_kernarg_size 64
		.amdhsa_user_sgpr_count 15
		.amdhsa_user_sgpr_dispatch_ptr 0
		.amdhsa_user_sgpr_queue_ptr 0
		.amdhsa_user_sgpr_kernarg_segment_ptr 1
		.amdhsa_user_sgpr_dispatch_id 0
		.amdhsa_user_sgpr_private_segment_size 0
		.amdhsa_wavefront_size32 1
		.amdhsa_uses_dynamic_stack 0
		.amdhsa_enable_private_segment 0
		.amdhsa_system_sgpr_workgroup_id_x 1
		.amdhsa_system_sgpr_workgroup_id_y 0
		.amdhsa_system_sgpr_workgroup_id_z 0
		.amdhsa_system_sgpr_workgroup_info 0
		.amdhsa_system_vgpr_workitem_id 1
		.amdhsa_next_free_vgpr 46
		.amdhsa_next_free_sgpr 22
		.amdhsa_reserve_vcc 1
		.amdhsa_float_round_mode_32 0
		.amdhsa_float_round_mode_16_64 0
		.amdhsa_float_denorm_mode_32 3
		.amdhsa_float_denorm_mode_16_64 3
		.amdhsa_dx10_clamp 1
		.amdhsa_ieee_mode 1
		.amdhsa_fp16_overflow 0
		.amdhsa_workgroup_processor_mode 1
		.amdhsa_memory_ordered 1
		.amdhsa_forward_progress 0
		.amdhsa_shared_vgpr_count 0
		.amdhsa_exception_fp_ieee_invalid_op 0
		.amdhsa_exception_fp_denorm_src 0
		.amdhsa_exception_fp_ieee_div_zero 0
		.amdhsa_exception_fp_ieee_overflow 0
		.amdhsa_exception_fp_ieee_underflow 0
		.amdhsa_exception_fp_ieee_inexact 0
		.amdhsa_exception_int_div_zero 0
	.end_amdhsa_kernel
	.section	.text._Z16wvSplitK_hf_sml_I14__hip_bfloat16Li64ELi1ELi16ELi8ELi4ELi1EEviiiiiiPKT_S3_S3_PS1_ii,"axG",@progbits,_Z16wvSplitK_hf_sml_I14__hip_bfloat16Li64ELi1ELi16ELi8ELi4ELi1EEviiiiiiPKT_S3_S3_PS1_ii,comdat
.Lfunc_end173:
	.size	_Z16wvSplitK_hf_sml_I14__hip_bfloat16Li64ELi1ELi16ELi8ELi4ELi1EEviiiiiiPKT_S3_S3_PS1_ii, .Lfunc_end173-_Z16wvSplitK_hf_sml_I14__hip_bfloat16Li64ELi1ELi16ELi8ELi4ELi1EEviiiiiiPKT_S3_S3_PS1_ii
                                        ; -- End function
	.section	.AMDGPU.csdata,"",@progbits
; Kernel info:
; codeLenInByte = 2104
; NumSgprs: 24
; NumVgprs: 46
; ScratchSize: 0
; MemoryBound: 0
; FloatMode: 240
; IeeeMode: 1
; LDSByteSize: 65536 bytes/workgroup (compile time only)
; SGPRBlocks: 2
; VGPRBlocks: 5
; NumSGPRsForWavesPerEU: 24
; NumVGPRsForWavesPerEU: 46
; Occupancy: 16
; WaveLimiterHint : 0
; COMPUTE_PGM_RSRC2:SCRATCH_EN: 0
; COMPUTE_PGM_RSRC2:USER_SGPR: 15
; COMPUTE_PGM_RSRC2:TRAP_HANDLER: 0
; COMPUTE_PGM_RSRC2:TGID_X_EN: 1
; COMPUTE_PGM_RSRC2:TGID_Y_EN: 0
; COMPUTE_PGM_RSRC2:TGID_Z_EN: 0
; COMPUTE_PGM_RSRC2:TIDIG_COMP_CNT: 1
	.section	.text._Z12wvSplitK_hf_I14__hip_bfloat16Li64ELi1ELi16ELi8ELi4ELi1EEviiiiiiPKT_S3_S3_PS1_ii,"axG",@progbits,_Z12wvSplitK_hf_I14__hip_bfloat16Li64ELi1ELi16ELi8ELi4ELi1EEviiiiiiPKT_S3_S3_PS1_ii,comdat
	.protected	_Z12wvSplitK_hf_I14__hip_bfloat16Li64ELi1ELi16ELi8ELi4ELi1EEviiiiiiPKT_S3_S3_PS1_ii ; -- Begin function _Z12wvSplitK_hf_I14__hip_bfloat16Li64ELi1ELi16ELi8ELi4ELi1EEviiiiiiPKT_S3_S3_PS1_ii
	.globl	_Z12wvSplitK_hf_I14__hip_bfloat16Li64ELi1ELi16ELi8ELi4ELi1EEviiiiiiPKT_S3_S3_PS1_ii
	.p2align	8
	.type	_Z12wvSplitK_hf_I14__hip_bfloat16Li64ELi1ELi16ELi8ELi4ELi1EEviiiiiiPKT_S3_S3_PS1_ii,@function
_Z12wvSplitK_hf_I14__hip_bfloat16Li64ELi1ELi16ELi8ELi4ELi1EEviiiiiiPKT_S3_S3_PS1_ii: ; @_Z12wvSplitK_hf_I14__hip_bfloat16Li64ELi1ELi16ELi8ELi4ELi1EEviiiiiiPKT_S3_S3_PS1_ii
; %bb.0:
	s_clause 0x1
	s_load_b64 s[16:17], s[0:1], 0x38
	s_load_b128 s[4:7], s[0:1], 0x0
	v_bfe_u32 v1, v0, 10, 10
	s_clause 0x1
	s_load_b64 s[8:9], s[0:1], 0x20
	s_load_b32 s3, s[0:1], 0x10
	v_mov_b32_e32 v40, 1
	s_waitcnt lgkmcnt(0)
	v_mad_u64_u32 v[32:33], null, s15, s16, v[1:2]
	s_delay_alu instid0(VALU_DEP_1) | instskip(SKIP_1) | instid1(VALU_DEP_2)
	v_add_nc_u32_e32 v2, 1, v32
	v_cmp_gt_u32_e32 vcc_lo, s7, v32
	v_cmp_le_u32_e64 s2, s7, v2
	s_delay_alu instid0(VALU_DEP_1) | instskip(NEXT) | instid1(SALU_CYCLE_1)
	s_and_b32 s10, vcc_lo, s2
	s_and_saveexec_b32 s2, s10
; %bb.1:
	v_subrev_nc_u32_e32 v2, s7, v32
	s_add_i32 s10, s7, -1
	s_delay_alu instid0(SALU_CYCLE_1) | instskip(NEXT) | instid1(VALU_DEP_2)
	v_mov_b32_e32 v32, s10
	v_cmp_eq_u32_e32 vcc_lo, -1, v2
	v_cndmask_b32_e64 v40, 0, 1, vcc_lo
; %bb.2:
	s_or_b32 exec_lo, exec_lo, s2
	s_load_b64 s[10:11], s[0:1], 0x28
	v_and_b32_e32 v0, 0x3ff, v0
	s_min_u32 s6, s6, 0x8000
	s_mov_b32 s12, exec_lo
	s_delay_alu instid0(VALU_DEP_1) | instskip(NEXT) | instid1(VALU_DEP_1)
	v_lshlrev_b32_e32 v41, 3, v0
	v_lshl_add_u32 v4, v1, 9, v41
	s_delay_alu instid0(VALU_DEP_1)
	v_cmpx_gt_u32_e64 s6, v4
	s_cbranch_execz .LBB174_5
; %bb.3:
	v_lshlrev_b32_e32 v5, 10, v1
	v_lshlrev_b32_e32 v6, 4, v0
	s_mov_b32 s13, 0
	s_delay_alu instid0(VALU_DEP_1) | instskip(NEXT) | instid1(VALU_DEP_1)
	v_add_co_u32 v2, s2, v5, v6
	v_add_co_ci_u32_e64 v3, null, 0, 0, s2
	v_add_nc_u32_e32 v5, v5, v6
	s_delay_alu instid0(VALU_DEP_3) | instskip(NEXT) | instid1(VALU_DEP_3)
	v_add_co_u32 v2, vcc_lo, s8, v2
	v_add_co_ci_u32_e32 v3, vcc_lo, s9, v3, vcc_lo
	.p2align	6
.LBB174_4:                              ; =>This Inner Loop Header: Depth=1
	global_load_b128 v[6:9], v[2:3], off
	v_add_nc_u32_e32 v4, 0x2000, v4
	v_add_co_u32 v2, vcc_lo, 0x4000, v2
	v_add_co_ci_u32_e32 v3, vcc_lo, 0, v3, vcc_lo
	s_delay_alu instid0(VALU_DEP_3) | instskip(NEXT) | instid1(VALU_DEP_1)
	v_cmp_le_u32_e64 s2, s6, v4
	s_or_b32 s13, s2, s13
	s_waitcnt vmcnt(0)
	ds_store_b128 v5, v[6:9]
	v_add_nc_u32_e32 v5, 0x4000, v5
	s_and_not1_b32 exec_lo, exec_lo, s13
	s_cbranch_execnz .LBB174_4
.LBB174_5:
	s_or_b32 exec_lo, exec_lo, s12
	v_cmp_gt_u32_e32 vcc_lo, s16, v1
	v_cmp_gt_u32_e64 s2, s7, v32
	s_waitcnt lgkmcnt(0)
	s_barrier
	buffer_gl0_inv
	s_and_b32 s2, vcc_lo, s2
	s_delay_alu instid0(SALU_CYCLE_1)
	s_and_saveexec_b32 s6, s2
	s_cbranch_execz .LBB174_44
; %bb.6:
	v_cvt_f32_u32_e32 v1, s3
	v_mbcnt_lo_u32_b32 v2, -1, 0
	s_cmp_lg_u32 s4, 0
	s_clause 0x1
	s_load_b64 s[12:13], s[0:1], 0x18
	s_load_b64 s[14:15], s[0:1], 0x30
	s_cselect_b32 s6, -1, 0
	v_rcp_iflag_f32_e32 v1, v1
	v_xor_b32_e32 v4, 16, v2
	s_add_i32 s18, s4, -8
	s_add_i32 s19, s7, -1
	s_cmp_lg_u64 s[10:11], 0
	s_mul_i32 s16, s17, s16
	v_cmp_gt_i32_e32 vcc_lo, 32, v4
	s_cselect_b32 s20, -1, 0
	s_sub_i32 s2, 0, s3
	v_cmp_eq_u32_e64 s0, 63, v0
	s_waitcnt_depctr 0xfff
	v_dual_mul_f32 v1, 0x4f7ffffe, v1 :: v_dual_cndmask_b32 v2, v2, v4
	v_mov_b32_e32 v34, 0
	v_lshlrev_b32_e32 v42, 4, v0
	s_sub_i32 s21, s16, s7
	s_delay_alu instid0(VALU_DEP_3) | instskip(SKIP_3) | instid1(VALU_DEP_2)
	v_cvt_u32_f32_e32 v1, v1
	v_lshlrev_b32_e32 v43, 2, v2
	s_mov_b32 s17, 0
	s_add_i32 s21, s21, 2
	v_mul_lo_u32 v3, s2, v1
	s_delay_alu instid0(VALU_DEP_1) | instskip(NEXT) | instid1(VALU_DEP_1)
	v_mul_hi_u32 v3, v1, v3
	v_add_nc_u32_e32 v44, v1, v3
	s_branch .LBB174_9
.LBB174_7:                              ;   in Loop: Header=BB174_9 Depth=1
	s_or_b32 exec_lo, exec_lo, s2
	v_mov_b32_e32 v33, v34
	s_delay_alu instid0(VALU_DEP_1) | instskip(NEXT) | instid1(VALU_DEP_1)
	v_lshlrev_b64 v[1:2], 1, v[32:33]
	v_add_co_u32 v1, vcc_lo, s14, v1
	s_delay_alu instid0(VALU_DEP_2)
	v_add_co_ci_u32_e32 v2, vcc_lo, s15, v2, vcc_lo
	global_store_d16_hi_b16 v[1:2], v0, off
.LBB174_8:                              ;   in Loop: Header=BB174_9 Depth=1
	s_or_b32 exec_lo, exec_lo, s1
	v_add_nc_u32_e32 v0, s16, v32
	s_waitcnt lgkmcnt(0)
	s_delay_alu instid0(VALU_DEP_1) | instskip(SKIP_1) | instid1(VALU_DEP_2)
	v_add_nc_u32_e32 v1, 1, v0
	v_cmp_le_u32_e32 vcc_lo, s7, v0
	v_cmp_gt_u32_e64 s1, s7, v1
	v_add_nc_u32_e32 v1, s21, v32
	s_delay_alu instid0(VALU_DEP_2) | instskip(NEXT) | instid1(VALU_DEP_1)
	s_or_b32 vcc_lo, vcc_lo, s1
	v_cmp_eq_u32_e64 s1, 1, v1
	v_cndmask_b32_e32 v32, s19, v0, vcc_lo
	s_delay_alu instid0(VALU_DEP_2) | instskip(NEXT) | instid1(VALU_DEP_1)
	s_or_b32 vcc_lo, vcc_lo, s1
	v_cmp_le_u32_e64 s2, s7, v32
	v_cndmask_b32_e32 v40, 0, v40, vcc_lo
	s_delay_alu instid0(VALU_DEP_2) | instskip(NEXT) | instid1(SALU_CYCLE_1)
	s_or_b32 s17, s2, s17
	s_and_not1_b32 exec_lo, exec_lo, s17
	s_cbranch_execz .LBB174_44
.LBB174_9:                              ; =>This Loop Header: Depth=1
                                        ;     Child Loop BB174_16 Depth 2
	v_mov_b32_e32 v48, v34
	s_and_not1_b32 vcc_lo, exec_lo, s6
	s_cbranch_vccnz .LBB174_36
; %bb.10:                               ;   in Loop: Header=BB174_9 Depth=1
	v_min_u32_e32 v0, s19, v32
	v_dual_mov_b32 v48, 0 :: v_dual_mov_b32 v47, v42
	s_mov_b32 s1, 0
	s_delay_alu instid0(VALU_DEP_2) | instskip(NEXT) | instid1(VALU_DEP_1)
	v_mul_lo_u32 v33, v0, s5
	v_lshlrev_b64 v[0:1], 1, v[33:34]
	s_waitcnt lgkmcnt(0)
	s_delay_alu instid0(VALU_DEP_1) | instskip(NEXT) | instid1(VALU_DEP_2)
	v_add_co_u32 v45, vcc_lo, s12, v0
	v_add_co_ci_u32_e32 v46, vcc_lo, s13, v1, vcc_lo
	s_branch .LBB174_16
.LBB174_11:                             ;   in Loop: Header=BB174_16 Depth=2
	s_or_b32 exec_lo, exec_lo, s25
.LBB174_12:                             ;   in Loop: Header=BB174_16 Depth=2
	s_delay_alu instid0(SALU_CYCLE_1)
	s_or_b32 exec_lo, exec_lo, s24
.LBB174_13:                             ;   in Loop: Header=BB174_16 Depth=2
	s_delay_alu instid0(SALU_CYCLE_1)
	s_or_b32 exec_lo, exec_lo, s23
.LBB174_14:                             ;   in Loop: Header=BB174_16 Depth=2
	s_delay_alu instid0(SALU_CYCLE_1)
	s_or_b32 exec_lo, exec_lo, s22
.LBB174_15:                             ;   in Loop: Header=BB174_16 Depth=2
	s_delay_alu instid0(SALU_CYCLE_1)
	s_or_b32 exec_lo, exec_lo, s2
	s_waitcnt vmcnt(0) lgkmcnt(0)
	v_and_b32_e32 v33, 0xffff0000, v16
	v_and_b32_e32 v35, 0xffff0000, v12
	v_lshlrev_b32_e32 v16, 16, v16
	v_and_b32_e32 v37, 0xffff0000, v13
	v_add_nc_u32_e32 v47, 0x1000, v47
	s_addk_i32 s1, 0x800
	v_dual_mul_f32 v33, v33, v35 :: v_dual_and_b32 v36, 0xffff0000, v17
	v_lshlrev_b32_e32 v12, 16, v12
	s_cmp_lt_u32 s1, s4
	s_delay_alu instid0(VALU_DEP_2) | instskip(NEXT) | instid1(VALU_DEP_2)
	v_mul_f32_e32 v35, v36, v37
	v_dual_fmac_f32 v33, v16, v12 :: v_dual_and_b32 v12, 0xffff0000, v18
	v_and_b32_e32 v16, 0xffff0000, v14
	v_lshlrev_b32_e32 v18, 16, v18
	v_lshlrev_b32_e32 v14, 16, v14
	s_delay_alu instid0(VALU_DEP_3) | instskip(SKIP_1) | instid1(VALU_DEP_2)
	v_mul_f32_e32 v12, v12, v16
	v_and_b32_e32 v16, 0xffff0000, v19
	v_dual_fmac_f32 v12, v18, v14 :: v_dual_lshlrev_b32 v17, 16, v17
	v_lshlrev_b32_e32 v14, 16, v19
	v_lshlrev_b32_e32 v13, 16, v13
	v_and_b32_e32 v18, 0xffff0000, v8
	s_delay_alu instid0(VALU_DEP_2) | instskip(SKIP_1) | instid1(VALU_DEP_1)
	v_dual_fmac_f32 v35, v17, v13 :: v_dual_lshlrev_b32 v8, 16, v8
	v_add_f32_e32 v13, v48, v33
	v_add_f32_e32 v13, v13, v35
	s_delay_alu instid0(VALU_DEP_1) | instskip(NEXT) | instid1(VALU_DEP_1)
	v_dual_add_f32 v12, v13, v12 :: v_dual_and_b32 v17, 0xffff0000, v15
	v_dual_mul_f32 v16, v16, v17 :: v_dual_lshlrev_b32 v13, 16, v20
	v_and_b32_e32 v17, 0xffff0000, v20
	v_lshlrev_b32_e32 v15, 16, v15
	s_delay_alu instid0(VALU_DEP_1) | instskip(NEXT) | instid1(VALU_DEP_3)
	v_fmac_f32_e32 v16, v14, v15
	v_dual_mul_f32 v14, v17, v18 :: v_dual_and_b32 v15, 0xffff0000, v21
	s_delay_alu instid0(VALU_DEP_2) | instskip(NEXT) | instid1(VALU_DEP_2)
	v_add_f32_e32 v12, v12, v16
	v_fmac_f32_e32 v14, v13, v8
	v_and_b32_e32 v16, 0xffff0000, v10
	v_and_b32_e32 v17, 0xffff0000, v9
	v_lshlrev_b32_e32 v8, 16, v21
	s_delay_alu instid0(VALU_DEP_4) | instskip(NEXT) | instid1(VALU_DEP_3)
	v_dual_add_f32 v12, v12, v14 :: v_dual_lshlrev_b32 v9, 16, v9
	v_dual_mul_f32 v13, v15, v17 :: v_dual_and_b32 v14, 0xffff0000, v23
	s_delay_alu instid0(VALU_DEP_1) | instskip(SKIP_2) | instid1(VALU_DEP_3)
	v_fmac_f32_e32 v13, v8, v9
	v_and_b32_e32 v15, 0xffff0000, v22
	v_lshlrev_b32_e32 v8, 16, v22
	v_dual_add_f32 v12, v12, v13 :: v_dual_lshlrev_b32 v9, 16, v10
	s_delay_alu instid0(VALU_DEP_3) | instskip(NEXT) | instid1(VALU_DEP_1)
	v_mul_f32_e32 v10, v15, v16
	v_dual_fmac_f32 v10, v8, v9 :: v_dual_and_b32 v13, 0xffff0000, v24
	v_lshlrev_b32_e32 v8, 16, v23
	s_delay_alu instid0(VALU_DEP_2) | instskip(SKIP_2) | instid1(VALU_DEP_1)
	v_dual_add_f32 v10, v12, v10 :: v_dual_lshlrev_b32 v9, 16, v11
	v_and_b32_e32 v12, 0xffff0000, v25
	v_and_b32_e32 v15, 0xffff0000, v11
	v_dual_mul_f32 v11, v14, v15 :: v_dual_and_b32 v14, 0xffff0000, v4
	s_delay_alu instid0(VALU_DEP_1) | instskip(NEXT) | instid1(VALU_DEP_2)
	v_dual_fmac_f32 v11, v8, v9 :: v_dual_lshlrev_b32 v4, 16, v4
	v_dual_mul_f32 v9, v13, v14 :: v_dual_lshlrev_b32 v8, 16, v24
	s_delay_alu instid0(VALU_DEP_2) | instskip(SKIP_1) | instid1(VALU_DEP_3)
	v_dual_add_f32 v10, v10, v11 :: v_dual_and_b32 v11, 0xffff0000, v26
	v_and_b32_e32 v13, 0xffff0000, v5
	v_dual_fmac_f32 v9, v8, v4 :: v_dual_lshlrev_b32 v4, 16, v25
	s_delay_alu instid0(VALU_DEP_2) | instskip(NEXT) | instid1(VALU_DEP_2)
	v_mul_f32_e32 v8, v12, v13
	v_dual_add_f32 v9, v10, v9 :: v_dual_and_b32 v12, 0xffff0000, v6
	v_lshlrev_b32_e32 v5, 16, v5
	v_and_b32_e32 v10, 0xffff0000, v27
	s_delay_alu instid0(VALU_DEP_2) | instskip(SKIP_2) | instid1(VALU_DEP_3)
	v_fmac_f32_e32 v8, v4, v5
	v_lshlrev_b32_e32 v4, 16, v26
	v_dual_mul_f32 v6, v11, v12 :: v_dual_lshlrev_b32 v5, 16, v6
	v_add_f32_e32 v8, v9, v8
	s_delay_alu instid0(VALU_DEP_2) | instskip(SKIP_2) | instid1(VALU_DEP_3)
	v_dual_fmac_f32 v6, v4, v5 :: v_dual_and_b32 v9, 0xffff0000, v28
	v_and_b32_e32 v11, 0xffff0000, v7
	v_lshlrev_b32_e32 v4, 16, v27
	v_dual_add_f32 v6, v8, v6 :: v_dual_lshlrev_b32 v5, 16, v7
	s_delay_alu instid0(VALU_DEP_3) | instskip(SKIP_2) | instid1(VALU_DEP_3)
	v_dual_mul_f32 v7, v10, v11 :: v_dual_and_b32 v10, 0xffff0000, v0
	v_lshlrev_b32_e32 v0, 16, v0
	v_and_b32_e32 v8, 0xffff0000, v29
	v_dual_fmac_f32 v7, v4, v5 :: v_dual_lshlrev_b32 v4, 16, v28
	s_delay_alu instid0(VALU_DEP_1) | instskip(SKIP_2) | instid1(VALU_DEP_3)
	v_dual_mul_f32 v5, v9, v10 :: v_dual_add_f32 v6, v6, v7
	v_and_b32_e32 v7, 0xffff0000, v30
	v_and_b32_e32 v9, 0xffff0000, v1
	v_dual_fmac_f32 v5, v4, v0 :: v_dual_lshlrev_b32 v0, 16, v29
	s_delay_alu instid0(VALU_DEP_2) | instskip(NEXT) | instid1(VALU_DEP_2)
	v_mul_f32_e32 v4, v8, v9
	v_dual_add_f32 v5, v6, v5 :: v_dual_and_b32 v8, 0xffff0000, v2
	v_lshlrev_b32_e32 v1, 16, v1
	v_and_b32_e32 v6, 0xffff0000, v31
	s_delay_alu instid0(VALU_DEP_2) | instskip(SKIP_2) | instid1(VALU_DEP_3)
	v_fmac_f32_e32 v4, v0, v1
	v_lshlrev_b32_e32 v0, 16, v30
	v_dual_mul_f32 v2, v7, v8 :: v_dual_lshlrev_b32 v1, 16, v2
	v_add_f32_e32 v4, v5, v4
	s_delay_alu instid0(VALU_DEP_2) | instskip(SKIP_1) | instid1(VALU_DEP_2)
	v_dual_fmac_f32 v2, v0, v1 :: v_dual_and_b32 v7, 0xffff0000, v3
	v_lshlrev_b32_e32 v0, 16, v31
	v_dual_add_f32 v2, v4, v2 :: v_dual_lshlrev_b32 v1, 16, v3
	s_delay_alu instid0(VALU_DEP_3) | instskip(NEXT) | instid1(VALU_DEP_1)
	v_mul_f32_e32 v3, v6, v7
	v_fmac_f32_e32 v3, v0, v1
	s_delay_alu instid0(VALU_DEP_1)
	v_add_f32_e32 v48, v2, v3
	s_cbranch_scc0 .LBB174_36
.LBB174_16:                             ;   Parent Loop BB174_9 Depth=1
                                        ; =>  This Inner Loop Header: Depth=2
	v_dual_mov_b32 v31, 0 :: v_dual_add_nc_u32 v38, s1, v41
	v_dual_mov_b32 v27, 0 :: v_dual_mov_b32 v26, 0
	v_dual_mov_b32 v25, 0 :: v_dual_mov_b32 v24, 0
	s_delay_alu instid0(VALU_DEP_3) | instskip(SKIP_2) | instid1(VALU_DEP_3)
	v_min_u32_e32 v33, s18, v38
	v_dual_mov_b32 v30, 0 :: v_dual_add_nc_u32 v37, 0x200, v38
	v_dual_mov_b32 v29, 0 :: v_dual_add_nc_u32 v36, 0x400, v38
	v_lshlrev_b64 v[0:1], 1, v[33:34]
	s_delay_alu instid0(VALU_DEP_3) | instskip(SKIP_3) | instid1(VALU_DEP_3)
	v_min_u32_e32 v33, s18, v37
	v_dual_mov_b32 v28, 0 :: v_dual_add_nc_u32 v35, 0x600, v38
	v_dual_mov_b32 v23, 0 :: v_dual_mov_b32 v22, 0
	s_waitcnt vmcnt(0)
	v_lshlrev_b64 v[2:3], 1, v[33:34]
	v_min_u32_e32 v33, s18, v36
	v_add_co_u32 v0, vcc_lo, v45, v0
	v_add_co_ci_u32_e32 v1, vcc_lo, v46, v1, vcc_lo
	s_delay_alu instid0(VALU_DEP_3) | instskip(SKIP_3) | instid1(VALU_DEP_3)
	v_lshlrev_b64 v[4:5], 1, v[33:34]
	v_min_u32_e32 v33, s18, v35
	v_add_co_u32 v2, vcc_lo, v45, v2
	v_add_co_ci_u32_e32 v3, vcc_lo, v46, v3, vcc_lo
	v_lshlrev_b64 v[6:7], 1, v[33:34]
	v_add_co_u32 v4, vcc_lo, v45, v4
	v_add_co_ci_u32_e32 v5, vcc_lo, v46, v5, vcc_lo
	v_dual_mov_b32 v21, 0 :: v_dual_mov_b32 v20, 0
	s_delay_alu instid0(VALU_DEP_4)
	v_add_co_u32 v16, vcc_lo, v45, v6
	v_add_co_ci_u32_e32 v17, vcc_lo, v46, v7, vcc_lo
	s_clause 0x3
	global_load_b128 v[12:15], v[0:1], off slc dlc
	global_load_b128 v[8:11], v[2:3], off slc dlc
	;; [unrolled: 1-line block ×4, first 2 shown]
	v_dual_mov_b32 v19, 0 :: v_dual_mov_b32 v18, 0
	v_dual_mov_b32 v17, 0 :: v_dual_mov_b32 v16, 0
	s_mov_b32 s2, exec_lo
	v_cmpx_gt_u32_e64 s4, v38
	s_cbranch_execz .LBB174_15
; %bb.17:                               ;   in Loop: Header=BB174_16 Depth=2
	s_mov_b32 s22, exec_lo
                                        ; implicit-def: $vgpr19
	v_cmpx_lt_u32_e32 0x7fff, v38
	s_xor_b32 s22, exec_lo, s22
	s_cbranch_execz .LBB174_19
; %bb.18:                               ;   in Loop: Header=BB174_16 Depth=2
	v_mov_b32_e32 v39, v34
	s_delay_alu instid0(VALU_DEP_1) | instskip(NEXT) | instid1(VALU_DEP_1)
	v_lshlrev_b64 v[16:17], 1, v[38:39]
	v_add_co_u32 v16, vcc_lo, s8, v16
	s_delay_alu instid0(VALU_DEP_2)
	v_add_co_ci_u32_e32 v17, vcc_lo, s9, v17, vcc_lo
	global_load_b128 v[16:19], v[16:17], off
.LBB174_19:                             ;   in Loop: Header=BB174_16 Depth=2
	s_and_not1_saveexec_b32 s22, s22
	s_cbranch_execz .LBB174_21
; %bb.20:                               ;   in Loop: Header=BB174_16 Depth=2
	s_waitcnt vmcnt(0)
	ds_load_b128 v[16:19], v47
.LBB174_21:                             ;   in Loop: Header=BB174_16 Depth=2
	s_or_b32 exec_lo, exec_lo, s22
	v_dual_mov_b32 v31, 0 :: v_dual_mov_b32 v30, 0
	v_dual_mov_b32 v29, 0 :: v_dual_mov_b32 v28, 0
	;; [unrolled: 1-line block ×6, first 2 shown]
	s_mov_b32 s22, exec_lo
	v_cmpx_gt_u32_e64 s4, v37
	s_cbranch_execz .LBB174_14
; %bb.22:                               ;   in Loop: Header=BB174_16 Depth=2
	s_mov_b32 s23, exec_lo
                                        ; implicit-def: $vgpr23
	v_cmpx_lt_u32_e32 0x7fff, v37
	s_xor_b32 s23, exec_lo, s23
	s_cbranch_execz .LBB174_24
; %bb.23:                               ;   in Loop: Header=BB174_16 Depth=2
	v_mov_b32_e32 v38, v34
	s_delay_alu instid0(VALU_DEP_1) | instskip(NEXT) | instid1(VALU_DEP_1)
	v_lshlrev_b64 v[20:21], 1, v[37:38]
	v_add_co_u32 v20, vcc_lo, s8, v20
	s_delay_alu instid0(VALU_DEP_2)
	v_add_co_ci_u32_e32 v21, vcc_lo, s9, v21, vcc_lo
	global_load_b128 v[20:23], v[20:21], off
.LBB174_24:                             ;   in Loop: Header=BB174_16 Depth=2
	s_and_not1_saveexec_b32 s23, s23
	s_cbranch_execz .LBB174_26
; %bb.25:                               ;   in Loop: Header=BB174_16 Depth=2
	s_waitcnt vmcnt(0)
	ds_load_b128 v[20:23], v47 offset:1024
.LBB174_26:                             ;   in Loop: Header=BB174_16 Depth=2
	s_or_b32 exec_lo, exec_lo, s23
	v_dual_mov_b32 v31, 0 :: v_dual_mov_b32 v30, 0
	v_dual_mov_b32 v29, 0 :: v_dual_mov_b32 v28, 0
	;; [unrolled: 1-line block ×4, first 2 shown]
	s_mov_b32 s23, exec_lo
	v_cmpx_gt_u32_e64 s4, v36
	s_cbranch_execz .LBB174_13
; %bb.27:                               ;   in Loop: Header=BB174_16 Depth=2
	s_mov_b32 s24, exec_lo
                                        ; implicit-def: $vgpr27
	v_cmpx_lt_u32_e32 0x7fff, v36
	s_xor_b32 s24, exec_lo, s24
	s_cbranch_execz .LBB174_29
; %bb.28:                               ;   in Loop: Header=BB174_16 Depth=2
	v_mov_b32_e32 v37, v34
	s_delay_alu instid0(VALU_DEP_1) | instskip(NEXT) | instid1(VALU_DEP_1)
	v_lshlrev_b64 v[24:25], 1, v[36:37]
	v_add_co_u32 v24, vcc_lo, s8, v24
	s_delay_alu instid0(VALU_DEP_2)
	v_add_co_ci_u32_e32 v25, vcc_lo, s9, v25, vcc_lo
	global_load_b128 v[24:27], v[24:25], off
.LBB174_29:                             ;   in Loop: Header=BB174_16 Depth=2
	s_and_not1_saveexec_b32 s24, s24
	s_cbranch_execz .LBB174_31
; %bb.30:                               ;   in Loop: Header=BB174_16 Depth=2
	s_waitcnt vmcnt(0)
	ds_load_b128 v[24:27], v47 offset:2048
.LBB174_31:                             ;   in Loop: Header=BB174_16 Depth=2
	s_or_b32 exec_lo, exec_lo, s24
	v_dual_mov_b32 v31, 0 :: v_dual_mov_b32 v30, 0
	v_dual_mov_b32 v29, 0 :: v_dual_mov_b32 v28, 0
	s_mov_b32 s24, exec_lo
	v_cmpx_gt_u32_e64 s4, v35
	s_cbranch_execz .LBB174_12
; %bb.32:                               ;   in Loop: Header=BB174_16 Depth=2
	s_mov_b32 s25, exec_lo
                                        ; implicit-def: $vgpr31
	v_cmpx_lt_u32_e32 0x7fff, v35
	s_xor_b32 s25, exec_lo, s25
	s_cbranch_execz .LBB174_34
; %bb.33:                               ;   in Loop: Header=BB174_16 Depth=2
	v_mov_b32_e32 v36, v34
	s_delay_alu instid0(VALU_DEP_1) | instskip(NEXT) | instid1(VALU_DEP_1)
	v_lshlrev_b64 v[28:29], 1, v[35:36]
	v_add_co_u32 v28, vcc_lo, s8, v28
	s_delay_alu instid0(VALU_DEP_2)
	v_add_co_ci_u32_e32 v29, vcc_lo, s9, v29, vcc_lo
	global_load_b128 v[28:31], v[28:29], off
.LBB174_34:                             ;   in Loop: Header=BB174_16 Depth=2
	s_and_not1_saveexec_b32 s25, s25
	s_cbranch_execz .LBB174_11
; %bb.35:                               ;   in Loop: Header=BB174_16 Depth=2
	s_waitcnt vmcnt(0)
	ds_load_b128 v[28:31], v47 offset:3072
	s_branch .LBB174_11
.LBB174_36:                             ;   in Loop: Header=BB174_9 Depth=1
	s_delay_alu instid0(VALU_DEP_1) | instskip(NEXT) | instid1(VALU_DEP_1)
	v_cvt_i32_f32_e32 v0, v48
	v_cvt_f32_i32_dpp v0, v0 row_shr:8 row_mask:0xf bank_mask:0xf bound_ctrl:1
	s_delay_alu instid0(VALU_DEP_1) | instskip(NEXT) | instid1(VALU_DEP_1)
	v_add_f32_e32 v0, v48, v0
	v_cvt_i32_f32_e32 v1, v0
	s_delay_alu instid0(VALU_DEP_1) | instskip(NEXT) | instid1(VALU_DEP_1)
	v_cvt_f32_i32_dpp v1, v1 row_shr:4 row_mask:0xf bank_mask:0xf bound_ctrl:1
	v_add_f32_e32 v0, v0, v1
	s_delay_alu instid0(VALU_DEP_1) | instskip(NEXT) | instid1(VALU_DEP_1)
	v_cvt_i32_f32_e32 v1, v0
	v_cvt_f32_i32_dpp v1, v1 row_shr:2 row_mask:0xf bank_mask:0xf bound_ctrl:1
	s_delay_alu instid0(VALU_DEP_1) | instskip(NEXT) | instid1(VALU_DEP_1)
	v_add_f32_e32 v0, v0, v1
	v_cvt_i32_f32_e32 v1, v0
	s_delay_alu instid0(VALU_DEP_1) | instskip(NEXT) | instid1(VALU_DEP_1)
	v_cvt_f32_i32_dpp v1, v1 row_shr:1 row_mask:0xf bank_mask:0xf bound_ctrl:1
	v_add_f32_e32 v0, v0, v1
	ds_bpermute_b32 v1, v43, v0
	s_and_saveexec_b32 s1, s0
	s_cbranch_execz .LBB174_8
; %bb.37:                               ;   in Loop: Header=BB174_9 Depth=1
	s_and_not1_b32 vcc_lo, exec_lo, s20
	s_cbranch_vccnz .LBB174_39
; %bb.38:                               ;   in Loop: Header=BB174_9 Depth=1
	s_waitcnt vmcnt(0)
	v_mul_hi_u32 v2, v32, v44
	s_delay_alu instid0(VALU_DEP_1) | instskip(NEXT) | instid1(VALU_DEP_1)
	v_mul_lo_u32 v2, v2, s3
	v_sub_nc_u32_e32 v2, v32, v2
	s_delay_alu instid0(VALU_DEP_1) | instskip(SKIP_1) | instid1(VALU_DEP_2)
	v_subrev_nc_u32_e32 v3, s3, v2
	v_cmp_le_u32_e32 vcc_lo, s3, v2
	v_cndmask_b32_e32 v2, v2, v3, vcc_lo
	s_delay_alu instid0(VALU_DEP_1) | instskip(SKIP_1) | instid1(VALU_DEP_2)
	v_subrev_nc_u32_e32 v3, s3, v2
	v_cmp_le_u32_e32 vcc_lo, s3, v2
	v_cndmask_b32_e32 v33, v2, v3, vcc_lo
	s_delay_alu instid0(VALU_DEP_1) | instskip(NEXT) | instid1(VALU_DEP_1)
	v_lshlrev_b64 v[2:3], 1, v[33:34]
	v_add_co_u32 v2, vcc_lo, s10, v2
	s_delay_alu instid0(VALU_DEP_2)
	v_add_co_ci_u32_e32 v3, vcc_lo, s11, v3, vcc_lo
	global_load_u16 v2, v[2:3], off
	v_cmp_ne_u32_e32 vcc_lo, 0, v40
	s_and_b32 exec_lo, exec_lo, vcc_lo
	s_cbranch_execz .LBB174_8
	s_branch .LBB174_40
.LBB174_39:                             ;   in Loop: Header=BB174_9 Depth=1
	s_waitcnt vmcnt(0)
	v_mov_b32_e32 v2, 0
	v_cmp_ne_u32_e32 vcc_lo, 0, v40
	s_and_b32 exec_lo, exec_lo, vcc_lo
	s_cbranch_execz .LBB174_8
.LBB174_40:                             ;   in Loop: Header=BB174_9 Depth=1
	s_waitcnt vmcnt(0) lgkmcnt(0)
	v_dual_add_f32 v0, v0, v1 :: v_dual_lshlrev_b32 v1, 16, v2
	s_delay_alu instid0(VALU_DEP_1) | instskip(NEXT) | instid1(VALU_DEP_1)
	v_add_f32_e32 v1, v0, v1
	v_and_b32_e32 v0, 0x7f800000, v1
	s_delay_alu instid0(VALU_DEP_1) | instskip(SKIP_1) | instid1(SALU_CYCLE_1)
	v_cmp_ne_u32_e32 vcc_lo, 0x7f800000, v0
                                        ; implicit-def: $vgpr0
	s_and_saveexec_b32 s2, vcc_lo
	s_xor_b32 s2, exec_lo, s2
; %bb.41:                               ;   in Loop: Header=BB174_9 Depth=1
	v_bfe_u32 v0, v1, 16, 1
	s_delay_alu instid0(VALU_DEP_1)
	v_add3_u32 v0, v1, v0, 0x7fff
                                        ; implicit-def: $vgpr1
; %bb.42:                               ;   in Loop: Header=BB174_9 Depth=1
	s_and_not1_saveexec_b32 s2, s2
	s_cbranch_execz .LBB174_7
; %bb.43:                               ;   in Loop: Header=BB174_9 Depth=1
	v_and_b32_e32 v0, 0xffff, v1
	v_or_b32_e32 v2, 0x10000, v1
	s_delay_alu instid0(VALU_DEP_2) | instskip(NEXT) | instid1(VALU_DEP_2)
	v_cmp_eq_u32_e32 vcc_lo, 0, v0
	v_cndmask_b32_e32 v0, v2, v1, vcc_lo
	s_branch .LBB174_7
.LBB174_44:
	s_nop 0
	s_sendmsg sendmsg(MSG_DEALLOC_VGPRS)
	s_endpgm
	.section	.rodata,"a",@progbits
	.p2align	6, 0x0
	.amdhsa_kernel _Z12wvSplitK_hf_I14__hip_bfloat16Li64ELi1ELi16ELi8ELi4ELi1EEviiiiiiPKT_S3_S3_PS1_ii
		.amdhsa_group_segment_fixed_size 65536
		.amdhsa_private_segment_fixed_size 0
		.amdhsa_kernarg_size 64
		.amdhsa_user_sgpr_count 15
		.amdhsa_user_sgpr_dispatch_ptr 0
		.amdhsa_user_sgpr_queue_ptr 0
		.amdhsa_user_sgpr_kernarg_segment_ptr 1
		.amdhsa_user_sgpr_dispatch_id 0
		.amdhsa_user_sgpr_private_segment_size 0
		.amdhsa_wavefront_size32 1
		.amdhsa_uses_dynamic_stack 0
		.amdhsa_enable_private_segment 0
		.amdhsa_system_sgpr_workgroup_id_x 1
		.amdhsa_system_sgpr_workgroup_id_y 0
		.amdhsa_system_sgpr_workgroup_id_z 0
		.amdhsa_system_sgpr_workgroup_info 0
		.amdhsa_system_vgpr_workitem_id 1
		.amdhsa_next_free_vgpr 49
		.amdhsa_next_free_sgpr 26
		.amdhsa_reserve_vcc 1
		.amdhsa_float_round_mode_32 0
		.amdhsa_float_round_mode_16_64 0
		.amdhsa_float_denorm_mode_32 3
		.amdhsa_float_denorm_mode_16_64 3
		.amdhsa_dx10_clamp 1
		.amdhsa_ieee_mode 1
		.amdhsa_fp16_overflow 0
		.amdhsa_workgroup_processor_mode 1
		.amdhsa_memory_ordered 1
		.amdhsa_forward_progress 0
		.amdhsa_shared_vgpr_count 0
		.amdhsa_exception_fp_ieee_invalid_op 0
		.amdhsa_exception_fp_denorm_src 0
		.amdhsa_exception_fp_ieee_div_zero 0
		.amdhsa_exception_fp_ieee_overflow 0
		.amdhsa_exception_fp_ieee_underflow 0
		.amdhsa_exception_fp_ieee_inexact 0
		.amdhsa_exception_int_div_zero 0
	.end_amdhsa_kernel
	.section	.text._Z12wvSplitK_hf_I14__hip_bfloat16Li64ELi1ELi16ELi8ELi4ELi1EEviiiiiiPKT_S3_S3_PS1_ii,"axG",@progbits,_Z12wvSplitK_hf_I14__hip_bfloat16Li64ELi1ELi16ELi8ELi4ELi1EEviiiiiiPKT_S3_S3_PS1_ii,comdat
.Lfunc_end174:
	.size	_Z12wvSplitK_hf_I14__hip_bfloat16Li64ELi1ELi16ELi8ELi4ELi1EEviiiiiiPKT_S3_S3_PS1_ii, .Lfunc_end174-_Z12wvSplitK_hf_I14__hip_bfloat16Li64ELi1ELi16ELi8ELi4ELi1EEviiiiiiPKT_S3_S3_PS1_ii
                                        ; -- End function
	.section	.AMDGPU.csdata,"",@progbits
; Kernel info:
; codeLenInByte = 2564
; NumSgprs: 28
; NumVgprs: 49
; ScratchSize: 0
; MemoryBound: 0
; FloatMode: 240
; IeeeMode: 1
; LDSByteSize: 65536 bytes/workgroup (compile time only)
; SGPRBlocks: 3
; VGPRBlocks: 6
; NumSGPRsForWavesPerEU: 28
; NumVGPRsForWavesPerEU: 49
; Occupancy: 16
; WaveLimiterHint : 0
; COMPUTE_PGM_RSRC2:SCRATCH_EN: 0
; COMPUTE_PGM_RSRC2:USER_SGPR: 15
; COMPUTE_PGM_RSRC2:TRAP_HANDLER: 0
; COMPUTE_PGM_RSRC2:TGID_X_EN: 1
; COMPUTE_PGM_RSRC2:TGID_Y_EN: 0
; COMPUTE_PGM_RSRC2:TGID_Z_EN: 0
; COMPUTE_PGM_RSRC2:TIDIG_COMP_CNT: 1
	.section	.text._Z16wvSplitK_hf_big_I14__hip_bfloat16Li64ELi1ELi16ELi8ELi4ELi1EEviiiiiiPKT_S3_S3_PS1_ii,"axG",@progbits,_Z16wvSplitK_hf_big_I14__hip_bfloat16Li64ELi1ELi16ELi8ELi4ELi1EEviiiiiiPKT_S3_S3_PS1_ii,comdat
	.protected	_Z16wvSplitK_hf_big_I14__hip_bfloat16Li64ELi1ELi16ELi8ELi4ELi1EEviiiiiiPKT_S3_S3_PS1_ii ; -- Begin function _Z16wvSplitK_hf_big_I14__hip_bfloat16Li64ELi1ELi16ELi8ELi4ELi1EEviiiiiiPKT_S3_S3_PS1_ii
	.globl	_Z16wvSplitK_hf_big_I14__hip_bfloat16Li64ELi1ELi16ELi8ELi4ELi1EEviiiiiiPKT_S3_S3_PS1_ii
	.p2align	8
	.type	_Z16wvSplitK_hf_big_I14__hip_bfloat16Li64ELi1ELi16ELi8ELi4ELi1EEviiiiiiPKT_S3_S3_PS1_ii,@function
_Z16wvSplitK_hf_big_I14__hip_bfloat16Li64ELi1ELi16ELi8ELi4ELi1EEviiiiiiPKT_S3_S3_PS1_ii: ; @_Z16wvSplitK_hf_big_I14__hip_bfloat16Li64ELi1ELi16ELi8ELi4ELi1EEviiiiiiPKT_S3_S3_PS1_ii
; %bb.0:
	s_load_b64 s[12:13], s[0:1], 0x38
	v_bfe_u32 v1, v0, 10, 10
	s_mov_b32 s2, exec_lo
	s_waitcnt lgkmcnt(0)
	s_delay_alu instid0(VALU_DEP_1)
	v_cmpx_gt_u32_e64 s12, v1
	s_cbranch_execz .LBB175_42
; %bb.1:
	s_load_b128 s[16:19], s[0:1], 0x0
	v_mad_u64_u32 v[32:33], null, s15, s12, v[1:2]
	s_delay_alu instid0(VALU_DEP_1) | instskip(SKIP_2) | instid1(VALU_DEP_2)
	v_dual_mov_b32 v35, 1 :: v_dual_add_nc_u32 v2, 1, v32
	s_waitcnt lgkmcnt(0)
	v_cmp_gt_u32_e32 vcc_lo, s19, v32
	v_cmp_le_u32_e64 s2, s19, v2
	s_delay_alu instid0(VALU_DEP_1) | instskip(NEXT) | instid1(SALU_CYCLE_1)
	s_and_b32 s3, vcc_lo, s2
	s_and_saveexec_b32 s2, s3
; %bb.2:
	v_subrev_nc_u32_e32 v2, s19, v32
	s_add_i32 s3, s19, -1
	s_delay_alu instid0(SALU_CYCLE_1) | instskip(NEXT) | instid1(VALU_DEP_2)
	v_mov_b32_e32 v32, s3
	v_cmp_eq_u32_e32 vcc_lo, -1, v2
	v_cndmask_b32_e64 v35, 0, 1, vcc_lo
; %bb.3:
	s_or_b32 exec_lo, exec_lo, s2
	s_abs_i32 s2, s12
	s_abs_i32 s5, s19
	v_cvt_f32_u32_e32 v2, s2
	s_sub_i32 s4, 0, s2
	s_mov_b32 s14, 0
	s_delay_alu instid0(VALU_DEP_1) | instskip(SKIP_2) | instid1(VALU_DEP_1)
	v_rcp_iflag_f32_e32 v2, v2
	s_waitcnt_depctr 0xfff
	v_mul_f32_e32 v2, 0x4f7ffffe, v2
	v_cvt_u32_f32_e32 v2, v2
	s_delay_alu instid0(VALU_DEP_1) | instskip(NEXT) | instid1(VALU_DEP_1)
	v_readfirstlane_b32 s3, v2
	s_mul_i32 s4, s4, s3
	s_delay_alu instid0(SALU_CYCLE_1) | instskip(NEXT) | instid1(SALU_CYCLE_1)
	s_mul_hi_u32 s4, s3, s4
	s_add_i32 s3, s3, s4
	s_ashr_i32 s4, s19, 31
	s_mul_hi_u32 s3, s5, s3
	s_delay_alu instid0(SALU_CYCLE_1) | instskip(NEXT) | instid1(SALU_CYCLE_1)
	s_mul_i32 s3, s3, s2
	s_sub_i32 s3, s5, s3
	s_delay_alu instid0(SALU_CYCLE_1) | instskip(SKIP_2) | instid1(SALU_CYCLE_1)
	s_sub_i32 s5, s3, s2
	s_cmp_ge_u32 s3, s2
	s_cselect_b32 s3, s5, s3
	s_sub_i32 s5, s3, s2
	s_cmp_ge_u32 s3, s2
	s_cselect_b32 s2, s5, s3
	s_add_i32 s3, s12, s19
	s_xor_b32 s2, s2, s4
	s_delay_alu instid0(SALU_CYCLE_1) | instskip(NEXT) | instid1(SALU_CYCLE_1)
	s_sub_i32 s2, s2, s4
	s_sub_i32 s3, s3, s2
	s_cmp_eq_u32 s2, 0
	s_cselect_b32 s3, s19, s3
	s_delay_alu instid0(SALU_CYCLE_1)
	v_cmp_gt_u32_e32 vcc_lo, s3, v32
	s_and_b32 exec_lo, exec_lo, vcc_lo
	s_cbranch_execz .LBB175_42
; %bb.4:
	s_clause 0x1
	s_load_b32 s15, s[0:1], 0x10
	s_load_b256 s[4:11], s[0:1], 0x18
	s_min_u32 s20, s18, 0x8000
	s_cmp_lg_u32 s16, 0
	v_and_b32_e32 v0, 0x3ff, v0
	s_cselect_b32 s21, -1, 0
	s_cmp_lg_u32 s18, 0
	s_mul_i32 s13, s13, s12
	s_cselect_b32 s22, -1, 0
	s_lshl_b32 s23, s12, 9
	s_add_i32 s24, s16, -8
	s_add_i32 s25, s19, -1
	v_lshlrev_b32_e32 v4, 4, v0
	v_lshlrev_b32_e32 v36, 3, v0
	v_mbcnt_lo_u32_b32 v40, -1, 0
	s_delay_alu instid0(VALU_DEP_3) | instskip(NEXT) | instid1(VALU_DEP_3)
	v_lshl_add_u32 v37, v1, 10, v4
	v_lshl_add_u32 v38, v1, 9, v36
	s_waitcnt lgkmcnt(0)
	v_cvt_f32_u32_e32 v2, s15
	s_cmp_lg_u64 s[8:9], 0
	s_cselect_b32 s26, -1, 0
	s_sub_i32 s0, 0, s15
	s_delay_alu instid0(VALU_DEP_1)
	v_rcp_iflag_f32_e32 v2, v2
	s_sub_i32 s27, s13, s19
	s_lshl_b32 s12, s12, 10
	s_add_i32 s27, s27, 2
	s_waitcnt_depctr 0xfff
	v_mul_f32_e32 v2, 0x4f7ffffe, v2
	s_delay_alu instid0(VALU_DEP_1) | instskip(NEXT) | instid1(VALU_DEP_1)
	v_cvt_u32_f32_e32 v2, v2
	v_mul_lo_u32 v3, s0, v2
	v_cmp_eq_u32_e64 s0, 63, v0
	s_delay_alu instid0(VALU_DEP_2) | instskip(NEXT) | instid1(VALU_DEP_1)
	v_mul_hi_u32 v3, v2, v3
	v_dual_mov_b32 v34, 0 :: v_dual_add_nc_u32 v39, v2, v3
	s_branch .LBB175_7
.LBB175_5:                              ;   in Loop: Header=BB175_7 Depth=1
	s_or_b32 exec_lo, exec_lo, s1
.LBB175_6:                              ;   in Loop: Header=BB175_7 Depth=1
	s_delay_alu instid0(SALU_CYCLE_1) | instskip(NEXT) | instid1(VALU_DEP_1)
	s_or_b32 exec_lo, exec_lo, s2
	v_cmp_le_u32_e32 vcc_lo, s3, v0
	v_mov_b32_e32 v32, v0
	s_or_b32 s14, vcc_lo, s14
	s_delay_alu instid0(SALU_CYCLE_1)
	s_and_not1_b32 exec_lo, exec_lo, s14
	s_cbranch_execz .LBB175_42
.LBB175_7:                              ; =>This Loop Header: Depth=1
                                        ;     Child Loop BB175_14 Depth 2
                                        ;       Child Loop BB175_19 Depth 3
	s_delay_alu instid0(VALU_DEP_1)
	v_mov_b32_e32 v43, v34
	s_and_not1_b32 vcc_lo, exec_lo, s21
	s_cbranch_vccnz .LBB175_28
; %bb.8:                                ;   in Loop: Header=BB175_7 Depth=1
	v_min_u32_e32 v0, s25, v32
	v_cmp_gt_u32_e64 s1, s19, v32
	v_mov_b32_e32 v43, 0
	s_mov_b32 s28, 0
	s_mov_b32 s29, 0
	v_mul_lo_u32 v33, v0, s17
	s_delay_alu instid0(VALU_DEP_1) | instskip(NEXT) | instid1(VALU_DEP_1)
	v_lshlrev_b64 v[0:1], 1, v[33:34]
	v_add_co_u32 v41, vcc_lo, s4, v0
	s_delay_alu instid0(VALU_DEP_2)
	v_add_co_ci_u32_e32 v42, vcc_lo, s5, v1, vcc_lo
	s_branch .LBB175_14
.LBB175_9:                              ;   in Loop: Header=BB175_14 Depth=2
	s_or_b32 exec_lo, exec_lo, s34
.LBB175_10:                             ;   in Loop: Header=BB175_14 Depth=2
	s_delay_alu instid0(SALU_CYCLE_1)
	s_or_b32 exec_lo, exec_lo, s33
.LBB175_11:                             ;   in Loop: Header=BB175_14 Depth=2
	s_delay_alu instid0(SALU_CYCLE_1)
	s_or_b32 exec_lo, exec_lo, s31
.LBB175_12:                             ;   in Loop: Header=BB175_14 Depth=2
	s_delay_alu instid0(SALU_CYCLE_1)
	s_or_b32 exec_lo, exec_lo, s30
	s_waitcnt vmcnt(3)
	v_and_b32_e32 v44, 0xffff0000, v24
	s_waitcnt lgkmcnt(0)
	v_and_b32_e32 v45, 0xffff0000, v29
	v_and_b32_e32 v46, 0xffff0000, v25
	;; [unrolled: 1-line block ×3, first 2 shown]
	v_lshlrev_b32_e32 v28, 16, v28
	v_lshlrev_b32_e32 v24, 16, v24
	s_delay_alu instid0(VALU_DEP_3) | instskip(NEXT) | instid1(VALU_DEP_1)
	v_mul_f32_e32 v33, v33, v44
	v_dual_fmac_f32 v33, v28, v24 :: v_dual_and_b32 v24, 0xffff0000, v30
	v_and_b32_e32 v28, 0xffff0000, v26
	v_lshlrev_b32_e32 v30, 16, v30
	v_lshlrev_b32_e32 v26, 16, v26
	s_delay_alu instid0(VALU_DEP_3) | instskip(SKIP_2) | instid1(VALU_DEP_3)
	v_dual_mul_f32 v24, v24, v28 :: v_dual_lshlrev_b32 v29, 16, v29
	v_mul_f32_e32 v44, v45, v46
	v_and_b32_e32 v28, 0xffff0000, v31
	v_fmac_f32_e32 v24, v30, v26
	v_lshlrev_b32_e32 v26, 16, v31
	v_lshlrev_b32_e32 v25, 16, v25
	s_waitcnt vmcnt(2)
	v_and_b32_e32 v30, 0xffff0000, v16
	v_lshlrev_b32_e32 v16, 16, v16
	s_delay_alu instid0(VALU_DEP_3) | instskip(SKIP_1) | instid1(VALU_DEP_2)
	v_dual_fmac_f32 v44, v29, v25 :: v_dual_and_b32 v29, 0xffff0000, v27
	v_add_f32_e32 v25, v43, v33
	v_dual_mul_f32 v28, v28, v29 :: v_dual_lshlrev_b32 v27, 16, v27
	s_delay_alu instid0(VALU_DEP_1) | instskip(NEXT) | instid1(VALU_DEP_1)
	v_dual_add_f32 v25, v25, v44 :: v_dual_fmac_f32 v28, v26, v27
	v_dual_add_f32 v24, v25, v24 :: v_dual_and_b32 v27, 0xffff0000, v17
	v_and_b32_e32 v26, 0xffff0000, v21
	v_and_b32_e32 v29, 0xffff0000, v20
	v_lshlrev_b32_e32 v20, 16, v20
	s_delay_alu instid0(VALU_DEP_4) | instskip(NEXT) | instid1(VALU_DEP_3)
	v_dual_add_f32 v24, v24, v28 :: v_dual_lshlrev_b32 v17, 16, v17
	v_mul_f32_e32 v25, v29, v30
	s_delay_alu instid0(VALU_DEP_1) | instskip(SKIP_2) | instid1(VALU_DEP_3)
	v_dual_fmac_f32 v25, v20, v16 :: v_dual_lshlrev_b32 v16, 16, v21
	v_dual_mul_f32 v20, v26, v27 :: v_dual_and_b32 v21, 0xffff0000, v22
	v_and_b32_e32 v26, 0xffff0000, v18
	v_add_f32_e32 v24, v24, v25
	s_delay_alu instid0(VALU_DEP_3) | instskip(SKIP_1) | instid1(VALU_DEP_4)
	v_dual_fmac_f32 v20, v16, v17 :: v_dual_lshlrev_b32 v17, 16, v18
	v_lshlrev_b32_e32 v16, 16, v22
	v_dual_mul_f32 v18, v21, v26 :: v_dual_and_b32 v21, 0xffff0000, v23
	v_and_b32_e32 v22, 0xffff0000, v19
	s_delay_alu instid0(VALU_DEP_4) | instskip(NEXT) | instid1(VALU_DEP_3)
	v_add_f32_e32 v20, v24, v20
	v_fmac_f32_e32 v18, v16, v17
	v_lshlrev_b32_e32 v16, 16, v23
	v_lshlrev_b32_e32 v17, 16, v19
	v_mul_f32_e32 v19, v21, v22
	v_and_b32_e32 v21, 0xffff0000, v12
	s_waitcnt vmcnt(1)
	v_and_b32_e32 v22, 0xffff0000, v8
	v_add_f32_e32 v18, v20, v18
	v_dual_fmac_f32 v19, v16, v17 :: v_dual_lshlrev_b32 v12, 16, v12
	v_and_b32_e32 v17, 0xffff0000, v13
	v_lshlrev_b32_e32 v8, 16, v8
	v_mul_f32_e32 v16, v21, v22
	v_and_b32_e32 v20, 0xffff0000, v9
	v_dual_add_f32 v18, v18, v19 :: v_dual_lshlrev_b32 v9, 16, v9
	s_delay_alu instid0(VALU_DEP_3) | instskip(SKIP_1) | instid1(VALU_DEP_4)
	v_fmac_f32_e32 v16, v12, v8
	v_lshlrev_b32_e32 v8, 16, v13
	v_dual_mul_f32 v12, v17, v20 :: v_dual_and_b32 v13, 0xffff0000, v14
	s_delay_alu instid0(VALU_DEP_3) | instskip(NEXT) | instid1(VALU_DEP_2)
	v_dual_add_f32 v16, v18, v16 :: v_dual_and_b32 v17, 0xffff0000, v10
	v_fmac_f32_e32 v12, v8, v9
	v_lshlrev_b32_e32 v8, 16, v14
	s_delay_alu instid0(VALU_DEP_3) | instskip(SKIP_2) | instid1(VALU_DEP_3)
	v_dual_mul_f32 v10, v13, v17 :: v_dual_lshlrev_b32 v9, 16, v10
	v_and_b32_e32 v13, 0xffff0000, v15
	v_and_b32_e32 v14, 0xffff0000, v11
	v_fmac_f32_e32 v10, v8, v9
	v_lshlrev_b32_e32 v8, 16, v15
	v_lshlrev_b32_e32 v9, 16, v11
	s_delay_alu instid0(VALU_DEP_4)
	v_mul_f32_e32 v11, v13, v14
	v_and_b32_e32 v13, 0xffff0000, v4
	s_waitcnt vmcnt(0)
	v_and_b32_e32 v14, 0xffff0000, v0
	v_add_f32_e32 v12, v16, v12
	v_dual_fmac_f32 v11, v8, v9 :: v_dual_lshlrev_b32 v4, 16, v4
	v_and_b32_e32 v9, 0xffff0000, v5
	v_lshlrev_b32_e32 v0, 16, v0
	v_mul_f32_e32 v8, v13, v14
	s_delay_alu instid0(VALU_DEP_1) | instskip(SKIP_4) | instid1(VALU_DEP_2)
	v_fmac_f32_e32 v8, v4, v0
	v_lshlrev_b32_e32 v0, 16, v5
	v_and_b32_e32 v5, 0xffff0000, v6
	v_add_f32_e32 v10, v12, v10
	v_and_b32_e32 v12, 0xffff0000, v1
	v_dual_add_f32 v10, v10, v11 :: v_dual_lshlrev_b32 v1, 16, v1
	s_delay_alu instid0(VALU_DEP_2) | instskip(NEXT) | instid1(VALU_DEP_1)
	v_dual_mul_f32 v4, v9, v12 :: v_dual_and_b32 v9, 0xffff0000, v2
	v_fmac_f32_e32 v4, v0, v1
	v_lshlrev_b32_e32 v0, 16, v6
	s_delay_alu instid0(VALU_DEP_4) | instskip(NEXT) | instid1(VALU_DEP_4)
	v_dual_add_f32 v8, v10, v8 :: v_dual_lshlrev_b32 v1, 16, v2
	v_dual_mul_f32 v2, v5, v9 :: v_dual_and_b32 v5, 0xffff0000, v7
	v_and_b32_e32 v6, 0xffff0000, v3
	s_delay_alu instid0(VALU_DEP_3) | instskip(NEXT) | instid1(VALU_DEP_3)
	v_add_f32_e32 v4, v8, v4
	v_dual_fmac_f32 v2, v0, v1 :: v_dual_lshlrev_b32 v1, 16, v3
	s_delay_alu instid0(VALU_DEP_3) | instskip(NEXT) | instid1(VALU_DEP_2)
	v_dual_mul_f32 v3, v5, v6 :: v_dual_lshlrev_b32 v0, 16, v7
	v_add_f32_e32 v2, v4, v2
	s_delay_alu instid0(VALU_DEP_2) | instskip(NEXT) | instid1(VALU_DEP_1)
	v_fmac_f32_e32 v3, v0, v1
	v_add_f32_e32 v43, v2, v3
.LBB175_13:                             ;   in Loop: Header=BB175_14 Depth=2
	s_or_b32 exec_lo, exec_lo, s2
	s_addk_i32 s29, 0x800
	s_delay_alu instid0(SALU_CYCLE_1)
	s_cmp_ge_u32 s29, s16
	s_cbranch_scc1 .LBB175_28
.LBB175_14:                             ;   Parent Loop BB175_7 Depth=1
                                        ; =>  This Loop Header: Depth=2
                                        ;       Child Loop BB175_19 Depth 3
	s_cmp_eq_u32 s29, 0
	s_cselect_b32 s30, -1, 0
	s_add_i32 s2, s28, s20
	s_delay_alu instid0(SALU_CYCLE_1) | instskip(SKIP_1) | instid1(SALU_CYCLE_1)
	s_cmp_eq_u32 s29, s2
	s_cselect_b32 s31, -1, 0
	s_or_b32 s31, s30, s31
	s_delay_alu instid0(SALU_CYCLE_1)
	s_and_not1_b32 vcc_lo, exec_lo, s31
	s_cbranch_vccz .LBB175_16
; %bb.15:                               ;   in Loop: Header=BB175_14 Depth=2
	s_and_saveexec_b32 s2, s1
	s_cbranch_execz .LBB175_13
	s_branch .LBB175_23
.LBB175_16:                             ;   in Loop: Header=BB175_14 Depth=2
	s_and_b32 s30, s30, exec_lo
	s_cselect_b32 s28, s28, s2
	s_and_not1_b32 vcc_lo, exec_lo, s22
	s_waitcnt vmcnt(0)
	s_waitcnt_vscnt null, 0x0
	s_barrier
	buffer_gl0_inv
	s_cbranch_vccnz .LBB175_22
; %bb.17:                               ;   in Loop: Header=BB175_14 Depth=2
	v_dual_mov_b32 v1, v37 :: v_dual_add_nc_u32 v0, s28, v38
	s_mov_b32 s30, 0
	s_mov_b32 s31, 0
                                        ; implicit-def: $sgpr33
	s_set_inst_prefetch_distance 0x1
	s_branch .LBB175_19
	.p2align	6
.LBB175_18:                             ;   in Loop: Header=BB175_19 Depth=3
	s_or_b32 exec_lo, exec_lo, s2
	s_delay_alu instid0(SALU_CYCLE_1) | instskip(NEXT) | instid1(SALU_CYCLE_1)
	s_and_b32 s2, exec_lo, s33
	s_or_b32 s30, s2, s30
	s_delay_alu instid0(SALU_CYCLE_1)
	s_and_not1_b32 exec_lo, exec_lo, s30
	s_cbranch_execz .LBB175_21
.LBB175_19:                             ;   Parent Loop BB175_7 Depth=1
                                        ;     Parent Loop BB175_14 Depth=2
                                        ; =>    This Inner Loop Header: Depth=3
	v_add_nc_u32_e32 v33, s31, v0
	v_add_nc_u32_e32 v2, s31, v38
	s_or_b32 s33, s33, exec_lo
	s_delay_alu instid0(VALU_DEP_2) | instskip(NEXT) | instid1(VALU_DEP_2)
	v_cmp_gt_u32_e32 vcc_lo, s18, v33
	v_cmp_gt_u32_e64 s2, s20, v2
	s_delay_alu instid0(VALU_DEP_1) | instskip(NEXT) | instid1(SALU_CYCLE_1)
	s_and_b32 s34, s2, vcc_lo
	s_and_saveexec_b32 s2, s34
	s_cbranch_execz .LBB175_18
; %bb.20:                               ;   in Loop: Header=BB175_19 Depth=3
	v_lshlrev_b64 v[2:3], 1, v[33:34]
	s_add_i32 s31, s31, s23
	s_delay_alu instid0(SALU_CYCLE_1) | instskip(SKIP_1) | instid1(VALU_DEP_1)
	s_cmp_ge_u32 s31, s20
	s_cselect_b32 s34, -1, 0
	v_add_co_u32 v2, vcc_lo, s6, v2
	s_delay_alu instid0(VALU_DEP_2) | instskip(SKIP_2) | instid1(SALU_CYCLE_1)
	v_add_co_ci_u32_e32 v3, vcc_lo, s7, v3, vcc_lo
	s_and_not1_b32 s33, s33, exec_lo
	s_and_b32 s34, s34, exec_lo
	s_or_b32 s33, s33, s34
	global_load_b128 v[2:5], v[2:3], off
	s_waitcnt vmcnt(0)
	ds_store_b128 v1, v[2:5]
	v_add_nc_u32_e32 v1, s12, v1
	s_branch .LBB175_18
.LBB175_21:                             ;   in Loop: Header=BB175_14 Depth=2
	s_set_inst_prefetch_distance 0x2
	s_or_b32 exec_lo, exec_lo, s30
.LBB175_22:                             ;   in Loop: Header=BB175_14 Depth=2
	s_waitcnt lgkmcnt(0)
	s_barrier
	buffer_gl0_inv
	s_and_saveexec_b32 s2, s1
	s_cbranch_execz .LBB175_13
.LBB175_23:                             ;   in Loop: Header=BB175_14 Depth=2
	v_dual_mov_b32 v15, 0 :: v_dual_add_nc_u32 v46, s29, v36
	v_dual_mov_b32 v14, 0 :: v_dual_mov_b32 v13, 0
	v_mov_b32_e32 v12, 0
	s_delay_alu instid0(VALU_DEP_3)
	v_min_u32_e32 v33, s24, v46
	v_add_nc_u32_e32 v47, 0x200, v46
	v_add_nc_u32_e32 v45, 0x400, v46
	v_dual_mov_b32 v23, 0 :: v_dual_add_nc_u32 v44, 0x600, v46
	v_mov_b32_e32 v22, 0
	v_lshlrev_b64 v[0:1], 1, v[33:34]
	v_min_u32_e32 v33, s24, v47
	v_dual_mov_b32 v21, 0 :: v_dual_mov_b32 v20, 0
	v_dual_mov_b32 v31, 0 :: v_dual_mov_b32 v30, 0
	s_waitcnt vmcnt(0)
	s_delay_alu instid0(VALU_DEP_3) | instskip(SKIP_3) | instid1(VALU_DEP_3)
	v_lshlrev_b64 v[2:3], 1, v[33:34]
	v_min_u32_e32 v33, s24, v45
	v_add_co_u32 v0, vcc_lo, v41, v0
	v_add_co_ci_u32_e32 v1, vcc_lo, v42, v1, vcc_lo
	v_lshlrev_b64 v[4:5], 1, v[33:34]
	v_min_u32_e32 v33, s24, v44
	v_add_co_u32 v2, vcc_lo, v41, v2
	v_add_co_ci_u32_e32 v3, vcc_lo, v42, v3, vcc_lo
	s_delay_alu instid0(VALU_DEP_3) | instskip(SKIP_3) | instid1(VALU_DEP_4)
	v_lshlrev_b64 v[6:7], 1, v[33:34]
	v_add_co_u32 v4, vcc_lo, v41, v4
	v_add_co_ci_u32_e32 v5, vcc_lo, v42, v5, vcc_lo
	v_dual_mov_b32 v29, 0 :: v_dual_mov_b32 v28, 0
	v_add_co_u32 v6, vcc_lo, v41, v6
	v_add_co_ci_u32_e32 v7, vcc_lo, v42, v7, vcc_lo
	s_clause 0x3
	global_load_b128 v[24:27], v[0:1], off slc dlc
	global_load_b128 v[16:19], v[2:3], off slc dlc
	;; [unrolled: 1-line block ×4, first 2 shown]
	v_dual_mov_b32 v7, 0 :: v_dual_mov_b32 v6, 0
	v_dual_mov_b32 v5, 0 :: v_dual_mov_b32 v4, 0
	s_mov_b32 s30, exec_lo
	v_cmpx_gt_u32_e64 s16, v46
	s_cbranch_execz .LBB175_12
; %bb.24:                               ;   in Loop: Header=BB175_14 Depth=2
	v_subrev_nc_u32_e32 v4, s28, v46
	v_dual_mov_b32 v21, 0 :: v_dual_mov_b32 v22, 0
	v_dual_mov_b32 v23, 0 :: v_dual_mov_b32 v12, 0
	s_delay_alu instid0(VALU_DEP_3)
	v_dual_mov_b32 v20, 0 :: v_dual_lshlrev_b32 v33, 1, v4
	v_dual_mov_b32 v13, 0 :: v_dual_mov_b32 v14, 0
	v_dual_mov_b32 v15, 0 :: v_dual_mov_b32 v4, 0
	ds_load_b128 v[28:31], v33
	v_dual_mov_b32 v5, 0 :: v_dual_mov_b32 v6, 0
	v_mov_b32_e32 v7, 0
	s_mov_b32 s31, exec_lo
	v_cmpx_gt_u32_e64 s16, v47
	s_cbranch_execz .LBB175_11
; %bb.25:                               ;   in Loop: Header=BB175_14 Depth=2
	ds_load_b128 v[20:23], v33 offset:1024
	v_dual_mov_b32 v12, 0 :: v_dual_mov_b32 v13, 0
	v_dual_mov_b32 v14, 0 :: v_dual_mov_b32 v15, 0
	v_dual_mov_b32 v4, 0 :: v_dual_mov_b32 v5, 0
	v_dual_mov_b32 v6, 0 :: v_dual_mov_b32 v7, 0
	s_mov_b32 s33, exec_lo
	v_cmpx_gt_u32_e64 s16, v45
	s_cbranch_execz .LBB175_10
; %bb.26:                               ;   in Loop: Header=BB175_14 Depth=2
	ds_load_b128 v[12:15], v33 offset:2048
	v_dual_mov_b32 v4, 0 :: v_dual_mov_b32 v5, 0
	v_dual_mov_b32 v6, 0 :: v_dual_mov_b32 v7, 0
	s_mov_b32 s34, exec_lo
	v_cmpx_gt_u32_e64 s16, v44
	s_cbranch_execz .LBB175_9
; %bb.27:                               ;   in Loop: Header=BB175_14 Depth=2
	ds_load_b128 v[4:7], v33 offset:3072
	s_branch .LBB175_9
.LBB175_28:                             ;   in Loop: Header=BB175_7 Depth=1
	s_mov_b32 s1, exec_lo
                                        ; implicit-def: $vgpr0
	v_cmpx_le_u32_e64 s19, v32
	s_xor_b32 s1, exec_lo, s1
; %bb.29:                               ;   in Loop: Header=BB175_7 Depth=1
	v_add_nc_u32_e32 v0, s13, v32
                                        ; implicit-def: $vgpr32
                                        ; implicit-def: $vgpr43
; %bb.30:                               ;   in Loop: Header=BB175_7 Depth=1
	s_and_not1_saveexec_b32 s2, s1
	s_cbranch_execz .LBB175_6
; %bb.31:                               ;   in Loop: Header=BB175_7 Depth=1
	v_cvt_i32_f32_e32 v0, v43
	s_waitcnt vmcnt(0)
	v_xor_b32_e32 v2, 16, v40
	s_delay_alu instid0(VALU_DEP_2) | instskip(NEXT) | instid1(VALU_DEP_2)
	v_cvt_f32_i32_dpp v0, v0 row_shr:8 row_mask:0xf bank_mask:0xf bound_ctrl:1
	v_cmp_gt_i32_e32 vcc_lo, 32, v2
	v_cndmask_b32_e32 v2, v40, v2, vcc_lo
	s_delay_alu instid0(VALU_DEP_3) | instskip(NEXT) | instid1(VALU_DEP_1)
	v_add_f32_e32 v0, v43, v0
	v_cvt_i32_f32_e32 v1, v0
	s_delay_alu instid0(VALU_DEP_1) | instskip(NEXT) | instid1(VALU_DEP_1)
	v_cvt_f32_i32_dpp v1, v1 row_shr:4 row_mask:0xf bank_mask:0xf bound_ctrl:1
	v_add_f32_e32 v0, v0, v1
	s_delay_alu instid0(VALU_DEP_1) | instskip(NEXT) | instid1(VALU_DEP_1)
	v_cvt_i32_f32_e32 v1, v0
	v_cvt_f32_i32_dpp v1, v1 row_shr:2 row_mask:0xf bank_mask:0xf bound_ctrl:1
	s_delay_alu instid0(VALU_DEP_1) | instskip(NEXT) | instid1(VALU_DEP_1)
	v_add_f32_e32 v0, v0, v1
	v_cvt_i32_f32_e32 v1, v0
	s_delay_alu instid0(VALU_DEP_1) | instskip(NEXT) | instid1(VALU_DEP_1)
	v_cvt_f32_i32_dpp v1, v1 row_shr:1 row_mask:0xf bank_mask:0xf bound_ctrl:1
	v_dual_add_f32 v0, v0, v1 :: v_dual_lshlrev_b32 v1, 2, v2
	ds_bpermute_b32 v1, v1, v0
	s_and_saveexec_b32 s1, s0
	s_cbranch_execz .LBB175_40
; %bb.32:                               ;   in Loop: Header=BB175_7 Depth=1
	s_and_not1_b32 vcc_lo, exec_lo, s26
	s_cbranch_vccnz .LBB175_34
; %bb.33:                               ;   in Loop: Header=BB175_7 Depth=1
	v_mul_hi_u32 v2, v32, v39
	s_delay_alu instid0(VALU_DEP_1) | instskip(NEXT) | instid1(VALU_DEP_1)
	v_mul_lo_u32 v2, v2, s15
	v_sub_nc_u32_e32 v2, v32, v2
	s_delay_alu instid0(VALU_DEP_1) | instskip(SKIP_1) | instid1(VALU_DEP_2)
	v_subrev_nc_u32_e32 v3, s15, v2
	v_cmp_le_u32_e32 vcc_lo, s15, v2
	v_cndmask_b32_e32 v2, v2, v3, vcc_lo
	s_delay_alu instid0(VALU_DEP_1) | instskip(SKIP_1) | instid1(VALU_DEP_2)
	v_subrev_nc_u32_e32 v3, s15, v2
	v_cmp_le_u32_e32 vcc_lo, s15, v2
	v_cndmask_b32_e32 v33, v2, v3, vcc_lo
	s_delay_alu instid0(VALU_DEP_1) | instskip(NEXT) | instid1(VALU_DEP_1)
	v_lshlrev_b64 v[2:3], 1, v[33:34]
	v_add_co_u32 v2, vcc_lo, s8, v2
	s_delay_alu instid0(VALU_DEP_2)
	v_add_co_ci_u32_e32 v3, vcc_lo, s9, v3, vcc_lo
	global_load_u16 v2, v[2:3], off
	v_cmp_ne_u32_e32 vcc_lo, 0, v35
	s_and_b32 exec_lo, exec_lo, vcc_lo
	s_cbranch_execnz .LBB175_35
	s_branch .LBB175_40
.LBB175_34:                             ;   in Loop: Header=BB175_7 Depth=1
	v_mov_b32_e32 v2, 0
	v_cmp_ne_u32_e32 vcc_lo, 0, v35
	s_and_b32 exec_lo, exec_lo, vcc_lo
	s_cbranch_execz .LBB175_40
.LBB175_35:                             ;   in Loop: Header=BB175_7 Depth=1
	s_waitcnt vmcnt(0) lgkmcnt(0)
	v_dual_add_f32 v0, v0, v1 :: v_dual_lshlrev_b32 v1, 16, v2
	s_delay_alu instid0(VALU_DEP_1) | instskip(NEXT) | instid1(VALU_DEP_1)
	v_add_f32_e32 v1, v0, v1
	v_and_b32_e32 v0, 0x7f800000, v1
	s_delay_alu instid0(VALU_DEP_1) | instskip(SKIP_1) | instid1(SALU_CYCLE_1)
	v_cmp_ne_u32_e32 vcc_lo, 0x7f800000, v0
                                        ; implicit-def: $vgpr0
	s_and_saveexec_b32 s28, vcc_lo
	s_xor_b32 s28, exec_lo, s28
; %bb.36:                               ;   in Loop: Header=BB175_7 Depth=1
	v_bfe_u32 v0, v1, 16, 1
	s_delay_alu instid0(VALU_DEP_1)
	v_add3_u32 v0, v1, v0, 0x7fff
                                        ; implicit-def: $vgpr1
; %bb.37:                               ;   in Loop: Header=BB175_7 Depth=1
	s_and_not1_saveexec_b32 s28, s28
; %bb.38:                               ;   in Loop: Header=BB175_7 Depth=1
	v_and_b32_e32 v0, 0xffff, v1
	v_or_b32_e32 v2, 0x10000, v1
	s_delay_alu instid0(VALU_DEP_2) | instskip(NEXT) | instid1(VALU_DEP_2)
	v_cmp_eq_u32_e32 vcc_lo, 0, v0
	v_cndmask_b32_e32 v0, v2, v1, vcc_lo
; %bb.39:                               ;   in Loop: Header=BB175_7 Depth=1
	s_or_b32 exec_lo, exec_lo, s28
	v_mov_b32_e32 v33, v34
	s_delay_alu instid0(VALU_DEP_1) | instskip(NEXT) | instid1(VALU_DEP_1)
	v_lshlrev_b64 v[1:2], 1, v[32:33]
	v_add_co_u32 v1, vcc_lo, s10, v1
	s_delay_alu instid0(VALU_DEP_2)
	v_add_co_ci_u32_e32 v2, vcc_lo, s11, v2, vcc_lo
	global_store_d16_hi_b16 v[1:2], v0, off
.LBB175_40:                             ;   in Loop: Header=BB175_7 Depth=1
	s_or_b32 exec_lo, exec_lo, s1
	v_add_nc_u32_e32 v0, s13, v32
	s_waitcnt lgkmcnt(0)
	s_delay_alu instid0(VALU_DEP_1) | instskip(SKIP_1) | instid1(VALU_DEP_2)
	v_add_nc_u32_e32 v1, 1, v0
	v_cmp_gt_u32_e32 vcc_lo, s19, v0
	v_cmp_le_u32_e64 s1, s19, v1
	s_delay_alu instid0(VALU_DEP_1) | instskip(NEXT) | instid1(SALU_CYCLE_1)
	s_and_b32 s28, vcc_lo, s1
	s_and_saveexec_b32 s1, s28
	s_cbranch_execz .LBB175_5
; %bb.41:                               ;   in Loop: Header=BB175_7 Depth=1
	v_add_nc_u32_e32 v0, s27, v32
	s_delay_alu instid0(VALU_DEP_1)
	v_cmp_eq_u32_e32 vcc_lo, 1, v0
	v_dual_mov_b32 v0, s25 :: v_dual_cndmask_b32 v35, 0, v35
	s_branch .LBB175_5
.LBB175_42:
	s_nop 0
	s_sendmsg sendmsg(MSG_DEALLOC_VGPRS)
	s_endpgm
	.section	.rodata,"a",@progbits
	.p2align	6, 0x0
	.amdhsa_kernel _Z16wvSplitK_hf_big_I14__hip_bfloat16Li64ELi1ELi16ELi8ELi4ELi1EEviiiiiiPKT_S3_S3_PS1_ii
		.amdhsa_group_segment_fixed_size 65536
		.amdhsa_private_segment_fixed_size 0
		.amdhsa_kernarg_size 64
		.amdhsa_user_sgpr_count 15
		.amdhsa_user_sgpr_dispatch_ptr 0
		.amdhsa_user_sgpr_queue_ptr 0
		.amdhsa_user_sgpr_kernarg_segment_ptr 1
		.amdhsa_user_sgpr_dispatch_id 0
		.amdhsa_user_sgpr_private_segment_size 0
		.amdhsa_wavefront_size32 1
		.amdhsa_uses_dynamic_stack 0
		.amdhsa_enable_private_segment 0
		.amdhsa_system_sgpr_workgroup_id_x 1
		.amdhsa_system_sgpr_workgroup_id_y 0
		.amdhsa_system_sgpr_workgroup_id_z 0
		.amdhsa_system_sgpr_workgroup_info 0
		.amdhsa_system_vgpr_workitem_id 1
		.amdhsa_next_free_vgpr 48
		.amdhsa_next_free_sgpr 35
		.amdhsa_reserve_vcc 1
		.amdhsa_float_round_mode_32 0
		.amdhsa_float_round_mode_16_64 0
		.amdhsa_float_denorm_mode_32 3
		.amdhsa_float_denorm_mode_16_64 3
		.amdhsa_dx10_clamp 1
		.amdhsa_ieee_mode 1
		.amdhsa_fp16_overflow 0
		.amdhsa_workgroup_processor_mode 1
		.amdhsa_memory_ordered 1
		.amdhsa_forward_progress 0
		.amdhsa_shared_vgpr_count 0
		.amdhsa_exception_fp_ieee_invalid_op 0
		.amdhsa_exception_fp_denorm_src 0
		.amdhsa_exception_fp_ieee_div_zero 0
		.amdhsa_exception_fp_ieee_overflow 0
		.amdhsa_exception_fp_ieee_underflow 0
		.amdhsa_exception_fp_ieee_inexact 0
		.amdhsa_exception_int_div_zero 0
	.end_amdhsa_kernel
	.section	.text._Z16wvSplitK_hf_big_I14__hip_bfloat16Li64ELi1ELi16ELi8ELi4ELi1EEviiiiiiPKT_S3_S3_PS1_ii,"axG",@progbits,_Z16wvSplitK_hf_big_I14__hip_bfloat16Li64ELi1ELi16ELi8ELi4ELi1EEviiiiiiPKT_S3_S3_PS1_ii,comdat
.Lfunc_end175:
	.size	_Z16wvSplitK_hf_big_I14__hip_bfloat16Li64ELi1ELi16ELi8ELi4ELi1EEviiiiiiPKT_S3_S3_PS1_ii, .Lfunc_end175-_Z16wvSplitK_hf_big_I14__hip_bfloat16Li64ELi1ELi16ELi8ELi4ELi1EEviiiiiiPKT_S3_S3_PS1_ii
                                        ; -- End function
	.section	.AMDGPU.csdata,"",@progbits
; Kernel info:
; codeLenInByte = 2584
; NumSgprs: 37
; NumVgprs: 48
; ScratchSize: 0
; MemoryBound: 0
; FloatMode: 240
; IeeeMode: 1
; LDSByteSize: 65536 bytes/workgroup (compile time only)
; SGPRBlocks: 4
; VGPRBlocks: 5
; NumSGPRsForWavesPerEU: 37
; NumVGPRsForWavesPerEU: 48
; Occupancy: 16
; WaveLimiterHint : 0
; COMPUTE_PGM_RSRC2:SCRATCH_EN: 0
; COMPUTE_PGM_RSRC2:USER_SGPR: 15
; COMPUTE_PGM_RSRC2:TRAP_HANDLER: 0
; COMPUTE_PGM_RSRC2:TGID_X_EN: 1
; COMPUTE_PGM_RSRC2:TGID_Y_EN: 0
; COMPUTE_PGM_RSRC2:TGID_Z_EN: 0
; COMPUTE_PGM_RSRC2:TIDIG_COMP_CNT: 1
	.section	.text._Z16wvSplitK_hf_sml_I14__hip_bfloat16Li64ELi2ELi16ELi8ELi2ELi1EEviiiiiiPKT_S3_S3_PS1_ii,"axG",@progbits,_Z16wvSplitK_hf_sml_I14__hip_bfloat16Li64ELi2ELi16ELi8ELi2ELi1EEviiiiiiPKT_S3_S3_PS1_ii,comdat
	.protected	_Z16wvSplitK_hf_sml_I14__hip_bfloat16Li64ELi2ELi16ELi8ELi2ELi1EEviiiiiiPKT_S3_S3_PS1_ii ; -- Begin function _Z16wvSplitK_hf_sml_I14__hip_bfloat16Li64ELi2ELi16ELi8ELi2ELi1EEviiiiiiPKT_S3_S3_PS1_ii
	.globl	_Z16wvSplitK_hf_sml_I14__hip_bfloat16Li64ELi2ELi16ELi8ELi2ELi1EEviiiiiiPKT_S3_S3_PS1_ii
	.p2align	8
	.type	_Z16wvSplitK_hf_sml_I14__hip_bfloat16Li64ELi2ELi16ELi8ELi2ELi1EEviiiiiiPKT_S3_S3_PS1_ii,@function
_Z16wvSplitK_hf_sml_I14__hip_bfloat16Li64ELi2ELi16ELi8ELi2ELi1EEviiiiiiPKT_S3_S3_PS1_ii: ; @_Z16wvSplitK_hf_sml_I14__hip_bfloat16Li64ELi2ELi16ELi8ELi2ELi1EEviiiiiiPKT_S3_S3_PS1_ii
; %bb.0:
	s_clause 0x2
	s_load_b128 s[4:7], s[0:1], 0x0
	s_load_b32 s14, s[0:1], 0x10
	s_load_b64 s[8:9], s[0:1], 0x28
	v_and_b32_e32 v2, 0x3ff, v0
	v_bfe_u32 v3, v0, 10, 10
	s_delay_alu instid0(VALU_DEP_2) | instskip(NEXT) | instid1(VALU_DEP_1)
	v_lshlrev_b32_e32 v31, 3, v2
	v_lshl_add_u32 v4, v3, 9, v31
	s_waitcnt lgkmcnt(0)
	s_min_u32 s3, s6, 0x8000
	s_mov_b32 s6, exec_lo
	s_delay_alu instid0(VALU_DEP_1)
	v_cmpx_gt_u32_e64 s3, v4
	s_cbranch_execz .LBB176_3
; %bb.1:
	s_load_b64 s[10:11], s[0:1], 0x20
	v_lshlrev_b32_e32 v5, 10, v3
	v_lshlrev_b32_e32 v6, 4, v2
	s_delay_alu instid0(VALU_DEP_1) | instskip(NEXT) | instid1(VALU_DEP_1)
	v_add_co_u32 v0, s2, v5, v6
	v_add_co_ci_u32_e64 v1, null, 0, 0, s2
	v_add_nc_u32_e32 v5, v5, v6
	s_waitcnt lgkmcnt(0)
	s_delay_alu instid0(VALU_DEP_3) | instskip(NEXT) | instid1(VALU_DEP_3)
	v_add_co_u32 v0, vcc_lo, s10, v0
	v_add_co_ci_u32_e32 v1, vcc_lo, s11, v1, vcc_lo
	s_mov_b32 s10, 0
	.p2align	6
.LBB176_2:                              ; =>This Inner Loop Header: Depth=1
	global_load_b128 v[6:9], v[0:1], off
	v_add_nc_u32_e32 v4, 0x2000, v4
	v_add_co_u32 v0, vcc_lo, 0x4000, v0
	v_add_co_ci_u32_e32 v1, vcc_lo, 0, v1, vcc_lo
	s_delay_alu instid0(VALU_DEP_3) | instskip(NEXT) | instid1(VALU_DEP_1)
	v_cmp_le_u32_e64 s2, s3, v4
	s_or_b32 s10, s2, s10
	s_waitcnt vmcnt(0)
	ds_store_b128 v5, v[6:9]
	v_add_nc_u32_e32 v5, 0x4000, v5
	s_and_not1_b32 exec_lo, exec_lo, s10
	s_cbranch_execnz .LBB176_2
.LBB176_3:
	s_or_b32 exec_lo, exec_lo, s6
	s_load_b64 s[12:13], s[0:1], 0x38
	s_waitcnt lgkmcnt(0)
	s_barrier
	buffer_gl0_inv
	s_mov_b32 s2, exec_lo
	v_cmpx_gt_u32_e64 s12, v3
	s_cbranch_execz .LBB176_26
; %bb.4:
	s_mul_i32 s15, s15, s12
	s_delay_alu instid0(SALU_CYCLE_1) | instskip(NEXT) | instid1(VALU_DEP_1)
	v_add_lshl_u32 v24, s15, v3, 1
	v_cmp_gt_u32_e32 vcc_lo, s7, v24
	s_and_b32 exec_lo, exec_lo, vcc_lo
	s_cbranch_execz .LBB176_26
; %bb.5:
	v_cvt_f32_u32_e32 v0, s14
	v_mbcnt_lo_u32_b32 v1, -1, 0
	s_cmp_lg_u32 s4, 0
	v_lshlrev_b32_e32 v32, 4, v2
	s_cselect_b32 s6, -1, 0
	v_rcp_iflag_f32_e32 v0, v0
	v_xor_b32_e32 v4, 16, v1
	s_add_i32 s15, s4, -8
	s_add_i32 s16, s7, -1
	s_cmp_lg_u64 s[8:9], 0
	s_mul_i32 s12, s12, s13
	v_cmp_gt_i32_e32 vcc_lo, 32, v4
	s_cselect_b32 s17, -1, 0
	s_sub_i32 s2, 0, s14
	s_lshl_b32 s12, s12, 1
	v_dual_mov_b32 v26, 0 :: v_dual_cndmask_b32 v1, v1, v4
	s_waitcnt_depctr 0xfff
	v_dual_mul_f32 v0, 0x4f7ffffe, v0 :: v_dual_lshlrev_b32 v33, 2, v1
	s_delay_alu instid0(VALU_DEP_1) | instskip(NEXT) | instid1(VALU_DEP_1)
	v_cvt_u32_f32_e32 v0, v0
	v_mul_lo_u32 v3, s2, v0
	s_clause 0x1
	s_load_b64 s[2:3], s[0:1], 0x18
	s_load_b64 s[10:11], s[0:1], 0x30
	v_cmp_eq_u32_e64 s0, 63, v2
	s_mov_b32 s1, 0
	s_delay_alu instid0(VALU_DEP_2) | instskip(NEXT) | instid1(VALU_DEP_1)
	v_mul_hi_u32 v3, v0, v3
	v_add_nc_u32_e32 v34, v0, v3
	s_branch .LBB176_8
.LBB176_6:                              ;   in Loop: Header=BB176_8 Depth=1
	s_or_b32 exec_lo, exec_lo, s18
	global_store_d16_hi_b16 v[0:1], v2, off offset:2
.LBB176_7:                              ;   in Loop: Header=BB176_8 Depth=1
	s_or_b32 exec_lo, exec_lo, s13
	v_add_nc_u32_e32 v24, s12, v24
	s_delay_alu instid0(VALU_DEP_1) | instskip(SKIP_1) | instid1(SALU_CYCLE_1)
	v_cmp_le_u32_e32 vcc_lo, s7, v24
	s_or_b32 s1, vcc_lo, s1
	s_and_not1_b32 exec_lo, exec_lo, s1
	s_cbranch_execz .LBB176_26
.LBB176_8:                              ; =>This Loop Header: Depth=1
                                        ;     Child Loop BB176_12 Depth 2
	v_mov_b32_e32 v37, v26
	v_mov_b32_e32 v36, v26
	s_and_not1_b32 vcc_lo, exec_lo, s6
	s_cbranch_vccnz .LBB176_15
; %bb.9:                                ;   in Loop: Header=BB176_8 Depth=1
	v_or_b32_e32 v0, 1, v24
	s_waitcnt lgkmcnt(0)
	v_min_u32_e32 v1, s16, v24
	v_mov_b32_e32 v35, v32
	v_mov_b32_e32 v37, 0
	s_mov_b32 s13, 0
	v_min_u32_e32 v0, s16, v0
	v_mul_lo_u32 v25, v1, s5
	v_dual_mov_b32 v1, v26 :: v_dual_mov_b32 v36, 0
	s_delay_alu instid0(VALU_DEP_3) | instskip(NEXT) | instid1(VALU_DEP_3)
	v_mul_lo_u32 v0, v0, s5
	v_lshlrev_b64 v[27:28], 1, v[25:26]
	s_delay_alu instid0(VALU_DEP_2)
	v_lshlrev_b64 v[29:30], 1, v[0:1]
	s_branch .LBB176_12
.LBB176_10:                             ;   in Loop: Header=BB176_12 Depth=2
	s_or_b32 exec_lo, exec_lo, s19
.LBB176_11:                             ;   in Loop: Header=BB176_12 Depth=2
	s_delay_alu instid0(SALU_CYCLE_1)
	s_or_b32 exec_lo, exec_lo, s18
	s_waitcnt lgkmcnt(0)
	v_and_b32_e32 v39, 0xffff0000, v21
	s_waitcnt vmcnt(3)
	v_and_b32_e32 v40, 0xffff0000, v17
	v_lshlrev_b32_e32 v21, 16, v21
	v_lshlrev_b32_e32 v17, 16, v17
	v_add_nc_u32_e32 v35, 0x800, v35
	s_addk_i32 s13, 0x400
	v_mul_f32_e32 v40, v39, v40
	v_and_b32_e32 v25, 0xffff0000, v20
	s_cmp_ge_u32 s13, s4
	s_delay_alu instid0(VALU_DEP_2) | instskip(SKIP_3) | instid1(VALU_DEP_3)
	v_fmac_f32_e32 v40, v21, v17
	v_and_b32_e32 v38, 0xffff0000, v16
	v_lshlrev_b32_e32 v16, 16, v16
	v_lshlrev_b32_e32 v17, 16, v18
	v_mul_f32_e32 v38, v25, v38
	v_lshlrev_b32_e32 v20, 16, v20
	s_delay_alu instid0(VALU_DEP_1) | instskip(SKIP_2) | instid1(VALU_DEP_3)
	v_fmac_f32_e32 v38, v20, v16
	v_lshlrev_b32_e32 v16, 16, v22
	v_and_b32_e32 v41, 0xffff0000, v22
	v_add_f32_e32 v22, v37, v38
	v_and_b32_e32 v42, 0xffff0000, v18
	s_waitcnt vmcnt(2)
	s_delay_alu instid0(VALU_DEP_1) | instskip(NEXT) | instid1(VALU_DEP_1)
	v_dual_mul_f32 v18, v41, v42 :: v_dual_and_b32 v37, 0xffff0000, v12
	v_mul_f32_e32 v25, v25, v37
	v_and_b32_e32 v37, 0xffff0000, v13
	s_delay_alu instid0(VALU_DEP_3) | instskip(NEXT) | instid1(VALU_DEP_1)
	v_dual_fmac_f32 v18, v16, v17 :: v_dual_add_f32 v17, v22, v40
	v_dual_add_f32 v17, v17, v18 :: v_dual_lshlrev_b32 v12, 16, v12
	s_delay_alu instid0(VALU_DEP_1) | instskip(SKIP_3) | instid1(VALU_DEP_2)
	v_dual_fmac_f32 v25, v20, v12 :: v_dual_and_b32 v18, 0xffff0000, v14
	v_lshlrev_b32_e32 v12, 16, v13
	v_dual_mul_f32 v13, v39, v37 :: v_dual_and_b32 v22, 0xffff0000, v23
	v_lshlrev_b32_e32 v23, 16, v23
	v_dual_fmac_f32 v13, v21, v12 :: v_dual_and_b32 v38, 0xffff0000, v19
	v_lshlrev_b32_e32 v19, 16, v19
	v_lshlrev_b32_e32 v12, 16, v14
	v_mul_f32_e32 v14, v41, v18
	s_delay_alu instid0(VALU_DEP_4) | instskip(NEXT) | instid1(VALU_DEP_1)
	v_mul_f32_e32 v38, v22, v38
	v_dual_fmac_f32 v38, v23, v19 :: v_dual_add_f32 v19, v36, v25
	s_delay_alu instid0(VALU_DEP_1) | instskip(NEXT) | instid1(VALU_DEP_2)
	v_dual_fmac_f32 v14, v16, v12 :: v_dual_add_f32 v17, v17, v38
	v_add_f32_e32 v13, v19, v13
	s_waitcnt vmcnt(1)
	v_and_b32_e32 v19, 0xffff0000, v5
	v_lshlrev_b32_e32 v5, 16, v5
	s_delay_alu instid0(VALU_DEP_3) | instskip(SKIP_4) | instid1(VALU_DEP_4)
	v_dual_add_f32 v13, v13, v14 :: v_dual_and_b32 v12, 0xffff0000, v8
	v_and_b32_e32 v16, 0xffff0000, v4
	v_lshlrev_b32_e32 v8, 16, v8
	v_lshlrev_b32_e32 v4, 16, v4
	v_and_b32_e32 v14, 0xffff0000, v9
	v_mul_f32_e32 v16, v12, v16
	s_delay_alu instid0(VALU_DEP_1) | instskip(NEXT) | instid1(VALU_DEP_3)
	v_fmac_f32_e32 v16, v8, v4
	v_dual_mul_f32 v9, v14, v19 :: v_dual_lshlrev_b32 v4, 16, v9
	v_and_b32_e32 v18, 0xffff0000, v15
	v_lshlrev_b32_e32 v15, 16, v15
	s_delay_alu instid0(VALU_DEP_2) | instskip(SKIP_3) | instid1(VALU_DEP_3)
	v_dual_fmac_f32 v9, v4, v5 :: v_dual_mul_f32 v18, v22, v18
	s_waitcnt vmcnt(0)
	v_and_b32_e32 v5, 0xffff0000, v0
	v_lshlrev_b32_e32 v0, 16, v0
	v_dual_fmac_f32 v18, v23, v15 :: v_dual_add_f32 v15, v17, v16
	v_and_b32_e32 v17, 0xffff0000, v6
	s_delay_alu instid0(VALU_DEP_2) | instskip(SKIP_3) | instid1(VALU_DEP_1)
	v_add_f32_e32 v13, v13, v18
	v_mul_f32_e32 v5, v12, v5
	v_and_b32_e32 v12, 0xffff0000, v1
	v_dual_add_f32 v9, v15, v9 :: v_dual_and_b32 v16, 0xffff0000, v10
	v_mul_f32_e32 v17, v16, v17
	s_delay_alu instid0(VALU_DEP_4) | instskip(SKIP_1) | instid1(VALU_DEP_2)
	v_dual_fmac_f32 v5, v8, v0 :: v_dual_lshlrev_b32 v10, 16, v10
	v_lshlrev_b32_e32 v0, 16, v1
	v_dual_add_f32 v5, v13, v5 :: v_dual_lshlrev_b32 v6, 16, v6
	s_delay_alu instid0(VALU_DEP_1) | instskip(SKIP_1) | instid1(VALU_DEP_1)
	v_fmac_f32_e32 v17, v10, v6
	v_dual_mul_f32 v1, v14, v12 :: v_dual_and_b32 v6, 0xffff0000, v11
	v_fmac_f32_e32 v1, v4, v0
	s_delay_alu instid0(VALU_DEP_1) | instskip(NEXT) | instid1(VALU_DEP_4)
	v_add_f32_e32 v1, v5, v1
	v_dual_add_f32 v5, v9, v17 :: v_dual_lshlrev_b32 v8, 16, v11
	v_lshlrev_b32_e32 v0, 16, v2
	v_and_b32_e32 v11, 0xffff0000, v2
	s_delay_alu instid0(VALU_DEP_1) | instskip(NEXT) | instid1(VALU_DEP_1)
	v_mul_f32_e32 v2, v16, v11
	v_fmac_f32_e32 v2, v10, v0
	s_delay_alu instid0(VALU_DEP_1) | instskip(SKIP_3) | instid1(VALU_DEP_2)
	v_dual_add_f32 v1, v1, v2 :: v_dual_lshlrev_b32 v0, 16, v3
	v_lshlrev_b32_e32 v4, 16, v7
	v_and_b32_e32 v12, 0xffff0000, v7
	v_and_b32_e32 v7, 0xffff0000, v3
	v_mul_f32_e32 v11, v6, v12
	s_delay_alu instid0(VALU_DEP_2) | instskip(NEXT) | instid1(VALU_DEP_1)
	v_mul_f32_e32 v3, v6, v7
	v_fmac_f32_e32 v3, v8, v0
	s_delay_alu instid0(VALU_DEP_1) | instskip(NEXT) | instid1(VALU_DEP_1)
	v_dual_fmac_f32 v11, v8, v4 :: v_dual_add_f32 v36, v1, v3
	v_add_f32_e32 v37, v5, v11
	s_cbranch_scc1 .LBB176_15
.LBB176_12:                             ;   Parent Loop BB176_8 Depth=1
                                        ; =>  This Inner Loop Header: Depth=2
	v_dual_mov_b32 v11, 0 :: v_dual_add_nc_u32 v10, s13, v31
	v_mov_b32_e32 v22, 0
	v_dual_mov_b32 v20, 0 :: v_dual_mov_b32 v23, 0
	s_delay_alu instid0(VALU_DEP_3) | instskip(SKIP_1) | instid1(VALU_DEP_2)
	v_min_u32_e32 v25, s15, v10
	v_dual_mov_b32 v21, 0 :: v_dual_add_nc_u32 v38, 0x200, v10
	v_lshlrev_b64 v[0:1], 1, v[25:26]
	s_delay_alu instid0(VALU_DEP_2) | instskip(SKIP_1) | instid1(VALU_DEP_2)
	v_min_u32_e32 v25, s15, v38
	s_waitcnt lgkmcnt(0)
	v_add_co_u32 v4, vcc_lo, s2, v0
	s_delay_alu instid0(VALU_DEP_3) | instskip(NEXT) | instid1(VALU_DEP_3)
	v_add_co_ci_u32_e32 v5, vcc_lo, s3, v1, vcc_lo
	v_lshlrev_b64 v[0:1], 1, v[25:26]
	s_delay_alu instid0(VALU_DEP_3) | instskip(NEXT) | instid1(VALU_DEP_3)
	v_add_co_u32 v2, vcc_lo, v4, v27
	v_add_co_ci_u32_e32 v3, vcc_lo, v5, v28, vcc_lo
	s_delay_alu instid0(VALU_DEP_3) | instskip(NEXT) | instid1(VALU_DEP_4)
	v_add_co_u32 v6, vcc_lo, s2, v0
	v_add_co_ci_u32_e32 v7, vcc_lo, s3, v1, vcc_lo
	v_add_co_u32 v0, vcc_lo, v4, v29
	v_add_co_ci_u32_e32 v1, vcc_lo, v5, v30, vcc_lo
	s_delay_alu instid0(VALU_DEP_4) | instskip(NEXT) | instid1(VALU_DEP_4)
	v_add_co_u32 v4, vcc_lo, v6, v27
	v_add_co_ci_u32_e32 v5, vcc_lo, v7, v28, vcc_lo
	v_add_co_u32 v8, vcc_lo, v6, v29
	v_add_co_ci_u32_e32 v9, vcc_lo, v7, v30, vcc_lo
	s_clause 0x3
	global_load_b128 v[16:19], v[2:3], off slc dlc
	global_load_b128 v[12:15], v[0:1], off slc dlc
	;; [unrolled: 1-line block ×4, first 2 shown]
	v_mov_b32_e32 v9, 0
	v_cmp_gt_u32_e32 vcc_lo, s4, v10
	v_mov_b32_e32 v10, 0
	v_mov_b32_e32 v8, 0
	s_and_saveexec_b32 s18, vcc_lo
	s_cbranch_execz .LBB176_11
; %bb.13:                               ;   in Loop: Header=BB176_12 Depth=2
	ds_load_b128 v[20:23], v35
	v_dual_mov_b32 v8, 0 :: v_dual_mov_b32 v9, 0
	v_dual_mov_b32 v10, 0 :: v_dual_mov_b32 v11, 0
	s_mov_b32 s19, exec_lo
	v_cmpx_gt_u32_e64 s4, v38
	s_cbranch_execz .LBB176_10
; %bb.14:                               ;   in Loop: Header=BB176_12 Depth=2
	ds_load_b128 v[8:11], v35 offset:1024
	s_branch .LBB176_10
.LBB176_15:                             ;   in Loop: Header=BB176_8 Depth=1
	; sched_barrier mask(0x00000000)
	s_delay_alu instid0(VALU_DEP_1) | instskip(SKIP_2) | instid1(VALU_DEP_2)
	v_cvt_i32_f32_e32 v0, v37
	s_waitcnt lgkmcnt(0)
	v_cvt_i32_f32_e32 v1, v36
	v_cvt_f32_i32_dpp v0, v0 row_shr:8 row_mask:0xf bank_mask:0xf bound_ctrl:1
	s_delay_alu instid0(VALU_DEP_2) | instskip(NEXT) | instid1(VALU_DEP_1)
	v_cvt_f32_i32_dpp v1, v1 row_shr:8 row_mask:0xf bank_mask:0xf bound_ctrl:1
	v_dual_add_f32 v0, v37, v0 :: v_dual_add_f32 v1, v36, v1
	s_delay_alu instid0(VALU_DEP_1) | instskip(NEXT) | instid1(VALU_DEP_2)
	v_cvt_i32_f32_e32 v2, v0
	v_cvt_i32_f32_e32 v3, v1
	s_delay_alu instid0(VALU_DEP_2) | instskip(NEXT) | instid1(VALU_DEP_2)
	v_cvt_f32_i32_dpp v2, v2 row_shr:4 row_mask:0xf bank_mask:0xf bound_ctrl:1
	v_cvt_f32_i32_dpp v3, v3 row_shr:4 row_mask:0xf bank_mask:0xf bound_ctrl:1
	s_delay_alu instid0(VALU_DEP_1) | instskip(NEXT) | instid1(VALU_DEP_1)
	v_dual_add_f32 v0, v0, v2 :: v_dual_add_f32 v1, v1, v3
	v_cvt_i32_f32_e32 v2, v0
	s_delay_alu instid0(VALU_DEP_2) | instskip(NEXT) | instid1(VALU_DEP_2)
	v_cvt_i32_f32_e32 v3, v1
	v_cvt_f32_i32_dpp v2, v2 row_shr:2 row_mask:0xf bank_mask:0xf bound_ctrl:1
	s_delay_alu instid0(VALU_DEP_2) | instskip(NEXT) | instid1(VALU_DEP_1)
	v_cvt_f32_i32_dpp v3, v3 row_shr:2 row_mask:0xf bank_mask:0xf bound_ctrl:1
	v_dual_add_f32 v0, v0, v2 :: v_dual_add_f32 v1, v1, v3
	s_delay_alu instid0(VALU_DEP_1) | instskip(NEXT) | instid1(VALU_DEP_2)
	v_cvt_i32_f32_e32 v2, v0
	v_cvt_i32_f32_e32 v3, v1
	s_delay_alu instid0(VALU_DEP_2) | instskip(NEXT) | instid1(VALU_DEP_2)
	v_cvt_f32_i32_dpp v2, v2 row_shr:1 row_mask:0xf bank_mask:0xf bound_ctrl:1
	v_cvt_f32_i32_dpp v3, v3 row_shr:1 row_mask:0xf bank_mask:0xf bound_ctrl:1
	s_delay_alu instid0(VALU_DEP_2) | instskip(NEXT) | instid1(VALU_DEP_2)
	v_add_f32_e32 v2, v0, v2
	v_add_f32_e32 v0, v1, v3
	ds_bpermute_b32 v3, v33, v2
	ds_bpermute_b32 v1, v33, v0
	s_and_saveexec_b32 s13, s0
	s_cbranch_execz .LBB176_7
; %bb.16:                               ;   in Loop: Header=BB176_8 Depth=1
	v_dual_mov_b32 v4, 0 :: v_dual_mov_b32 v5, 0
	s_and_not1_b32 vcc_lo, exec_lo, s17
	s_cbranch_vccnz .LBB176_18
; %bb.17:                               ;   in Loop: Header=BB176_8 Depth=1
	v_mul_hi_u32 v4, v24, v34
	v_or_b32_e32 v5, 1, v24
	s_delay_alu instid0(VALU_DEP_1) | instskip(NEXT) | instid1(VALU_DEP_3)
	v_mul_hi_u32 v6, v5, v34
	v_mul_lo_u32 v4, v4, s14
	s_delay_alu instid0(VALU_DEP_2) | instskip(NEXT) | instid1(VALU_DEP_2)
	v_mul_lo_u32 v6, v6, s14
	v_sub_nc_u32_e32 v4, v24, v4
	s_delay_alu instid0(VALU_DEP_1) | instskip(NEXT) | instid1(VALU_DEP_3)
	v_subrev_nc_u32_e32 v7, s14, v4
	v_sub_nc_u32_e32 v5, v5, v6
	v_cmp_le_u32_e32 vcc_lo, s14, v4
	s_delay_alu instid0(VALU_DEP_2) | instskip(NEXT) | instid1(VALU_DEP_4)
	v_subrev_nc_u32_e32 v6, s14, v5
	v_cndmask_b32_e32 v4, v4, v7, vcc_lo
	v_cmp_le_u32_e32 vcc_lo, s14, v5
	s_delay_alu instid0(VALU_DEP_2) | instskip(NEXT) | instid1(VALU_DEP_4)
	v_subrev_nc_u32_e32 v7, s14, v4
	v_cndmask_b32_e32 v6, v5, v6, vcc_lo
	v_cmp_le_u32_e32 vcc_lo, s14, v4
	s_delay_alu instid0(VALU_DEP_3) | instskip(NEXT) | instid1(VALU_DEP_3)
	v_cndmask_b32_e32 v25, v4, v7, vcc_lo
	v_subrev_nc_u32_e32 v7, s14, v6
	v_cmp_le_u32_e32 vcc_lo, s14, v6
	s_delay_alu instid0(VALU_DEP_3) | instskip(NEXT) | instid1(VALU_DEP_3)
	v_lshlrev_b64 v[4:5], 1, v[25:26]
	v_cndmask_b32_e32 v25, v6, v7, vcc_lo
	s_delay_alu instid0(VALU_DEP_2) | instskip(NEXT) | instid1(VALU_DEP_2)
	v_add_co_u32 v4, vcc_lo, s8, v4
	v_lshlrev_b64 v[6:7], 1, v[25:26]
	s_delay_alu instid0(VALU_DEP_4) | instskip(NEXT) | instid1(VALU_DEP_2)
	v_add_co_ci_u32_e32 v5, vcc_lo, s9, v5, vcc_lo
	v_add_co_u32 v6, vcc_lo, s8, v6
	s_delay_alu instid0(VALU_DEP_3)
	v_add_co_ci_u32_e32 v7, vcc_lo, s9, v7, vcc_lo
	s_clause 0x1
	global_load_u16 v5, v[4:5], off
	global_load_u16 v4, v[6:7], off
.LBB176_18:                             ;   in Loop: Header=BB176_8 Depth=1
	s_waitcnt vmcnt(1) lgkmcnt(0)
	s_delay_alu instid0(VALU_DEP_1) | instskip(NEXT) | instid1(VALU_DEP_1)
	v_dual_add_f32 v2, v2, v3 :: v_dual_lshlrev_b32 v3, 16, v5
	v_add_f32_e32 v3, v2, v3
	s_delay_alu instid0(VALU_DEP_1) | instskip(NEXT) | instid1(VALU_DEP_1)
	v_and_b32_e32 v2, 0x7f800000, v3
	v_cmp_ne_u32_e32 vcc_lo, 0x7f800000, v2
                                        ; implicit-def: $vgpr2
	s_and_saveexec_b32 s18, vcc_lo
	s_delay_alu instid0(SALU_CYCLE_1)
	s_xor_b32 s18, exec_lo, s18
; %bb.19:                               ;   in Loop: Header=BB176_8 Depth=1
	v_bfe_u32 v2, v3, 16, 1
	s_delay_alu instid0(VALU_DEP_1)
	v_add3_u32 v2, v3, v2, 0x7fff
                                        ; implicit-def: $vgpr3
; %bb.20:                               ;   in Loop: Header=BB176_8 Depth=1
	s_and_not1_saveexec_b32 s18, s18
; %bb.21:                               ;   in Loop: Header=BB176_8 Depth=1
	v_and_b32_e32 v2, 0xffff, v3
	v_or_b32_e32 v5, 0x10000, v3
	s_delay_alu instid0(VALU_DEP_2) | instskip(NEXT) | instid1(VALU_DEP_2)
	v_cmp_eq_u32_e32 vcc_lo, 0, v2
	v_cndmask_b32_e32 v2, v5, v3, vcc_lo
; %bb.22:                               ;   in Loop: Header=BB176_8 Depth=1
	s_or_b32 exec_lo, exec_lo, s18
	s_waitcnt vmcnt(0)
	v_dual_add_f32 v0, v0, v1 :: v_dual_lshlrev_b32 v1, 16, v4
	s_mov_b32 s18, exec_lo
	s_delay_alu instid0(VALU_DEP_1) | instskip(NEXT) | instid1(VALU_DEP_1)
	v_add_f32_e32 v3, v0, v1
	v_dual_mov_b32 v25, v26 :: v_dual_and_b32 v4, 0x7f800000, v3
	s_delay_alu instid0(VALU_DEP_1) | instskip(NEXT) | instid1(VALU_DEP_1)
	v_lshlrev_b64 v[0:1], 1, v[24:25]
	v_add_co_u32 v0, vcc_lo, s10, v0
	s_delay_alu instid0(VALU_DEP_2)
	v_add_co_ci_u32_e32 v1, vcc_lo, s11, v1, vcc_lo
	global_store_d16_hi_b16 v[0:1], v2, off
                                        ; implicit-def: $vgpr2
	v_cmpx_ne_u32_e32 0x7f800000, v4
	s_xor_b32 s18, exec_lo, s18
; %bb.23:                               ;   in Loop: Header=BB176_8 Depth=1
	v_bfe_u32 v2, v3, 16, 1
	s_delay_alu instid0(VALU_DEP_1)
	v_add3_u32 v2, v3, v2, 0x7fff
                                        ; implicit-def: $vgpr3
; %bb.24:                               ;   in Loop: Header=BB176_8 Depth=1
	s_and_not1_saveexec_b32 s18, s18
	s_cbranch_execz .LBB176_6
; %bb.25:                               ;   in Loop: Header=BB176_8 Depth=1
	v_and_b32_e32 v2, 0xffff, v3
	v_or_b32_e32 v4, 0x10000, v3
	s_delay_alu instid0(VALU_DEP_2) | instskip(NEXT) | instid1(VALU_DEP_2)
	v_cmp_eq_u32_e32 vcc_lo, 0, v2
	v_cndmask_b32_e32 v2, v4, v3, vcc_lo
	s_branch .LBB176_6
.LBB176_26:
	s_nop 0
	s_sendmsg sendmsg(MSG_DEALLOC_VGPRS)
	s_endpgm
	.section	.rodata,"a",@progbits
	.p2align	6, 0x0
	.amdhsa_kernel _Z16wvSplitK_hf_sml_I14__hip_bfloat16Li64ELi2ELi16ELi8ELi2ELi1EEviiiiiiPKT_S3_S3_PS1_ii
		.amdhsa_group_segment_fixed_size 65536
		.amdhsa_private_segment_fixed_size 0
		.amdhsa_kernarg_size 64
		.amdhsa_user_sgpr_count 15
		.amdhsa_user_sgpr_dispatch_ptr 0
		.amdhsa_user_sgpr_queue_ptr 0
		.amdhsa_user_sgpr_kernarg_segment_ptr 1
		.amdhsa_user_sgpr_dispatch_id 0
		.amdhsa_user_sgpr_private_segment_size 0
		.amdhsa_wavefront_size32 1
		.amdhsa_uses_dynamic_stack 0
		.amdhsa_enable_private_segment 0
		.amdhsa_system_sgpr_workgroup_id_x 1
		.amdhsa_system_sgpr_workgroup_id_y 0
		.amdhsa_system_sgpr_workgroup_id_z 0
		.amdhsa_system_sgpr_workgroup_info 0
		.amdhsa_system_vgpr_workitem_id 1
		.amdhsa_next_free_vgpr 43
		.amdhsa_next_free_sgpr 20
		.amdhsa_reserve_vcc 1
		.amdhsa_float_round_mode_32 0
		.amdhsa_float_round_mode_16_64 0
		.amdhsa_float_denorm_mode_32 3
		.amdhsa_float_denorm_mode_16_64 3
		.amdhsa_dx10_clamp 1
		.amdhsa_ieee_mode 1
		.amdhsa_fp16_overflow 0
		.amdhsa_workgroup_processor_mode 1
		.amdhsa_memory_ordered 1
		.amdhsa_forward_progress 0
		.amdhsa_shared_vgpr_count 0
		.amdhsa_exception_fp_ieee_invalid_op 0
		.amdhsa_exception_fp_denorm_src 0
		.amdhsa_exception_fp_ieee_div_zero 0
		.amdhsa_exception_fp_ieee_overflow 0
		.amdhsa_exception_fp_ieee_underflow 0
		.amdhsa_exception_fp_ieee_inexact 0
		.amdhsa_exception_int_div_zero 0
	.end_amdhsa_kernel
	.section	.text._Z16wvSplitK_hf_sml_I14__hip_bfloat16Li64ELi2ELi16ELi8ELi2ELi1EEviiiiiiPKT_S3_S3_PS1_ii,"axG",@progbits,_Z16wvSplitK_hf_sml_I14__hip_bfloat16Li64ELi2ELi16ELi8ELi2ELi1EEviiiiiiPKT_S3_S3_PS1_ii,comdat
.Lfunc_end176:
	.size	_Z16wvSplitK_hf_sml_I14__hip_bfloat16Li64ELi2ELi16ELi8ELi2ELi1EEviiiiiiPKT_S3_S3_PS1_ii, .Lfunc_end176-_Z16wvSplitK_hf_sml_I14__hip_bfloat16Li64ELi2ELi16ELi8ELi2ELi1EEviiiiiiPKT_S3_S3_PS1_ii
                                        ; -- End function
	.section	.AMDGPU.csdata,"",@progbits
; Kernel info:
; codeLenInByte = 2144
; NumSgprs: 22
; NumVgprs: 43
; ScratchSize: 0
; MemoryBound: 0
; FloatMode: 240
; IeeeMode: 1
; LDSByteSize: 65536 bytes/workgroup (compile time only)
; SGPRBlocks: 2
; VGPRBlocks: 5
; NumSGPRsForWavesPerEU: 22
; NumVGPRsForWavesPerEU: 43
; Occupancy: 16
; WaveLimiterHint : 0
; COMPUTE_PGM_RSRC2:SCRATCH_EN: 0
; COMPUTE_PGM_RSRC2:USER_SGPR: 15
; COMPUTE_PGM_RSRC2:TRAP_HANDLER: 0
; COMPUTE_PGM_RSRC2:TGID_X_EN: 1
; COMPUTE_PGM_RSRC2:TGID_Y_EN: 0
; COMPUTE_PGM_RSRC2:TGID_Z_EN: 0
; COMPUTE_PGM_RSRC2:TIDIG_COMP_CNT: 1
	.section	.text._Z12wvSplitK_hf_I14__hip_bfloat16Li64ELi2ELi16ELi8ELi2ELi1EEviiiiiiPKT_S3_S3_PS1_ii,"axG",@progbits,_Z12wvSplitK_hf_I14__hip_bfloat16Li64ELi2ELi16ELi8ELi2ELi1EEviiiiiiPKT_S3_S3_PS1_ii,comdat
	.protected	_Z12wvSplitK_hf_I14__hip_bfloat16Li64ELi2ELi16ELi8ELi2ELi1EEviiiiiiPKT_S3_S3_PS1_ii ; -- Begin function _Z12wvSplitK_hf_I14__hip_bfloat16Li64ELi2ELi16ELi8ELi2ELi1EEviiiiiiPKT_S3_S3_PS1_ii
	.globl	_Z12wvSplitK_hf_I14__hip_bfloat16Li64ELi2ELi16ELi8ELi2ELi1EEviiiiiiPKT_S3_S3_PS1_ii
	.p2align	8
	.type	_Z12wvSplitK_hf_I14__hip_bfloat16Li64ELi2ELi16ELi8ELi2ELi1EEviiiiiiPKT_S3_S3_PS1_ii,@function
_Z12wvSplitK_hf_I14__hip_bfloat16Li64ELi2ELi16ELi8ELi2ELi1EEviiiiiiPKT_S3_S3_PS1_ii: ; @_Z12wvSplitK_hf_I14__hip_bfloat16Li64ELi2ELi16ELi8ELi2ELi1EEviiiiiiPKT_S3_S3_PS1_ii
; %bb.0:
	s_clause 0x1
	s_load_b64 s[16:17], s[0:1], 0x38
	s_load_b128 s[4:7], s[0:1], 0x0
	v_bfe_u32 v2, v0, 10, 10
	s_clause 0x1
	s_load_b64 s[8:9], s[0:1], 0x20
	s_load_b32 s18, s[0:1], 0x10
	s_mov_b32 s10, 1
	s_delay_alu instid0(SALU_CYCLE_1) | instskip(NEXT) | instid1(SALU_CYCLE_1)
	s_mov_b32 s11, s10
	v_dual_mov_b32 v25, s11 :: v_dual_mov_b32 v24, s10
	s_waitcnt lgkmcnt(0)
	s_mul_i32 s15, s15, s16
	s_delay_alu instid0(SALU_CYCLE_1) | instskip(NEXT) | instid1(VALU_DEP_1)
	v_add_lshl_u32 v26, s15, v2, 1
	v_add_nc_u32_e32 v1, 2, v26
	v_cmp_gt_u32_e32 vcc_lo, s7, v26
	s_delay_alu instid0(VALU_DEP_2) | instskip(NEXT) | instid1(VALU_DEP_1)
	v_cmp_le_u32_e64 s2, s7, v1
	s_and_b32 s2, vcc_lo, s2
	s_delay_alu instid0(SALU_CYCLE_1)
	s_and_saveexec_b32 s12, s2
	s_cbranch_execz .LBB177_6
; %bb.1:
	v_dual_mov_b32 v25, s11 :: v_dual_mov_b32 v24, s10
	s_add_i32 s13, s7, -2
	s_mov_b32 s14, exec_lo
	v_cmpx_ne_u32_e64 s13, v26
	s_cbranch_execz .LBB177_5
; %bb.2:
	v_subrev_nc_u32_e32 v1, s13, v26
	s_mov_b32 s2, 1
	s_mov_b32 s15, 0
	s_mov_b64 s[10:11], 0
	s_mov_b32 s3, s2
	v_cmp_lt_u32_e32 vcc_lo, 1, v1
	v_cndmask_b32_e32 v1, 1, v1, vcc_lo
.LBB177_3:                              ; =>This Inner Loop Header: Depth=1
	s_cmp_lg_u32 s10, 1
	s_cselect_b32 s3, s3, 0
	s_cmp_lg_u32 s10, 0
	s_cselect_b32 s2, s2, 0
	s_add_u32 s10, s10, 1
	v_dual_mov_b32 v25, s3 :: v_dual_mov_b32 v24, s2
	v_cmp_eq_u32_e32 vcc_lo, s10, v1
	s_addc_u32 s11, s11, 0
	s_or_b32 s15, vcc_lo, s15
	s_delay_alu instid0(SALU_CYCLE_1)
	s_and_not1_b32 exec_lo, exec_lo, s15
	s_cbranch_execnz .LBB177_3
; %bb.4:
	s_or_b32 exec_lo, exec_lo, s15
	v_mov_b32_e32 v26, s13
.LBB177_5:
	s_or_b32 exec_lo, exec_lo, s14
.LBB177_6:
	s_delay_alu instid0(SALU_CYCLE_1) | instskip(SKIP_4) | instid1(VALU_DEP_1)
	s_or_b32 exec_lo, exec_lo, s12
	s_load_b64 s[10:11], s[0:1], 0x28
	v_and_b32_e32 v3, 0x3ff, v0
	s_min_u32 s3, s6, 0x8000
	s_mov_b32 s6, exec_lo
	v_lshlrev_b32_e32 v37, 3, v3
	s_delay_alu instid0(VALU_DEP_1) | instskip(NEXT) | instid1(VALU_DEP_1)
	v_lshl_add_u32 v4, v2, 9, v37
	v_cmpx_gt_u32_e64 s3, v4
	s_cbranch_execz .LBB177_9
; %bb.7:
	v_lshlrev_b32_e32 v5, 10, v2
	v_lshlrev_b32_e32 v6, 4, v3
	s_mov_b32 s12, 0
	s_delay_alu instid0(VALU_DEP_1) | instskip(NEXT) | instid1(VALU_DEP_1)
	v_add_co_u32 v0, s2, v5, v6
	v_add_co_ci_u32_e64 v1, null, 0, 0, s2
	v_add_nc_u32_e32 v5, v5, v6
	s_delay_alu instid0(VALU_DEP_3) | instskip(NEXT) | instid1(VALU_DEP_3)
	v_add_co_u32 v0, vcc_lo, s8, v0
	v_add_co_ci_u32_e32 v1, vcc_lo, s9, v1, vcc_lo
	.p2align	6
.LBB177_8:                              ; =>This Inner Loop Header: Depth=1
	global_load_b128 v[6:9], v[0:1], off
	v_add_nc_u32_e32 v4, 0x2000, v4
	v_add_co_u32 v0, vcc_lo, 0x4000, v0
	v_add_co_ci_u32_e32 v1, vcc_lo, 0, v1, vcc_lo
	s_delay_alu instid0(VALU_DEP_3) | instskip(NEXT) | instid1(VALU_DEP_1)
	v_cmp_le_u32_e64 s2, s3, v4
	s_or_b32 s12, s2, s12
	s_waitcnt vmcnt(0)
	ds_store_b128 v5, v[6:9]
	v_add_nc_u32_e32 v5, 0x4000, v5
	s_and_not1_b32 exec_lo, exec_lo, s12
	s_cbranch_execnz .LBB177_8
.LBB177_9:
	s_or_b32 exec_lo, exec_lo, s6
	v_cmp_gt_u32_e32 vcc_lo, s16, v2
	v_cmp_gt_u32_e64 s2, s7, v26
	s_waitcnt lgkmcnt(0)
	s_barrier
	buffer_gl0_inv
	s_and_b32 s2, vcc_lo, s2
	s_delay_alu instid0(SALU_CYCLE_1)
	s_and_saveexec_b32 s3, s2
	s_cbranch_execz .LBB177_48
; %bb.10:
	v_cvt_f32_u32_e32 v0, s18
	v_mbcnt_lo_u32_b32 v1, -1, 0
	s_cmp_lg_u32 s4, 0
	s_clause 0x1
	s_load_b64 s[12:13], s[0:1], 0x18
	s_load_b64 s[14:15], s[0:1], 0x30
	s_cselect_b32 s3, -1, 0
	v_rcp_iflag_f32_e32 v0, v0
	v_xor_b32_e32 v4, 16, v1
	s_add_i32 s6, s4, -8
	s_add_i32 s19, s7, -1
	s_cmp_lg_u64 s[10:11], 0
	v_cmp_eq_u32_e64 s0, 63, v3
	v_cmp_gt_i32_e32 vcc_lo, 32, v4
	s_cselect_b32 s20, -1, 0
	s_sub_i32 s2, 0, s18
	v_lshlrev_b32_e32 v38, 4, v3
	v_dual_mov_b32 v28, 0 :: v_dual_cndmask_b32 v1, v1, v4
	s_waitcnt_depctr 0xfff
	v_mul_f32_e32 v0, 0x4f7ffffe, v0
	s_mul_i32 s1, s16, s17
	s_mov_b32 s21, 0
	s_lshl_b32 s22, s1, 1
	v_lshlrev_b32_e32 v39, 2, v1
	v_cvt_u32_f32_e32 v0, v0
	s_add_i32 s23, s7, -2
	s_delay_alu instid0(VALU_DEP_1) | instskip(NEXT) | instid1(VALU_DEP_1)
	v_mul_lo_u32 v2, s2, v0
	v_mul_hi_u32 v2, v0, v2
	s_delay_alu instid0(VALU_DEP_1)
	v_add_nc_u32_e32 v40, v0, v2
	s_branch .LBB177_13
.LBB177_11:                             ;   in Loop: Header=BB177_13 Depth=1
	s_or_b32 exec_lo, exec_lo, s25
	v_mov_b32_e32 v26, s23
.LBB177_12:                             ;   in Loop: Header=BB177_13 Depth=1
	s_or_b32 exec_lo, exec_lo, s24
	s_delay_alu instid0(VALU_DEP_1) | instskip(SKIP_1) | instid1(SALU_CYCLE_1)
	v_cmp_le_u32_e32 vcc_lo, s7, v26
	s_or_b32 s21, vcc_lo, s21
	s_and_not1_b32 exec_lo, exec_lo, s21
	s_cbranch_execz .LBB177_48
.LBB177_13:                             ; =>This Loop Header: Depth=1
                                        ;     Child Loop BB177_18 Depth 2
                                        ;     Child Loop BB177_46 Depth 2
	v_dual_mov_b32 v42, v28 :: v_dual_add_nc_u32 v29, 1, v26
	v_mov_b32_e32 v43, v28
	s_and_not1_b32 vcc_lo, exec_lo, s3
	s_cbranch_vccnz .LBB177_28
; %bb.14:                               ;   in Loop: Header=BB177_13 Depth=1
	v_min_u32_e32 v0, s19, v26
	s_waitcnt lgkmcnt(0)
	v_min_u32_e32 v1, s19, v29
	v_mov_b32_e32 v41, v38
	v_mov_b32_e32 v43, 0
	s_mov_b32 s1, 0
	v_mul_lo_u32 v27, v0, s5
	v_mul_lo_u32 v0, v1, s5
	v_dual_mov_b32 v1, v28 :: v_dual_mov_b32 v42, 0
	s_delay_alu instid0(VALU_DEP_3) | instskip(NEXT) | instid1(VALU_DEP_2)
	v_lshlrev_b64 v[30:31], 1, v[27:28]
	v_lshlrev_b64 v[32:33], 1, v[0:1]
	s_branch .LBB177_18
.LBB177_15:                             ;   in Loop: Header=BB177_18 Depth=2
	s_or_b32 exec_lo, exec_lo, s17
.LBB177_16:                             ;   in Loop: Header=BB177_18 Depth=2
	s_delay_alu instid0(SALU_CYCLE_1)
	s_or_b32 exec_lo, exec_lo, s16
.LBB177_17:                             ;   in Loop: Header=BB177_18 Depth=2
	s_delay_alu instid0(SALU_CYCLE_1)
	s_or_b32 exec_lo, exec_lo, s2
	s_waitcnt vmcnt(3)
	v_and_b32_e32 v34, 0xffff0000, v16
	s_waitcnt vmcnt(0) lgkmcnt(0)
	v_and_b32_e32 v35, 0xffff0000, v21
	v_and_b32_e32 v36, 0xffff0000, v17
	v_lshlrev_b32_e32 v21, 16, v21
	v_lshlrev_b32_e32 v17, 16, v17
	s_addk_i32 s1, 0x400
	s_delay_alu instid0(VALU_DEP_3) | instskip(SKIP_2) | instid1(VALU_DEP_2)
	v_dual_mul_f32 v36, v35, v36 :: v_dual_add_nc_u32 v41, 0x800, v41
	v_and_b32_e32 v27, 0xffff0000, v20
	s_cmp_ge_u32 s1, s4
	v_fmac_f32_e32 v36, v21, v17
	v_lshlrev_b32_e32 v20, 16, v20
	s_delay_alu instid0(VALU_DEP_3) | instskip(SKIP_2) | instid1(VALU_DEP_2)
	v_mul_f32_e32 v34, v27, v34
	v_lshlrev_b32_e32 v16, 16, v16
	v_and_b32_e32 v44, 0xffff0000, v22
	v_dual_fmac_f32 v34, v20, v16 :: v_dual_lshlrev_b32 v17, 16, v18
	v_lshlrev_b32_e32 v16, 16, v22
	v_and_b32_e32 v45, 0xffff0000, v18
	s_delay_alu instid0(VALU_DEP_3) | instskip(SKIP_1) | instid1(VALU_DEP_3)
	v_add_f32_e32 v22, v43, v34
	v_and_b32_e32 v34, 0xffff0000, v8
	v_mul_f32_e32 v18, v44, v45
	s_delay_alu instid0(VALU_DEP_2) | instskip(NEXT) | instid1(VALU_DEP_2)
	v_dual_mul_f32 v27, v27, v34 :: v_dual_lshlrev_b32 v8, 16, v8
	v_dual_fmac_f32 v18, v16, v17 :: v_dual_add_f32 v17, v22, v36
	s_delay_alu instid0(VALU_DEP_2) | instskip(NEXT) | instid1(VALU_DEP_2)
	v_dual_fmac_f32 v27, v20, v8 :: v_dual_and_b32 v36, 0xffff0000, v19
	v_dual_add_f32 v17, v17, v18 :: v_dual_lshlrev_b32 v8, 16, v9
	v_and_b32_e32 v34, 0xffff0000, v9
	s_delay_alu instid0(VALU_DEP_1) | instskip(SKIP_1) | instid1(VALU_DEP_2)
	v_dual_mul_f32 v9, v35, v34 :: v_dual_and_b32 v22, 0xffff0000, v23
	v_lshlrev_b32_e32 v23, 16, v23
	v_fmac_f32_e32 v9, v21, v8
	s_delay_alu instid0(VALU_DEP_3) | instskip(NEXT) | instid1(VALU_DEP_1)
	v_dual_mul_f32 v36, v22, v36 :: v_dual_lshlrev_b32 v19, 16, v19
	v_fmac_f32_e32 v36, v23, v19
	v_add_f32_e32 v19, v42, v27
	s_delay_alu instid0(VALU_DEP_1) | instskip(SKIP_1) | instid1(VALU_DEP_4)
	v_add_f32_e32 v9, v19, v9
	v_and_b32_e32 v19, 0xffff0000, v5
	v_dual_add_f32 v17, v17, v36 :: v_dual_and_b32 v18, 0xffff0000, v10
	v_lshlrev_b32_e32 v5, 16, v5
	v_lshlrev_b32_e32 v8, 16, v10
	s_delay_alu instid0(VALU_DEP_3) | instskip(SKIP_1) | instid1(VALU_DEP_2)
	v_mul_f32_e32 v10, v44, v18
	v_and_b32_e32 v18, 0xffff0000, v11
	v_dual_fmac_f32 v10, v16, v8 :: v_dual_lshlrev_b32 v11, 16, v11
	v_and_b32_e32 v8, 0xffff0000, v12
	v_and_b32_e32 v16, 0xffff0000, v4
	s_delay_alu instid0(VALU_DEP_3) | instskip(SKIP_2) | instid1(VALU_DEP_4)
	v_dual_add_f32 v9, v9, v10 :: v_dual_lshlrev_b32 v4, 16, v4
	v_and_b32_e32 v10, 0xffff0000, v13
	v_lshlrev_b32_e32 v12, 16, v12
	v_mul_f32_e32 v16, v8, v16
	s_delay_alu instid0(VALU_DEP_1) | instskip(NEXT) | instid1(VALU_DEP_1)
	v_fmac_f32_e32 v16, v12, v4
	v_dual_add_f32 v13, v17, v16 :: v_dual_lshlrev_b32 v4, 16, v13
	v_and_b32_e32 v16, 0xffff0000, v14
	v_and_b32_e32 v17, 0xffff0000, v6
	v_lshlrev_b32_e32 v14, 16, v14
	s_delay_alu instid0(VALU_DEP_2) | instskip(SKIP_1) | instid1(VALU_DEP_1)
	v_dual_mul_f32 v17, v16, v17 :: v_dual_lshlrev_b32 v6, 16, v6
	v_mul_f32_e32 v18, v22, v18
	v_dual_fmac_f32 v17, v14, v6 :: v_dual_fmac_f32 v18, v23, v11
	v_mul_f32_e32 v11, v10, v19
	s_delay_alu instid0(VALU_DEP_1) | instskip(SKIP_1) | instid1(VALU_DEP_1)
	v_dual_fmac_f32 v11, v4, v5 :: v_dual_and_b32 v6, 0xffff0000, v15
	v_and_b32_e32 v5, 0xffff0000, v0
	v_dual_mul_f32 v5, v8, v5 :: v_dual_lshlrev_b32 v0, 16, v0
	s_delay_alu instid0(VALU_DEP_3) | instskip(NEXT) | instid1(VALU_DEP_2)
	v_dual_add_f32 v8, v13, v11 :: v_dual_and_b32 v11, 0xffff0000, v1
	v_dual_fmac_f32 v5, v12, v0 :: v_dual_lshlrev_b32 v0, 16, v1
	s_delay_alu instid0(VALU_DEP_2) | instskip(SKIP_2) | instid1(VALU_DEP_1)
	v_mul_f32_e32 v1, v10, v11
	v_and_b32_e32 v11, 0xffff0000, v2
	v_dual_add_f32 v9, v9, v18 :: v_dual_and_b32 v12, 0xffff0000, v7
	v_add_f32_e32 v5, v9, v5
	s_delay_alu instid0(VALU_DEP_2) | instskip(SKIP_4) | instid1(VALU_DEP_4)
	v_mul_f32_e32 v9, v6, v12
	v_dual_fmac_f32 v1, v4, v0 :: v_dual_lshlrev_b32 v0, 16, v2
	v_mul_f32_e32 v2, v16, v11
	v_lshlrev_b32_e32 v4, 16, v7
	v_and_b32_e32 v7, 0xffff0000, v3
	v_add_f32_e32 v1, v5, v1
	v_dual_add_f32 v5, v8, v17 :: v_dual_lshlrev_b32 v10, 16, v15
	v_fmac_f32_e32 v2, v14, v0
	s_delay_alu instid0(VALU_DEP_2) | instskip(SKIP_1) | instid1(VALU_DEP_3)
	v_dual_fmac_f32 v9, v10, v4 :: v_dual_lshlrev_b32 v0, 16, v3
	v_mul_f32_e32 v3, v6, v7
	v_add_f32_e32 v1, v1, v2
	s_delay_alu instid0(VALU_DEP_3) | instskip(NEXT) | instid1(VALU_DEP_3)
	v_add_f32_e32 v43, v5, v9
	v_fmac_f32_e32 v3, v10, v0
	s_delay_alu instid0(VALU_DEP_1)
	v_add_f32_e32 v42, v1, v3
	s_cbranch_scc1 .LBB177_28
.LBB177_18:                             ;   Parent Loop BB177_13 Depth=1
                                        ; =>  This Inner Loop Header: Depth=2
	v_dual_mov_b32 v14, 0 :: v_dual_add_nc_u32 v35, s1, v37
	v_dual_mov_b32 v23, 0 :: v_dual_mov_b32 v22, 0
	v_dual_mov_b32 v21, 0 :: v_dual_mov_b32 v20, 0
	s_delay_alu instid0(VALU_DEP_3) | instskip(SKIP_2) | instid1(VALU_DEP_2)
	v_min_u32_e32 v27, s6, v35
	v_dual_mov_b32 v15, 0 :: v_dual_add_nc_u32 v34, 0x200, v35
	s_mov_b32 s2, exec_lo
	v_lshlrev_b64 v[0:1], 1, v[27:28]
	s_delay_alu instid0(VALU_DEP_2) | instskip(SKIP_1) | instid1(VALU_DEP_2)
	v_min_u32_e32 v27, s6, v34
	s_waitcnt vmcnt(0) lgkmcnt(0)
	v_add_co_u32 v4, vcc_lo, s12, v0
	s_delay_alu instid0(VALU_DEP_3) | instskip(NEXT) | instid1(VALU_DEP_3)
	v_add_co_ci_u32_e32 v5, vcc_lo, s13, v1, vcc_lo
	v_lshlrev_b64 v[0:1], 1, v[27:28]
	s_delay_alu instid0(VALU_DEP_3) | instskip(NEXT) | instid1(VALU_DEP_3)
	v_add_co_u32 v2, vcc_lo, v4, v30
	v_add_co_ci_u32_e32 v3, vcc_lo, v5, v31, vcc_lo
	s_delay_alu instid0(VALU_DEP_3) | instskip(NEXT) | instid1(VALU_DEP_4)
	v_add_co_u32 v6, vcc_lo, s12, v0
	v_add_co_ci_u32_e32 v7, vcc_lo, s13, v1, vcc_lo
	v_add_co_u32 v0, vcc_lo, v4, v32
	v_add_co_ci_u32_e32 v1, vcc_lo, v5, v33, vcc_lo
	s_delay_alu instid0(VALU_DEP_4) | instskip(NEXT) | instid1(VALU_DEP_4)
	v_add_co_u32 v4, vcc_lo, v6, v30
	v_add_co_ci_u32_e32 v5, vcc_lo, v7, v31, vcc_lo
	v_add_co_u32 v12, vcc_lo, v6, v32
	v_add_co_ci_u32_e32 v13, vcc_lo, v7, v33, vcc_lo
	s_clause 0x3
	global_load_b128 v[16:19], v[2:3], off slc dlc
	global_load_b128 v[8:11], v[0:1], off slc dlc
	global_load_b128 v[4:7], v[4:5], off slc dlc
	global_load_b128 v[0:3], v[12:13], off slc dlc
	v_dual_mov_b32 v13, 0 :: v_dual_mov_b32 v12, 0
	v_cmpx_gt_u32_e64 s4, v35
	s_cbranch_execz .LBB177_17
; %bb.19:                               ;   in Loop: Header=BB177_18 Depth=2
	s_mov_b32 s16, exec_lo
                                        ; implicit-def: $vgpr23
	v_cmpx_lt_u32_e32 0x7fff, v35
	s_xor_b32 s16, exec_lo, s16
	s_cbranch_execz .LBB177_21
; %bb.20:                               ;   in Loop: Header=BB177_18 Depth=2
	v_mov_b32_e32 v36, v28
	s_delay_alu instid0(VALU_DEP_1) | instskip(NEXT) | instid1(VALU_DEP_1)
	v_lshlrev_b64 v[12:13], 1, v[35:36]
	v_add_co_u32 v12, vcc_lo, s8, v12
	s_delay_alu instid0(VALU_DEP_2)
	v_add_co_ci_u32_e32 v13, vcc_lo, s9, v13, vcc_lo
	global_load_b128 v[20:23], v[12:13], off
.LBB177_21:                             ;   in Loop: Header=BB177_18 Depth=2
	s_and_not1_saveexec_b32 s16, s16
	s_cbranch_execz .LBB177_23
; %bb.22:                               ;   in Loop: Header=BB177_18 Depth=2
	s_waitcnt vmcnt(0)
	ds_load_b128 v[20:23], v41
.LBB177_23:                             ;   in Loop: Header=BB177_18 Depth=2
	s_or_b32 exec_lo, exec_lo, s16
	v_dual_mov_b32 v15, 0 :: v_dual_mov_b32 v14, 0
	v_dual_mov_b32 v13, 0 :: v_dual_mov_b32 v12, 0
	s_mov_b32 s16, exec_lo
	v_cmpx_gt_u32_e64 s4, v34
	s_cbranch_execz .LBB177_16
; %bb.24:                               ;   in Loop: Header=BB177_18 Depth=2
	s_mov_b32 s17, exec_lo
                                        ; implicit-def: $vgpr15
	v_cmpx_lt_u32_e32 0x7fff, v34
	s_xor_b32 s17, exec_lo, s17
	s_cbranch_execz .LBB177_26
; %bb.25:                               ;   in Loop: Header=BB177_18 Depth=2
	v_mov_b32_e32 v35, v28
	s_delay_alu instid0(VALU_DEP_1) | instskip(NEXT) | instid1(VALU_DEP_1)
	v_lshlrev_b64 v[12:13], 1, v[34:35]
	v_add_co_u32 v12, vcc_lo, s8, v12
	s_delay_alu instid0(VALU_DEP_2)
	v_add_co_ci_u32_e32 v13, vcc_lo, s9, v13, vcc_lo
	global_load_b128 v[12:15], v[12:13], off
.LBB177_26:                             ;   in Loop: Header=BB177_18 Depth=2
	s_and_not1_saveexec_b32 s17, s17
	s_cbranch_execz .LBB177_15
; %bb.27:                               ;   in Loop: Header=BB177_18 Depth=2
	s_waitcnt vmcnt(0)
	ds_load_b128 v[12:15], v41 offset:1024
	s_branch .LBB177_15
.LBB177_28:                             ;   in Loop: Header=BB177_13 Depth=1
	s_delay_alu instid0(VALU_DEP_1) | instskip(SKIP_1) | instid1(VALU_DEP_2)
	v_cvt_i32_f32_e32 v0, v43
	s_waitcnt lgkmcnt(0)
	v_cvt_i32_f32_e32 v1, v42
	s_delay_alu instid0(VALU_DEP_2) | instskip(NEXT) | instid1(VALU_DEP_2)
	v_cvt_f32_i32_dpp v0, v0 row_shr:8 row_mask:0xf bank_mask:0xf bound_ctrl:1
	v_cvt_f32_i32_dpp v1, v1 row_shr:8 row_mask:0xf bank_mask:0xf bound_ctrl:1
	s_delay_alu instid0(VALU_DEP_1) | instskip(NEXT) | instid1(VALU_DEP_1)
	v_dual_add_f32 v0, v43, v0 :: v_dual_add_f32 v1, v42, v1
	v_cvt_i32_f32_e32 v2, v0
	s_delay_alu instid0(VALU_DEP_2) | instskip(NEXT) | instid1(VALU_DEP_2)
	v_cvt_i32_f32_e32 v3, v1
	v_cvt_f32_i32_dpp v2, v2 row_shr:4 row_mask:0xf bank_mask:0xf bound_ctrl:1
	s_delay_alu instid0(VALU_DEP_2) | instskip(NEXT) | instid1(VALU_DEP_1)
	v_cvt_f32_i32_dpp v3, v3 row_shr:4 row_mask:0xf bank_mask:0xf bound_ctrl:1
	v_dual_add_f32 v0, v0, v2 :: v_dual_add_f32 v1, v1, v3
	s_delay_alu instid0(VALU_DEP_1) | instskip(NEXT) | instid1(VALU_DEP_2)
	v_cvt_i32_f32_e32 v2, v0
	v_cvt_i32_f32_e32 v3, v1
	s_delay_alu instid0(VALU_DEP_2) | instskip(NEXT) | instid1(VALU_DEP_2)
	v_cvt_f32_i32_dpp v2, v2 row_shr:2 row_mask:0xf bank_mask:0xf bound_ctrl:1
	v_cvt_f32_i32_dpp v3, v3 row_shr:2 row_mask:0xf bank_mask:0xf bound_ctrl:1
	s_delay_alu instid0(VALU_DEP_1) | instskip(NEXT) | instid1(VALU_DEP_1)
	v_dual_add_f32 v0, v0, v2 :: v_dual_add_f32 v1, v1, v3
	v_cvt_i32_f32_e32 v2, v0
	s_delay_alu instid0(VALU_DEP_2) | instskip(NEXT) | instid1(VALU_DEP_2)
	v_cvt_i32_f32_e32 v3, v1
	v_cvt_f32_i32_dpp v2, v2 row_shr:1 row_mask:0xf bank_mask:0xf bound_ctrl:1
	s_delay_alu instid0(VALU_DEP_2) | instskip(NEXT) | instid1(VALU_DEP_2)
	v_cvt_f32_i32_dpp v3, v3 row_shr:1 row_mask:0xf bank_mask:0xf bound_ctrl:1
	v_add_f32_e32 v2, v0, v2
	s_delay_alu instid0(VALU_DEP_2)
	v_add_f32_e32 v0, v1, v3
	ds_bpermute_b32 v3, v39, v2
	ds_bpermute_b32 v1, v39, v0
	s_and_saveexec_b32 s1, s0
	s_cbranch_execz .LBB177_43
; %bb.29:                               ;   in Loop: Header=BB177_13 Depth=1
	s_waitcnt vmcnt(0)
	v_dual_mov_b32 v4, 0 :: v_dual_mov_b32 v5, 0
	s_and_not1_b32 vcc_lo, exec_lo, s20
	s_cbranch_vccnz .LBB177_31
; %bb.30:                               ;   in Loop: Header=BB177_13 Depth=1
	v_mul_hi_u32 v4, v26, v40
	v_mul_hi_u32 v5, v29, v40
	s_delay_alu instid0(VALU_DEP_2) | instskip(NEXT) | instid1(VALU_DEP_2)
	v_mul_lo_u32 v4, v4, s18
	v_mul_lo_u32 v5, v5, s18
	s_delay_alu instid0(VALU_DEP_2) | instskip(NEXT) | instid1(VALU_DEP_2)
	v_sub_nc_u32_e32 v4, v26, v4
	v_sub_nc_u32_e32 v5, v29, v5
	s_delay_alu instid0(VALU_DEP_2) | instskip(SKIP_1) | instid1(VALU_DEP_2)
	v_subrev_nc_u32_e32 v6, s18, v4
	v_cmp_le_u32_e32 vcc_lo, s18, v4
	v_cndmask_b32_e32 v4, v4, v6, vcc_lo
	s_delay_alu instid0(VALU_DEP_4) | instskip(SKIP_1) | instid1(VALU_DEP_3)
	v_subrev_nc_u32_e32 v6, s18, v5
	v_cmp_le_u32_e32 vcc_lo, s18, v5
	v_subrev_nc_u32_e32 v7, s18, v4
	s_delay_alu instid0(VALU_DEP_3) | instskip(SKIP_1) | instid1(VALU_DEP_3)
	v_cndmask_b32_e32 v6, v5, v6, vcc_lo
	v_cmp_le_u32_e32 vcc_lo, s18, v4
	v_cndmask_b32_e32 v27, v4, v7, vcc_lo
	s_delay_alu instid0(VALU_DEP_3) | instskip(SKIP_1) | instid1(VALU_DEP_3)
	v_subrev_nc_u32_e32 v7, s18, v6
	v_cmp_le_u32_e32 vcc_lo, s18, v6
	v_lshlrev_b64 v[4:5], 1, v[27:28]
	s_delay_alu instid0(VALU_DEP_3) | instskip(NEXT) | instid1(VALU_DEP_2)
	v_cndmask_b32_e32 v27, v6, v7, vcc_lo
	v_add_co_u32 v4, vcc_lo, s10, v4
	s_delay_alu instid0(VALU_DEP_2) | instskip(NEXT) | instid1(VALU_DEP_4)
	v_lshlrev_b64 v[6:7], 1, v[27:28]
	v_add_co_ci_u32_e32 v5, vcc_lo, s11, v5, vcc_lo
	s_delay_alu instid0(VALU_DEP_2) | instskip(NEXT) | instid1(VALU_DEP_3)
	v_add_co_u32 v6, vcc_lo, s10, v6
	v_add_co_ci_u32_e32 v7, vcc_lo, s11, v7, vcc_lo
	s_clause 0x1
	global_load_u16 v5, v[4:5], off
	global_load_u16 v4, v[6:7], off
.LBB177_31:                             ;   in Loop: Header=BB177_13 Depth=1
	s_mov_b32 s2, exec_lo
	v_cmpx_ne_u32_e32 0, v24
	s_cbranch_execz .LBB177_37
; %bb.32:                               ;   in Loop: Header=BB177_13 Depth=1
	s_waitcnt vmcnt(1) lgkmcnt(0)
	v_dual_add_f32 v2, v2, v3 :: v_dual_lshlrev_b32 v3, 16, v5
	s_delay_alu instid0(VALU_DEP_1) | instskip(NEXT) | instid1(VALU_DEP_1)
	v_add_f32_e32 v3, v2, v3
	v_and_b32_e32 v2, 0x7f800000, v3
	s_delay_alu instid0(VALU_DEP_1) | instskip(SKIP_1) | instid1(SALU_CYCLE_1)
	v_cmp_ne_u32_e32 vcc_lo, 0x7f800000, v2
                                        ; implicit-def: $vgpr2
	s_and_saveexec_b32 s16, vcc_lo
	s_xor_b32 s16, exec_lo, s16
; %bb.33:                               ;   in Loop: Header=BB177_13 Depth=1
	v_bfe_u32 v2, v3, 16, 1
	s_delay_alu instid0(VALU_DEP_1)
	v_add3_u32 v2, v3, v2, 0x7fff
                                        ; implicit-def: $vgpr3
; %bb.34:                               ;   in Loop: Header=BB177_13 Depth=1
	s_and_not1_saveexec_b32 s16, s16
; %bb.35:                               ;   in Loop: Header=BB177_13 Depth=1
	v_and_b32_e32 v2, 0xffff, v3
	v_or_b32_e32 v5, 0x10000, v3
	s_delay_alu instid0(VALU_DEP_2) | instskip(NEXT) | instid1(VALU_DEP_2)
	v_cmp_eq_u32_e32 vcc_lo, 0, v2
	v_cndmask_b32_e32 v2, v5, v3, vcc_lo
; %bb.36:                               ;   in Loop: Header=BB177_13 Depth=1
	s_or_b32 exec_lo, exec_lo, s16
	v_mov_b32_e32 v27, v28
	s_delay_alu instid0(VALU_DEP_1) | instskip(NEXT) | instid1(VALU_DEP_1)
	v_lshlrev_b64 v[5:6], 1, v[26:27]
	v_add_co_u32 v5, vcc_lo, s14, v5
	s_delay_alu instid0(VALU_DEP_2)
	v_add_co_ci_u32_e32 v6, vcc_lo, s15, v6, vcc_lo
	global_store_d16_hi_b16 v[5:6], v2, off
.LBB177_37:                             ;   in Loop: Header=BB177_13 Depth=1
	s_or_b32 exec_lo, exec_lo, s2
	v_cmp_ne_u32_e32 vcc_lo, 0, v25
	s_and_b32 exec_lo, exec_lo, vcc_lo
	s_cbranch_execz .LBB177_43
; %bb.38:                               ;   in Loop: Header=BB177_13 Depth=1
	s_waitcnt vmcnt(0) lgkmcnt(0)
	v_dual_add_f32 v0, v0, v1 :: v_dual_lshlrev_b32 v1, 16, v4
	s_delay_alu instid0(VALU_DEP_1) | instskip(NEXT) | instid1(VALU_DEP_1)
	v_add_f32_e32 v1, v0, v1
	v_and_b32_e32 v0, 0x7f800000, v1
	s_delay_alu instid0(VALU_DEP_1) | instskip(SKIP_1) | instid1(SALU_CYCLE_1)
	v_cmp_ne_u32_e32 vcc_lo, 0x7f800000, v0
                                        ; implicit-def: $vgpr0
	s_and_saveexec_b32 s2, vcc_lo
	s_xor_b32 s2, exec_lo, s2
; %bb.39:                               ;   in Loop: Header=BB177_13 Depth=1
	v_bfe_u32 v0, v1, 16, 1
	s_delay_alu instid0(VALU_DEP_1)
	v_add3_u32 v0, v1, v0, 0x7fff
                                        ; implicit-def: $vgpr1
; %bb.40:                               ;   in Loop: Header=BB177_13 Depth=1
	s_and_not1_saveexec_b32 s2, s2
; %bb.41:                               ;   in Loop: Header=BB177_13 Depth=1
	v_and_b32_e32 v0, 0xffff, v1
	v_or_b32_e32 v2, 0x10000, v1
	s_delay_alu instid0(VALU_DEP_2) | instskip(NEXT) | instid1(VALU_DEP_2)
	v_cmp_eq_u32_e32 vcc_lo, 0, v0
	v_cndmask_b32_e32 v0, v2, v1, vcc_lo
; %bb.42:                               ;   in Loop: Header=BB177_13 Depth=1
	s_or_b32 exec_lo, exec_lo, s2
	v_mov_b32_e32 v30, v28
	s_delay_alu instid0(VALU_DEP_1) | instskip(NEXT) | instid1(VALU_DEP_1)
	v_lshlrev_b64 v[1:2], 1, v[29:30]
	v_add_co_u32 v1, vcc_lo, s14, v1
	s_delay_alu instid0(VALU_DEP_2)
	v_add_co_ci_u32_e32 v2, vcc_lo, s15, v2, vcc_lo
	global_store_d16_hi_b16 v[1:2], v0, off
.LBB177_43:                             ;   in Loop: Header=BB177_13 Depth=1
	s_or_b32 exec_lo, exec_lo, s1
	v_add_nc_u32_e32 v26, s22, v26
	s_delay_alu instid0(VALU_DEP_1) | instskip(SKIP_1) | instid1(VALU_DEP_2)
	v_add_nc_u32_e32 v0, 2, v26
	v_cmp_gt_u32_e32 vcc_lo, s7, v26
	v_cmp_le_u32_e64 s1, s7, v0
	s_delay_alu instid0(VALU_DEP_1) | instskip(NEXT) | instid1(SALU_CYCLE_1)
	s_and_b32 s1, vcc_lo, s1
	s_and_saveexec_b32 s24, s1
	s_cbranch_execz .LBB177_12
; %bb.44:                               ;   in Loop: Header=BB177_13 Depth=1
	s_mov_b32 s25, exec_lo
	v_cmpx_ne_u32_e64 s23, v26
	s_cbranch_execz .LBB177_11
; %bb.45:                               ;   in Loop: Header=BB177_13 Depth=1
	v_subrev_nc_u32_e32 v0, s23, v26
	s_mov_b32 s26, 0
	s_mov_b64 s[16:17], 0
	s_delay_alu instid0(VALU_DEP_1)
	v_cmp_lt_u32_e32 vcc_lo, 1, v0
	v_cndmask_b32_e32 v0, 1, v0, vcc_lo
.LBB177_46:                             ;   Parent Loop BB177_13 Depth=1
                                        ; =>  This Inner Loop Header: Depth=2
	s_cmp_lg_u32 s16, 1
	s_cselect_b32 vcc_lo, -1, 0
	s_cmp_lg_u32 s16, 0
	v_cndmask_b32_e32 v25, 0, v25, vcc_lo
	s_cselect_b32 s1, -1, 0
	s_add_u32 s16, s16, 1
	v_cndmask_b32_e64 v24, 0, v24, s1
	v_cmp_eq_u32_e64 s2, s16, v0
	s_addc_u32 s17, s17, 0
	s_delay_alu instid0(VALU_DEP_1) | instskip(NEXT) | instid1(SALU_CYCLE_1)
	s_or_b32 s26, s2, s26
	s_and_not1_b32 exec_lo, exec_lo, s26
	s_cbranch_execnz .LBB177_46
; %bb.47:                               ;   in Loop: Header=BB177_13 Depth=1
	s_or_b32 exec_lo, exec_lo, s26
	s_branch .LBB177_11
.LBB177_48:
	s_nop 0
	s_sendmsg sendmsg(MSG_DEALLOC_VGPRS)
	s_endpgm
	.section	.rodata,"a",@progbits
	.p2align	6, 0x0
	.amdhsa_kernel _Z12wvSplitK_hf_I14__hip_bfloat16Li64ELi2ELi16ELi8ELi2ELi1EEviiiiiiPKT_S3_S3_PS1_ii
		.amdhsa_group_segment_fixed_size 65536
		.amdhsa_private_segment_fixed_size 0
		.amdhsa_kernarg_size 64
		.amdhsa_user_sgpr_count 15
		.amdhsa_user_sgpr_dispatch_ptr 0
		.amdhsa_user_sgpr_queue_ptr 0
		.amdhsa_user_sgpr_kernarg_segment_ptr 1
		.amdhsa_user_sgpr_dispatch_id 0
		.amdhsa_user_sgpr_private_segment_size 0
		.amdhsa_wavefront_size32 1
		.amdhsa_uses_dynamic_stack 0
		.amdhsa_enable_private_segment 0
		.amdhsa_system_sgpr_workgroup_id_x 1
		.amdhsa_system_sgpr_workgroup_id_y 0
		.amdhsa_system_sgpr_workgroup_id_z 0
		.amdhsa_system_sgpr_workgroup_info 0
		.amdhsa_system_vgpr_workitem_id 1
		.amdhsa_next_free_vgpr 46
		.amdhsa_next_free_sgpr 27
		.amdhsa_reserve_vcc 1
		.amdhsa_float_round_mode_32 0
		.amdhsa_float_round_mode_16_64 0
		.amdhsa_float_denorm_mode_32 3
		.amdhsa_float_denorm_mode_16_64 3
		.amdhsa_dx10_clamp 1
		.amdhsa_ieee_mode 1
		.amdhsa_fp16_overflow 0
		.amdhsa_workgroup_processor_mode 1
		.amdhsa_memory_ordered 1
		.amdhsa_forward_progress 0
		.amdhsa_shared_vgpr_count 0
		.amdhsa_exception_fp_ieee_invalid_op 0
		.amdhsa_exception_fp_denorm_src 0
		.amdhsa_exception_fp_ieee_div_zero 0
		.amdhsa_exception_fp_ieee_overflow 0
		.amdhsa_exception_fp_ieee_underflow 0
		.amdhsa_exception_fp_ieee_inexact 0
		.amdhsa_exception_int_div_zero 0
	.end_amdhsa_kernel
	.section	.text._Z12wvSplitK_hf_I14__hip_bfloat16Li64ELi2ELi16ELi8ELi2ELi1EEviiiiiiPKT_S3_S3_PS1_ii,"axG",@progbits,_Z12wvSplitK_hf_I14__hip_bfloat16Li64ELi2ELi16ELi8ELi2ELi1EEviiiiiiPKT_S3_S3_PS1_ii,comdat
.Lfunc_end177:
	.size	_Z12wvSplitK_hf_I14__hip_bfloat16Li64ELi2ELi16ELi8ELi2ELi1EEviiiiiiPKT_S3_S3_PS1_ii, .Lfunc_end177-_Z12wvSplitK_hf_I14__hip_bfloat16Li64ELi2ELi16ELi8ELi2ELi1EEviiiiiiPKT_S3_S3_PS1_ii
                                        ; -- End function
	.section	.AMDGPU.csdata,"",@progbits
; Kernel info:
; codeLenInByte = 2684
; NumSgprs: 29
; NumVgprs: 46
; ScratchSize: 0
; MemoryBound: 0
; FloatMode: 240
; IeeeMode: 1
; LDSByteSize: 65536 bytes/workgroup (compile time only)
; SGPRBlocks: 3
; VGPRBlocks: 5
; NumSGPRsForWavesPerEU: 29
; NumVGPRsForWavesPerEU: 46
; Occupancy: 16
; WaveLimiterHint : 0
; COMPUTE_PGM_RSRC2:SCRATCH_EN: 0
; COMPUTE_PGM_RSRC2:USER_SGPR: 15
; COMPUTE_PGM_RSRC2:TRAP_HANDLER: 0
; COMPUTE_PGM_RSRC2:TGID_X_EN: 1
; COMPUTE_PGM_RSRC2:TGID_Y_EN: 0
; COMPUTE_PGM_RSRC2:TGID_Z_EN: 0
; COMPUTE_PGM_RSRC2:TIDIG_COMP_CNT: 1
	.section	.text._Z16wvSplitK_hf_big_I14__hip_bfloat16Li64ELi2ELi16ELi8ELi2ELi1EEviiiiiiPKT_S3_S3_PS1_ii,"axG",@progbits,_Z16wvSplitK_hf_big_I14__hip_bfloat16Li64ELi2ELi16ELi8ELi2ELi1EEviiiiiiPKT_S3_S3_PS1_ii,comdat
	.protected	_Z16wvSplitK_hf_big_I14__hip_bfloat16Li64ELi2ELi16ELi8ELi2ELi1EEviiiiiiPKT_S3_S3_PS1_ii ; -- Begin function _Z16wvSplitK_hf_big_I14__hip_bfloat16Li64ELi2ELi16ELi8ELi2ELi1EEviiiiiiPKT_S3_S3_PS1_ii
	.globl	_Z16wvSplitK_hf_big_I14__hip_bfloat16Li64ELi2ELi16ELi8ELi2ELi1EEviiiiiiPKT_S3_S3_PS1_ii
	.p2align	8
	.type	_Z16wvSplitK_hf_big_I14__hip_bfloat16Li64ELi2ELi16ELi8ELi2ELi1EEviiiiiiPKT_S3_S3_PS1_ii,@function
_Z16wvSplitK_hf_big_I14__hip_bfloat16Li64ELi2ELi16ELi8ELi2ELi1EEviiiiiiPKT_S3_S3_PS1_ii: ; @_Z16wvSplitK_hf_big_I14__hip_bfloat16Li64ELi2ELi16ELi8ELi2ELi1EEviiiiiiPKT_S3_S3_PS1_ii
; %bb.0:
	s_load_b64 s[12:13], s[0:1], 0x38
	v_bfe_u32 v1, v0, 10, 10
	s_mov_b32 s2, exec_lo
	s_waitcnt lgkmcnt(0)
	s_delay_alu instid0(VALU_DEP_1)
	v_cmpx_gt_u32_e64 s12, v1
	s_cbranch_execz .LBB178_52
; %bb.1:
	s_load_b128 s[16:19], s[0:1], 0x0
	s_mul_i32 s15, s15, s12
	s_mov_b32 s4, 1
	v_add_lshl_u32 v26, s15, v1, 1
	s_mov_b32 s5, s4
	s_delay_alu instid0(SALU_CYCLE_1) | instskip(NEXT) | instid1(VALU_DEP_2)
	v_dual_mov_b32 v25, s5 :: v_dual_mov_b32 v24, s4
	v_add_nc_u32_e32 v2, 2, v26
	s_waitcnt lgkmcnt(0)
	v_cmp_gt_u32_e32 vcc_lo, s19, v26
	s_delay_alu instid0(VALU_DEP_2) | instskip(NEXT) | instid1(VALU_DEP_1)
	v_cmp_le_u32_e64 s2, s19, v2
	s_and_b32 s2, vcc_lo, s2
	s_delay_alu instid0(SALU_CYCLE_1)
	s_and_saveexec_b32 s6, s2
	s_cbranch_execz .LBB178_7
; %bb.2:
	v_dual_mov_b32 v25, s5 :: v_dual_mov_b32 v24, s4
	s_add_i32 s7, s19, -2
	s_mov_b32 s8, exec_lo
	v_cmpx_ne_u32_e64 s7, v26
	s_cbranch_execz .LBB178_6
; %bb.3:
	v_subrev_nc_u32_e32 v2, s7, v26
	s_mov_b32 s2, 1
	s_mov_b32 s9, 0
	s_mov_b64 s[4:5], 0
	s_mov_b32 s3, s2
	v_cmp_lt_u32_e32 vcc_lo, 1, v2
	v_cndmask_b32_e32 v2, 1, v2, vcc_lo
.LBB178_4:                              ; =>This Inner Loop Header: Depth=1
	s_cmp_lg_u32 s4, 1
	s_cselect_b32 s3, s3, 0
	s_cmp_lg_u32 s4, 0
	s_cselect_b32 s2, s2, 0
	s_add_u32 s4, s4, 1
	v_dual_mov_b32 v25, s3 :: v_dual_mov_b32 v24, s2
	v_cmp_eq_u32_e32 vcc_lo, s4, v2
	s_addc_u32 s5, s5, 0
	s_or_b32 s9, vcc_lo, s9
	s_delay_alu instid0(SALU_CYCLE_1)
	s_and_not1_b32 exec_lo, exec_lo, s9
	s_cbranch_execnz .LBB178_4
; %bb.5:
	s_or_b32 exec_lo, exec_lo, s9
	v_mov_b32_e32 v26, s7
.LBB178_6:
	s_or_b32 exec_lo, exec_lo, s8
.LBB178_7:
	s_delay_alu instid0(SALU_CYCLE_1)
	s_or_b32 exec_lo, exec_lo, s6
	s_lshl_b32 s2, s12, 1
	s_abs_i32 s6, s19
	s_abs_i32 s3, s2
	s_mov_b32 s14, 0
	v_cvt_f32_u32_e32 v2, s3
	s_sub_i32 s5, 0, s3
	s_delay_alu instid0(VALU_DEP_1) | instskip(SKIP_2) | instid1(VALU_DEP_1)
	v_rcp_iflag_f32_e32 v2, v2
	s_waitcnt_depctr 0xfff
	v_mul_f32_e32 v2, 0x4f7ffffe, v2
	v_cvt_u32_f32_e32 v2, v2
	s_delay_alu instid0(VALU_DEP_1) | instskip(NEXT) | instid1(VALU_DEP_1)
	v_readfirstlane_b32 s4, v2
	s_mul_i32 s5, s5, s4
	s_delay_alu instid0(SALU_CYCLE_1) | instskip(NEXT) | instid1(SALU_CYCLE_1)
	s_mul_hi_u32 s5, s4, s5
	s_add_i32 s4, s4, s5
	s_ashr_i32 s5, s19, 31
	s_mul_hi_u32 s4, s6, s4
	s_delay_alu instid0(SALU_CYCLE_1) | instskip(NEXT) | instid1(SALU_CYCLE_1)
	s_mul_i32 s4, s4, s3
	s_sub_i32 s4, s6, s4
	s_delay_alu instid0(SALU_CYCLE_1) | instskip(SKIP_2) | instid1(SALU_CYCLE_1)
	s_sub_i32 s6, s4, s3
	s_cmp_ge_u32 s4, s3
	s_cselect_b32 s4, s6, s4
	s_sub_i32 s6, s4, s3
	s_cmp_ge_u32 s4, s3
	s_cselect_b32 s3, s6, s4
	s_add_i32 s2, s2, s19
	s_xor_b32 s3, s3, s5
	s_delay_alu instid0(SALU_CYCLE_1) | instskip(NEXT) | instid1(SALU_CYCLE_1)
	s_sub_i32 s3, s3, s5
	s_sub_i32 s2, s2, s3
	s_cmp_eq_u32 s3, 0
	s_cselect_b32 s3, s19, s2
	s_delay_alu instid0(SALU_CYCLE_1)
	v_cmp_gt_u32_e32 vcc_lo, s3, v26
	s_and_b32 exec_lo, exec_lo, vcc_lo
	s_cbranch_execz .LBB178_52
; %bb.8:
	s_clause 0x1
	s_load_b32 s15, s[0:1], 0x10
	s_load_b256 s[4:11], s[0:1], 0x18
	s_min_u32 s20, s18, 0x8000
	v_and_b32_e32 v0, 0x3ff, v0
	s_cmp_lg_u32 s16, 0
	s_mul_i32 s0, s13, s12
	s_cselect_b32 s21, -1, 0
	s_cmp_lg_u32 s18, 0
	v_lshlrev_b32_e32 v4, 4, v0
	s_cselect_b32 s22, -1, 0
	s_lshl_b32 s23, s12, 9
	s_add_i32 s24, s16, -8
	s_add_i32 s25, s19, -1
	s_lshl_b32 s26, s0, 1
	v_mov_b32_e32 v28, 0
	v_lshl_add_u32 v34, v1, 10, v4
	v_mbcnt_lo_u32_b32 v37, -1, 0
	v_lshlrev_b32_e32 v33, 3, v0
	s_waitcnt lgkmcnt(0)
	v_cvt_f32_u32_e32 v2, s15
	s_cmp_lg_u64 s[8:9], 0
	s_delay_alu instid0(VALU_DEP_2)
	v_lshl_add_u32 v35, v1, 9, v33
	s_cselect_b32 s27, -1, 0
	s_sub_i32 s0, 0, s15
	v_rcp_iflag_f32_e32 v2, v2
	s_add_i32 s28, s19, -2
	s_add_u32 s29, s10, 2
	s_addc_u32 s30, s11, 0
	s_lshl_b32 s31, s12, 10
	s_waitcnt_depctr 0xfff
	v_mul_f32_e32 v2, 0x4f7ffffe, v2
	s_delay_alu instid0(VALU_DEP_1) | instskip(NEXT) | instid1(VALU_DEP_1)
	v_cvt_u32_f32_e32 v2, v2
	v_mul_lo_u32 v3, s0, v2
	v_cmp_eq_u32_e64 s0, 63, v0
	s_delay_alu instid0(VALU_DEP_2) | instskip(NEXT) | instid1(VALU_DEP_1)
	v_mul_hi_u32 v3, v2, v3
	v_add_nc_u32_e32 v36, v2, v3
	s_branch .LBB178_12
.LBB178_9:                              ;   in Loop: Header=BB178_12 Depth=1
	s_or_b32 exec_lo, exec_lo, s35
	v_mov_b32_e32 v26, s28
.LBB178_10:                             ;   in Loop: Header=BB178_12 Depth=1
	s_or_b32 exec_lo, exec_lo, s34
.LBB178_11:                             ;   in Loop: Header=BB178_12 Depth=1
	s_delay_alu instid0(SALU_CYCLE_1) | instskip(NEXT) | instid1(VALU_DEP_1)
	s_or_b32 exec_lo, exec_lo, s33
	v_cmp_le_u32_e32 vcc_lo, s3, v26
	s_or_b32 s14, vcc_lo, s14
	s_delay_alu instid0(SALU_CYCLE_1)
	s_and_not1_b32 exec_lo, exec_lo, s14
	s_cbranch_execz .LBB178_52
.LBB178_12:                             ; =>This Loop Header: Depth=1
                                        ;     Child Loop BB178_17 Depth 2
                                        ;       Child Loop BB178_22 Depth 3
                                        ;     Child Loop BB178_50 Depth 2
	v_mov_b32_e32 v39, v28
	v_mov_b32_e32 v38, v28
	s_and_not1_b32 vcc_lo, exec_lo, s21
	s_mov_b32 s12, 0
	s_cbranch_vccnz .LBB178_29
; %bb.13:                               ;   in Loop: Header=BB178_12 Depth=1
	v_add_nc_u32_e32 v0, 1, v26
	s_waitcnt lgkmcnt(0)
	v_min_u32_e32 v1, s25, v26
	v_cmp_gt_u32_e64 s1, s19, v26
	v_dual_mov_b32 v38, 0 :: v_dual_mov_b32 v39, 0
	s_mov_b32 s13, 0
	s_delay_alu instid0(VALU_DEP_3) | instskip(SKIP_2) | instid1(VALU_DEP_1)
	v_mul_lo_u32 v27, v1, s17
	v_mov_b32_e32 v1, v28
	v_min_u32_e32 v0, s25, v0
	v_mul_lo_u32 v0, v0, s17
	s_delay_alu instid0(VALU_DEP_4) | instskip(NEXT) | instid1(VALU_DEP_2)
	v_lshlrev_b64 v[29:30], 1, v[27:28]
	v_lshlrev_b64 v[31:32], 1, v[0:1]
	s_branch .LBB178_17
.LBB178_14:                             ;   in Loop: Header=BB178_17 Depth=2
	s_or_b32 exec_lo, exec_lo, s34
.LBB178_15:                             ;   in Loop: Header=BB178_17 Depth=2
	s_delay_alu instid0(SALU_CYCLE_1)
	s_or_b32 exec_lo, exec_lo, s33
	s_waitcnt lgkmcnt(0)
	v_and_b32_e32 v41, 0xffff0000, v21
	s_waitcnt vmcnt(3)
	v_and_b32_e32 v42, 0xffff0000, v17
	v_and_b32_e32 v27, 0xffff0000, v20
	;; [unrolled: 1-line block ×3, first 2 shown]
	s_delay_alu instid0(VALU_DEP_3) | instskip(SKIP_4) | instid1(VALU_DEP_1)
	v_mul_f32_e32 v42, v41, v42
	v_lshlrev_b32_e32 v20, 16, v20
	v_lshlrev_b32_e32 v21, 16, v21
	v_and_b32_e32 v43, 0xffff0000, v22
	v_lshlrev_b32_e32 v17, 16, v17
	v_fmac_f32_e32 v42, v21, v17
	v_and_b32_e32 v40, 0xffff0000, v16
	s_delay_alu instid0(VALU_DEP_1) | instskip(SKIP_1) | instid1(VALU_DEP_1)
	v_mul_f32_e32 v40, v27, v40
	v_lshlrev_b32_e32 v16, 16, v16
	v_fmac_f32_e32 v40, v20, v16
	v_lshlrev_b32_e32 v16, 16, v22
	v_dual_mul_f32 v18, v43, v44 :: v_dual_lshlrev_b32 v17, 16, v18
	s_delay_alu instid0(VALU_DEP_3) | instskip(SKIP_2) | instid1(VALU_DEP_1)
	v_add_f32_e32 v22, v39, v40
	s_waitcnt vmcnt(2)
	v_and_b32_e32 v39, 0xffff0000, v12
	v_dual_mul_f32 v27, v27, v39 :: v_dual_lshlrev_b32 v12, 16, v12
	v_and_b32_e32 v39, 0xffff0000, v13
	s_delay_alu instid0(VALU_DEP_2) | instskip(NEXT) | instid1(VALU_DEP_2)
	v_dual_fmac_f32 v27, v20, v12 :: v_dual_lshlrev_b32 v12, 16, v13
	v_mul_f32_e32 v13, v41, v39
	s_delay_alu instid0(VALU_DEP_1) | instskip(SKIP_3) | instid1(VALU_DEP_3)
	v_dual_fmac_f32 v13, v21, v12 :: v_dual_fmac_f32 v18, v16, v17
	v_dual_add_f32 v17, v22, v42 :: v_dual_and_b32 v22, 0xffff0000, v23
	v_and_b32_e32 v40, 0xffff0000, v19
	v_lshlrev_b32_e32 v12, 16, v14
	v_add_f32_e32 v17, v17, v18
	s_delay_alu instid0(VALU_DEP_3) | instskip(SKIP_1) | instid1(VALU_DEP_1)
	v_dual_mul_f32 v40, v22, v40 :: v_dual_lshlrev_b32 v23, 16, v23
	v_and_b32_e32 v18, 0xffff0000, v14
	v_dual_mul_f32 v14, v43, v18 :: v_dual_lshlrev_b32 v19, 16, v19
	s_delay_alu instid0(VALU_DEP_1) | instskip(NEXT) | instid1(VALU_DEP_2)
	v_fmac_f32_e32 v40, v23, v19
	v_dual_add_f32 v19, v38, v27 :: v_dual_fmac_f32 v14, v16, v12
	s_delay_alu instid0(VALU_DEP_2) | instskip(NEXT) | instid1(VALU_DEP_2)
	v_add_f32_e32 v17, v17, v40
	v_add_f32_e32 v13, v19, v13
	s_waitcnt vmcnt(1)
	v_and_b32_e32 v19, 0xffff0000, v5
	v_lshlrev_b32_e32 v5, 16, v5
	s_delay_alu instid0(VALU_DEP_3) | instskip(SKIP_4) | instid1(VALU_DEP_4)
	v_dual_add_f32 v13, v13, v14 :: v_dual_and_b32 v12, 0xffff0000, v8
	v_and_b32_e32 v16, 0xffff0000, v4
	v_lshlrev_b32_e32 v8, 16, v8
	v_lshlrev_b32_e32 v4, 16, v4
	v_and_b32_e32 v14, 0xffff0000, v9
	v_mul_f32_e32 v16, v12, v16
	s_delay_alu instid0(VALU_DEP_1) | instskip(NEXT) | instid1(VALU_DEP_3)
	v_fmac_f32_e32 v16, v8, v4
	v_dual_mul_f32 v9, v14, v19 :: v_dual_lshlrev_b32 v4, 16, v9
	v_and_b32_e32 v18, 0xffff0000, v15
	v_lshlrev_b32_e32 v15, 16, v15
	s_delay_alu instid0(VALU_DEP_2) | instskip(SKIP_3) | instid1(VALU_DEP_3)
	v_dual_fmac_f32 v9, v4, v5 :: v_dual_mul_f32 v18, v22, v18
	s_waitcnt vmcnt(0)
	v_and_b32_e32 v5, 0xffff0000, v0
	v_lshlrev_b32_e32 v0, 16, v0
	v_dual_fmac_f32 v18, v23, v15 :: v_dual_add_f32 v15, v17, v16
	v_and_b32_e32 v17, 0xffff0000, v6
	s_delay_alu instid0(VALU_DEP_2) | instskip(SKIP_3) | instid1(VALU_DEP_1)
	v_add_f32_e32 v13, v13, v18
	v_mul_f32_e32 v5, v12, v5
	v_and_b32_e32 v12, 0xffff0000, v1
	v_dual_add_f32 v9, v15, v9 :: v_dual_and_b32 v16, 0xffff0000, v10
	v_mul_f32_e32 v17, v16, v17
	s_delay_alu instid0(VALU_DEP_4) | instskip(SKIP_1) | instid1(VALU_DEP_2)
	v_dual_fmac_f32 v5, v8, v0 :: v_dual_lshlrev_b32 v10, 16, v10
	v_lshlrev_b32_e32 v0, 16, v1
	v_dual_add_f32 v5, v13, v5 :: v_dual_lshlrev_b32 v6, 16, v6
	s_delay_alu instid0(VALU_DEP_1) | instskip(SKIP_1) | instid1(VALU_DEP_1)
	v_fmac_f32_e32 v17, v10, v6
	v_dual_mul_f32 v1, v14, v12 :: v_dual_and_b32 v6, 0xffff0000, v11
	v_fmac_f32_e32 v1, v4, v0
	s_delay_alu instid0(VALU_DEP_1) | instskip(NEXT) | instid1(VALU_DEP_4)
	v_add_f32_e32 v1, v5, v1
	v_dual_add_f32 v5, v9, v17 :: v_dual_lshlrev_b32 v8, 16, v11
	v_lshlrev_b32_e32 v0, 16, v2
	v_and_b32_e32 v11, 0xffff0000, v2
	s_delay_alu instid0(VALU_DEP_1) | instskip(NEXT) | instid1(VALU_DEP_1)
	v_mul_f32_e32 v2, v16, v11
	v_fmac_f32_e32 v2, v10, v0
	s_delay_alu instid0(VALU_DEP_1) | instskip(SKIP_3) | instid1(VALU_DEP_2)
	v_dual_add_f32 v1, v1, v2 :: v_dual_lshlrev_b32 v0, 16, v3
	v_lshlrev_b32_e32 v4, 16, v7
	v_and_b32_e32 v12, 0xffff0000, v7
	v_and_b32_e32 v7, 0xffff0000, v3
	v_mul_f32_e32 v11, v6, v12
	s_delay_alu instid0(VALU_DEP_2) | instskip(NEXT) | instid1(VALU_DEP_1)
	v_mul_f32_e32 v3, v6, v7
	v_fmac_f32_e32 v3, v8, v0
	s_delay_alu instid0(VALU_DEP_1) | instskip(NEXT) | instid1(VALU_DEP_1)
	v_dual_fmac_f32 v11, v8, v4 :: v_dual_add_f32 v38, v1, v3
	v_add_f32_e32 v39, v5, v11
.LBB178_16:                             ;   in Loop: Header=BB178_17 Depth=2
	s_or_b32 exec_lo, exec_lo, s2
	s_addk_i32 s13, 0x400
	s_delay_alu instid0(SALU_CYCLE_1)
	s_cmp_ge_u32 s13, s16
	s_cbranch_scc1 .LBB178_29
.LBB178_17:                             ;   Parent Loop BB178_12 Depth=1
                                        ; =>  This Loop Header: Depth=2
                                        ;       Child Loop BB178_22 Depth 3
	s_cmp_eq_u32 s13, 0
	s_cselect_b32 s33, -1, 0
	s_add_i32 s2, s12, s20
	s_delay_alu instid0(SALU_CYCLE_1) | instskip(SKIP_1) | instid1(SALU_CYCLE_1)
	s_cmp_eq_u32 s13, s2
	s_cselect_b32 s34, -1, 0
	s_or_b32 s34, s33, s34
	s_delay_alu instid0(SALU_CYCLE_1)
	s_and_not1_b32 vcc_lo, exec_lo, s34
	s_cbranch_vccz .LBB178_19
; %bb.18:                               ;   in Loop: Header=BB178_17 Depth=2
	s_and_saveexec_b32 s2, s1
	s_cbranch_execz .LBB178_16
	s_branch .LBB178_26
.LBB178_19:                             ;   in Loop: Header=BB178_17 Depth=2
	s_and_b32 s33, s33, exec_lo
	s_cselect_b32 s12, s12, s2
	s_and_not1_b32 vcc_lo, exec_lo, s22
	s_waitcnt vmcnt(0)
	s_waitcnt_vscnt null, 0x0
	s_barrier
	buffer_gl0_inv
	s_cbranch_vccnz .LBB178_25
; %bb.20:                               ;   in Loop: Header=BB178_17 Depth=2
	v_dual_mov_b32 v1, v34 :: v_dual_add_nc_u32 v0, s12, v35
	s_mov_b32 s33, 0
	s_mov_b32 s34, 0
                                        ; implicit-def: $sgpr35
	s_set_inst_prefetch_distance 0x1
	s_branch .LBB178_22
	.p2align	6
.LBB178_21:                             ;   in Loop: Header=BB178_22 Depth=3
	s_or_b32 exec_lo, exec_lo, s2
	s_delay_alu instid0(SALU_CYCLE_1) | instskip(NEXT) | instid1(SALU_CYCLE_1)
	s_and_b32 s2, exec_lo, s35
	s_or_b32 s33, s2, s33
	s_delay_alu instid0(SALU_CYCLE_1)
	s_and_not1_b32 exec_lo, exec_lo, s33
	s_cbranch_execz .LBB178_24
.LBB178_22:                             ;   Parent Loop BB178_12 Depth=1
                                        ;     Parent Loop BB178_17 Depth=2
                                        ; =>    This Inner Loop Header: Depth=3
	v_add_nc_u32_e32 v27, s34, v0
	v_add_nc_u32_e32 v2, s34, v35
	s_or_b32 s35, s35, exec_lo
	s_delay_alu instid0(VALU_DEP_2) | instskip(NEXT) | instid1(VALU_DEP_2)
	v_cmp_gt_u32_e32 vcc_lo, s18, v27
	v_cmp_gt_u32_e64 s2, s20, v2
	s_delay_alu instid0(VALU_DEP_1) | instskip(NEXT) | instid1(SALU_CYCLE_1)
	s_and_b32 s36, s2, vcc_lo
	s_and_saveexec_b32 s2, s36
	s_cbranch_execz .LBB178_21
; %bb.23:                               ;   in Loop: Header=BB178_22 Depth=3
	v_lshlrev_b64 v[2:3], 1, v[27:28]
	s_add_i32 s34, s34, s23
	s_delay_alu instid0(SALU_CYCLE_1) | instskip(SKIP_1) | instid1(VALU_DEP_1)
	s_cmp_ge_u32 s34, s20
	s_cselect_b32 s36, -1, 0
	v_add_co_u32 v2, vcc_lo, s6, v2
	s_delay_alu instid0(VALU_DEP_2) | instskip(SKIP_2) | instid1(SALU_CYCLE_1)
	v_add_co_ci_u32_e32 v3, vcc_lo, s7, v3, vcc_lo
	s_and_not1_b32 s35, s35, exec_lo
	s_and_b32 s36, s36, exec_lo
	s_or_b32 s35, s35, s36
	global_load_b128 v[2:5], v[2:3], off
	s_waitcnt vmcnt(0)
	ds_store_b128 v1, v[2:5]
	v_add_nc_u32_e32 v1, s31, v1
	s_branch .LBB178_21
.LBB178_24:                             ;   in Loop: Header=BB178_17 Depth=2
	s_set_inst_prefetch_distance 0x2
	s_or_b32 exec_lo, exec_lo, s33
.LBB178_25:                             ;   in Loop: Header=BB178_17 Depth=2
	s_waitcnt lgkmcnt(0)
	s_barrier
	buffer_gl0_inv
	s_and_saveexec_b32 s2, s1
	s_cbranch_execz .LBB178_16
.LBB178_26:                             ;   in Loop: Header=BB178_17 Depth=2
	v_dual_mov_b32 v11, 0 :: v_dual_add_nc_u32 v40, s13, v33
	v_dual_mov_b32 v23, 0 :: v_dual_mov_b32 v22, 0
	v_dual_mov_b32 v21, 0 :: v_dual_mov_b32 v20, 0
	s_delay_alu instid0(VALU_DEP_3) | instskip(SKIP_2) | instid1(VALU_DEP_2)
	v_min_u32_e32 v27, s24, v40
	v_dual_mov_b32 v10, 0 :: v_dual_add_nc_u32 v41, 0x200, v40
	s_mov_b32 s33, exec_lo
	v_lshlrev_b64 v[0:1], 1, v[27:28]
	s_delay_alu instid0(VALU_DEP_2) | instskip(SKIP_1) | instid1(VALU_DEP_2)
	v_min_u32_e32 v27, s24, v41
	s_waitcnt vmcnt(0)
	v_add_co_u32 v4, vcc_lo, s4, v0
	s_delay_alu instid0(VALU_DEP_3) | instskip(NEXT) | instid1(VALU_DEP_3)
	v_add_co_ci_u32_e32 v5, vcc_lo, s5, v1, vcc_lo
	v_lshlrev_b64 v[0:1], 1, v[27:28]
	s_delay_alu instid0(VALU_DEP_3) | instskip(NEXT) | instid1(VALU_DEP_3)
	v_add_co_u32 v2, vcc_lo, v4, v29
	v_add_co_ci_u32_e32 v3, vcc_lo, v5, v30, vcc_lo
	s_delay_alu instid0(VALU_DEP_3) | instskip(NEXT) | instid1(VALU_DEP_4)
	v_add_co_u32 v6, vcc_lo, s4, v0
	v_add_co_ci_u32_e32 v7, vcc_lo, s5, v1, vcc_lo
	v_add_co_u32 v0, vcc_lo, v4, v31
	v_add_co_ci_u32_e32 v1, vcc_lo, v5, v32, vcc_lo
	s_delay_alu instid0(VALU_DEP_4) | instskip(NEXT) | instid1(VALU_DEP_4)
	v_add_co_u32 v4, vcc_lo, v6, v29
	v_add_co_ci_u32_e32 v5, vcc_lo, v7, v30, vcc_lo
	v_add_co_u32 v8, vcc_lo, v6, v31
	v_add_co_ci_u32_e32 v9, vcc_lo, v7, v32, vcc_lo
	s_clause 0x3
	global_load_b128 v[16:19], v[2:3], off slc dlc
	global_load_b128 v[12:15], v[0:1], off slc dlc
	;; [unrolled: 1-line block ×4, first 2 shown]
	v_dual_mov_b32 v9, 0 :: v_dual_mov_b32 v8, 0
	v_cmpx_gt_u32_e64 s16, v40
	s_cbranch_execz .LBB178_15
; %bb.27:                               ;   in Loop: Header=BB178_17 Depth=2
	v_subrev_nc_u32_e32 v8, s12, v40
	v_dual_mov_b32 v9, 0 :: v_dual_mov_b32 v10, 0
	v_mov_b32_e32 v11, 0
	s_mov_b32 s34, exec_lo
	s_delay_alu instid0(VALU_DEP_3)
	v_dual_mov_b32 v8, 0 :: v_dual_lshlrev_b32 v27, 1, v8
	ds_load_b128 v[20:23], v27
	v_cmpx_gt_u32_e64 s16, v41
	s_cbranch_execz .LBB178_14
; %bb.28:                               ;   in Loop: Header=BB178_17 Depth=2
	ds_load_b128 v[8:11], v27 offset:1024
	s_branch .LBB178_14
.LBB178_29:                             ;   in Loop: Header=BB178_12 Depth=1
	s_mov_b32 s1, exec_lo
	v_cmpx_le_u32_e64 s19, v26
	s_xor_b32 s1, exec_lo, s1
; %bb.30:                               ;   in Loop: Header=BB178_12 Depth=1
	v_add_nc_u32_e32 v26, s26, v26
                                        ; implicit-def: $vgpr39
                                        ; implicit-def: $vgpr38
; %bb.31:                               ;   in Loop: Header=BB178_12 Depth=1
	s_and_not1_saveexec_b32 s33, s1
	s_cbranch_execz .LBB178_11
; %bb.32:                               ;   in Loop: Header=BB178_12 Depth=1
	v_cvt_i32_f32_e32 v0, v39
	s_waitcnt lgkmcnt(0)
	v_cvt_i32_f32_e32 v1, v38
	s_delay_alu instid0(VALU_DEP_2) | instskip(NEXT) | instid1(VALU_DEP_2)
	v_cvt_f32_i32_dpp v0, v0 row_shr:8 row_mask:0xf bank_mask:0xf bound_ctrl:1
	v_cvt_f32_i32_dpp v1, v1 row_shr:8 row_mask:0xf bank_mask:0xf bound_ctrl:1
	s_delay_alu instid0(VALU_DEP_1) | instskip(NEXT) | instid1(VALU_DEP_1)
	v_dual_add_f32 v0, v39, v0 :: v_dual_add_f32 v1, v38, v1
	v_cvt_i32_f32_e32 v2, v0
	s_delay_alu instid0(VALU_DEP_2) | instskip(NEXT) | instid1(VALU_DEP_2)
	v_cvt_i32_f32_e32 v3, v1
	v_cvt_f32_i32_dpp v2, v2 row_shr:4 row_mask:0xf bank_mask:0xf bound_ctrl:1
	s_delay_alu instid0(VALU_DEP_2) | instskip(NEXT) | instid1(VALU_DEP_1)
	v_cvt_f32_i32_dpp v3, v3 row_shr:4 row_mask:0xf bank_mask:0xf bound_ctrl:1
	v_dual_add_f32 v0, v0, v2 :: v_dual_add_f32 v1, v1, v3
	s_delay_alu instid0(VALU_DEP_1) | instskip(NEXT) | instid1(VALU_DEP_2)
	v_cvt_i32_f32_e32 v2, v0
	v_cvt_i32_f32_e32 v3, v1
	s_delay_alu instid0(VALU_DEP_2) | instskip(NEXT) | instid1(VALU_DEP_2)
	v_cvt_f32_i32_dpp v2, v2 row_shr:2 row_mask:0xf bank_mask:0xf bound_ctrl:1
	v_cvt_f32_i32_dpp v3, v3 row_shr:2 row_mask:0xf bank_mask:0xf bound_ctrl:1
	s_delay_alu instid0(VALU_DEP_1) | instskip(SKIP_1) | instid1(VALU_DEP_2)
	v_dual_add_f32 v0, v0, v2 :: v_dual_add_f32 v1, v1, v3
	v_xor_b32_e32 v2, 16, v37
	v_cvt_i32_f32_e32 v3, v0
	s_waitcnt vmcnt(0)
	s_delay_alu instid0(VALU_DEP_3) | instskip(NEXT) | instid1(VALU_DEP_3)
	v_cvt_i32_f32_e32 v4, v1
	v_cmp_gt_i32_e32 vcc_lo, 32, v2
	s_delay_alu instid0(VALU_DEP_3) | instskip(NEXT) | instid1(VALU_DEP_3)
	v_cvt_f32_i32_dpp v3, v3 row_shr:1 row_mask:0xf bank_mask:0xf bound_ctrl:1
	v_cvt_f32_i32_dpp v4, v4 row_shr:1 row_mask:0xf bank_mask:0xf bound_ctrl:1
	v_cndmask_b32_e32 v2, v37, v2, vcc_lo
	s_delay_alu instid0(VALU_DEP_1) | instskip(NEXT) | instid1(VALU_DEP_3)
	v_dual_add_f32 v2, v0, v3 :: v_dual_lshlrev_b32 v5, 2, v2
	v_add_f32_e32 v0, v1, v4
	ds_bpermute_b32 v3, v5, v2
	ds_bpermute_b32 v1, v5, v0
	s_and_saveexec_b32 s1, s0
	s_cbranch_execz .LBB178_47
; %bb.33:                               ;   in Loop: Header=BB178_12 Depth=1
	v_dual_mov_b32 v4, 0 :: v_dual_mov_b32 v5, 0
	s_and_not1_b32 vcc_lo, exec_lo, s27
	s_cbranch_vccnz .LBB178_35
; %bb.34:                               ;   in Loop: Header=BB178_12 Depth=1
	v_mul_hi_u32 v4, v26, v36
	s_delay_alu instid0(VALU_DEP_1) | instskip(NEXT) | instid1(VALU_DEP_1)
	v_mul_lo_u32 v4, v4, s15
	v_sub_nc_u32_e32 v4, v26, v4
	s_delay_alu instid0(VALU_DEP_1) | instskip(SKIP_1) | instid1(VALU_DEP_2)
	v_subrev_nc_u32_e32 v7, s15, v4
	v_cmp_le_u32_e32 vcc_lo, s15, v4
	v_dual_cndmask_b32 v4, v4, v7 :: v_dual_add_nc_u32 v5, 1, v26
	s_delay_alu instid0(VALU_DEP_1) | instskip(NEXT) | instid1(VALU_DEP_2)
	v_mul_hi_u32 v6, v5, v36
	v_subrev_nc_u32_e32 v7, s15, v4
	s_delay_alu instid0(VALU_DEP_2) | instskip(NEXT) | instid1(VALU_DEP_1)
	v_mul_lo_u32 v6, v6, s15
	v_sub_nc_u32_e32 v5, v5, v6
	s_delay_alu instid0(VALU_DEP_1) | instskip(SKIP_1) | instid1(VALU_DEP_2)
	v_subrev_nc_u32_e32 v6, s15, v5
	v_cmp_le_u32_e32 vcc_lo, s15, v5
	v_cndmask_b32_e32 v6, v5, v6, vcc_lo
	v_cmp_le_u32_e32 vcc_lo, s15, v4
	v_cndmask_b32_e32 v27, v4, v7, vcc_lo
	s_delay_alu instid0(VALU_DEP_3) | instskip(SKIP_1) | instid1(VALU_DEP_3)
	v_subrev_nc_u32_e32 v7, s15, v6
	v_cmp_le_u32_e32 vcc_lo, s15, v6
	v_lshlrev_b64 v[4:5], 1, v[27:28]
	s_delay_alu instid0(VALU_DEP_3) | instskip(NEXT) | instid1(VALU_DEP_2)
	v_cndmask_b32_e32 v27, v6, v7, vcc_lo
	v_add_co_u32 v4, vcc_lo, s8, v4
	s_delay_alu instid0(VALU_DEP_2) | instskip(NEXT) | instid1(VALU_DEP_4)
	v_lshlrev_b64 v[6:7], 1, v[27:28]
	v_add_co_ci_u32_e32 v5, vcc_lo, s9, v5, vcc_lo
	s_delay_alu instid0(VALU_DEP_2) | instskip(NEXT) | instid1(VALU_DEP_3)
	v_add_co_u32 v6, vcc_lo, s8, v6
	v_add_co_ci_u32_e32 v7, vcc_lo, s9, v7, vcc_lo
	s_clause 0x1
	global_load_u16 v5, v[4:5], off
	global_load_u16 v4, v[6:7], off
.LBB178_35:                             ;   in Loop: Header=BB178_12 Depth=1
	s_mov_b32 s2, exec_lo
	v_cmpx_ne_u32_e32 0, v24
	s_cbranch_execz .LBB178_41
; %bb.36:                               ;   in Loop: Header=BB178_12 Depth=1
	s_waitcnt vmcnt(1) lgkmcnt(1)
	v_dual_add_f32 v2, v2, v3 :: v_dual_lshlrev_b32 v3, 16, v5
	s_delay_alu instid0(VALU_DEP_1) | instskip(NEXT) | instid1(VALU_DEP_1)
	v_add_f32_e32 v3, v2, v3
	v_and_b32_e32 v2, 0x7f800000, v3
	s_delay_alu instid0(VALU_DEP_1) | instskip(SKIP_1) | instid1(SALU_CYCLE_1)
	v_cmp_ne_u32_e32 vcc_lo, 0x7f800000, v2
                                        ; implicit-def: $vgpr2
	s_and_saveexec_b32 s12, vcc_lo
	s_xor_b32 s12, exec_lo, s12
; %bb.37:                               ;   in Loop: Header=BB178_12 Depth=1
	v_bfe_u32 v2, v3, 16, 1
	s_delay_alu instid0(VALU_DEP_1)
	v_add3_u32 v2, v3, v2, 0x7fff
                                        ; implicit-def: $vgpr3
; %bb.38:                               ;   in Loop: Header=BB178_12 Depth=1
	s_and_not1_saveexec_b32 s12, s12
; %bb.39:                               ;   in Loop: Header=BB178_12 Depth=1
	v_and_b32_e32 v2, 0xffff, v3
	v_or_b32_e32 v5, 0x10000, v3
	s_delay_alu instid0(VALU_DEP_2) | instskip(NEXT) | instid1(VALU_DEP_2)
	v_cmp_eq_u32_e32 vcc_lo, 0, v2
	v_cndmask_b32_e32 v2, v5, v3, vcc_lo
; %bb.40:                               ;   in Loop: Header=BB178_12 Depth=1
	s_or_b32 exec_lo, exec_lo, s12
	v_mov_b32_e32 v27, v28
	s_delay_alu instid0(VALU_DEP_1) | instskip(NEXT) | instid1(VALU_DEP_1)
	v_lshlrev_b64 v[5:6], 1, v[26:27]
	v_add_co_u32 v5, vcc_lo, s10, v5
	s_delay_alu instid0(VALU_DEP_2)
	v_add_co_ci_u32_e32 v6, vcc_lo, s11, v6, vcc_lo
	global_store_d16_hi_b16 v[5:6], v2, off
.LBB178_41:                             ;   in Loop: Header=BB178_12 Depth=1
	s_or_b32 exec_lo, exec_lo, s2
	v_cmp_ne_u32_e32 vcc_lo, 0, v25
	s_and_b32 exec_lo, exec_lo, vcc_lo
	s_cbranch_execz .LBB178_47
; %bb.42:                               ;   in Loop: Header=BB178_12 Depth=1
	s_waitcnt vmcnt(0) lgkmcnt(0)
	v_dual_add_f32 v0, v0, v1 :: v_dual_lshlrev_b32 v1, 16, v4
	s_delay_alu instid0(VALU_DEP_1) | instskip(NEXT) | instid1(VALU_DEP_1)
	v_add_f32_e32 v1, v0, v1
	v_and_b32_e32 v0, 0x7f800000, v1
	s_delay_alu instid0(VALU_DEP_1) | instskip(SKIP_1) | instid1(SALU_CYCLE_1)
	v_cmp_ne_u32_e32 vcc_lo, 0x7f800000, v0
                                        ; implicit-def: $vgpr0
	s_and_saveexec_b32 s2, vcc_lo
	s_xor_b32 s2, exec_lo, s2
; %bb.43:                               ;   in Loop: Header=BB178_12 Depth=1
	v_bfe_u32 v0, v1, 16, 1
	s_delay_alu instid0(VALU_DEP_1)
	v_add3_u32 v0, v1, v0, 0x7fff
                                        ; implicit-def: $vgpr1
; %bb.44:                               ;   in Loop: Header=BB178_12 Depth=1
	s_and_not1_saveexec_b32 s2, s2
; %bb.45:                               ;   in Loop: Header=BB178_12 Depth=1
	v_and_b32_e32 v0, 0xffff, v1
	v_or_b32_e32 v2, 0x10000, v1
	s_delay_alu instid0(VALU_DEP_2) | instskip(NEXT) | instid1(VALU_DEP_2)
	v_cmp_eq_u32_e32 vcc_lo, 0, v0
	v_cndmask_b32_e32 v0, v2, v1, vcc_lo
; %bb.46:                               ;   in Loop: Header=BB178_12 Depth=1
	s_or_b32 exec_lo, exec_lo, s2
	v_mov_b32_e32 v27, v28
	s_delay_alu instid0(VALU_DEP_1) | instskip(NEXT) | instid1(VALU_DEP_1)
	v_lshlrev_b64 v[1:2], 1, v[26:27]
	v_add_co_u32 v1, vcc_lo, s29, v1
	s_delay_alu instid0(VALU_DEP_2)
	v_add_co_ci_u32_e32 v2, vcc_lo, s30, v2, vcc_lo
	global_store_d16_hi_b16 v[1:2], v0, off
.LBB178_47:                             ;   in Loop: Header=BB178_12 Depth=1
	s_or_b32 exec_lo, exec_lo, s1
	v_add_nc_u32_e32 v26, s26, v26
	s_delay_alu instid0(VALU_DEP_1) | instskip(SKIP_1) | instid1(VALU_DEP_2)
	v_add_nc_u32_e32 v0, 2, v26
	v_cmp_gt_u32_e32 vcc_lo, s19, v26
	v_cmp_le_u32_e64 s1, s19, v0
	s_delay_alu instid0(VALU_DEP_1) | instskip(NEXT) | instid1(SALU_CYCLE_1)
	s_and_b32 s1, vcc_lo, s1
	s_and_saveexec_b32 s34, s1
	s_cbranch_execz .LBB178_10
; %bb.48:                               ;   in Loop: Header=BB178_12 Depth=1
	s_mov_b32 s35, exec_lo
	v_cmpx_ne_u32_e64 s28, v26
	s_cbranch_execz .LBB178_9
; %bb.49:                               ;   in Loop: Header=BB178_12 Depth=1
	v_subrev_nc_u32_e32 v0, s28, v26
	s_mov_b32 s36, 0
	s_mov_b64 s[12:13], 0
	s_delay_alu instid0(VALU_DEP_1)
	v_cmp_lt_u32_e32 vcc_lo, 1, v0
	v_cndmask_b32_e32 v0, 1, v0, vcc_lo
.LBB178_50:                             ;   Parent Loop BB178_12 Depth=1
                                        ; =>  This Inner Loop Header: Depth=2
	s_cmp_lg_u32 s12, 1
	s_cselect_b32 vcc_lo, -1, 0
	s_cmp_lg_u32 s12, 0
	v_cndmask_b32_e32 v25, 0, v25, vcc_lo
	s_cselect_b32 s1, -1, 0
	s_add_u32 s12, s12, 1
	v_cndmask_b32_e64 v24, 0, v24, s1
	v_cmp_eq_u32_e64 s2, s12, v0
	s_addc_u32 s13, s13, 0
	s_delay_alu instid0(VALU_DEP_1) | instskip(NEXT) | instid1(SALU_CYCLE_1)
	s_or_b32 s36, s2, s36
	s_and_not1_b32 exec_lo, exec_lo, s36
	s_cbranch_execnz .LBB178_50
; %bb.51:                               ;   in Loop: Header=BB178_12 Depth=1
	s_or_b32 exec_lo, exec_lo, s36
	s_branch .LBB178_9
.LBB178_52:
	s_nop 0
	s_sendmsg sendmsg(MSG_DEALLOC_VGPRS)
	s_endpgm
	.section	.rodata,"a",@progbits
	.p2align	6, 0x0
	.amdhsa_kernel _Z16wvSplitK_hf_big_I14__hip_bfloat16Li64ELi2ELi16ELi8ELi2ELi1EEviiiiiiPKT_S3_S3_PS1_ii
		.amdhsa_group_segment_fixed_size 65536
		.amdhsa_private_segment_fixed_size 0
		.amdhsa_kernarg_size 64
		.amdhsa_user_sgpr_count 15
		.amdhsa_user_sgpr_dispatch_ptr 0
		.amdhsa_user_sgpr_queue_ptr 0
		.amdhsa_user_sgpr_kernarg_segment_ptr 1
		.amdhsa_user_sgpr_dispatch_id 0
		.amdhsa_user_sgpr_private_segment_size 0
		.amdhsa_wavefront_size32 1
		.amdhsa_uses_dynamic_stack 0
		.amdhsa_enable_private_segment 0
		.amdhsa_system_sgpr_workgroup_id_x 1
		.amdhsa_system_sgpr_workgroup_id_y 0
		.amdhsa_system_sgpr_workgroup_id_z 0
		.amdhsa_system_sgpr_workgroup_info 0
		.amdhsa_system_vgpr_workitem_id 1
		.amdhsa_next_free_vgpr 45
		.amdhsa_next_free_sgpr 37
		.amdhsa_reserve_vcc 1
		.amdhsa_float_round_mode_32 0
		.amdhsa_float_round_mode_16_64 0
		.amdhsa_float_denorm_mode_32 3
		.amdhsa_float_denorm_mode_16_64 3
		.amdhsa_dx10_clamp 1
		.amdhsa_ieee_mode 1
		.amdhsa_fp16_overflow 0
		.amdhsa_workgroup_processor_mode 1
		.amdhsa_memory_ordered 1
		.amdhsa_forward_progress 0
		.amdhsa_shared_vgpr_count 0
		.amdhsa_exception_fp_ieee_invalid_op 0
		.amdhsa_exception_fp_denorm_src 0
		.amdhsa_exception_fp_ieee_div_zero 0
		.amdhsa_exception_fp_ieee_overflow 0
		.amdhsa_exception_fp_ieee_underflow 0
		.amdhsa_exception_fp_ieee_inexact 0
		.amdhsa_exception_int_div_zero 0
	.end_amdhsa_kernel
	.section	.text._Z16wvSplitK_hf_big_I14__hip_bfloat16Li64ELi2ELi16ELi8ELi2ELi1EEviiiiiiPKT_S3_S3_PS1_ii,"axG",@progbits,_Z16wvSplitK_hf_big_I14__hip_bfloat16Li64ELi2ELi16ELi8ELi2ELi1EEviiiiiiPKT_S3_S3_PS1_ii,comdat
.Lfunc_end178:
	.size	_Z16wvSplitK_hf_big_I14__hip_bfloat16Li64ELi2ELi16ELi8ELi2ELi1EEviiiiiiPKT_S3_S3_PS1_ii, .Lfunc_end178-_Z16wvSplitK_hf_big_I14__hip_bfloat16Li64ELi2ELi16ELi8ELi2ELi1EEviiiiiiPKT_S3_S3_PS1_ii
                                        ; -- End function
	.section	.AMDGPU.csdata,"",@progbits
; Kernel info:
; codeLenInByte = 2888
; NumSgprs: 39
; NumVgprs: 45
; ScratchSize: 0
; MemoryBound: 0
; FloatMode: 240
; IeeeMode: 1
; LDSByteSize: 65536 bytes/workgroup (compile time only)
; SGPRBlocks: 4
; VGPRBlocks: 5
; NumSGPRsForWavesPerEU: 39
; NumVGPRsForWavesPerEU: 45
; Occupancy: 16
; WaveLimiterHint : 0
; COMPUTE_PGM_RSRC2:SCRATCH_EN: 0
; COMPUTE_PGM_RSRC2:USER_SGPR: 15
; COMPUTE_PGM_RSRC2:TRAP_HANDLER: 0
; COMPUTE_PGM_RSRC2:TGID_X_EN: 1
; COMPUTE_PGM_RSRC2:TGID_Y_EN: 0
; COMPUTE_PGM_RSRC2:TGID_Z_EN: 0
; COMPUTE_PGM_RSRC2:TIDIG_COMP_CNT: 1
	.section	.text._Z16wvSplitK_hf_sml_I14__hip_bfloat16Li64ELi3ELi16ELi8ELi2ELi1EEviiiiiiPKT_S3_S3_PS1_ii,"axG",@progbits,_Z16wvSplitK_hf_sml_I14__hip_bfloat16Li64ELi3ELi16ELi8ELi2ELi1EEviiiiiiPKT_S3_S3_PS1_ii,comdat
	.protected	_Z16wvSplitK_hf_sml_I14__hip_bfloat16Li64ELi3ELi16ELi8ELi2ELi1EEviiiiiiPKT_S3_S3_PS1_ii ; -- Begin function _Z16wvSplitK_hf_sml_I14__hip_bfloat16Li64ELi3ELi16ELi8ELi2ELi1EEviiiiiiPKT_S3_S3_PS1_ii
	.globl	_Z16wvSplitK_hf_sml_I14__hip_bfloat16Li64ELi3ELi16ELi8ELi2ELi1EEviiiiiiPKT_S3_S3_PS1_ii
	.p2align	8
	.type	_Z16wvSplitK_hf_sml_I14__hip_bfloat16Li64ELi3ELi16ELi8ELi2ELi1EEviiiiiiPKT_S3_S3_PS1_ii,@function
_Z16wvSplitK_hf_sml_I14__hip_bfloat16Li64ELi3ELi16ELi8ELi2ELi1EEviiiiiiPKT_S3_S3_PS1_ii: ; @_Z16wvSplitK_hf_sml_I14__hip_bfloat16Li64ELi3ELi16ELi8ELi2ELi1EEviiiiiiPKT_S3_S3_PS1_ii
; %bb.0:
	s_clause 0x2
	s_load_b128 s[4:7], s[0:1], 0x0
	s_load_b32 s14, s[0:1], 0x10
	s_load_b64 s[8:9], s[0:1], 0x28
	v_and_b32_e32 v3, 0x3ff, v0
	v_bfe_u32 v0, v0, 10, 10
	s_delay_alu instid0(VALU_DEP_2) | instskip(NEXT) | instid1(VALU_DEP_1)
	v_lshlrev_b32_e32 v43, 3, v3
	v_lshl_add_u32 v4, v0, 9, v43
	s_waitcnt lgkmcnt(0)
	s_min_u32 s3, s6, 0x8000
	s_mov_b32 s6, exec_lo
	s_delay_alu instid0(VALU_DEP_1)
	v_cmpx_gt_u32_e64 s3, v4
	s_cbranch_execz .LBB179_3
; %bb.1:
	s_load_b64 s[10:11], s[0:1], 0x20
	v_lshlrev_b32_e32 v5, 10, v0
	v_lshlrev_b32_e32 v6, 4, v3
	s_delay_alu instid0(VALU_DEP_1) | instskip(NEXT) | instid1(VALU_DEP_1)
	v_add_co_u32 v1, s2, v5, v6
	v_add_co_ci_u32_e64 v2, null, 0, 0, s2
	v_add_nc_u32_e32 v5, v5, v6
	s_waitcnt lgkmcnt(0)
	s_delay_alu instid0(VALU_DEP_3) | instskip(NEXT) | instid1(VALU_DEP_3)
	v_add_co_u32 v1, vcc_lo, s10, v1
	v_add_co_ci_u32_e32 v2, vcc_lo, s11, v2, vcc_lo
	s_mov_b32 s10, 0
	.p2align	6
.LBB179_2:                              ; =>This Inner Loop Header: Depth=1
	global_load_b128 v[6:9], v[1:2], off
	v_add_nc_u32_e32 v4, 0x2000, v4
	v_add_co_u32 v1, vcc_lo, 0x4000, v1
	v_add_co_ci_u32_e32 v2, vcc_lo, 0, v2, vcc_lo
	s_delay_alu instid0(VALU_DEP_3) | instskip(NEXT) | instid1(VALU_DEP_1)
	v_cmp_le_u32_e64 s2, s3, v4
	s_or_b32 s10, s2, s10
	s_waitcnt vmcnt(0)
	ds_store_b128 v5, v[6:9]
	v_add_nc_u32_e32 v5, 0x4000, v5
	s_and_not1_b32 exec_lo, exec_lo, s10
	s_cbranch_execnz .LBB179_2
.LBB179_3:
	s_or_b32 exec_lo, exec_lo, s6
	s_load_b64 s[12:13], s[0:1], 0x38
	s_waitcnt lgkmcnt(0)
	s_barrier
	buffer_gl0_inv
	s_mov_b32 s2, exec_lo
	v_cmpx_gt_u32_e64 s12, v0
	s_cbranch_execz .LBB179_30
; %bb.4:
	v_mad_u64_u32 v[1:2], null, s15, s12, v[0:1]
	s_delay_alu instid0(VALU_DEP_1) | instskip(NEXT) | instid1(VALU_DEP_1)
	v_lshl_add_u32 v32, v1, 1, v1
	v_cmp_gt_u32_e32 vcc_lo, s7, v32
	s_and_b32 exec_lo, exec_lo, vcc_lo
	s_cbranch_execz .LBB179_30
; %bb.5:
	v_cvt_f32_u32_e32 v0, s14
	v_mbcnt_lo_u32_b32 v1, -1, 0
	s_cmp_lg_u32 s4, 0
	v_lshlrev_b32_e32 v44, 4, v3
	s_cselect_b32 s6, -1, 0
	v_rcp_iflag_f32_e32 v0, v0
	v_xor_b32_e32 v4, 16, v1
	s_add_i32 s15, s4, -8
	s_add_i32 s16, s7, -1
	s_cmp_lg_u64 s[8:9], 0
	s_mul_i32 s12, s12, s13
	v_cmp_gt_i32_e32 vcc_lo, 32, v4
	s_cselect_b32 s17, -1, 0
	s_sub_i32 s2, 0, s14
	s_mul_i32 s12, s12, 3
	v_dual_mov_b32 v34, 0 :: v_dual_cndmask_b32 v1, v1, v4
	s_waitcnt_depctr 0xfff
	v_dual_mul_f32 v0, 0x4f7ffffe, v0 :: v_dual_lshlrev_b32 v45, 2, v1
	s_delay_alu instid0(VALU_DEP_1) | instskip(NEXT) | instid1(VALU_DEP_1)
	v_cvt_u32_f32_e32 v0, v0
	v_mul_lo_u32 v2, s2, v0
	s_clause 0x1
	s_load_b64 s[2:3], s[0:1], 0x18
	s_load_b64 s[10:11], s[0:1], 0x30
	v_cmp_eq_u32_e64 s0, 63, v3
	s_mov_b32 s1, 0
	s_delay_alu instid0(VALU_DEP_2) | instskip(NEXT) | instid1(VALU_DEP_1)
	v_mul_hi_u32 v2, v0, v2
	v_add_nc_u32_e32 v46, v0, v2
	s_branch .LBB179_8
.LBB179_6:                              ;   in Loop: Header=BB179_8 Depth=1
	s_or_b32 exec_lo, exec_lo, s18
	v_mov_b32_e32 v36, v34
	s_delay_alu instid0(VALU_DEP_1) | instskip(NEXT) | instid1(VALU_DEP_1)
	v_lshlrev_b64 v[2:3], 1, v[35:36]
	v_add_co_u32 v2, vcc_lo, s10, v2
	s_delay_alu instid0(VALU_DEP_2)
	v_add_co_ci_u32_e32 v3, vcc_lo, s11, v3, vcc_lo
	global_store_d16_hi_b16 v[2:3], v1, off
.LBB179_7:                              ;   in Loop: Header=BB179_8 Depth=1
	s_or_b32 exec_lo, exec_lo, s13
	v_add_nc_u32_e32 v32, s12, v32
	s_delay_alu instid0(VALU_DEP_1) | instskip(SKIP_1) | instid1(SALU_CYCLE_1)
	v_cmp_le_u32_e32 vcc_lo, s7, v32
	s_or_b32 s1, vcc_lo, s1
	s_and_not1_b32 exec_lo, exec_lo, s1
	s_cbranch_execz .LBB179_30
.LBB179_8:                              ; =>This Loop Header: Depth=1
                                        ;     Child Loop BB179_12 Depth 2
	v_dual_mov_b32 v49, v34 :: v_dual_add_nc_u32 v36, 1, v32
	v_dual_mov_b32 v48, v34 :: v_dual_add_nc_u32 v35, 2, v32
	v_mov_b32_e32 v50, v34
	s_and_not1_b32 vcc_lo, exec_lo, s6
	s_cbranch_vccnz .LBB179_15
; %bb.9:                                ;   in Loop: Header=BB179_8 Depth=1
	v_min_u32_e32 v0, s16, v32
	s_waitcnt lgkmcnt(0)
	v_min_u32_e32 v1, s16, v36
	v_min_u32_e32 v2, s16, v35
	v_dual_mov_b32 v3, v34 :: v_dual_mov_b32 v48, 0
	v_mul_lo_u32 v33, v0, s5
	s_delay_alu instid0(VALU_DEP_4) | instskip(NEXT) | instid1(VALU_DEP_4)
	v_mul_lo_u32 v0, v1, s5
	v_mul_lo_u32 v2, v2, s5
	v_dual_mov_b32 v1, v34 :: v_dual_mov_b32 v50, 0
	v_mov_b32_e32 v47, v44
	v_mov_b32_e32 v49, 0
	s_mov_b32 s13, 0
	v_lshlrev_b64 v[37:38], 1, v[33:34]
	v_lshlrev_b64 v[39:40], 1, v[0:1]
	;; [unrolled: 1-line block ×3, first 2 shown]
	s_branch .LBB179_12
.LBB179_10:                             ;   in Loop: Header=BB179_12 Depth=2
	s_or_b32 exec_lo, exec_lo, s19
.LBB179_11:                             ;   in Loop: Header=BB179_12 Depth=2
	s_delay_alu instid0(SALU_CYCLE_1)
	s_or_b32 exec_lo, exec_lo, s18
	s_waitcnt lgkmcnt(0)
	v_and_b32_e32 v33, 0xffff0000, v28
	v_and_b32_e32 v54, 0xffff0000, v30
	v_lshlrev_b32_e32 v30, 16, v30
	s_waitcnt vmcnt(5)
	v_and_b32_e32 v51, 0xffff0000, v24
	v_lshlrev_b32_e32 v28, 16, v28
	v_and_b32_e32 v53, 0xffff0000, v25
	s_addk_i32 s13, 0x400
	v_add_nc_u32_e32 v47, 0x800, v47
	v_dual_mul_f32 v51, v33, v51 :: v_dual_and_b32 v52, 0xffff0000, v29
	v_lshlrev_b32_e32 v24, 16, v24
	s_cmp_ge_u32 s13, s4
	s_delay_alu instid0(VALU_DEP_2) | instskip(NEXT) | instid1(VALU_DEP_2)
	v_mul_f32_e32 v53, v52, v53
	v_fmac_f32_e32 v51, v28, v24
	s_delay_alu instid0(VALU_DEP_1)
	v_add_f32_e32 v50, v50, v51
	v_and_b32_e32 v24, 0xffff0000, v26
	v_lshlrev_b32_e32 v29, 16, v29
	s_waitcnt vmcnt(4)
	v_and_b32_e32 v51, 0xffff0000, v21
	v_lshlrev_b32_e32 v26, 16, v26
	v_mul_f32_e32 v24, v54, v24
	s_delay_alu instid0(VALU_DEP_1) | instskip(NEXT) | instid1(VALU_DEP_1)
	v_dual_fmac_f32 v24, v30, v26 :: v_dual_lshlrev_b32 v25, 16, v25
	v_fmac_f32_e32 v53, v29, v25
	s_delay_alu instid0(VALU_DEP_1) | instskip(NEXT) | instid1(VALU_DEP_1)
	v_dual_add_f32 v26, v50, v53 :: v_dual_and_b32 v25, 0xffff0000, v20
	v_dual_mul_f32 v25, v33, v25 :: v_dual_and_b32 v50, 0xffff0000, v31
	s_delay_alu instid0(VALU_DEP_2)
	v_add_f32_e32 v24, v26, v24
	s_waitcnt vmcnt(3)
	v_and_b32_e32 v26, 0xffff0000, v16
	v_lshlrev_b32_e32 v16, 16, v16
	v_and_b32_e32 v53, 0xffff0000, v27
	v_lshlrev_b32_e32 v20, 16, v20
	v_lshlrev_b32_e32 v31, 16, v31
	;; [unrolled: 1-line block ×3, first 2 shown]
	s_delay_alu instid0(VALU_DEP_4) | instskip(NEXT) | instid1(VALU_DEP_4)
	v_mul_f32_e32 v53, v50, v53
	v_dual_fmac_f32 v25, v28, v20 :: v_dual_lshlrev_b32 v20, 16, v21
	v_mul_f32_e32 v21, v52, v51
	v_and_b32_e32 v51, 0xffff0000, v22
	s_delay_alu instid0(VALU_DEP_3) | instskip(NEXT) | instid1(VALU_DEP_3)
	v_add_f32_e32 v25, v49, v25
	v_dual_fmac_f32 v21, v29, v20 :: v_dual_lshlrev_b32 v20, 16, v22
	s_delay_alu instid0(VALU_DEP_1) | instskip(NEXT) | instid1(VALU_DEP_1)
	v_dual_mul_f32 v22, v54, v51 :: v_dual_add_f32 v21, v25, v21
	v_fmac_f32_e32 v22, v30, v20
	v_dual_mul_f32 v20, v33, v26 :: v_dual_fmac_f32 v53, v31, v27
	s_waitcnt vmcnt(2)
	v_and_b32_e32 v27, 0xffff0000, v9
	s_delay_alu instid0(VALU_DEP_2)
	v_dual_add_f32 v21, v21, v22 :: v_dual_fmac_f32 v20, v28, v16
	v_lshlrev_b32_e32 v16, 16, v17
	v_and_b32_e32 v22, 0xffff0000, v23
	v_and_b32_e32 v25, 0xffff0000, v17
	v_add_f32_e32 v24, v24, v53
	v_add_f32_e32 v20, v48, v20
	s_delay_alu instid0(VALU_DEP_3) | instskip(NEXT) | instid1(VALU_DEP_1)
	v_dual_mul_f32 v22, v50, v22 :: v_dual_mul_f32 v17, v52, v25
	v_dual_fmac_f32 v17, v29, v16 :: v_dual_lshlrev_b32 v16, 16, v18
	v_and_b32_e32 v25, 0xffff0000, v18
	v_lshlrev_b32_e32 v23, 16, v23
	s_delay_alu instid0(VALU_DEP_3) | instskip(SKIP_1) | instid1(VALU_DEP_4)
	v_dual_add_f32 v17, v20, v17 :: v_dual_and_b32 v26, 0xffff0000, v8
	v_and_b32_e32 v20, 0xffff0000, v19
	v_dual_mul_f32 v18, v54, v25 :: v_dual_and_b32 v25, 0xffff0000, v12
	s_delay_alu instid0(VALU_DEP_4) | instskip(SKIP_1) | instid1(VALU_DEP_3)
	v_dual_fmac_f32 v22, v31, v23 :: v_dual_lshlrev_b32 v9, 16, v9
	v_lshlrev_b32_e32 v12, 16, v12
	v_fmac_f32_e32 v18, v30, v16
	v_lshlrev_b32_e32 v8, 16, v8
	v_dual_mul_f32 v16, v25, v26 :: v_dual_lshlrev_b32 v19, 16, v19
	s_delay_alu instid0(VALU_DEP_3) | instskip(NEXT) | instid1(VALU_DEP_2)
	v_dual_add_f32 v17, v17, v18 :: v_dual_and_b32 v26, 0xffff0000, v13
	v_fmac_f32_e32 v16, v12, v8
	v_lshlrev_b32_e32 v8, 16, v13
	v_and_b32_e32 v28, 0xffff0000, v10
	s_waitcnt vmcnt(1)
	v_dual_mul_f32 v13, v26, v27 :: v_dual_and_b32 v18, 0xffff0000, v5
	v_dual_add_f32 v16, v24, v16 :: v_dual_and_b32 v27, 0xffff0000, v14
	s_delay_alu instid0(VALU_DEP_2) | instskip(NEXT) | instid1(VALU_DEP_2)
	v_fmac_f32_e32 v13, v8, v9
	v_dual_mul_f32 v14, v27, v28 :: v_dual_lshlrev_b32 v9, 16, v14
	s_delay_alu instid0(VALU_DEP_2) | instskip(SKIP_1) | instid1(VALU_DEP_2)
	v_dual_add_f32 v13, v16, v13 :: v_dual_mul_f32 v20, v50, v20
	v_add_f32_e32 v16, v21, v22
	v_fmac_f32_e32 v20, v31, v19
	v_and_b32_e32 v19, 0xffff0000, v11
	v_lshlrev_b32_e32 v11, 16, v11
	s_delay_alu instid0(VALU_DEP_3) | instskip(NEXT) | instid1(VALU_DEP_1)
	v_dual_add_f32 v17, v17, v20 :: v_dual_lshlrev_b32 v10, 16, v10
	v_fmac_f32_e32 v14, v9, v10
	v_and_b32_e32 v10, 0xffff0000, v4
	s_delay_alu instid0(VALU_DEP_2) | instskip(NEXT) | instid1(VALU_DEP_2)
	v_dual_add_f32 v13, v13, v14 :: v_dual_lshlrev_b32 v4, 16, v4
	v_mul_f32_e32 v10, v25, v10
	v_and_b32_e32 v14, 0xffff0000, v15
	s_delay_alu instid0(VALU_DEP_2) | instskip(SKIP_2) | instid1(VALU_DEP_3)
	v_dual_fmac_f32 v10, v12, v4 :: v_dual_lshlrev_b32 v15, 16, v15
	v_dual_mul_f32 v5, v26, v18 :: v_dual_lshlrev_b32 v4, 16, v5
	s_waitcnt vmcnt(0)
	v_dual_mul_f32 v18, v14, v19 :: v_dual_and_b32 v19, 0xffff0000, v0
	s_delay_alu instid0(VALU_DEP_3) | instskip(SKIP_3) | instid1(VALU_DEP_2)
	v_add_f32_e32 v10, v16, v10
	v_lshlrev_b32_e32 v0, 16, v0
	v_dual_fmac_f32 v5, v8, v4 :: v_dual_and_b32 v4, 0xffff0000, v6
	v_lshlrev_b32_e32 v6, 16, v6
	v_dual_fmac_f32 v18, v15, v11 :: v_dual_add_f32 v5, v10, v5
	s_delay_alu instid0(VALU_DEP_3) | instskip(SKIP_1) | instid1(VALU_DEP_3)
	v_mul_f32_e32 v4, v27, v4
	v_and_b32_e32 v10, 0xffff0000, v7
	v_add_f32_e32 v50, v13, v18
	s_delay_alu instid0(VALU_DEP_3) | instskip(SKIP_1) | instid1(VALU_DEP_2)
	v_fmac_f32_e32 v4, v9, v6
	v_and_b32_e32 v6, 0xffff0000, v2
	v_add_f32_e32 v4, v5, v4
	v_dual_mul_f32 v16, v25, v19 :: v_dual_and_b32 v19, 0xffff0000, v1
	s_delay_alu instid0(VALU_DEP_1) | instskip(NEXT) | instid1(VALU_DEP_2)
	v_fmac_f32_e32 v16, v12, v0
	v_dual_mul_f32 v1, v26, v19 :: v_dual_lshlrev_b32 v0, 16, v1
	s_delay_alu instid0(VALU_DEP_2) | instskip(NEXT) | instid1(VALU_DEP_2)
	v_add_f32_e32 v12, v17, v16
	v_dual_fmac_f32 v1, v8, v0 :: v_dual_lshlrev_b32 v0, 16, v2
	v_mul_f32_e32 v2, v27, v6
	v_lshlrev_b32_e32 v6, 16, v7
	v_dual_mul_f32 v8, v14, v10 :: v_dual_and_b32 v7, 0xffff0000, v3
	s_delay_alu instid0(VALU_DEP_3) | instskip(SKIP_1) | instid1(VALU_DEP_3)
	v_dual_add_f32 v1, v12, v1 :: v_dual_fmac_f32 v2, v9, v0
	v_lshlrev_b32_e32 v0, 16, v3
	v_dual_mul_f32 v3, v14, v7 :: v_dual_fmac_f32 v8, v15, v6
	s_delay_alu instid0(VALU_DEP_3) | instskip(NEXT) | instid1(VALU_DEP_2)
	v_add_f32_e32 v1, v1, v2
	v_fmac_f32_e32 v3, v15, v0
	s_delay_alu instid0(VALU_DEP_1)
	v_dual_add_f32 v49, v4, v8 :: v_dual_add_f32 v48, v1, v3
	s_cbranch_scc1 .LBB179_15
.LBB179_12:                             ;   Parent Loop BB179_8 Depth=1
                                        ; =>  This Inner Loop Header: Depth=2
	v_dual_mov_b32 v31, 0 :: v_dual_add_nc_u32 v28, s13, v43
	v_dual_mov_b32 v30, 0 :: v_dual_mov_b32 v29, 0
	s_delay_alu instid0(VALU_DEP_2) | instskip(SKIP_1) | instid1(VALU_DEP_2)
	v_min_u32_e32 v33, s15, v28
	v_add_nc_u32_e32 v51, 0x200, v28
	v_lshlrev_b64 v[0:1], 1, v[33:34]
	s_delay_alu instid0(VALU_DEP_2) | instskip(SKIP_1) | instid1(VALU_DEP_2)
	v_min_u32_e32 v33, s15, v51
	s_waitcnt lgkmcnt(0)
	v_add_co_u32 v6, vcc_lo, s2, v0
	s_delay_alu instid0(VALU_DEP_3) | instskip(NEXT) | instid1(VALU_DEP_3)
	v_add_co_ci_u32_e32 v7, vcc_lo, s3, v1, vcc_lo
	v_lshlrev_b64 v[0:1], 1, v[33:34]
	s_delay_alu instid0(VALU_DEP_3) | instskip(NEXT) | instid1(VALU_DEP_3)
	v_add_co_u32 v2, vcc_lo, v6, v37
	v_add_co_ci_u32_e32 v3, vcc_lo, v7, v38, vcc_lo
	v_add_co_u32 v4, vcc_lo, v6, v39
	v_add_co_ci_u32_e32 v5, vcc_lo, v7, v40, vcc_lo
	;; [unrolled: 2-line block ×4, first 2 shown]
	s_delay_alu instid0(VALU_DEP_4) | instskip(NEXT) | instid1(VALU_DEP_4)
	v_add_co_u32 v6, vcc_lo, v8, v37
	v_add_co_ci_u32_e32 v7, vcc_lo, v9, v38, vcc_lo
	v_add_co_u32 v12, vcc_lo, v8, v39
	v_add_co_ci_u32_e32 v13, vcc_lo, v9, v40, vcc_lo
	;; [unrolled: 2-line block ×3, first 2 shown]
	s_clause 0x5
	global_load_b128 v[24:27], v[2:3], off slc dlc
	global_load_b128 v[20:23], v[4:5], off slc dlc
	;; [unrolled: 1-line block ×6, first 2 shown]
	v_dual_mov_b32 v14, 0 :: v_dual_mov_b32 v15, 0
	v_cmp_gt_u32_e32 vcc_lo, s4, v28
	v_dual_mov_b32 v13, 0 :: v_dual_mov_b32 v12, 0
	v_mov_b32_e32 v28, 0
	s_and_saveexec_b32 s18, vcc_lo
	s_cbranch_execz .LBB179_11
; %bb.13:                               ;   in Loop: Header=BB179_12 Depth=2
	ds_load_b128 v[28:31], v47
	v_dual_mov_b32 v12, 0 :: v_dual_mov_b32 v13, 0
	v_dual_mov_b32 v14, 0 :: v_dual_mov_b32 v15, 0
	s_mov_b32 s19, exec_lo
	v_cmpx_gt_u32_e64 s4, v51
	s_cbranch_execz .LBB179_10
; %bb.14:                               ;   in Loop: Header=BB179_12 Depth=2
	ds_load_b128 v[12:15], v47 offset:1024
	s_branch .LBB179_10
.LBB179_15:                             ;   in Loop: Header=BB179_8 Depth=1
	; sched_barrier mask(0x00000000)
	s_delay_alu instid0(VALU_DEP_1) | instskip(SKIP_1) | instid1(VALU_DEP_2)
	v_cvt_i32_f32_e32 v0, v50
	s_waitcnt lgkmcnt(0)
	v_cvt_i32_f32_e32 v1, v49
	v_cvt_i32_f32_e32 v2, v48
	s_delay_alu instid0(VALU_DEP_3) | instskip(NEXT) | instid1(VALU_DEP_3)
	v_cvt_f32_i32_dpp v0, v0 row_shr:8 row_mask:0xf bank_mask:0xf bound_ctrl:1
	v_cvt_f32_i32_dpp v1, v1 row_shr:8 row_mask:0xf bank_mask:0xf bound_ctrl:1
	s_delay_alu instid0(VALU_DEP_3) | instskip(NEXT) | instid1(VALU_DEP_2)
	v_cvt_f32_i32_dpp v2, v2 row_shr:8 row_mask:0xf bank_mask:0xf bound_ctrl:1
	v_dual_add_f32 v0, v50, v0 :: v_dual_add_f32 v1, v49, v1
	s_delay_alu instid0(VALU_DEP_1) | instskip(NEXT) | instid1(VALU_DEP_2)
	v_cvt_i32_f32_e32 v3, v0
	v_cvt_i32_f32_e32 v4, v1
	s_delay_alu instid0(VALU_DEP_2) | instskip(NEXT) | instid1(VALU_DEP_2)
	v_cvt_f32_i32_dpp v3, v3 row_shr:4 row_mask:0xf bank_mask:0xf bound_ctrl:1
	v_cvt_f32_i32_dpp v4, v4 row_shr:4 row_mask:0xf bank_mask:0xf bound_ctrl:1
	s_delay_alu instid0(VALU_DEP_1) | instskip(NEXT) | instid1(VALU_DEP_1)
	v_dual_add_f32 v2, v48, v2 :: v_dual_add_f32 v1, v1, v4
	v_cvt_i32_f32_e32 v5, v2
	s_delay_alu instid0(VALU_DEP_2) | instskip(NEXT) | instid1(VALU_DEP_2)
	v_cvt_i32_f32_e32 v4, v1
	v_cvt_f32_i32_dpp v5, v5 row_shr:4 row_mask:0xf bank_mask:0xf bound_ctrl:1
	s_delay_alu instid0(VALU_DEP_2) | instskip(SKIP_1) | instid1(VALU_DEP_2)
	v_cvt_f32_i32_dpp v4, v4 row_shr:2 row_mask:0xf bank_mask:0xf bound_ctrl:1
	v_add_f32_e32 v0, v0, v3
	v_dual_add_f32 v2, v2, v5 :: v_dual_add_f32 v1, v1, v4
	s_delay_alu instid0(VALU_DEP_2) | instskip(NEXT) | instid1(VALU_DEP_2)
	v_cvt_i32_f32_e32 v3, v0
	v_cvt_i32_f32_e32 v5, v2
	s_delay_alu instid0(VALU_DEP_3) | instskip(NEXT) | instid1(VALU_DEP_3)
	v_cvt_i32_f32_e32 v4, v1
	v_cvt_f32_i32_dpp v3, v3 row_shr:2 row_mask:0xf bank_mask:0xf bound_ctrl:1
	s_delay_alu instid0(VALU_DEP_3) | instskip(NEXT) | instid1(VALU_DEP_3)
	v_cvt_f32_i32_dpp v5, v5 row_shr:2 row_mask:0xf bank_mask:0xf bound_ctrl:1
	v_cvt_f32_i32_dpp v4, v4 row_shr:1 row_mask:0xf bank_mask:0xf bound_ctrl:1
	s_delay_alu instid0(VALU_DEP_2) | instskip(NEXT) | instid1(VALU_DEP_1)
	v_dual_add_f32 v0, v0, v3 :: v_dual_add_f32 v3, v2, v5
	v_cvt_i32_f32_e32 v2, v0
	s_delay_alu instid0(VALU_DEP_2) | instskip(NEXT) | instid1(VALU_DEP_2)
	v_cvt_i32_f32_e32 v5, v3
	v_cvt_f32_i32_dpp v2, v2 row_shr:1 row_mask:0xf bank_mask:0xf bound_ctrl:1
	s_delay_alu instid0(VALU_DEP_2) | instskip(NEXT) | instid1(VALU_DEP_2)
	v_cvt_f32_i32_dpp v6, v5 row_shr:1 row_mask:0xf bank_mask:0xf bound_ctrl:1
	v_dual_add_f32 v5, v0, v2 :: v_dual_add_f32 v2, v1, v4
	s_delay_alu instid0(VALU_DEP_2)
	v_add_f32_e32 v0, v3, v6
	ds_bpermute_b32 v6, v45, v5
	ds_bpermute_b32 v3, v45, v2
	;; [unrolled: 1-line block ×3, first 2 shown]
	s_and_saveexec_b32 s13, s0
	s_cbranch_execz .LBB179_7
; %bb.16:                               ;   in Loop: Header=BB179_8 Depth=1
	v_dual_mov_b32 v8, 0 :: v_dual_mov_b32 v7, 0
	v_mov_b32_e32 v4, 0
	s_and_not1_b32 vcc_lo, exec_lo, s17
	s_cbranch_vccnz .LBB179_18
; %bb.17:                               ;   in Loop: Header=BB179_8 Depth=1
	v_mul_hi_u32 v4, v32, v46
	v_mul_hi_u32 v7, v36, v46
	;; [unrolled: 1-line block ×3, first 2 shown]
	s_delay_alu instid0(VALU_DEP_3) | instskip(NEXT) | instid1(VALU_DEP_3)
	v_mul_lo_u32 v4, v4, s14
	v_mul_lo_u32 v7, v7, s14
	s_delay_alu instid0(VALU_DEP_3) | instskip(NEXT) | instid1(VALU_DEP_3)
	v_mul_lo_u32 v8, v8, s14
	v_sub_nc_u32_e32 v4, v32, v4
	s_delay_alu instid0(VALU_DEP_3) | instskip(NEXT) | instid1(VALU_DEP_3)
	v_sub_nc_u32_e32 v7, v36, v7
	v_sub_nc_u32_e32 v8, v35, v8
	s_delay_alu instid0(VALU_DEP_3) | instskip(SKIP_1) | instid1(VALU_DEP_2)
	v_subrev_nc_u32_e32 v9, s14, v4
	v_cmp_le_u32_e32 vcc_lo, s14, v4
	v_cndmask_b32_e32 v4, v4, v9, vcc_lo
	v_subrev_nc_u32_e32 v9, s14, v7
	v_cmp_le_u32_e32 vcc_lo, s14, v7
	s_delay_alu instid0(VALU_DEP_3) | instskip(NEXT) | instid1(VALU_DEP_3)
	v_subrev_nc_u32_e32 v10, s14, v4
	v_cndmask_b32_e32 v9, v7, v9, vcc_lo
	v_cmp_le_u32_e32 vcc_lo, s14, v4
	v_subrev_nc_u32_e32 v7, s14, v8
	s_delay_alu instid0(VALU_DEP_4) | instskip(SKIP_2) | instid1(VALU_DEP_4)
	v_cndmask_b32_e32 v33, v4, v10, vcc_lo
	v_cmp_le_u32_e32 vcc_lo, s14, v8
	v_subrev_nc_u32_e32 v4, s14, v9
	v_cndmask_b32_e32 v11, v8, v7, vcc_lo
	v_cmp_le_u32_e32 vcc_lo, s14, v9
	v_lshlrev_b64 v[7:8], 1, v[33:34]
	s_delay_alu instid0(VALU_DEP_4) | instskip(NEXT) | instid1(VALU_DEP_4)
	v_cndmask_b32_e32 v33, v9, v4, vcc_lo
	v_subrev_nc_u32_e32 v4, s14, v11
	v_cmp_le_u32_e32 vcc_lo, s14, v11
	s_delay_alu instid0(VALU_DEP_3) | instskip(NEXT) | instid1(VALU_DEP_3)
	v_lshlrev_b64 v[9:10], 1, v[33:34]
	v_cndmask_b32_e32 v33, v11, v4, vcc_lo
	v_add_co_u32 v7, vcc_lo, s8, v7
	v_add_co_ci_u32_e32 v8, vcc_lo, s9, v8, vcc_lo
	s_delay_alu instid0(VALU_DEP_3) | instskip(SKIP_2) | instid1(VALU_DEP_3)
	v_lshlrev_b64 v[11:12], 1, v[33:34]
	v_add_co_u32 v9, vcc_lo, s8, v9
	v_add_co_ci_u32_e32 v10, vcc_lo, s9, v10, vcc_lo
	v_add_co_u32 v11, vcc_lo, s8, v11
	s_delay_alu instid0(VALU_DEP_4)
	v_add_co_ci_u32_e32 v12, vcc_lo, s9, v12, vcc_lo
	s_clause 0x2
	global_load_u16 v8, v[7:8], off
	global_load_u16 v7, v[9:10], off
	;; [unrolled: 1-line block ×3, first 2 shown]
.LBB179_18:                             ;   in Loop: Header=BB179_8 Depth=1
	s_waitcnt vmcnt(2) lgkmcnt(0)
	v_dual_add_f32 v5, v5, v6 :: v_dual_lshlrev_b32 v6, 16, v8
	s_delay_alu instid0(VALU_DEP_1) | instskip(NEXT) | instid1(VALU_DEP_1)
	v_add_f32_e32 v6, v5, v6
	v_and_b32_e32 v5, 0x7f800000, v6
	s_delay_alu instid0(VALU_DEP_1) | instskip(SKIP_1) | instid1(SALU_CYCLE_1)
	v_cmp_ne_u32_e32 vcc_lo, 0x7f800000, v5
                                        ; implicit-def: $vgpr5
	s_and_saveexec_b32 s18, vcc_lo
	s_xor_b32 s18, exec_lo, s18
; %bb.19:                               ;   in Loop: Header=BB179_8 Depth=1
	v_bfe_u32 v5, v6, 16, 1
	s_delay_alu instid0(VALU_DEP_1)
	v_add3_u32 v5, v6, v5, 0x7fff
                                        ; implicit-def: $vgpr6
; %bb.20:                               ;   in Loop: Header=BB179_8 Depth=1
	s_and_not1_saveexec_b32 s18, s18
; %bb.21:                               ;   in Loop: Header=BB179_8 Depth=1
	v_and_b32_e32 v5, 0xffff, v6
	v_or_b32_e32 v8, 0x10000, v6
	s_delay_alu instid0(VALU_DEP_2) | instskip(NEXT) | instid1(VALU_DEP_2)
	v_cmp_eq_u32_e32 vcc_lo, 0, v5
	v_cndmask_b32_e32 v5, v8, v6, vcc_lo
; %bb.22:                               ;   in Loop: Header=BB179_8 Depth=1
	s_or_b32 exec_lo, exec_lo, s18
	v_add_f32_e32 v2, v2, v3
	s_waitcnt vmcnt(1)
	v_lshlrev_b32_e32 v3, 16, v7
	s_delay_alu instid0(VALU_DEP_1) | instskip(NEXT) | instid1(VALU_DEP_1)
	v_add_f32_e32 v3, v2, v3
	v_dual_mov_b32 v33, v34 :: v_dual_and_b32 v2, 0x7f800000, v3
	s_delay_alu instid0(VALU_DEP_1) | instskip(NEXT) | instid1(VALU_DEP_1)
	v_lshlrev_b64 v[6:7], 1, v[32:33]
	v_add_co_u32 v6, vcc_lo, s10, v6
	s_delay_alu instid0(VALU_DEP_2) | instskip(NEXT) | instid1(VALU_DEP_4)
	v_add_co_ci_u32_e32 v7, vcc_lo, s11, v7, vcc_lo
	v_cmp_ne_u32_e32 vcc_lo, 0x7f800000, v2
                                        ; implicit-def: $vgpr2
	global_store_d16_hi_b16 v[6:7], v5, off
	s_and_saveexec_b32 s18, vcc_lo
	s_delay_alu instid0(SALU_CYCLE_1)
	s_xor_b32 s18, exec_lo, s18
; %bb.23:                               ;   in Loop: Header=BB179_8 Depth=1
	v_bfe_u32 v2, v3, 16, 1
	s_delay_alu instid0(VALU_DEP_1)
	v_add3_u32 v2, v3, v2, 0x7fff
                                        ; implicit-def: $vgpr3
; %bb.24:                               ;   in Loop: Header=BB179_8 Depth=1
	s_and_not1_saveexec_b32 s18, s18
; %bb.25:                               ;   in Loop: Header=BB179_8 Depth=1
	v_and_b32_e32 v2, 0xffff, v3
	v_or_b32_e32 v5, 0x10000, v3
	s_delay_alu instid0(VALU_DEP_2) | instskip(NEXT) | instid1(VALU_DEP_2)
	v_cmp_eq_u32_e32 vcc_lo, 0, v2
	v_cndmask_b32_e32 v2, v5, v3, vcc_lo
; %bb.26:                               ;   in Loop: Header=BB179_8 Depth=1
	s_or_b32 exec_lo, exec_lo, s18
	s_waitcnt vmcnt(0)
	v_dual_add_f32 v0, v0, v1 :: v_dual_lshlrev_b32 v1, 16, v4
	s_delay_alu instid0(VALU_DEP_1) | instskip(NEXT) | instid1(VALU_DEP_1)
	v_dual_mov_b32 v37, v34 :: v_dual_add_f32 v0, v0, v1
	v_lshlrev_b64 v[3:4], 1, v[36:37]
	s_delay_alu instid0(VALU_DEP_2) | instskip(NEXT) | instid1(VALU_DEP_2)
	v_and_b32_e32 v1, 0x7f800000, v0
	v_add_co_u32 v3, vcc_lo, s10, v3
	s_delay_alu instid0(VALU_DEP_3) | instskip(NEXT) | instid1(VALU_DEP_3)
	v_add_co_ci_u32_e32 v4, vcc_lo, s11, v4, vcc_lo
	v_cmp_ne_u32_e32 vcc_lo, 0x7f800000, v1
                                        ; implicit-def: $vgpr1
	global_store_d16_hi_b16 v[3:4], v2, off
	s_and_saveexec_b32 s18, vcc_lo
	s_delay_alu instid0(SALU_CYCLE_1)
	s_xor_b32 s18, exec_lo, s18
; %bb.27:                               ;   in Loop: Header=BB179_8 Depth=1
	v_bfe_u32 v1, v0, 16, 1
	s_delay_alu instid0(VALU_DEP_1)
	v_add3_u32 v1, v0, v1, 0x7fff
                                        ; implicit-def: $vgpr0
; %bb.28:                               ;   in Loop: Header=BB179_8 Depth=1
	s_and_not1_saveexec_b32 s18, s18
	s_cbranch_execz .LBB179_6
; %bb.29:                               ;   in Loop: Header=BB179_8 Depth=1
	v_and_b32_e32 v1, 0xffff, v0
	v_or_b32_e32 v2, 0x10000, v0
	s_delay_alu instid0(VALU_DEP_2) | instskip(NEXT) | instid1(VALU_DEP_2)
	v_cmp_eq_u32_e32 vcc_lo, 0, v1
	v_cndmask_b32_e32 v1, v2, v0, vcc_lo
	s_branch .LBB179_6
.LBB179_30:
	s_nop 0
	s_sendmsg sendmsg(MSG_DEALLOC_VGPRS)
	s_endpgm
	.section	.rodata,"a",@progbits
	.p2align	6, 0x0
	.amdhsa_kernel _Z16wvSplitK_hf_sml_I14__hip_bfloat16Li64ELi3ELi16ELi8ELi2ELi1EEviiiiiiPKT_S3_S3_PS1_ii
		.amdhsa_group_segment_fixed_size 65536
		.amdhsa_private_segment_fixed_size 0
		.amdhsa_kernarg_size 64
		.amdhsa_user_sgpr_count 15
		.amdhsa_user_sgpr_dispatch_ptr 0
		.amdhsa_user_sgpr_queue_ptr 0
		.amdhsa_user_sgpr_kernarg_segment_ptr 1
		.amdhsa_user_sgpr_dispatch_id 0
		.amdhsa_user_sgpr_private_segment_size 0
		.amdhsa_wavefront_size32 1
		.amdhsa_uses_dynamic_stack 0
		.amdhsa_enable_private_segment 0
		.amdhsa_system_sgpr_workgroup_id_x 1
		.amdhsa_system_sgpr_workgroup_id_y 0
		.amdhsa_system_sgpr_workgroup_id_z 0
		.amdhsa_system_sgpr_workgroup_info 0
		.amdhsa_system_vgpr_workitem_id 1
		.amdhsa_next_free_vgpr 55
		.amdhsa_next_free_sgpr 20
		.amdhsa_reserve_vcc 1
		.amdhsa_float_round_mode_32 0
		.amdhsa_float_round_mode_16_64 0
		.amdhsa_float_denorm_mode_32 3
		.amdhsa_float_denorm_mode_16_64 3
		.amdhsa_dx10_clamp 1
		.amdhsa_ieee_mode 1
		.amdhsa_fp16_overflow 0
		.amdhsa_workgroup_processor_mode 1
		.amdhsa_memory_ordered 1
		.amdhsa_forward_progress 0
		.amdhsa_shared_vgpr_count 0
		.amdhsa_exception_fp_ieee_invalid_op 0
		.amdhsa_exception_fp_denorm_src 0
		.amdhsa_exception_fp_ieee_div_zero 0
		.amdhsa_exception_fp_ieee_overflow 0
		.amdhsa_exception_fp_ieee_underflow 0
		.amdhsa_exception_fp_ieee_inexact 0
		.amdhsa_exception_int_div_zero 0
	.end_amdhsa_kernel
	.section	.text._Z16wvSplitK_hf_sml_I14__hip_bfloat16Li64ELi3ELi16ELi8ELi2ELi1EEviiiiiiPKT_S3_S3_PS1_ii,"axG",@progbits,_Z16wvSplitK_hf_sml_I14__hip_bfloat16Li64ELi3ELi16ELi8ELi2ELi1EEviiiiiiPKT_S3_S3_PS1_ii,comdat
.Lfunc_end179:
	.size	_Z16wvSplitK_hf_sml_I14__hip_bfloat16Li64ELi3ELi16ELi8ELi2ELi1EEviiiiiiPKT_S3_S3_PS1_ii, .Lfunc_end179-_Z16wvSplitK_hf_sml_I14__hip_bfloat16Li64ELi3ELi16ELi8ELi2ELi1EEviiiiiiPKT_S3_S3_PS1_ii
                                        ; -- End function
	.section	.AMDGPU.csdata,"",@progbits
; Kernel info:
; codeLenInByte = 2792
; NumSgprs: 22
; NumVgprs: 55
; ScratchSize: 0
; MemoryBound: 0
; FloatMode: 240
; IeeeMode: 1
; LDSByteSize: 65536 bytes/workgroup (compile time only)
; SGPRBlocks: 2
; VGPRBlocks: 6
; NumSGPRsForWavesPerEU: 22
; NumVGPRsForWavesPerEU: 55
; Occupancy: 16
; WaveLimiterHint : 0
; COMPUTE_PGM_RSRC2:SCRATCH_EN: 0
; COMPUTE_PGM_RSRC2:USER_SGPR: 15
; COMPUTE_PGM_RSRC2:TRAP_HANDLER: 0
; COMPUTE_PGM_RSRC2:TGID_X_EN: 1
; COMPUTE_PGM_RSRC2:TGID_Y_EN: 0
; COMPUTE_PGM_RSRC2:TGID_Z_EN: 0
; COMPUTE_PGM_RSRC2:TIDIG_COMP_CNT: 1
	.section	.text._Z12wvSplitK_hf_I14__hip_bfloat16Li64ELi3ELi16ELi8ELi2ELi1EEviiiiiiPKT_S3_S3_PS1_ii,"axG",@progbits,_Z12wvSplitK_hf_I14__hip_bfloat16Li64ELi3ELi16ELi8ELi2ELi1EEviiiiiiPKT_S3_S3_PS1_ii,comdat
	.protected	_Z12wvSplitK_hf_I14__hip_bfloat16Li64ELi3ELi16ELi8ELi2ELi1EEviiiiiiPKT_S3_S3_PS1_ii ; -- Begin function _Z12wvSplitK_hf_I14__hip_bfloat16Li64ELi3ELi16ELi8ELi2ELi1EEviiiiiiPKT_S3_S3_PS1_ii
	.globl	_Z12wvSplitK_hf_I14__hip_bfloat16Li64ELi3ELi16ELi8ELi2ELi1EEviiiiiiPKT_S3_S3_PS1_ii
	.p2align	8
	.type	_Z12wvSplitK_hf_I14__hip_bfloat16Li64ELi3ELi16ELi8ELi2ELi1EEviiiiiiPKT_S3_S3_PS1_ii,@function
_Z12wvSplitK_hf_I14__hip_bfloat16Li64ELi3ELi16ELi8ELi2ELi1EEviiiiiiPKT_S3_S3_PS1_ii: ; @_Z12wvSplitK_hf_I14__hip_bfloat16Li64ELi3ELi16ELi8ELi2ELi1EEviiiiiiPKT_S3_S3_PS1_ii
; %bb.0:
	s_clause 0x1
	s_load_b64 s[16:17], s[0:1], 0x38
	s_load_b128 s[4:7], s[0:1], 0x0
	v_bfe_u32 v1, v0, 10, 10
	s_clause 0x1
	s_load_b64 s[12:13], s[0:1], 0x20
	s_load_b32 s18, s[0:1], 0x10
	s_mov_b32 s8, 1
	s_delay_alu instid0(SALU_CYCLE_1) | instskip(SKIP_1) | instid1(SALU_CYCLE_1)
	s_mov_b32 s9, s8
	s_mov_b32 s10, s8
	v_mov_b32_e32 v34, s10
	v_dual_mov_b32 v32, s8 :: v_dual_mov_b32 v33, s9
	s_waitcnt lgkmcnt(0)
	v_mad_u64_u32 v[2:3], null, s15, s16, v[1:2]
	s_delay_alu instid0(VALU_DEP_1) | instskip(NEXT) | instid1(VALU_DEP_1)
	v_lshl_add_u32 v35, v2, 1, v2
	v_add_nc_u32_e32 v2, 3, v35
	v_cmp_gt_u32_e32 vcc_lo, s7, v35
	s_delay_alu instid0(VALU_DEP_2) | instskip(NEXT) | instid1(VALU_DEP_1)
	v_cmp_le_u32_e64 s2, s7, v2
	s_and_b32 s2, vcc_lo, s2
	s_delay_alu instid0(SALU_CYCLE_1)
	s_and_saveexec_b32 s11, s2
	s_cbranch_execz .LBB180_6
; %bb.1:
	v_dual_mov_b32 v34, s10 :: v_dual_mov_b32 v33, s9
	v_mov_b32_e32 v32, s8
	s_add_i32 s14, s7, -3
	s_mov_b32 s15, exec_lo
	v_cmpx_ne_u32_e64 s14, v35
	s_cbranch_execz .LBB180_5
; %bb.2:
	v_subrev_nc_u32_e32 v2, s14, v35
	s_mov_b32 s19, 0
	s_mov_b64 s[2:3], 0
	s_mov_b32 s9, s8
	s_mov_b32 s10, s8
	v_cmp_lt_u32_e32 vcc_lo, 1, v2
	v_cndmask_b32_e32 v2, 1, v2, vcc_lo
.LBB180_3:                              ; =>This Inner Loop Header: Depth=1
	s_cmp_lg_u32 s2, 2
	s_cselect_b32 s10, s10, 0
	s_cmp_lg_u32 s2, 1
	s_cselect_b32 s9, s9, 0
	;; [unrolled: 2-line block ×3, first 2 shown]
	s_add_u32 s2, s2, 1
	v_dual_mov_b32 v34, s10 :: v_dual_mov_b32 v33, s9
	v_cmp_eq_u32_e32 vcc_lo, s2, v2
	v_mov_b32_e32 v32, s8
	s_addc_u32 s3, s3, 0
	s_or_b32 s19, vcc_lo, s19
	s_delay_alu instid0(SALU_CYCLE_1)
	s_and_not1_b32 exec_lo, exec_lo, s19
	s_cbranch_execnz .LBB180_3
; %bb.4:
	s_or_b32 exec_lo, exec_lo, s19
	v_mov_b32_e32 v35, s14
.LBB180_5:
	s_or_b32 exec_lo, exec_lo, s15
.LBB180_6:
	s_delay_alu instid0(SALU_CYCLE_1) | instskip(SKIP_4) | instid1(VALU_DEP_1)
	s_or_b32 exec_lo, exec_lo, s11
	s_load_b64 s[8:9], s[0:1], 0x28
	v_and_b32_e32 v0, 0x3ff, v0
	s_min_u32 s3, s6, 0x8000
	s_mov_b32 s6, exec_lo
	v_lshlrev_b32_e32 v49, 3, v0
	s_delay_alu instid0(VALU_DEP_1) | instskip(NEXT) | instid1(VALU_DEP_1)
	v_lshl_add_u32 v4, v1, 9, v49
	v_cmpx_gt_u32_e64 s3, v4
	s_cbranch_execz .LBB180_9
; %bb.7:
	v_lshlrev_b32_e32 v5, 10, v1
	v_lshlrev_b32_e32 v6, 4, v0
	s_mov_b32 s10, 0
	s_delay_alu instid0(VALU_DEP_1) | instskip(NEXT) | instid1(VALU_DEP_1)
	v_add_co_u32 v2, s2, v5, v6
	v_add_co_ci_u32_e64 v3, null, 0, 0, s2
	v_add_nc_u32_e32 v5, v5, v6
	s_delay_alu instid0(VALU_DEP_3) | instskip(NEXT) | instid1(VALU_DEP_3)
	v_add_co_u32 v2, vcc_lo, s12, v2
	v_add_co_ci_u32_e32 v3, vcc_lo, s13, v3, vcc_lo
	.p2align	6
.LBB180_8:                              ; =>This Inner Loop Header: Depth=1
	global_load_b128 v[6:9], v[2:3], off
	v_add_nc_u32_e32 v4, 0x2000, v4
	v_add_co_u32 v2, vcc_lo, 0x4000, v2
	v_add_co_ci_u32_e32 v3, vcc_lo, 0, v3, vcc_lo
	s_delay_alu instid0(VALU_DEP_3) | instskip(NEXT) | instid1(VALU_DEP_1)
	v_cmp_le_u32_e64 s2, s3, v4
	s_or_b32 s10, s2, s10
	s_waitcnt vmcnt(0)
	ds_store_b128 v5, v[6:9]
	v_add_nc_u32_e32 v5, 0x4000, v5
	s_and_not1_b32 exec_lo, exec_lo, s10
	s_cbranch_execnz .LBB180_8
.LBB180_9:
	s_or_b32 exec_lo, exec_lo, s6
	v_cmp_gt_u32_e32 vcc_lo, s16, v1
	v_cmp_gt_u32_e64 s2, s7, v35
	s_waitcnt lgkmcnt(0)
	s_barrier
	buffer_gl0_inv
	s_and_b32 s2, vcc_lo, s2
	s_delay_alu instid0(SALU_CYCLE_1)
	s_and_saveexec_b32 s3, s2
	s_cbranch_execz .LBB180_54
; %bb.10:
	v_cvt_f32_u32_e32 v1, s18
	v_mbcnt_lo_u32_b32 v2, -1, 0
	s_cmp_lg_u32 s4, 0
	s_clause 0x1
	s_load_b64 s[10:11], s[0:1], 0x18
	s_load_b64 s[14:15], s[0:1], 0x30
	s_cselect_b32 s6, -1, 0
	v_rcp_iflag_f32_e32 v1, v1
	v_xor_b32_e32 v4, 16, v2
	s_add_i32 s19, s4, -8
	s_add_i32 s20, s7, -1
	s_cmp_lg_u64 s[8:9], 0
	v_cmp_eq_u32_e64 s0, 63, v0
	v_cmp_gt_i32_e32 vcc_lo, 32, v4
	s_cselect_b32 s21, -1, 0
	s_sub_i32 s2, 0, s18
	v_dual_mov_b32 v37, 0 :: v_dual_lshlrev_b32 v50, 4, v0
	s_waitcnt_depctr 0xfff
	v_dual_mul_f32 v1, 0x4f7ffffe, v1 :: v_dual_cndmask_b32 v2, v2, v4
	s_mul_i32 s23, s16, s17
	s_mov_b32 s22, 0
	s_mul_i32 s23, s23, 3
	s_delay_alu instid0(VALU_DEP_1) | instskip(SKIP_2) | instid1(VALU_DEP_2)
	v_cvt_u32_f32_e32 v1, v1
	v_lshlrev_b32_e32 v51, 2, v2
	s_add_i32 s24, s7, -3
	v_mul_lo_u32 v3, s2, v1
	s_delay_alu instid0(VALU_DEP_1) | instskip(NEXT) | instid1(VALU_DEP_1)
	v_mul_hi_u32 v3, v1, v3
	v_add_nc_u32_e32 v52, v1, v3
	s_branch .LBB180_13
.LBB180_11:                             ;   in Loop: Header=BB180_13 Depth=1
	s_or_b32 exec_lo, exec_lo, s26
	v_mov_b32_e32 v35, s24
.LBB180_12:                             ;   in Loop: Header=BB180_13 Depth=1
	s_or_b32 exec_lo, exec_lo, s25
	s_delay_alu instid0(VALU_DEP_1) | instskip(SKIP_1) | instid1(SALU_CYCLE_1)
	v_cmp_le_u32_e32 vcc_lo, s7, v35
	s_or_b32 s22, vcc_lo, s22
	s_and_not1_b32 exec_lo, exec_lo, s22
	s_cbranch_execz .LBB180_54
.LBB180_13:                             ; =>This Loop Header: Depth=1
                                        ;     Child Loop BB180_18 Depth 2
                                        ;     Child Loop BB180_52 Depth 2
	v_dual_mov_b32 v54, v37 :: v_dual_add_nc_u32 v39, 1, v35
	v_dual_mov_b32 v55, v37 :: v_dual_add_nc_u32 v38, 2, v35
	v_mov_b32_e32 v56, v37
	s_and_not1_b32 vcc_lo, exec_lo, s6
	s_cbranch_vccnz .LBB180_28
; %bb.14:                               ;   in Loop: Header=BB180_13 Depth=1
	v_min_u32_e32 v0, s20, v35
	s_waitcnt lgkmcnt(0)
	v_min_u32_e32 v1, s20, v39
	v_min_u32_e32 v2, s20, v38
	v_dual_mov_b32 v3, v37 :: v_dual_mov_b32 v54, 0
	v_mul_lo_u32 v36, v0, s5
	s_delay_alu instid0(VALU_DEP_4) | instskip(NEXT) | instid1(VALU_DEP_4)
	v_mul_lo_u32 v0, v1, s5
	v_mul_lo_u32 v2, v2, s5
	v_dual_mov_b32 v1, v37 :: v_dual_mov_b32 v56, 0
	v_mov_b32_e32 v53, v50
	v_mov_b32_e32 v55, 0
	s_mov_b32 s1, 0
	v_lshlrev_b64 v[40:41], 1, v[36:37]
	v_lshlrev_b64 v[42:43], 1, v[0:1]
	;; [unrolled: 1-line block ×3, first 2 shown]
	s_branch .LBB180_18
.LBB180_15:                             ;   in Loop: Header=BB180_18 Depth=2
	s_or_b32 exec_lo, exec_lo, s16
.LBB180_16:                             ;   in Loop: Header=BB180_18 Depth=2
	s_delay_alu instid0(SALU_CYCLE_1)
	s_or_b32 exec_lo, exec_lo, s3
.LBB180_17:                             ;   in Loop: Header=BB180_18 Depth=2
	s_delay_alu instid0(SALU_CYCLE_1)
	s_or_b32 exec_lo, exec_lo, s2
	s_waitcnt vmcnt(0) lgkmcnt(0)
	v_and_b32_e32 v36, 0xffff0000, v28
	v_lshlrev_b32_e32 v28, 16, v28
	v_and_b32_e32 v47, 0xffff0000, v29
	v_and_b32_e32 v48, 0xffff0000, v25
	v_lshlrev_b32_e32 v29, 16, v29
	v_lshlrev_b32_e32 v25, 16, v25
	s_addk_i32 s1, 0x400
	s_delay_alu instid0(VALU_DEP_3) | instskip(SKIP_2) | instid1(VALU_DEP_2)
	v_dual_mul_f32 v48, v47, v48 :: v_dual_add_nc_u32 v53, 0x800, v53
	v_and_b32_e32 v57, 0xffff0000, v30
	s_cmp_ge_u32 s1, s4
	v_dual_fmac_f32 v48, v29, v25 :: v_dual_and_b32 v25, 0xffff0000, v16
	v_and_b32_e32 v46, 0xffff0000, v24
	v_lshlrev_b32_e32 v16, 16, v16
	s_delay_alu instid0(VALU_DEP_3) | instskip(NEXT) | instid1(VALU_DEP_1)
	v_dual_mul_f32 v25, v36, v25 :: v_dual_lshlrev_b32 v24, 16, v24
	v_dual_fmac_f32 v25, v28, v16 :: v_dual_lshlrev_b32 v16, 16, v17
	s_delay_alu instid0(VALU_DEP_1) | instskip(NEXT) | instid1(VALU_DEP_1)
	v_dual_add_f32 v25, v55, v25 :: v_dual_mul_f32 v46, v36, v46
	v_fmac_f32_e32 v46, v28, v24
	v_and_b32_e32 v24, 0xffff0000, v26
	v_lshlrev_b32_e32 v30, 16, v30
	v_lshlrev_b32_e32 v26, 16, v26
	s_delay_alu instid0(VALU_DEP_4) | instskip(NEXT) | instid1(VALU_DEP_4)
	v_add_f32_e32 v46, v56, v46
	v_mul_f32_e32 v24, v57, v24
	v_and_b32_e32 v56, 0xffff0000, v27
	s_delay_alu instid0(VALU_DEP_2) | instskip(NEXT) | instid1(VALU_DEP_4)
	v_dual_fmac_f32 v24, v30, v26 :: v_dual_lshlrev_b32 v27, 16, v27
	v_add_f32_e32 v26, v46, v48
	v_and_b32_e32 v48, 0xffff0000, v17
	s_delay_alu instid0(VALU_DEP_1) | instskip(NEXT) | instid1(VALU_DEP_1)
	v_dual_mul_f32 v17, v47, v48 :: v_dual_and_b32 v48, 0xffff0000, v18
	v_dual_fmac_f32 v17, v29, v16 :: v_dual_lshlrev_b32 v16, 16, v18
	s_delay_alu instid0(VALU_DEP_2) | instskip(NEXT) | instid1(VALU_DEP_2)
	v_mul_f32_e32 v18, v57, v48
	v_add_f32_e32 v17, v25, v17
	v_dual_add_f32 v24, v26, v24 :: v_dual_and_b32 v25, 0xffff0000, v13
	v_and_b32_e32 v26, 0xffff0000, v12
	s_delay_alu instid0(VALU_DEP_4) | instskip(SKIP_1) | instid1(VALU_DEP_3)
	v_fmac_f32_e32 v18, v30, v16
	v_lshlrev_b32_e32 v12, 16, v12
	v_mul_f32_e32 v16, v36, v26
	v_and_b32_e32 v26, 0xffff0000, v8
	v_lshlrev_b32_e32 v8, 16, v8
	s_delay_alu instid0(VALU_DEP_3) | instskip(SKIP_2) | instid1(VALU_DEP_3)
	v_fmac_f32_e32 v16, v28, v12
	v_lshlrev_b32_e32 v12, 16, v13
	v_dual_mul_f32 v13, v47, v25 :: v_dual_and_b32 v46, 0xffff0000, v31
	v_dual_add_f32 v16, v54, v16 :: v_dual_lshlrev_b32 v31, 16, v31
	v_and_b32_e32 v25, 0xffff0000, v14
	s_delay_alu instid0(VALU_DEP_3) | instskip(NEXT) | instid1(VALU_DEP_2)
	v_dual_fmac_f32 v13, v29, v12 :: v_dual_lshlrev_b32 v12, 16, v14
	v_mul_f32_e32 v14, v57, v25
	s_delay_alu instid0(VALU_DEP_2) | instskip(SKIP_1) | instid1(VALU_DEP_3)
	v_dual_add_f32 v13, v16, v13 :: v_dual_mul_f32 v56, v46, v56
	v_and_b32_e32 v25, 0xffff0000, v20
	v_fmac_f32_e32 v14, v30, v12
	s_delay_alu instid0(VALU_DEP_3) | instskip(NEXT) | instid1(VALU_DEP_3)
	v_fmac_f32_e32 v56, v31, v27
	v_mul_f32_e32 v16, v25, v26
	v_and_b32_e32 v26, 0xffff0000, v21
	v_lshlrev_b32_e32 v12, 16, v20
	v_and_b32_e32 v20, 0xffff0000, v15
	v_lshlrev_b32_e32 v15, 16, v15
	v_dual_add_f32 v17, v17, v18 :: v_dual_and_b32 v18, 0xffff0000, v19
	v_lshlrev_b32_e32 v19, 16, v19
	s_delay_alu instid0(VALU_DEP_4) | instskip(SKIP_1) | instid1(VALU_DEP_4)
	v_dual_mul_f32 v20, v46, v20 :: v_dual_and_b32 v27, 0xffff0000, v9
	v_add_f32_e32 v24, v24, v56
	v_mul_f32_e32 v18, v46, v18
	v_dual_fmac_f32 v16, v12, v8 :: v_dual_lshlrev_b32 v9, 16, v9
	s_delay_alu instid0(VALU_DEP_4) | instskip(NEXT) | instid1(VALU_DEP_3)
	v_dual_fmac_f32 v20, v31, v15 :: v_dual_add_f32 v13, v13, v14
	v_fmac_f32_e32 v18, v31, v19
	v_and_b32_e32 v19, 0xffff0000, v11
	v_lshlrev_b32_e32 v11, 16, v11
	s_delay_alu instid0(VALU_DEP_4) | instskip(NEXT) | instid1(VALU_DEP_4)
	v_add_f32_e32 v13, v13, v20
	v_dual_add_f32 v15, v17, v18 :: v_dual_lshlrev_b32 v18, 16, v23
	v_dual_mul_f32 v21, v26, v27 :: v_dual_lshlrev_b32 v8, 16, v21
	v_and_b32_e32 v27, 0xffff0000, v22
	v_and_b32_e32 v28, 0xffff0000, v10
	v_lshlrev_b32_e32 v10, 16, v10
	v_add_f32_e32 v16, v24, v16
	v_fmac_f32_e32 v21, v8, v9
	s_delay_alu instid0(VALU_DEP_4) | instskip(SKIP_1) | instid1(VALU_DEP_3)
	v_dual_mul_f32 v22, v27, v28 :: v_dual_lshlrev_b32 v9, 16, v22
	v_and_b32_e32 v17, 0xffff0000, v5
	v_add_f32_e32 v14, v16, v21
	v_and_b32_e32 v16, 0xffff0000, v23
	s_delay_alu instid0(VALU_DEP_4) | instskip(SKIP_2) | instid1(VALU_DEP_3)
	v_fmac_f32_e32 v22, v9, v10
	v_and_b32_e32 v10, 0xffff0000, v4
	v_lshlrev_b32_e32 v4, 16, v4
	v_add_f32_e32 v14, v14, v22
	s_delay_alu instid0(VALU_DEP_3) | instskip(NEXT) | instid1(VALU_DEP_1)
	v_mul_f32_e32 v10, v25, v10
	v_fmac_f32_e32 v10, v12, v4
	v_lshlrev_b32_e32 v4, 16, v5
	v_mul_f32_e32 v5, v26, v17
	v_mul_f32_e32 v17, v16, v19
	s_delay_alu instid0(VALU_DEP_4) | instskip(NEXT) | instid1(VALU_DEP_2)
	v_dual_add_f32 v10, v15, v10 :: v_dual_and_b32 v19, 0xffff0000, v0
	v_dual_fmac_f32 v17, v18, v11 :: v_dual_lshlrev_b32 v0, 16, v0
	s_delay_alu instid0(VALU_DEP_4) | instskip(NEXT) | instid1(VALU_DEP_3)
	v_dual_fmac_f32 v5, v8, v4 :: v_dual_and_b32 v4, 0xffff0000, v6
	v_dual_mul_f32 v15, v25, v19 :: v_dual_lshlrev_b32 v6, 16, v6
	v_and_b32_e32 v19, 0xffff0000, v1
	s_delay_alu instid0(VALU_DEP_3) | instskip(NEXT) | instid1(VALU_DEP_3)
	v_dual_add_f32 v5, v10, v5 :: v_dual_mul_f32 v4, v27, v4
	v_dual_fmac_f32 v15, v12, v0 :: v_dual_lshlrev_b32 v0, 16, v1
	s_delay_alu instid0(VALU_DEP_3) | instskip(SKIP_1) | instid1(VALU_DEP_4)
	v_mul_f32_e32 v1, v26, v19
	v_and_b32_e32 v10, 0xffff0000, v7
	v_fmac_f32_e32 v4, v9, v6
	v_and_b32_e32 v6, 0xffff0000, v2
	s_delay_alu instid0(VALU_DEP_4) | instskip(SKIP_2) | instid1(VALU_DEP_4)
	v_dual_add_f32 v12, v13, v15 :: v_dual_fmac_f32 v1, v8, v0
	v_lshlrev_b32_e32 v0, 16, v2
	v_mul_f32_e32 v8, v16, v10
	v_mul_f32_e32 v2, v27, v6
	v_lshlrev_b32_e32 v6, 16, v7
	v_and_b32_e32 v7, 0xffff0000, v3
	v_dual_add_f32 v1, v12, v1 :: v_dual_add_f32 v4, v5, v4
	s_delay_alu instid0(VALU_DEP_4) | instskip(SKIP_1) | instid1(VALU_DEP_4)
	v_fmac_f32_e32 v2, v9, v0
	v_lshlrev_b32_e32 v0, 16, v3
	v_dual_mul_f32 v3, v16, v7 :: v_dual_fmac_f32 v8, v18, v6
	s_delay_alu instid0(VALU_DEP_3) | instskip(NEXT) | instid1(VALU_DEP_2)
	v_dual_add_f32 v56, v14, v17 :: v_dual_add_f32 v1, v1, v2
	v_fmac_f32_e32 v3, v18, v0
	s_delay_alu instid0(VALU_DEP_1)
	v_dual_add_f32 v55, v4, v8 :: v_dual_add_f32 v54, v1, v3
	s_cbranch_scc1 .LBB180_28
.LBB180_18:                             ;   Parent Loop BB180_13 Depth=1
                                        ; =>  This Inner Loop Header: Depth=2
	v_add_nc_u32_e32 v47, s1, v49
	v_dual_mov_b32 v31, 0 :: v_dual_mov_b32 v30, 0
	v_dual_mov_b32 v29, 0 :: v_dual_mov_b32 v28, 0
	s_delay_alu instid0(VALU_DEP_3) | instskip(SKIP_2) | instid1(VALU_DEP_2)
	v_min_u32_e32 v36, s19, v47
	v_add_nc_u32_e32 v46, 0x200, v47
	s_mov_b32 s2, exec_lo
	v_lshlrev_b64 v[0:1], 1, v[36:37]
	s_delay_alu instid0(VALU_DEP_2) | instskip(SKIP_1) | instid1(VALU_DEP_2)
	v_min_u32_e32 v36, s19, v46
	s_waitcnt lgkmcnt(0)
	v_add_co_u32 v6, vcc_lo, s10, v0
	s_waitcnt vmcnt(1)
	s_delay_alu instid0(VALU_DEP_3) | instskip(SKIP_1) | instid1(VALU_DEP_3)
	v_add_co_ci_u32_e32 v7, vcc_lo, s11, v1, vcc_lo
	v_lshlrev_b64 v[0:1], 1, v[36:37]
	v_add_co_u32 v2, vcc_lo, v6, v40
	s_delay_alu instid0(VALU_DEP_3)
	v_add_co_ci_u32_e32 v3, vcc_lo, v7, v41, vcc_lo
	s_waitcnt vmcnt(0)
	v_add_co_u32 v4, vcc_lo, v6, v42
	v_add_co_ci_u32_e32 v5, vcc_lo, v7, v43, vcc_lo
	v_add_co_u32 v8, vcc_lo, s10, v0
	v_add_co_ci_u32_e32 v9, vcc_lo, s11, v1, vcc_lo
	;; [unrolled: 2-line block ×3, first 2 shown]
	s_delay_alu instid0(VALU_DEP_4) | instskip(NEXT) | instid1(VALU_DEP_4)
	v_add_co_u32 v6, vcc_lo, v8, v40
	v_add_co_ci_u32_e32 v7, vcc_lo, v9, v41, vcc_lo
	v_add_co_u32 v20, vcc_lo, v8, v42
	v_add_co_ci_u32_e32 v21, vcc_lo, v9, v43, vcc_lo
	;; [unrolled: 2-line block ×3, first 2 shown]
	s_clause 0x5
	global_load_b128 v[24:27], v[2:3], off slc dlc
	global_load_b128 v[16:19], v[4:5], off slc dlc
	global_load_b128 v[12:15], v[0:1], off slc dlc
	global_load_b128 v[8:11], v[6:7], off slc dlc
	global_load_b128 v[4:7], v[20:21], off slc dlc
	global_load_b128 v[0:3], v[22:23], off slc dlc
	v_dual_mov_b32 v23, 0 :: v_dual_mov_b32 v22, 0
	v_dual_mov_b32 v21, 0 :: v_dual_mov_b32 v20, 0
	v_cmpx_gt_u32_e64 s4, v47
	s_cbranch_execz .LBB180_17
; %bb.19:                               ;   in Loop: Header=BB180_18 Depth=2
	s_mov_b32 s3, exec_lo
                                        ; implicit-def: $vgpr31
	v_cmpx_lt_u32_e32 0x7fff, v47
	s_xor_b32 s3, exec_lo, s3
	s_cbranch_execz .LBB180_21
; %bb.20:                               ;   in Loop: Header=BB180_18 Depth=2
	v_mov_b32_e32 v48, v37
	s_delay_alu instid0(VALU_DEP_1) | instskip(NEXT) | instid1(VALU_DEP_1)
	v_lshlrev_b64 v[20:21], 1, v[47:48]
	v_add_co_u32 v20, vcc_lo, s12, v20
	s_delay_alu instid0(VALU_DEP_2)
	v_add_co_ci_u32_e32 v21, vcc_lo, s13, v21, vcc_lo
	global_load_b128 v[28:31], v[20:21], off
.LBB180_21:                             ;   in Loop: Header=BB180_18 Depth=2
	s_and_not1_saveexec_b32 s3, s3
	s_cbranch_execz .LBB180_23
; %bb.22:                               ;   in Loop: Header=BB180_18 Depth=2
	s_waitcnt vmcnt(0)
	ds_load_b128 v[28:31], v53
.LBB180_23:                             ;   in Loop: Header=BB180_18 Depth=2
	s_or_b32 exec_lo, exec_lo, s3
	v_dual_mov_b32 v23, 0 :: v_dual_mov_b32 v22, 0
	v_dual_mov_b32 v21, 0 :: v_dual_mov_b32 v20, 0
	s_mov_b32 s3, exec_lo
	v_cmpx_gt_u32_e64 s4, v46
	s_cbranch_execz .LBB180_16
; %bb.24:                               ;   in Loop: Header=BB180_18 Depth=2
	s_mov_b32 s16, exec_lo
                                        ; implicit-def: $vgpr23
	v_cmpx_lt_u32_e32 0x7fff, v46
	s_xor_b32 s16, exec_lo, s16
	s_cbranch_execz .LBB180_26
; %bb.25:                               ;   in Loop: Header=BB180_18 Depth=2
	v_mov_b32_e32 v47, v37
	s_delay_alu instid0(VALU_DEP_1) | instskip(NEXT) | instid1(VALU_DEP_1)
	v_lshlrev_b64 v[20:21], 1, v[46:47]
	v_add_co_u32 v20, vcc_lo, s12, v20
	s_delay_alu instid0(VALU_DEP_2)
	v_add_co_ci_u32_e32 v21, vcc_lo, s13, v21, vcc_lo
	global_load_b128 v[20:23], v[20:21], off
.LBB180_26:                             ;   in Loop: Header=BB180_18 Depth=2
	s_and_not1_saveexec_b32 s16, s16
	s_cbranch_execz .LBB180_15
; %bb.27:                               ;   in Loop: Header=BB180_18 Depth=2
	s_waitcnt vmcnt(0)
	ds_load_b128 v[20:23], v53 offset:1024
	s_branch .LBB180_15
.LBB180_28:                             ;   in Loop: Header=BB180_13 Depth=1
	s_delay_alu instid0(VALU_DEP_1) | instskip(SKIP_1) | instid1(VALU_DEP_2)
	v_cvt_i32_f32_e32 v0, v56
	s_waitcnt lgkmcnt(0)
	v_cvt_i32_f32_e32 v1, v55
	v_cvt_i32_f32_e32 v2, v54
	s_delay_alu instid0(VALU_DEP_3) | instskip(NEXT) | instid1(VALU_DEP_3)
	v_cvt_f32_i32_dpp v0, v0 row_shr:8 row_mask:0xf bank_mask:0xf bound_ctrl:1
	v_cvt_f32_i32_dpp v1, v1 row_shr:8 row_mask:0xf bank_mask:0xf bound_ctrl:1
	s_delay_alu instid0(VALU_DEP_3) | instskip(NEXT) | instid1(VALU_DEP_2)
	v_cvt_f32_i32_dpp v2, v2 row_shr:8 row_mask:0xf bank_mask:0xf bound_ctrl:1
	v_dual_add_f32 v0, v56, v0 :: v_dual_add_f32 v1, v55, v1
	s_delay_alu instid0(VALU_DEP_1) | instskip(SKIP_1) | instid1(VALU_DEP_2)
	v_cvt_i32_f32_e32 v3, v0
	s_waitcnt vmcnt(0)
	v_cvt_i32_f32_e32 v4, v1
	s_delay_alu instid0(VALU_DEP_2) | instskip(NEXT) | instid1(VALU_DEP_2)
	v_cvt_f32_i32_dpp v3, v3 row_shr:4 row_mask:0xf bank_mask:0xf bound_ctrl:1
	v_cvt_f32_i32_dpp v4, v4 row_shr:4 row_mask:0xf bank_mask:0xf bound_ctrl:1
	s_delay_alu instid0(VALU_DEP_1) | instskip(NEXT) | instid1(VALU_DEP_1)
	v_dual_add_f32 v2, v54, v2 :: v_dual_add_f32 v1, v1, v4
	v_cvt_i32_f32_e32 v5, v2
	s_delay_alu instid0(VALU_DEP_2) | instskip(NEXT) | instid1(VALU_DEP_2)
	v_cvt_i32_f32_e32 v4, v1
	v_cvt_f32_i32_dpp v5, v5 row_shr:4 row_mask:0xf bank_mask:0xf bound_ctrl:1
	s_delay_alu instid0(VALU_DEP_2) | instskip(SKIP_1) | instid1(VALU_DEP_2)
	v_cvt_f32_i32_dpp v4, v4 row_shr:2 row_mask:0xf bank_mask:0xf bound_ctrl:1
	v_add_f32_e32 v0, v0, v3
	v_dual_add_f32 v2, v2, v5 :: v_dual_add_f32 v1, v1, v4
	s_delay_alu instid0(VALU_DEP_2) | instskip(NEXT) | instid1(VALU_DEP_2)
	v_cvt_i32_f32_e32 v3, v0
	v_cvt_i32_f32_e32 v5, v2
	s_delay_alu instid0(VALU_DEP_3) | instskip(NEXT) | instid1(VALU_DEP_3)
	v_cvt_i32_f32_e32 v4, v1
	v_cvt_f32_i32_dpp v3, v3 row_shr:2 row_mask:0xf bank_mask:0xf bound_ctrl:1
	s_delay_alu instid0(VALU_DEP_3) | instskip(NEXT) | instid1(VALU_DEP_3)
	v_cvt_f32_i32_dpp v5, v5 row_shr:2 row_mask:0xf bank_mask:0xf bound_ctrl:1
	v_cvt_f32_i32_dpp v4, v4 row_shr:1 row_mask:0xf bank_mask:0xf bound_ctrl:1
	s_delay_alu instid0(VALU_DEP_2) | instskip(NEXT) | instid1(VALU_DEP_1)
	v_dual_add_f32 v0, v0, v3 :: v_dual_add_f32 v3, v2, v5
	v_cvt_i32_f32_e32 v2, v0
	s_delay_alu instid0(VALU_DEP_2) | instskip(NEXT) | instid1(VALU_DEP_2)
	v_cvt_i32_f32_e32 v5, v3
	v_cvt_f32_i32_dpp v2, v2 row_shr:1 row_mask:0xf bank_mask:0xf bound_ctrl:1
	s_delay_alu instid0(VALU_DEP_2) | instskip(NEXT) | instid1(VALU_DEP_2)
	v_cvt_f32_i32_dpp v6, v5 row_shr:1 row_mask:0xf bank_mask:0xf bound_ctrl:1
	v_dual_add_f32 v5, v0, v2 :: v_dual_add_f32 v2, v1, v4
	s_delay_alu instid0(VALU_DEP_2)
	v_add_f32_e32 v0, v3, v6
	ds_bpermute_b32 v6, v51, v5
	ds_bpermute_b32 v3, v51, v2
	;; [unrolled: 1-line block ×3, first 2 shown]
	s_and_saveexec_b32 s1, s0
	s_cbranch_execz .LBB180_49
; %bb.29:                               ;   in Loop: Header=BB180_13 Depth=1
	v_dual_mov_b32 v8, 0 :: v_dual_mov_b32 v7, 0
	v_mov_b32_e32 v4, 0
	s_and_not1_b32 vcc_lo, exec_lo, s21
	s_cbranch_vccnz .LBB180_31
; %bb.30:                               ;   in Loop: Header=BB180_13 Depth=1
	v_mul_hi_u32 v4, v35, v52
	v_mul_hi_u32 v7, v39, v52
	;; [unrolled: 1-line block ×3, first 2 shown]
	s_delay_alu instid0(VALU_DEP_3) | instskip(NEXT) | instid1(VALU_DEP_3)
	v_mul_lo_u32 v4, v4, s18
	v_mul_lo_u32 v7, v7, s18
	s_delay_alu instid0(VALU_DEP_3) | instskip(NEXT) | instid1(VALU_DEP_3)
	v_mul_lo_u32 v8, v8, s18
	v_sub_nc_u32_e32 v4, v35, v4
	s_delay_alu instid0(VALU_DEP_3) | instskip(NEXT) | instid1(VALU_DEP_3)
	v_sub_nc_u32_e32 v7, v39, v7
	v_sub_nc_u32_e32 v8, v38, v8
	s_delay_alu instid0(VALU_DEP_3) | instskip(SKIP_1) | instid1(VALU_DEP_2)
	v_subrev_nc_u32_e32 v9, s18, v4
	v_cmp_le_u32_e32 vcc_lo, s18, v4
	v_cndmask_b32_e32 v4, v4, v9, vcc_lo
	v_subrev_nc_u32_e32 v9, s18, v7
	v_cmp_le_u32_e32 vcc_lo, s18, v7
	s_delay_alu instid0(VALU_DEP_3) | instskip(NEXT) | instid1(VALU_DEP_3)
	v_subrev_nc_u32_e32 v10, s18, v4
	v_cndmask_b32_e32 v9, v7, v9, vcc_lo
	v_cmp_le_u32_e32 vcc_lo, s18, v4
	v_subrev_nc_u32_e32 v7, s18, v8
	s_delay_alu instid0(VALU_DEP_4) | instskip(SKIP_2) | instid1(VALU_DEP_4)
	v_cndmask_b32_e32 v36, v4, v10, vcc_lo
	v_cmp_le_u32_e32 vcc_lo, s18, v8
	v_subrev_nc_u32_e32 v4, s18, v9
	v_cndmask_b32_e32 v11, v8, v7, vcc_lo
	v_cmp_le_u32_e32 vcc_lo, s18, v9
	v_lshlrev_b64 v[7:8], 1, v[36:37]
	s_delay_alu instid0(VALU_DEP_4) | instskip(NEXT) | instid1(VALU_DEP_4)
	v_cndmask_b32_e32 v36, v9, v4, vcc_lo
	v_subrev_nc_u32_e32 v4, s18, v11
	v_cmp_le_u32_e32 vcc_lo, s18, v11
	s_delay_alu instid0(VALU_DEP_3) | instskip(NEXT) | instid1(VALU_DEP_3)
	v_lshlrev_b64 v[9:10], 1, v[36:37]
	v_cndmask_b32_e32 v36, v11, v4, vcc_lo
	v_add_co_u32 v7, vcc_lo, s8, v7
	v_add_co_ci_u32_e32 v8, vcc_lo, s9, v8, vcc_lo
	s_delay_alu instid0(VALU_DEP_3) | instskip(SKIP_2) | instid1(VALU_DEP_3)
	v_lshlrev_b64 v[11:12], 1, v[36:37]
	v_add_co_u32 v9, vcc_lo, s8, v9
	v_add_co_ci_u32_e32 v10, vcc_lo, s9, v10, vcc_lo
	v_add_co_u32 v11, vcc_lo, s8, v11
	s_delay_alu instid0(VALU_DEP_4)
	v_add_co_ci_u32_e32 v12, vcc_lo, s9, v12, vcc_lo
	s_clause 0x2
	global_load_u16 v8, v[7:8], off
	global_load_u16 v7, v[9:10], off
	;; [unrolled: 1-line block ×3, first 2 shown]
.LBB180_31:                             ;   in Loop: Header=BB180_13 Depth=1
	s_mov_b32 s2, exec_lo
	v_cmpx_ne_u32_e32 0, v32
	s_cbranch_execz .LBB180_37
; %bb.32:                               ;   in Loop: Header=BB180_13 Depth=1
	s_waitcnt vmcnt(2) lgkmcnt(0)
	v_dual_add_f32 v5, v5, v6 :: v_dual_lshlrev_b32 v6, 16, v8
	s_delay_alu instid0(VALU_DEP_1) | instskip(NEXT) | instid1(VALU_DEP_1)
	v_add_f32_e32 v6, v5, v6
	v_and_b32_e32 v5, 0x7f800000, v6
	s_delay_alu instid0(VALU_DEP_1) | instskip(SKIP_1) | instid1(SALU_CYCLE_1)
	v_cmp_ne_u32_e32 vcc_lo, 0x7f800000, v5
                                        ; implicit-def: $vgpr5
	s_and_saveexec_b32 s3, vcc_lo
	s_xor_b32 s3, exec_lo, s3
; %bb.33:                               ;   in Loop: Header=BB180_13 Depth=1
	v_bfe_u32 v5, v6, 16, 1
	s_delay_alu instid0(VALU_DEP_1)
	v_add3_u32 v5, v6, v5, 0x7fff
                                        ; implicit-def: $vgpr6
; %bb.34:                               ;   in Loop: Header=BB180_13 Depth=1
	s_and_not1_saveexec_b32 s3, s3
; %bb.35:                               ;   in Loop: Header=BB180_13 Depth=1
	v_and_b32_e32 v5, 0xffff, v6
	v_or_b32_e32 v8, 0x10000, v6
	s_delay_alu instid0(VALU_DEP_2) | instskip(NEXT) | instid1(VALU_DEP_2)
	v_cmp_eq_u32_e32 vcc_lo, 0, v5
	v_cndmask_b32_e32 v5, v8, v6, vcc_lo
; %bb.36:                               ;   in Loop: Header=BB180_13 Depth=1
	s_or_b32 exec_lo, exec_lo, s3
	v_mov_b32_e32 v36, v37
	s_delay_alu instid0(VALU_DEP_1) | instskip(NEXT) | instid1(VALU_DEP_1)
	v_lshlrev_b64 v[8:9], 1, v[35:36]
	v_add_co_u32 v8, vcc_lo, s14, v8
	s_delay_alu instid0(VALU_DEP_2)
	v_add_co_ci_u32_e32 v9, vcc_lo, s15, v9, vcc_lo
	global_store_d16_hi_b16 v[8:9], v5, off
.LBB180_37:                             ;   in Loop: Header=BB180_13 Depth=1
	s_or_b32 exec_lo, exec_lo, s2
	s_delay_alu instid0(SALU_CYCLE_1)
	s_mov_b32 s2, exec_lo
	v_cmpx_ne_u32_e32 0, v33
	s_cbranch_execz .LBB180_43
; %bb.38:                               ;   in Loop: Header=BB180_13 Depth=1
	s_waitcnt lgkmcnt(0)
	v_add_f32_e32 v2, v2, v3
	s_waitcnt vmcnt(1)
	v_lshlrev_b32_e32 v3, 16, v7
	s_delay_alu instid0(VALU_DEP_1) | instskip(NEXT) | instid1(VALU_DEP_1)
	v_add_f32_e32 v3, v2, v3
	v_and_b32_e32 v2, 0x7f800000, v3
	s_delay_alu instid0(VALU_DEP_1) | instskip(SKIP_1) | instid1(SALU_CYCLE_1)
	v_cmp_ne_u32_e32 vcc_lo, 0x7f800000, v2
                                        ; implicit-def: $vgpr2
	s_and_saveexec_b32 s3, vcc_lo
	s_xor_b32 s3, exec_lo, s3
; %bb.39:                               ;   in Loop: Header=BB180_13 Depth=1
	v_bfe_u32 v2, v3, 16, 1
	s_delay_alu instid0(VALU_DEP_1)
	v_add3_u32 v2, v3, v2, 0x7fff
                                        ; implicit-def: $vgpr3
; %bb.40:                               ;   in Loop: Header=BB180_13 Depth=1
	s_and_not1_saveexec_b32 s3, s3
; %bb.41:                               ;   in Loop: Header=BB180_13 Depth=1
	v_and_b32_e32 v2, 0xffff, v3
	v_or_b32_e32 v5, 0x10000, v3
	s_delay_alu instid0(VALU_DEP_2) | instskip(NEXT) | instid1(VALU_DEP_2)
	v_cmp_eq_u32_e32 vcc_lo, 0, v2
	v_cndmask_b32_e32 v2, v5, v3, vcc_lo
; %bb.42:                               ;   in Loop: Header=BB180_13 Depth=1
	s_or_b32 exec_lo, exec_lo, s3
	v_mov_b32_e32 v40, v37
	s_delay_alu instid0(VALU_DEP_1) | instskip(NEXT) | instid1(VALU_DEP_1)
	v_lshlrev_b64 v[5:6], 1, v[39:40]
	v_add_co_u32 v5, vcc_lo, s14, v5
	s_delay_alu instid0(VALU_DEP_2)
	v_add_co_ci_u32_e32 v6, vcc_lo, s15, v6, vcc_lo
	global_store_d16_hi_b16 v[5:6], v2, off
.LBB180_43:                             ;   in Loop: Header=BB180_13 Depth=1
	s_or_b32 exec_lo, exec_lo, s2
	v_cmp_ne_u32_e32 vcc_lo, 0, v34
	s_and_b32 exec_lo, exec_lo, vcc_lo
	s_cbranch_execz .LBB180_49
; %bb.44:                               ;   in Loop: Header=BB180_13 Depth=1
	s_waitcnt vmcnt(0) lgkmcnt(0)
	v_dual_add_f32 v0, v0, v1 :: v_dual_lshlrev_b32 v1, 16, v4
	s_delay_alu instid0(VALU_DEP_1) | instskip(NEXT) | instid1(VALU_DEP_1)
	v_add_f32_e32 v1, v0, v1
	v_and_b32_e32 v0, 0x7f800000, v1
	s_delay_alu instid0(VALU_DEP_1) | instskip(SKIP_1) | instid1(SALU_CYCLE_1)
	v_cmp_ne_u32_e32 vcc_lo, 0x7f800000, v0
                                        ; implicit-def: $vgpr0
	s_and_saveexec_b32 s2, vcc_lo
	s_xor_b32 s2, exec_lo, s2
; %bb.45:                               ;   in Loop: Header=BB180_13 Depth=1
	v_bfe_u32 v0, v1, 16, 1
	s_delay_alu instid0(VALU_DEP_1)
	v_add3_u32 v0, v1, v0, 0x7fff
                                        ; implicit-def: $vgpr1
; %bb.46:                               ;   in Loop: Header=BB180_13 Depth=1
	s_and_not1_saveexec_b32 s2, s2
; %bb.47:                               ;   in Loop: Header=BB180_13 Depth=1
	v_and_b32_e32 v0, 0xffff, v1
	v_or_b32_e32 v2, 0x10000, v1
	s_delay_alu instid0(VALU_DEP_2) | instskip(NEXT) | instid1(VALU_DEP_2)
	v_cmp_eq_u32_e32 vcc_lo, 0, v0
	v_cndmask_b32_e32 v0, v2, v1, vcc_lo
; %bb.48:                               ;   in Loop: Header=BB180_13 Depth=1
	s_or_b32 exec_lo, exec_lo, s2
	v_mov_b32_e32 v39, v37
	s_delay_alu instid0(VALU_DEP_1) | instskip(NEXT) | instid1(VALU_DEP_1)
	v_lshlrev_b64 v[1:2], 1, v[38:39]
	v_add_co_u32 v1, vcc_lo, s14, v1
	s_delay_alu instid0(VALU_DEP_2)
	v_add_co_ci_u32_e32 v2, vcc_lo, s15, v2, vcc_lo
	global_store_d16_hi_b16 v[1:2], v0, off
.LBB180_49:                             ;   in Loop: Header=BB180_13 Depth=1
	s_or_b32 exec_lo, exec_lo, s1
	v_add_nc_u32_e32 v35, s23, v35
	s_delay_alu instid0(VALU_DEP_1) | instskip(SKIP_1) | instid1(VALU_DEP_2)
	v_add_nc_u32_e32 v0, 3, v35
	v_cmp_gt_u32_e32 vcc_lo, s7, v35
	v_cmp_le_u32_e64 s1, s7, v0
	s_delay_alu instid0(VALU_DEP_1) | instskip(NEXT) | instid1(SALU_CYCLE_1)
	s_and_b32 s1, vcc_lo, s1
	s_and_saveexec_b32 s25, s1
	s_cbranch_execz .LBB180_12
; %bb.50:                               ;   in Loop: Header=BB180_13 Depth=1
	s_mov_b32 s26, exec_lo
	v_cmpx_ne_u32_e64 s24, v35
	s_cbranch_execz .LBB180_11
; %bb.51:                               ;   in Loop: Header=BB180_13 Depth=1
	v_subrev_nc_u32_e32 v0, s24, v35
	s_mov_b32 s27, 0
	s_mov_b64 s[16:17], 0
	s_delay_alu instid0(VALU_DEP_1)
	v_cmp_lt_u32_e32 vcc_lo, 1, v0
	v_cndmask_b32_e32 v0, 1, v0, vcc_lo
	.p2align	6
.LBB180_52:                             ;   Parent Loop BB180_13 Depth=1
                                        ; =>  This Inner Loop Header: Depth=2
	s_cmp_lg_u32 s16, 2
	s_cselect_b32 vcc_lo, -1, 0
	s_cmp_lg_u32 s16, 1
	v_cndmask_b32_e32 v34, 0, v34, vcc_lo
	s_cselect_b32 s1, -1, 0
	s_cmp_lg_u32 s16, 0
	v_cndmask_b32_e64 v33, 0, v33, s1
	s_cselect_b32 s2, -1, 0
	s_add_u32 s16, s16, 1
	v_cndmask_b32_e64 v32, 0, v32, s2
	v_cmp_eq_u32_e64 s3, s16, v0
	s_addc_u32 s17, s17, 0
	s_delay_alu instid0(VALU_DEP_1) | instskip(NEXT) | instid1(SALU_CYCLE_1)
	s_or_b32 s27, s3, s27
	s_and_not1_b32 exec_lo, exec_lo, s27
	s_cbranch_execnz .LBB180_52
; %bb.53:                               ;   in Loop: Header=BB180_13 Depth=1
	s_or_b32 exec_lo, exec_lo, s27
	s_branch .LBB180_11
.LBB180_54:
	s_nop 0
	s_sendmsg sendmsg(MSG_DEALLOC_VGPRS)
	s_endpgm
	.section	.rodata,"a",@progbits
	.p2align	6, 0x0
	.amdhsa_kernel _Z12wvSplitK_hf_I14__hip_bfloat16Li64ELi3ELi16ELi8ELi2ELi1EEviiiiiiPKT_S3_S3_PS1_ii
		.amdhsa_group_segment_fixed_size 65536
		.amdhsa_private_segment_fixed_size 0
		.amdhsa_kernarg_size 64
		.amdhsa_user_sgpr_count 15
		.amdhsa_user_sgpr_dispatch_ptr 0
		.amdhsa_user_sgpr_queue_ptr 0
		.amdhsa_user_sgpr_kernarg_segment_ptr 1
		.amdhsa_user_sgpr_dispatch_id 0
		.amdhsa_user_sgpr_private_segment_size 0
		.amdhsa_wavefront_size32 1
		.amdhsa_uses_dynamic_stack 0
		.amdhsa_enable_private_segment 0
		.amdhsa_system_sgpr_workgroup_id_x 1
		.amdhsa_system_sgpr_workgroup_id_y 0
		.amdhsa_system_sgpr_workgroup_id_z 0
		.amdhsa_system_sgpr_workgroup_info 0
		.amdhsa_system_vgpr_workitem_id 1
		.amdhsa_next_free_vgpr 58
		.amdhsa_next_free_sgpr 28
		.amdhsa_reserve_vcc 1
		.amdhsa_float_round_mode_32 0
		.amdhsa_float_round_mode_16_64 0
		.amdhsa_float_denorm_mode_32 3
		.amdhsa_float_denorm_mode_16_64 3
		.amdhsa_dx10_clamp 1
		.amdhsa_ieee_mode 1
		.amdhsa_fp16_overflow 0
		.amdhsa_workgroup_processor_mode 1
		.amdhsa_memory_ordered 1
		.amdhsa_forward_progress 0
		.amdhsa_shared_vgpr_count 0
		.amdhsa_exception_fp_ieee_invalid_op 0
		.amdhsa_exception_fp_denorm_src 0
		.amdhsa_exception_fp_ieee_div_zero 0
		.amdhsa_exception_fp_ieee_overflow 0
		.amdhsa_exception_fp_ieee_underflow 0
		.amdhsa_exception_fp_ieee_inexact 0
		.amdhsa_exception_int_div_zero 0
	.end_amdhsa_kernel
	.section	.text._Z12wvSplitK_hf_I14__hip_bfloat16Li64ELi3ELi16ELi8ELi2ELi1EEviiiiiiPKT_S3_S3_PS1_ii,"axG",@progbits,_Z12wvSplitK_hf_I14__hip_bfloat16Li64ELi3ELi16ELi8ELi2ELi1EEviiiiiiPKT_S3_S3_PS1_ii,comdat
.Lfunc_end180:
	.size	_Z12wvSplitK_hf_I14__hip_bfloat16Li64ELi3ELi16ELi8ELi2ELi1EEviiiiiiPKT_S3_S3_PS1_ii, .Lfunc_end180-_Z12wvSplitK_hf_I14__hip_bfloat16Li64ELi3ELi16ELi8ELi2ELi1EEviiiiiiPKT_S3_S3_PS1_ii
                                        ; -- End function
	.section	.AMDGPU.csdata,"",@progbits
; Kernel info:
; codeLenInByte = 3364
; NumSgprs: 30
; NumVgprs: 58
; ScratchSize: 0
; MemoryBound: 0
; FloatMode: 240
; IeeeMode: 1
; LDSByteSize: 65536 bytes/workgroup (compile time only)
; SGPRBlocks: 3
; VGPRBlocks: 7
; NumSGPRsForWavesPerEU: 30
; NumVGPRsForWavesPerEU: 58
; Occupancy: 16
; WaveLimiterHint : 0
; COMPUTE_PGM_RSRC2:SCRATCH_EN: 0
; COMPUTE_PGM_RSRC2:USER_SGPR: 15
; COMPUTE_PGM_RSRC2:TRAP_HANDLER: 0
; COMPUTE_PGM_RSRC2:TGID_X_EN: 1
; COMPUTE_PGM_RSRC2:TGID_Y_EN: 0
; COMPUTE_PGM_RSRC2:TGID_Z_EN: 0
; COMPUTE_PGM_RSRC2:TIDIG_COMP_CNT: 1
	.section	.text._Z16wvSplitK_hf_big_I14__hip_bfloat16Li64ELi3ELi16ELi8ELi2ELi1EEviiiiiiPKT_S3_S3_PS1_ii,"axG",@progbits,_Z16wvSplitK_hf_big_I14__hip_bfloat16Li64ELi3ELi16ELi8ELi2ELi1EEviiiiiiPKT_S3_S3_PS1_ii,comdat
	.protected	_Z16wvSplitK_hf_big_I14__hip_bfloat16Li64ELi3ELi16ELi8ELi2ELi1EEviiiiiiPKT_S3_S3_PS1_ii ; -- Begin function _Z16wvSplitK_hf_big_I14__hip_bfloat16Li64ELi3ELi16ELi8ELi2ELi1EEviiiiiiPKT_S3_S3_PS1_ii
	.globl	_Z16wvSplitK_hf_big_I14__hip_bfloat16Li64ELi3ELi16ELi8ELi2ELi1EEviiiiiiPKT_S3_S3_PS1_ii
	.p2align	8
	.type	_Z16wvSplitK_hf_big_I14__hip_bfloat16Li64ELi3ELi16ELi8ELi2ELi1EEviiiiiiPKT_S3_S3_PS1_ii,@function
_Z16wvSplitK_hf_big_I14__hip_bfloat16Li64ELi3ELi16ELi8ELi2ELi1EEviiiiiiPKT_S3_S3_PS1_ii: ; @_Z16wvSplitK_hf_big_I14__hip_bfloat16Li64ELi3ELi16ELi8ELi2ELi1EEviiiiiiPKT_S3_S3_PS1_ii
; %bb.0:
	s_load_b64 s[12:13], s[0:1], 0x38
	v_bfe_u32 v1, v0, 10, 10
	s_mov_b32 s2, exec_lo
	s_waitcnt lgkmcnt(0)
	s_delay_alu instid0(VALU_DEP_1)
	v_cmpx_gt_u32_e64 s12, v1
	s_cbranch_execz .LBB181_58
; %bb.1:
	s_load_b128 s[16:19], s[0:1], 0x0
	v_mad_u64_u32 v[2:3], null, s15, s12, v[1:2]
	s_mov_b32 s4, 1
	s_delay_alu instid0(SALU_CYCLE_1) | instskip(SKIP_1) | instid1(SALU_CYCLE_1)
	s_mov_b32 s5, s4
	s_mov_b32 s6, s4
	v_mov_b32_e32 v34, s6
	s_delay_alu instid0(VALU_DEP_2) | instskip(SKIP_1) | instid1(VALU_DEP_2)
	v_lshl_add_u32 v35, v2, 1, v2
	v_dual_mov_b32 v32, s4 :: v_dual_mov_b32 v33, s5
	v_add_nc_u32_e32 v2, 3, v35
	s_waitcnt lgkmcnt(0)
	v_cmp_gt_u32_e32 vcc_lo, s19, v35
	s_delay_alu instid0(VALU_DEP_2) | instskip(NEXT) | instid1(VALU_DEP_1)
	v_cmp_le_u32_e64 s2, s19, v2
	s_and_b32 s2, vcc_lo, s2
	s_delay_alu instid0(SALU_CYCLE_1)
	s_and_saveexec_b32 s7, s2
	s_cbranch_execz .LBB181_7
; %bb.2:
	v_dual_mov_b32 v34, s6 :: v_dual_mov_b32 v33, s5
	v_mov_b32_e32 v32, s4
	s_add_i32 s8, s19, -3
	s_mov_b32 s9, exec_lo
	v_cmpx_ne_u32_e64 s8, v35
	s_cbranch_execz .LBB181_6
; %bb.3:
	v_subrev_nc_u32_e32 v2, s8, v35
	s_mov_b32 s10, 0
	s_mov_b64 s[2:3], 0
	s_mov_b32 s5, s4
	s_mov_b32 s6, s4
	v_cmp_lt_u32_e32 vcc_lo, 1, v2
	v_cndmask_b32_e32 v2, 1, v2, vcc_lo
.LBB181_4:                              ; =>This Inner Loop Header: Depth=1
	s_cmp_lg_u32 s2, 2
	s_cselect_b32 s6, s6, 0
	s_cmp_lg_u32 s2, 1
	s_cselect_b32 s5, s5, 0
	;; [unrolled: 2-line block ×3, first 2 shown]
	s_add_u32 s2, s2, 1
	v_dual_mov_b32 v34, s6 :: v_dual_mov_b32 v33, s5
	v_cmp_eq_u32_e32 vcc_lo, s2, v2
	v_mov_b32_e32 v32, s4
	s_addc_u32 s3, s3, 0
	s_or_b32 s10, vcc_lo, s10
	s_delay_alu instid0(SALU_CYCLE_1)
	s_and_not1_b32 exec_lo, exec_lo, s10
	s_cbranch_execnz .LBB181_4
; %bb.5:
	s_or_b32 exec_lo, exec_lo, s10
	v_mov_b32_e32 v35, s8
.LBB181_6:
	s_or_b32 exec_lo, exec_lo, s9
.LBB181_7:
	s_delay_alu instid0(SALU_CYCLE_1)
	s_or_b32 exec_lo, exec_lo, s7
	s_mul_i32 s28, s12, 3
	s_abs_i32 s5, s19
	s_abs_i32 s2, s28
	s_mov_b32 s15, 0
	v_cvt_f32_u32_e32 v2, s2
	s_sub_i32 s4, 0, s2
	s_delay_alu instid0(VALU_DEP_1) | instskip(SKIP_2) | instid1(VALU_DEP_1)
	v_rcp_iflag_f32_e32 v2, v2
	s_waitcnt_depctr 0xfff
	v_mul_f32_e32 v2, 0x4f7ffffe, v2
	v_cvt_u32_f32_e32 v2, v2
	s_delay_alu instid0(VALU_DEP_1) | instskip(NEXT) | instid1(VALU_DEP_1)
	v_readfirstlane_b32 s3, v2
	s_mul_i32 s4, s4, s3
	s_delay_alu instid0(SALU_CYCLE_1) | instskip(NEXT) | instid1(SALU_CYCLE_1)
	s_mul_hi_u32 s4, s3, s4
	s_add_i32 s3, s3, s4
	s_ashr_i32 s4, s19, 31
	s_mul_hi_u32 s3, s5, s3
	s_delay_alu instid0(SALU_CYCLE_1) | instskip(NEXT) | instid1(SALU_CYCLE_1)
	s_mul_i32 s3, s3, s2
	s_sub_i32 s3, s5, s3
	s_delay_alu instid0(SALU_CYCLE_1) | instskip(SKIP_2) | instid1(SALU_CYCLE_1)
	s_sub_i32 s5, s3, s2
	s_cmp_ge_u32 s3, s2
	s_cselect_b32 s3, s5, s3
	s_sub_i32 s5, s3, s2
	s_cmp_ge_u32 s3, s2
	s_cselect_b32 s2, s5, s3
	s_add_i32 s3, s28, s19
	s_xor_b32 s2, s2, s4
	s_delay_alu instid0(SALU_CYCLE_1) | instskip(NEXT) | instid1(SALU_CYCLE_1)
	s_sub_i32 s2, s2, s4
	s_sub_i32 s3, s3, s2
	s_cmp_eq_u32 s2, 0
	s_cselect_b32 s14, s19, s3
	s_delay_alu instid0(SALU_CYCLE_1)
	v_cmp_gt_u32_e32 vcc_lo, s14, v35
	s_and_b32 exec_lo, exec_lo, vcc_lo
	s_cbranch_execz .LBB181_58
; %bb.8:
	s_clause 0x1
	s_load_b32 s20, s[0:1], 0x10
	s_load_b256 s[4:11], s[0:1], 0x18
	s_min_u32 s21, s18, 0x8000
	v_and_b32_e32 v0, 0x3ff, v0
	s_cmp_lg_u32 s16, 0
	v_mov_b32_e32 v38, 0
	s_cselect_b32 s22, -1, 0
	s_cmp_lg_u32 s18, 0
	v_lshlrev_b32_e32 v4, 4, v0
	s_cselect_b32 s23, -1, 0
	s_lshl_b32 s24, s12, 9
	s_add_i32 s25, s16, -8
	s_add_i32 s26, s19, -1
	v_lshl_add_u32 v46, v1, 10, v4
	v_mbcnt_lo_u32_b32 v49, -1, 0
	s_mul_i32 s28, s28, s13
	v_lshlrev_b32_e32 v45, 3, v0
	s_waitcnt lgkmcnt(0)
	v_cvt_f32_u32_e32 v2, s20
	s_cmp_lg_u64 s[8:9], 0
	s_delay_alu instid0(VALU_DEP_2)
	v_lshl_add_u32 v47, v1, 9, v45
	s_cselect_b32 s27, -1, 0
	s_sub_i32 s0, 0, s20
	v_rcp_iflag_f32_e32 v2, v2
	s_add_i32 s29, s19, -3
	s_add_u32 s30, s10, 2
	s_addc_u32 s31, s11, 0
	s_lshl_b32 s33, s12, 10
	s_waitcnt_depctr 0xfff
	v_mul_f32_e32 v2, 0x4f7ffffe, v2
	s_delay_alu instid0(VALU_DEP_1) | instskip(NEXT) | instid1(VALU_DEP_1)
	v_cvt_u32_f32_e32 v2, v2
	v_mul_lo_u32 v3, s0, v2
	v_cmp_eq_u32_e64 s0, 63, v0
	s_delay_alu instid0(VALU_DEP_2) | instskip(NEXT) | instid1(VALU_DEP_1)
	v_mul_hi_u32 v3, v2, v3
	v_add_nc_u32_e32 v48, v2, v3
	s_branch .LBB181_12
.LBB181_9:                              ;   in Loop: Header=BB181_12 Depth=1
	s_or_b32 exec_lo, exec_lo, s36
	v_mov_b32_e32 v35, s29
.LBB181_10:                             ;   in Loop: Header=BB181_12 Depth=1
	s_or_b32 exec_lo, exec_lo, s35
.LBB181_11:                             ;   in Loop: Header=BB181_12 Depth=1
	s_delay_alu instid0(SALU_CYCLE_1) | instskip(NEXT) | instid1(VALU_DEP_1)
	s_or_b32 exec_lo, exec_lo, s34
	v_cmp_le_u32_e32 vcc_lo, s14, v35
	s_or_b32 s15, vcc_lo, s15
	s_delay_alu instid0(SALU_CYCLE_1)
	s_and_not1_b32 exec_lo, exec_lo, s15
	s_cbranch_execz .LBB181_58
.LBB181_12:                             ; =>This Loop Header: Depth=1
                                        ;     Child Loop BB181_17 Depth 2
                                        ;       Child Loop BB181_22 Depth 3
                                        ;     Child Loop BB181_56 Depth 2
	v_mov_b32_e32 v36, v38
	v_mov_b32_e32 v50, v38
	;; [unrolled: 1-line block ×3, first 2 shown]
	s_and_not1_b32 vcc_lo, exec_lo, s22
	s_mov_b32 s3, 0
	s_cbranch_vccnz .LBB181_29
; %bb.13:                               ;   in Loop: Header=BB181_12 Depth=1
	s_waitcnt lgkmcnt(0)
	v_dual_mov_b32 v50, 0 :: v_dual_add_nc_u32 v1, 2, v35
	v_add_nc_u32_e32 v0, 1, v35
	v_min_u32_e32 v2, s26, v35
	v_dual_mov_b32 v3, v38 :: v_dual_mov_b32 v36, 0
	s_delay_alu instid0(VALU_DEP_4) | instskip(SKIP_1) | instid1(VALU_DEP_4)
	v_min_u32_e32 v1, s26, v1
	v_cmp_gt_u32_e64 s1, s19, v35
	v_mul_lo_u32 v37, v2, s17
	v_mov_b32_e32 v51, 0
	s_mov_b32 s12, 0
	v_mul_lo_u32 v2, v1, s17
	v_mov_b32_e32 v1, v38
	v_min_u32_e32 v0, s26, v0
	v_lshlrev_b64 v[39:40], 1, v[37:38]
	s_delay_alu instid0(VALU_DEP_2) | instskip(SKIP_1) | instid1(VALU_DEP_2)
	v_mul_lo_u32 v0, v0, s17
	v_lshlrev_b64 v[43:44], 1, v[2:3]
	v_lshlrev_b64 v[41:42], 1, v[0:1]
	s_branch .LBB181_17
.LBB181_14:                             ;   in Loop: Header=BB181_17 Depth=2
	s_or_b32 exec_lo, exec_lo, s34
.LBB181_15:                             ;   in Loop: Header=BB181_17 Depth=2
	s_delay_alu instid0(SALU_CYCLE_1)
	s_or_b32 exec_lo, exec_lo, s13
	s_waitcnt lgkmcnt(0)
	v_and_b32_e32 v53, 0xffff0000, v29
	s_waitcnt vmcnt(5)
	v_and_b32_e32 v54, 0xffff0000, v25
	v_and_b32_e32 v37, 0xffff0000, v28
	v_lshlrev_b32_e32 v28, 16, v28
	s_delay_alu instid0(VALU_DEP_3) | instskip(SKIP_3) | instid1(VALU_DEP_1)
	v_dual_mul_f32 v54, v53, v54 :: v_dual_lshlrev_b32 v29, 16, v29
	v_and_b32_e32 v55, 0xffff0000, v30
	v_lshlrev_b32_e32 v25, 16, v25
	s_waitcnt vmcnt(4)
	v_dual_fmac_f32 v54, v29, v25 :: v_dual_and_b32 v25, 0xffff0000, v20
	v_and_b32_e32 v52, 0xffff0000, v24
	s_delay_alu instid0(VALU_DEP_2) | instskip(SKIP_1) | instid1(VALU_DEP_3)
	v_dual_mul_f32 v25, v37, v25 :: v_dual_lshlrev_b32 v20, 16, v20
	v_lshlrev_b32_e32 v30, 16, v30
	v_mul_f32_e32 v52, v37, v52
	s_delay_alu instid0(VALU_DEP_3) | instskip(NEXT) | instid1(VALU_DEP_1)
	v_dual_fmac_f32 v25, v28, v20 :: v_dual_lshlrev_b32 v20, 16, v21
	v_dual_add_f32 v25, v50, v25 :: v_dual_lshlrev_b32 v24, 16, v24
	s_delay_alu instid0(VALU_DEP_1) | instskip(NEXT) | instid1(VALU_DEP_1)
	v_fmac_f32_e32 v52, v28, v24
	v_dual_add_f32 v51, v51, v52 :: v_dual_and_b32 v52, 0xffff0000, v21
	s_delay_alu instid0(VALU_DEP_1) | instskip(SKIP_1) | instid1(VALU_DEP_2)
	v_dual_mul_f32 v21, v53, v52 :: v_dual_and_b32 v24, 0xffff0000, v26
	v_lshlrev_b32_e32 v26, 16, v26
	v_mul_f32_e32 v24, v55, v24
	s_delay_alu instid0(VALU_DEP_3) | instskip(SKIP_1) | instid1(VALU_DEP_3)
	v_dual_fmac_f32 v21, v29, v20 :: v_dual_and_b32 v52, 0xffff0000, v22
	v_lshlrev_b32_e32 v20, 16, v22
	v_fmac_f32_e32 v24, v30, v26
	v_dual_add_f32 v26, v51, v54 :: v_dual_and_b32 v51, 0xffff0000, v31
	s_delay_alu instid0(VALU_DEP_4)
	v_dual_mul_f32 v22, v55, v52 :: v_dual_add_f32 v21, v25, v21
	s_waitcnt vmcnt(3)
	v_and_b32_e32 v25, 0xffff0000, v17
	v_and_b32_e32 v54, 0xffff0000, v27
	v_dual_add_f32 v24, v26, v24 :: v_dual_lshlrev_b32 v27, 16, v27
	v_and_b32_e32 v26, 0xffff0000, v16
	v_fmac_f32_e32 v22, v30, v20
	v_lshlrev_b32_e32 v16, 16, v16
	s_delay_alu instid0(VALU_DEP_3) | instskip(SKIP_1) | instid1(VALU_DEP_3)
	v_mul_f32_e32 v20, v37, v26
	s_waitcnt vmcnt(2)
	v_dual_add_f32 v21, v21, v22 :: v_dual_and_b32 v26, 0xffff0000, v8
	s_delay_alu instid0(VALU_DEP_2) | instskip(SKIP_3) | instid1(VALU_DEP_4)
	v_fmac_f32_e32 v20, v28, v16
	v_lshlrev_b32_e32 v16, 16, v17
	v_mul_f32_e32 v17, v53, v25
	v_dual_mul_f32 v54, v51, v54 :: v_dual_lshlrev_b32 v31, 16, v31
	v_dual_add_f32 v20, v36, v20 :: v_dual_and_b32 v25, 0xffff0000, v18
	s_delay_alu instid0(VALU_DEP_3) | instskip(NEXT) | instid1(VALU_DEP_3)
	v_dual_fmac_f32 v17, v29, v16 :: v_dual_lshlrev_b32 v16, 16, v18
	v_fmac_f32_e32 v54, v31, v27
	s_delay_alu instid0(VALU_DEP_3) | instskip(SKIP_1) | instid1(VALU_DEP_3)
	v_dual_mul_f32 v18, v55, v25 :: v_dual_and_b32 v25, 0xffff0000, v12
	v_and_b32_e32 v27, 0xffff0000, v9
	v_dual_add_f32 v24, v24, v54 :: v_dual_lshlrev_b32 v9, 16, v9
	v_dual_add_f32 v17, v20, v17 :: v_dual_and_b32 v20, 0xffff0000, v19
	s_delay_alu instid0(VALU_DEP_4)
	v_fmac_f32_e32 v18, v30, v16
	v_mul_f32_e32 v16, v25, v26
	v_and_b32_e32 v26, 0xffff0000, v13
	v_lshlrev_b32_e32 v12, 16, v12
	v_lshlrev_b32_e32 v8, 16, v8
	v_dual_mul_f32 v20, v51, v20 :: v_dual_lshlrev_b32 v19, 16, v19
	v_and_b32_e32 v28, 0xffff0000, v10
	v_lshlrev_b32_e32 v10, 16, v10
	s_delay_alu instid0(VALU_DEP_3) | instskip(SKIP_3) | instid1(VALU_DEP_3)
	v_fmac_f32_e32 v20, v31, v19
	v_dual_fmac_f32 v16, v12, v8 :: v_dual_and_b32 v19, 0xffff0000, v11
	v_lshlrev_b32_e32 v11, 16, v11
	v_dual_mul_f32 v13, v26, v27 :: v_dual_lshlrev_b32 v8, 16, v13
	v_dual_add_f32 v16, v24, v16 :: v_dual_and_b32 v27, 0xffff0000, v14
	s_delay_alu instid0(VALU_DEP_2) | instskip(NEXT) | instid1(VALU_DEP_2)
	v_fmac_f32_e32 v13, v8, v9
	v_dual_mul_f32 v14, v27, v28 :: v_dual_lshlrev_b32 v9, 16, v14
	v_and_b32_e32 v22, 0xffff0000, v23
	v_lshlrev_b32_e32 v23, 16, v23
	s_delay_alu instid0(VALU_DEP_4)
	v_add_f32_e32 v13, v16, v13
	v_add_f32_e32 v17, v17, v18
	v_fmac_f32_e32 v14, v9, v10
	s_waitcnt vmcnt(1)
	v_and_b32_e32 v10, 0xffff0000, v4
	v_mul_f32_e32 v22, v51, v22
	v_lshlrev_b32_e32 v4, 16, v4
	v_dual_add_f32 v13, v13, v14 :: v_dual_and_b32 v18, 0xffff0000, v5
	s_delay_alu instid0(VALU_DEP_4) | instskip(SKIP_3) | instid1(VALU_DEP_4)
	v_mul_f32_e32 v10, v25, v10
	v_and_b32_e32 v14, 0xffff0000, v15
	v_lshlrev_b32_e32 v15, 16, v15
	v_dual_fmac_f32 v22, v31, v23 :: v_dual_add_f32 v17, v17, v20
	v_fmac_f32_e32 v10, v12, v4
	v_dual_mul_f32 v5, v26, v18 :: v_dual_lshlrev_b32 v4, 16, v5
	s_waitcnt vmcnt(0)
	v_dual_mul_f32 v18, v14, v19 :: v_dual_and_b32 v19, 0xffff0000, v0
	v_add_f32_e32 v16, v21, v22
	v_lshlrev_b32_e32 v0, 16, v0
	v_dual_fmac_f32 v5, v8, v4 :: v_dual_and_b32 v4, 0xffff0000, v6
	v_lshlrev_b32_e32 v6, 16, v6
	s_delay_alu instid0(VALU_DEP_4) | instskip(SKIP_1) | instid1(VALU_DEP_4)
	v_add_f32_e32 v10, v16, v10
	v_dual_mul_f32 v16, v25, v19 :: v_dual_and_b32 v19, 0xffff0000, v1
	v_mul_f32_e32 v4, v27, v4
	s_delay_alu instid0(VALU_DEP_3) | instskip(NEXT) | instid1(VALU_DEP_3)
	v_dual_fmac_f32 v18, v15, v11 :: v_dual_add_f32 v5, v10, v5
	v_fmac_f32_e32 v16, v12, v0
	s_delay_alu instid0(VALU_DEP_4) | instskip(NEXT) | instid1(VALU_DEP_4)
	v_dual_mul_f32 v1, v26, v19 :: v_dual_lshlrev_b32 v0, 16, v1
	v_fmac_f32_e32 v4, v9, v6
	v_and_b32_e32 v6, 0xffff0000, v2
	v_and_b32_e32 v10, 0xffff0000, v7
	v_add_f32_e32 v12, v17, v16
	v_dual_fmac_f32 v1, v8, v0 :: v_dual_lshlrev_b32 v0, 16, v2
	s_delay_alu instid0(VALU_DEP_4) | instskip(SKIP_2) | instid1(VALU_DEP_3)
	v_mul_f32_e32 v2, v27, v6
	v_lshlrev_b32_e32 v6, 16, v7
	v_dual_mul_f32 v8, v14, v10 :: v_dual_and_b32 v7, 0xffff0000, v3
	v_dual_add_f32 v1, v12, v1 :: v_dual_fmac_f32 v2, v9, v0
	v_lshlrev_b32_e32 v0, 16, v3
	s_delay_alu instid0(VALU_DEP_3) | instskip(NEXT) | instid1(VALU_DEP_4)
	v_dual_mul_f32 v3, v14, v7 :: v_dual_add_f32 v4, v5, v4
	v_fmac_f32_e32 v8, v15, v6
	s_delay_alu instid0(VALU_DEP_4) | instskip(SKIP_1) | instid1(VALU_DEP_4)
	v_add_f32_e32 v1, v1, v2
	v_add_f32_e32 v51, v13, v18
	v_fmac_f32_e32 v3, v15, v0
	s_delay_alu instid0(VALU_DEP_4) | instskip(NEXT) | instid1(VALU_DEP_2)
	v_add_f32_e32 v50, v4, v8
	v_add_f32_e32 v36, v1, v3
.LBB181_16:                             ;   in Loop: Header=BB181_17 Depth=2
	s_or_b32 exec_lo, exec_lo, s2
	s_addk_i32 s12, 0x400
	s_delay_alu instid0(SALU_CYCLE_1)
	s_cmp_ge_u32 s12, s16
	s_cbranch_scc1 .LBB181_29
.LBB181_17:                             ;   Parent Loop BB181_12 Depth=1
                                        ; =>  This Loop Header: Depth=2
                                        ;       Child Loop BB181_22 Depth 3
	s_cmp_eq_u32 s12, 0
	s_cselect_b32 s13, -1, 0
	s_add_i32 s2, s3, s21
	s_delay_alu instid0(SALU_CYCLE_1) | instskip(SKIP_1) | instid1(SALU_CYCLE_1)
	s_cmp_eq_u32 s12, s2
	s_cselect_b32 s34, -1, 0
	s_or_b32 s34, s13, s34
	s_delay_alu instid0(SALU_CYCLE_1)
	s_and_not1_b32 vcc_lo, exec_lo, s34
	s_cbranch_vccz .LBB181_19
; %bb.18:                               ;   in Loop: Header=BB181_17 Depth=2
	s_and_saveexec_b32 s2, s1
	s_cbranch_execz .LBB181_16
	s_branch .LBB181_26
.LBB181_19:                             ;   in Loop: Header=BB181_17 Depth=2
	s_and_b32 s13, s13, exec_lo
	s_cselect_b32 s3, s3, s2
	s_and_not1_b32 vcc_lo, exec_lo, s23
	s_waitcnt vmcnt(0)
	s_waitcnt_vscnt null, 0x0
	s_barrier
	buffer_gl0_inv
	s_cbranch_vccnz .LBB181_25
; %bb.20:                               ;   in Loop: Header=BB181_17 Depth=2
	v_dual_mov_b32 v1, v46 :: v_dual_add_nc_u32 v0, s3, v47
	s_mov_b32 s13, 0
	s_mov_b32 s34, 0
                                        ; implicit-def: $sgpr35
	s_set_inst_prefetch_distance 0x1
	s_branch .LBB181_22
	.p2align	6
.LBB181_21:                             ;   in Loop: Header=BB181_22 Depth=3
	s_or_b32 exec_lo, exec_lo, s2
	s_delay_alu instid0(SALU_CYCLE_1) | instskip(NEXT) | instid1(SALU_CYCLE_1)
	s_and_b32 s2, exec_lo, s35
	s_or_b32 s13, s2, s13
	s_delay_alu instid0(SALU_CYCLE_1)
	s_and_not1_b32 exec_lo, exec_lo, s13
	s_cbranch_execz .LBB181_24
.LBB181_22:                             ;   Parent Loop BB181_12 Depth=1
                                        ;     Parent Loop BB181_17 Depth=2
                                        ; =>    This Inner Loop Header: Depth=3
	v_add_nc_u32_e32 v37, s34, v0
	v_add_nc_u32_e32 v2, s34, v47
	s_or_b32 s35, s35, exec_lo
	s_delay_alu instid0(VALU_DEP_2) | instskip(NEXT) | instid1(VALU_DEP_2)
	v_cmp_gt_u32_e32 vcc_lo, s18, v37
	v_cmp_gt_u32_e64 s2, s21, v2
	s_delay_alu instid0(VALU_DEP_1) | instskip(NEXT) | instid1(SALU_CYCLE_1)
	s_and_b32 s36, s2, vcc_lo
	s_and_saveexec_b32 s2, s36
	s_cbranch_execz .LBB181_21
; %bb.23:                               ;   in Loop: Header=BB181_22 Depth=3
	v_lshlrev_b64 v[2:3], 1, v[37:38]
	s_add_i32 s34, s34, s24
	s_delay_alu instid0(SALU_CYCLE_1) | instskip(SKIP_1) | instid1(VALU_DEP_1)
	s_cmp_ge_u32 s34, s21
	s_cselect_b32 s36, -1, 0
	v_add_co_u32 v2, vcc_lo, s6, v2
	s_delay_alu instid0(VALU_DEP_2) | instskip(SKIP_2) | instid1(SALU_CYCLE_1)
	v_add_co_ci_u32_e32 v3, vcc_lo, s7, v3, vcc_lo
	s_and_not1_b32 s35, s35, exec_lo
	s_and_b32 s36, s36, exec_lo
	s_or_b32 s35, s35, s36
	global_load_b128 v[2:5], v[2:3], off
	s_waitcnt vmcnt(0)
	ds_store_b128 v1, v[2:5]
	v_add_nc_u32_e32 v1, s33, v1
	s_branch .LBB181_21
.LBB181_24:                             ;   in Loop: Header=BB181_17 Depth=2
	s_set_inst_prefetch_distance 0x2
	s_or_b32 exec_lo, exec_lo, s13
.LBB181_25:                             ;   in Loop: Header=BB181_17 Depth=2
	s_waitcnt lgkmcnt(0)
	s_barrier
	buffer_gl0_inv
	s_and_saveexec_b32 s2, s1
	s_cbranch_execz .LBB181_16
.LBB181_26:                             ;   in Loop: Header=BB181_17 Depth=2
	v_dual_mov_b32 v31, 0 :: v_dual_add_nc_u32 v52, s12, v45
	v_dual_mov_b32 v30, 0 :: v_dual_mov_b32 v29, 0
	v_mov_b32_e32 v28, 0
	s_delay_alu instid0(VALU_DEP_3) | instskip(SKIP_2) | instid1(VALU_DEP_2)
	v_min_u32_e32 v37, s25, v52
	v_add_nc_u32_e32 v53, 0x200, v52
	s_mov_b32 s13, exec_lo
	v_lshlrev_b64 v[0:1], 1, v[37:38]
	s_delay_alu instid0(VALU_DEP_2) | instskip(NEXT) | instid1(VALU_DEP_2)
	v_min_u32_e32 v37, s25, v53
	v_add_co_u32 v6, vcc_lo, s4, v0
	s_waitcnt vmcnt(1)
	s_delay_alu instid0(VALU_DEP_3) | instskip(NEXT) | instid1(VALU_DEP_3)
	v_add_co_ci_u32_e32 v7, vcc_lo, s5, v1, vcc_lo
	v_lshlrev_b64 v[0:1], 1, v[37:38]
	s_delay_alu instid0(VALU_DEP_3) | instskip(NEXT) | instid1(VALU_DEP_3)
	v_add_co_u32 v2, vcc_lo, v6, v39
	v_add_co_ci_u32_e32 v3, vcc_lo, v7, v40, vcc_lo
	s_waitcnt vmcnt(0)
	v_add_co_u32 v4, vcc_lo, v6, v41
	v_add_co_ci_u32_e32 v5, vcc_lo, v7, v42, vcc_lo
	v_add_co_u32 v8, vcc_lo, s4, v0
	v_add_co_ci_u32_e32 v9, vcc_lo, s5, v1, vcc_lo
	v_add_co_u32 v0, vcc_lo, v6, v43
	v_add_co_ci_u32_e32 v1, vcc_lo, v7, v44, vcc_lo
	s_delay_alu instid0(VALU_DEP_4) | instskip(NEXT) | instid1(VALU_DEP_4)
	v_add_co_u32 v6, vcc_lo, v8, v39
	v_add_co_ci_u32_e32 v7, vcc_lo, v9, v40, vcc_lo
	v_add_co_u32 v12, vcc_lo, v8, v41
	v_add_co_ci_u32_e32 v13, vcc_lo, v9, v42, vcc_lo
	;; [unrolled: 2-line block ×3, first 2 shown]
	s_clause 0x5
	global_load_b128 v[24:27], v[2:3], off slc dlc
	global_load_b128 v[20:23], v[4:5], off slc dlc
	;; [unrolled: 1-line block ×6, first 2 shown]
	v_dual_mov_b32 v14, 0 :: v_dual_mov_b32 v15, 0
	v_dual_mov_b32 v13, 0 :: v_dual_mov_b32 v12, 0
	v_cmpx_gt_u32_e64 s16, v52
	s_cbranch_execz .LBB181_15
; %bb.27:                               ;   in Loop: Header=BB181_17 Depth=2
	v_subrev_nc_u32_e32 v12, s3, v52
	v_dual_mov_b32 v13, 0 :: v_dual_mov_b32 v14, 0
	v_mov_b32_e32 v15, 0
	s_mov_b32 s34, exec_lo
	s_delay_alu instid0(VALU_DEP_3)
	v_dual_mov_b32 v12, 0 :: v_dual_lshlrev_b32 v37, 1, v12
	ds_load_b128 v[28:31], v37
	v_cmpx_gt_u32_e64 s16, v53
	s_cbranch_execz .LBB181_14
; %bb.28:                               ;   in Loop: Header=BB181_17 Depth=2
	ds_load_b128 v[12:15], v37 offset:1024
	s_branch .LBB181_14
.LBB181_29:                             ;   in Loop: Header=BB181_12 Depth=1
	s_mov_b32 s1, exec_lo
	v_cmpx_le_u32_e64 s19, v35
	s_xor_b32 s1, exec_lo, s1
; %bb.30:                               ;   in Loop: Header=BB181_12 Depth=1
	v_add_nc_u32_e32 v35, s28, v35
                                        ; implicit-def: $vgpr51
                                        ; implicit-def: $vgpr50
                                        ; implicit-def: $vgpr36
; %bb.31:                               ;   in Loop: Header=BB181_12 Depth=1
	s_and_not1_saveexec_b32 s34, s1
	s_cbranch_execz .LBB181_11
; %bb.32:                               ;   in Loop: Header=BB181_12 Depth=1
	v_cvt_i32_f32_e32 v0, v51
	s_waitcnt lgkmcnt(0)
	v_cvt_i32_f32_e32 v1, v50
	v_cvt_i32_f32_e32 v2, v36
	s_delay_alu instid0(VALU_DEP_3) | instskip(NEXT) | instid1(VALU_DEP_3)
	v_cvt_f32_i32_dpp v0, v0 row_shr:8 row_mask:0xf bank_mask:0xf bound_ctrl:1
	v_cvt_f32_i32_dpp v1, v1 row_shr:8 row_mask:0xf bank_mask:0xf bound_ctrl:1
	s_delay_alu instid0(VALU_DEP_3) | instskip(NEXT) | instid1(VALU_DEP_2)
	v_cvt_f32_i32_dpp v2, v2 row_shr:8 row_mask:0xf bank_mask:0xf bound_ctrl:1
	v_dual_add_f32 v0, v51, v0 :: v_dual_add_f32 v1, v50, v1
	s_delay_alu instid0(VALU_DEP_1) | instskip(SKIP_1) | instid1(VALU_DEP_2)
	v_cvt_i32_f32_e32 v3, v0
	s_waitcnt vmcnt(0)
	v_cvt_i32_f32_e32 v4, v1
	s_delay_alu instid0(VALU_DEP_2) | instskip(NEXT) | instid1(VALU_DEP_2)
	v_cvt_f32_i32_dpp v3, v3 row_shr:4 row_mask:0xf bank_mask:0xf bound_ctrl:1
	v_cvt_f32_i32_dpp v4, v4 row_shr:4 row_mask:0xf bank_mask:0xf bound_ctrl:1
	s_delay_alu instid0(VALU_DEP_1) | instskip(NEXT) | instid1(VALU_DEP_1)
	v_dual_add_f32 v2, v36, v2 :: v_dual_add_f32 v1, v1, v4
	v_cvt_i32_f32_e32 v5, v2
	s_delay_alu instid0(VALU_DEP_2) | instskip(NEXT) | instid1(VALU_DEP_2)
	v_cvt_i32_f32_e32 v4, v1
	v_cvt_f32_i32_dpp v5, v5 row_shr:4 row_mask:0xf bank_mask:0xf bound_ctrl:1
	s_delay_alu instid0(VALU_DEP_2) | instskip(NEXT) | instid1(VALU_DEP_1)
	v_cvt_f32_i32_dpp v4, v4 row_shr:2 row_mask:0xf bank_mask:0xf bound_ctrl:1
	v_dual_add_f32 v0, v0, v3 :: v_dual_add_f32 v1, v1, v4
	s_delay_alu instid0(VALU_DEP_1) | instskip(NEXT) | instid1(VALU_DEP_1)
	v_cvt_i32_f32_e32 v3, v0
	v_cvt_f32_i32_dpp v3, v3 row_shr:2 row_mask:0xf bank_mask:0xf bound_ctrl:1
	s_delay_alu instid0(VALU_DEP_1) | instskip(NEXT) | instid1(VALU_DEP_1)
	v_add_f32_e32 v0, v0, v3
	v_cvt_i32_f32_e32 v4, v0
	s_delay_alu instid0(VALU_DEP_1) | instskip(SKIP_1) | instid1(VALU_DEP_1)
	v_cvt_f32_i32_dpp v4, v4 row_shr:1 row_mask:0xf bank_mask:0xf bound_ctrl:1
	v_add_f32_e32 v2, v2, v5
	v_cvt_i32_f32_e32 v5, v2
	s_delay_alu instid0(VALU_DEP_1) | instskip(NEXT) | instid1(VALU_DEP_1)
	v_cvt_f32_i32_dpp v5, v5 row_shr:2 row_mask:0xf bank_mask:0xf bound_ctrl:1
	v_add_f32_e32 v3, v2, v5
	v_xor_b32_e32 v2, 16, v49
	v_cvt_i32_f32_e32 v5, v1
	s_delay_alu instid0(VALU_DEP_3) | instskip(NEXT) | instid1(VALU_DEP_3)
	v_cvt_i32_f32_e32 v6, v3
	v_cmp_gt_i32_e32 vcc_lo, 32, v2
	s_delay_alu instid0(VALU_DEP_3) | instskip(SKIP_1) | instid1(VALU_DEP_4)
	v_cvt_f32_i32_dpp v7, v5 row_shr:1 row_mask:0xf bank_mask:0xf bound_ctrl:1
	v_add_f32_e32 v5, v0, v4
	v_cvt_f32_i32_dpp v6, v6 row_shr:1 row_mask:0xf bank_mask:0xf bound_ctrl:1
	v_cndmask_b32_e32 v2, v49, v2, vcc_lo
	s_delay_alu instid0(VALU_DEP_2) | instskip(NEXT) | instid1(VALU_DEP_2)
	v_add_f32_e32 v0, v3, v6
	v_lshlrev_b32_e32 v8, 2, v2
	v_add_f32_e32 v2, v1, v7
	ds_bpermute_b32 v6, v8, v5
	ds_bpermute_b32 v3, v8, v2
	ds_bpermute_b32 v1, v8, v0
	s_and_saveexec_b32 s1, s0
	s_cbranch_execz .LBB181_53
; %bb.33:                               ;   in Loop: Header=BB181_12 Depth=1
	v_dual_mov_b32 v8, 0 :: v_dual_add_nc_u32 v37, 2, v35
	v_dual_mov_b32 v7, 0 :: v_dual_mov_b32 v4, 0
	s_and_not1_b32 vcc_lo, exec_lo, s27
	s_cbranch_vccnz .LBB181_35
; %bb.34:                               ;   in Loop: Header=BB181_12 Depth=1
	v_mul_hi_u32 v7, v35, v48
	v_mul_hi_u32 v8, v37, v48
	s_delay_alu instid0(VALU_DEP_2) | instskip(NEXT) | instid1(VALU_DEP_2)
	v_mul_lo_u32 v7, v7, s20
	v_mul_lo_u32 v8, v8, s20
	s_delay_alu instid0(VALU_DEP_2) | instskip(NEXT) | instid1(VALU_DEP_2)
	v_sub_nc_u32_e32 v7, v35, v7
	v_sub_nc_u32_e32 v10, v37, v8
	s_delay_alu instid0(VALU_DEP_2) | instskip(SKIP_1) | instid1(VALU_DEP_3)
	v_cmp_le_u32_e32 vcc_lo, s20, v7
	v_add_nc_u32_e32 v4, 1, v35
	v_subrev_nc_u32_e32 v11, s20, v10
	s_delay_alu instid0(VALU_DEP_2) | instskip(NEXT) | instid1(VALU_DEP_1)
	v_mul_hi_u32 v9, v4, v48
	v_mul_lo_u32 v9, v9, s20
	s_delay_alu instid0(VALU_DEP_1) | instskip(SKIP_1) | instid1(VALU_DEP_2)
	v_sub_nc_u32_e32 v4, v4, v9
	v_subrev_nc_u32_e32 v9, s20, v7
	v_subrev_nc_u32_e32 v12, s20, v4
	s_delay_alu instid0(VALU_DEP_2) | instskip(SKIP_3) | instid1(VALU_DEP_4)
	v_cndmask_b32_e32 v7, v7, v9, vcc_lo
	v_cmp_le_u32_e32 vcc_lo, s20, v10
	v_cndmask_b32_e32 v9, v10, v11, vcc_lo
	v_cmp_le_u32_e32 vcc_lo, s20, v4
	v_subrev_nc_u32_e32 v11, s20, v7
	v_cndmask_b32_e32 v4, v4, v12, vcc_lo
	v_cmp_le_u32_e32 vcc_lo, s20, v7
	v_mov_b32_e32 v8, v38
	v_subrev_nc_u32_e32 v13, s20, v9
	s_delay_alu instid0(VALU_DEP_4) | instskip(SKIP_3) | instid1(VALU_DEP_3)
	v_subrev_nc_u32_e32 v14, s20, v4
	v_cndmask_b32_e32 v7, v7, v11, vcc_lo
	v_cmp_le_u32_e32 vcc_lo, s20, v9
	v_mov_b32_e32 v10, v38
	v_lshlrev_b64 v[7:8], 1, v[7:8]
	v_cndmask_b32_e32 v11, v9, v13, vcc_lo
	v_cmp_le_u32_e32 vcc_lo, s20, v4
	v_dual_mov_b32 v12, v38 :: v_dual_cndmask_b32 v9, v4, v14
	s_delay_alu instid0(VALU_DEP_1) | instskip(SKIP_2) | instid1(VALU_DEP_4)
	v_lshlrev_b64 v[11:12], 1, v[11:12]
	v_add_co_u32 v7, vcc_lo, s8, v7
	v_add_co_ci_u32_e32 v8, vcc_lo, s9, v8, vcc_lo
	v_lshlrev_b64 v[9:10], 1, v[9:10]
	s_delay_alu instid0(VALU_DEP_1) | instskip(NEXT) | instid1(VALU_DEP_2)
	v_add_co_u32 v9, vcc_lo, s8, v9
	v_add_co_ci_u32_e32 v10, vcc_lo, s9, v10, vcc_lo
	v_add_co_u32 v11, vcc_lo, s8, v11
	v_add_co_ci_u32_e32 v12, vcc_lo, s9, v12, vcc_lo
	s_clause 0x2
	global_load_u16 v8, v[7:8], off
	global_load_u16 v7, v[9:10], off
	;; [unrolled: 1-line block ×3, first 2 shown]
.LBB181_35:                             ;   in Loop: Header=BB181_12 Depth=1
	s_mov_b32 s2, exec_lo
	v_cmpx_ne_u32_e32 0, v32
	s_cbranch_execz .LBB181_41
; %bb.36:                               ;   in Loop: Header=BB181_12 Depth=1
	s_waitcnt vmcnt(2) lgkmcnt(2)
	v_dual_add_f32 v5, v5, v6 :: v_dual_lshlrev_b32 v6, 16, v8
	s_delay_alu instid0(VALU_DEP_1) | instskip(NEXT) | instid1(VALU_DEP_1)
	v_add_f32_e32 v6, v5, v6
	v_and_b32_e32 v5, 0x7f800000, v6
	s_delay_alu instid0(VALU_DEP_1) | instskip(SKIP_1) | instid1(SALU_CYCLE_1)
	v_cmp_ne_u32_e32 vcc_lo, 0x7f800000, v5
                                        ; implicit-def: $vgpr5
	s_and_saveexec_b32 s3, vcc_lo
	s_xor_b32 s3, exec_lo, s3
; %bb.37:                               ;   in Loop: Header=BB181_12 Depth=1
	v_bfe_u32 v5, v6, 16, 1
	s_delay_alu instid0(VALU_DEP_1)
	v_add3_u32 v5, v6, v5, 0x7fff
                                        ; implicit-def: $vgpr6
; %bb.38:                               ;   in Loop: Header=BB181_12 Depth=1
	s_and_not1_saveexec_b32 s3, s3
; %bb.39:                               ;   in Loop: Header=BB181_12 Depth=1
	v_and_b32_e32 v5, 0xffff, v6
	v_or_b32_e32 v8, 0x10000, v6
	s_delay_alu instid0(VALU_DEP_2) | instskip(NEXT) | instid1(VALU_DEP_2)
	v_cmp_eq_u32_e32 vcc_lo, 0, v5
	v_cndmask_b32_e32 v5, v8, v6, vcc_lo
; %bb.40:                               ;   in Loop: Header=BB181_12 Depth=1
	s_or_b32 exec_lo, exec_lo, s3
	v_mov_b32_e32 v36, v38
	s_delay_alu instid0(VALU_DEP_1) | instskip(NEXT) | instid1(VALU_DEP_1)
	v_lshlrev_b64 v[8:9], 1, v[35:36]
	v_add_co_u32 v8, vcc_lo, s10, v8
	s_delay_alu instid0(VALU_DEP_2)
	v_add_co_ci_u32_e32 v9, vcc_lo, s11, v9, vcc_lo
	global_store_d16_hi_b16 v[8:9], v5, off
.LBB181_41:                             ;   in Loop: Header=BB181_12 Depth=1
	s_or_b32 exec_lo, exec_lo, s2
	s_delay_alu instid0(SALU_CYCLE_1)
	s_mov_b32 s2, exec_lo
	v_cmpx_ne_u32_e32 0, v33
	s_cbranch_execz .LBB181_47
; %bb.42:                               ;   in Loop: Header=BB181_12 Depth=1
	s_waitcnt lgkmcnt(1)
	v_add_f32_e32 v2, v2, v3
	s_waitcnt vmcnt(1)
	v_lshlrev_b32_e32 v3, 16, v7
	s_delay_alu instid0(VALU_DEP_1) | instskip(NEXT) | instid1(VALU_DEP_1)
	v_add_f32_e32 v3, v2, v3
	v_and_b32_e32 v2, 0x7f800000, v3
	s_delay_alu instid0(VALU_DEP_1) | instskip(SKIP_1) | instid1(SALU_CYCLE_1)
	v_cmp_ne_u32_e32 vcc_lo, 0x7f800000, v2
                                        ; implicit-def: $vgpr2
	s_and_saveexec_b32 s3, vcc_lo
	s_xor_b32 s3, exec_lo, s3
; %bb.43:                               ;   in Loop: Header=BB181_12 Depth=1
	v_bfe_u32 v2, v3, 16, 1
	s_delay_alu instid0(VALU_DEP_1)
	v_add3_u32 v2, v3, v2, 0x7fff
                                        ; implicit-def: $vgpr3
; %bb.44:                               ;   in Loop: Header=BB181_12 Depth=1
	s_and_not1_saveexec_b32 s3, s3
; %bb.45:                               ;   in Loop: Header=BB181_12 Depth=1
	v_and_b32_e32 v2, 0xffff, v3
	v_or_b32_e32 v5, 0x10000, v3
	s_delay_alu instid0(VALU_DEP_2) | instskip(NEXT) | instid1(VALU_DEP_2)
	v_cmp_eq_u32_e32 vcc_lo, 0, v2
	v_cndmask_b32_e32 v2, v5, v3, vcc_lo
; %bb.46:                               ;   in Loop: Header=BB181_12 Depth=1
	s_or_b32 exec_lo, exec_lo, s3
	v_mov_b32_e32 v36, v38
	s_delay_alu instid0(VALU_DEP_1) | instskip(NEXT) | instid1(VALU_DEP_1)
	v_lshlrev_b64 v[5:6], 1, v[35:36]
	v_add_co_u32 v5, vcc_lo, s30, v5
	s_delay_alu instid0(VALU_DEP_2)
	v_add_co_ci_u32_e32 v6, vcc_lo, s31, v6, vcc_lo
	global_store_d16_hi_b16 v[5:6], v2, off
.LBB181_47:                             ;   in Loop: Header=BB181_12 Depth=1
	s_or_b32 exec_lo, exec_lo, s2
	v_cmp_ne_u32_e32 vcc_lo, 0, v34
	s_and_b32 exec_lo, exec_lo, vcc_lo
	s_cbranch_execz .LBB181_53
; %bb.48:                               ;   in Loop: Header=BB181_12 Depth=1
	s_waitcnt vmcnt(0) lgkmcnt(0)
	v_dual_add_f32 v0, v0, v1 :: v_dual_lshlrev_b32 v1, 16, v4
	s_delay_alu instid0(VALU_DEP_1) | instskip(NEXT) | instid1(VALU_DEP_1)
	v_add_f32_e32 v1, v0, v1
	v_and_b32_e32 v0, 0x7f800000, v1
	s_delay_alu instid0(VALU_DEP_1) | instskip(SKIP_1) | instid1(SALU_CYCLE_1)
	v_cmp_ne_u32_e32 vcc_lo, 0x7f800000, v0
                                        ; implicit-def: $vgpr0
	s_and_saveexec_b32 s2, vcc_lo
	s_xor_b32 s2, exec_lo, s2
; %bb.49:                               ;   in Loop: Header=BB181_12 Depth=1
	v_bfe_u32 v0, v1, 16, 1
	s_delay_alu instid0(VALU_DEP_1)
	v_add3_u32 v0, v1, v0, 0x7fff
                                        ; implicit-def: $vgpr1
; %bb.50:                               ;   in Loop: Header=BB181_12 Depth=1
	s_and_not1_saveexec_b32 s2, s2
; %bb.51:                               ;   in Loop: Header=BB181_12 Depth=1
	v_and_b32_e32 v0, 0xffff, v1
	v_or_b32_e32 v2, 0x10000, v1
	s_delay_alu instid0(VALU_DEP_2) | instskip(NEXT) | instid1(VALU_DEP_2)
	v_cmp_eq_u32_e32 vcc_lo, 0, v0
	v_cndmask_b32_e32 v0, v2, v1, vcc_lo
; %bb.52:                               ;   in Loop: Header=BB181_12 Depth=1
	s_or_b32 exec_lo, exec_lo, s2
	v_lshlrev_b64 v[1:2], 1, v[37:38]
	s_delay_alu instid0(VALU_DEP_1) | instskip(NEXT) | instid1(VALU_DEP_2)
	v_add_co_u32 v1, vcc_lo, s10, v1
	v_add_co_ci_u32_e32 v2, vcc_lo, s11, v2, vcc_lo
	global_store_d16_hi_b16 v[1:2], v0, off
.LBB181_53:                             ;   in Loop: Header=BB181_12 Depth=1
	s_or_b32 exec_lo, exec_lo, s1
	v_add_nc_u32_e32 v35, s28, v35
	s_delay_alu instid0(VALU_DEP_1) | instskip(SKIP_1) | instid1(VALU_DEP_2)
	v_add_nc_u32_e32 v0, 3, v35
	v_cmp_gt_u32_e32 vcc_lo, s19, v35
	v_cmp_le_u32_e64 s1, s19, v0
	s_delay_alu instid0(VALU_DEP_1) | instskip(NEXT) | instid1(SALU_CYCLE_1)
	s_and_b32 s1, vcc_lo, s1
	s_and_saveexec_b32 s35, s1
	s_cbranch_execz .LBB181_10
; %bb.54:                               ;   in Loop: Header=BB181_12 Depth=1
	s_mov_b32 s36, exec_lo
	v_cmpx_ne_u32_e64 s29, v35
	s_cbranch_execz .LBB181_9
; %bb.55:                               ;   in Loop: Header=BB181_12 Depth=1
	v_subrev_nc_u32_e32 v0, s29, v35
	s_mov_b32 s37, 0
	s_mov_b64 s[12:13], 0
	s_delay_alu instid0(VALU_DEP_1)
	v_cmp_lt_u32_e32 vcc_lo, 1, v0
	v_cndmask_b32_e32 v0, 1, v0, vcc_lo
	.p2align	6
.LBB181_56:                             ;   Parent Loop BB181_12 Depth=1
                                        ; =>  This Inner Loop Header: Depth=2
	s_cmp_lg_u32 s12, 2
	s_cselect_b32 vcc_lo, -1, 0
	s_cmp_lg_u32 s12, 1
	v_cndmask_b32_e32 v34, 0, v34, vcc_lo
	s_cselect_b32 s1, -1, 0
	s_cmp_lg_u32 s12, 0
	v_cndmask_b32_e64 v33, 0, v33, s1
	s_cselect_b32 s2, -1, 0
	s_add_u32 s12, s12, 1
	v_cndmask_b32_e64 v32, 0, v32, s2
	v_cmp_eq_u32_e64 s3, s12, v0
	s_addc_u32 s13, s13, 0
	s_delay_alu instid0(VALU_DEP_1) | instskip(NEXT) | instid1(SALU_CYCLE_1)
	s_or_b32 s37, s3, s37
	s_and_not1_b32 exec_lo, exec_lo, s37
	s_cbranch_execnz .LBB181_56
; %bb.57:                               ;   in Loop: Header=BB181_12 Depth=1
	s_or_b32 exec_lo, exec_lo, s37
	s_branch .LBB181_9
.LBB181_58:
	s_nop 0
	s_sendmsg sendmsg(MSG_DEALLOC_VGPRS)
	s_endpgm
	.section	.rodata,"a",@progbits
	.p2align	6, 0x0
	.amdhsa_kernel _Z16wvSplitK_hf_big_I14__hip_bfloat16Li64ELi3ELi16ELi8ELi2ELi1EEviiiiiiPKT_S3_S3_PS1_ii
		.amdhsa_group_segment_fixed_size 65536
		.amdhsa_private_segment_fixed_size 0
		.amdhsa_kernarg_size 64
		.amdhsa_user_sgpr_count 15
		.amdhsa_user_sgpr_dispatch_ptr 0
		.amdhsa_user_sgpr_queue_ptr 0
		.amdhsa_user_sgpr_kernarg_segment_ptr 1
		.amdhsa_user_sgpr_dispatch_id 0
		.amdhsa_user_sgpr_private_segment_size 0
		.amdhsa_wavefront_size32 1
		.amdhsa_uses_dynamic_stack 0
		.amdhsa_enable_private_segment 0
		.amdhsa_system_sgpr_workgroup_id_x 1
		.amdhsa_system_sgpr_workgroup_id_y 0
		.amdhsa_system_sgpr_workgroup_id_z 0
		.amdhsa_system_sgpr_workgroup_info 0
		.amdhsa_system_vgpr_workitem_id 1
		.amdhsa_next_free_vgpr 56
		.amdhsa_next_free_sgpr 38
		.amdhsa_reserve_vcc 1
		.amdhsa_float_round_mode_32 0
		.amdhsa_float_round_mode_16_64 0
		.amdhsa_float_denorm_mode_32 3
		.amdhsa_float_denorm_mode_16_64 3
		.amdhsa_dx10_clamp 1
		.amdhsa_ieee_mode 1
		.amdhsa_fp16_overflow 0
		.amdhsa_workgroup_processor_mode 1
		.amdhsa_memory_ordered 1
		.amdhsa_forward_progress 0
		.amdhsa_shared_vgpr_count 0
		.amdhsa_exception_fp_ieee_invalid_op 0
		.amdhsa_exception_fp_denorm_src 0
		.amdhsa_exception_fp_ieee_div_zero 0
		.amdhsa_exception_fp_ieee_overflow 0
		.amdhsa_exception_fp_ieee_underflow 0
		.amdhsa_exception_fp_ieee_inexact 0
		.amdhsa_exception_int_div_zero 0
	.end_amdhsa_kernel
	.section	.text._Z16wvSplitK_hf_big_I14__hip_bfloat16Li64ELi3ELi16ELi8ELi2ELi1EEviiiiiiPKT_S3_S3_PS1_ii,"axG",@progbits,_Z16wvSplitK_hf_big_I14__hip_bfloat16Li64ELi3ELi16ELi8ELi2ELi1EEviiiiiiPKT_S3_S3_PS1_ii,comdat
.Lfunc_end181:
	.size	_Z16wvSplitK_hf_big_I14__hip_bfloat16Li64ELi3ELi16ELi8ELi2ELi1EEviiiiiiPKT_S3_S3_PS1_ii, .Lfunc_end181-_Z16wvSplitK_hf_big_I14__hip_bfloat16Li64ELi3ELi16ELi8ELi2ELi1EEviiiiiiPKT_S3_S3_PS1_ii
                                        ; -- End function
	.section	.AMDGPU.csdata,"",@progbits
; Kernel info:
; codeLenInByte = 3568
; NumSgprs: 40
; NumVgprs: 56
; ScratchSize: 0
; MemoryBound: 0
; FloatMode: 240
; IeeeMode: 1
; LDSByteSize: 65536 bytes/workgroup (compile time only)
; SGPRBlocks: 4
; VGPRBlocks: 6
; NumSGPRsForWavesPerEU: 40
; NumVGPRsForWavesPerEU: 56
; Occupancy: 16
; WaveLimiterHint : 0
; COMPUTE_PGM_RSRC2:SCRATCH_EN: 0
; COMPUTE_PGM_RSRC2:USER_SGPR: 15
; COMPUTE_PGM_RSRC2:TRAP_HANDLER: 0
; COMPUTE_PGM_RSRC2:TGID_X_EN: 1
; COMPUTE_PGM_RSRC2:TGID_Y_EN: 0
; COMPUTE_PGM_RSRC2:TGID_Z_EN: 0
; COMPUTE_PGM_RSRC2:TIDIG_COMP_CNT: 1
	.section	.text._Z16wvSplitK_hf_sml_I14__hip_bfloat16Li64ELi4ELi16ELi8ELi1ELi1EEviiiiiiPKT_S3_S3_PS1_ii,"axG",@progbits,_Z16wvSplitK_hf_sml_I14__hip_bfloat16Li64ELi4ELi16ELi8ELi1ELi1EEviiiiiiPKT_S3_S3_PS1_ii,comdat
	.protected	_Z16wvSplitK_hf_sml_I14__hip_bfloat16Li64ELi4ELi16ELi8ELi1ELi1EEviiiiiiPKT_S3_S3_PS1_ii ; -- Begin function _Z16wvSplitK_hf_sml_I14__hip_bfloat16Li64ELi4ELi16ELi8ELi1ELi1EEviiiiiiPKT_S3_S3_PS1_ii
	.globl	_Z16wvSplitK_hf_sml_I14__hip_bfloat16Li64ELi4ELi16ELi8ELi1ELi1EEviiiiiiPKT_S3_S3_PS1_ii
	.p2align	8
	.type	_Z16wvSplitK_hf_sml_I14__hip_bfloat16Li64ELi4ELi16ELi8ELi1ELi1EEviiiiiiPKT_S3_S3_PS1_ii,@function
_Z16wvSplitK_hf_sml_I14__hip_bfloat16Li64ELi4ELi16ELi8ELi1ELi1EEviiiiiiPKT_S3_S3_PS1_ii: ; @_Z16wvSplitK_hf_sml_I14__hip_bfloat16Li64ELi4ELi16ELi8ELi1ELi1EEviiiiiiPKT_S3_S3_PS1_ii
; %bb.0:
	s_clause 0x2
	s_load_b128 s[4:7], s[0:1], 0x0
	s_load_b32 s14, s[0:1], 0x10
	s_load_b64 s[8:9], s[0:1], 0x28
	v_and_b32_e32 v2, 0x3ff, v0
	v_bfe_u32 v3, v0, 10, 10
	s_delay_alu instid0(VALU_DEP_2) | instskip(NEXT) | instid1(VALU_DEP_1)
	v_lshlrev_b32_e32 v31, 3, v2
	v_lshl_add_u32 v4, v3, 9, v31
	s_waitcnt lgkmcnt(0)
	s_min_u32 s3, s6, 0x8000
	s_mov_b32 s6, exec_lo
	s_delay_alu instid0(VALU_DEP_1)
	v_cmpx_gt_u32_e64 s3, v4
	s_cbranch_execz .LBB182_3
; %bb.1:
	s_load_b64 s[10:11], s[0:1], 0x20
	v_lshlrev_b32_e32 v5, 10, v3
	v_lshlrev_b32_e32 v6, 4, v2
	s_delay_alu instid0(VALU_DEP_1) | instskip(NEXT) | instid1(VALU_DEP_1)
	v_add_co_u32 v0, s2, v5, v6
	v_add_co_ci_u32_e64 v1, null, 0, 0, s2
	v_add_nc_u32_e32 v5, v5, v6
	s_waitcnt lgkmcnt(0)
	s_delay_alu instid0(VALU_DEP_3) | instskip(NEXT) | instid1(VALU_DEP_3)
	v_add_co_u32 v0, vcc_lo, s10, v0
	v_add_co_ci_u32_e32 v1, vcc_lo, s11, v1, vcc_lo
	s_mov_b32 s10, 0
	.p2align	6
.LBB182_2:                              ; =>This Inner Loop Header: Depth=1
	global_load_b128 v[6:9], v[0:1], off
	v_add_nc_u32_e32 v4, 0x2000, v4
	v_add_co_u32 v0, vcc_lo, 0x4000, v0
	v_add_co_ci_u32_e32 v1, vcc_lo, 0, v1, vcc_lo
	s_delay_alu instid0(VALU_DEP_3) | instskip(NEXT) | instid1(VALU_DEP_1)
	v_cmp_le_u32_e64 s2, s3, v4
	s_or_b32 s10, s2, s10
	s_waitcnt vmcnt(0)
	ds_store_b128 v5, v[6:9]
	v_add_nc_u32_e32 v5, 0x4000, v5
	s_and_not1_b32 exec_lo, exec_lo, s10
	s_cbranch_execnz .LBB182_2
.LBB182_3:
	s_or_b32 exec_lo, exec_lo, s6
	s_load_b64 s[12:13], s[0:1], 0x38
	s_waitcnt lgkmcnt(0)
	s_barrier
	buffer_gl0_inv
	s_mov_b32 s2, exec_lo
	v_cmpx_gt_u32_e64 s12, v3
	s_cbranch_execz .LBB182_32
; %bb.4:
	s_mul_i32 s15, s15, s12
	s_delay_alu instid0(SALU_CYCLE_1) | instskip(NEXT) | instid1(VALU_DEP_1)
	v_add_lshl_u32 v20, s15, v3, 2
	v_cmp_gt_u32_e32 vcc_lo, s7, v20
	s_and_b32 exec_lo, exec_lo, vcc_lo
	s_cbranch_execz .LBB182_32
; %bb.5:
	v_cvt_f32_u32_e32 v0, s14
	v_mbcnt_lo_u32_b32 v1, -1, 0
	s_cmp_lg_u32 s4, 0
	v_lshlrev_b32_e32 v32, 4, v2
	s_cselect_b32 s6, -1, 0
	v_rcp_iflag_f32_e32 v0, v0
	v_xor_b32_e32 v4, 16, v1
	s_add_i32 s15, s4, -8
	s_add_i32 s16, s7, -1
	s_cmp_lg_u64 s[8:9], 0
	s_mul_i32 s12, s12, s13
	v_cmp_gt_i32_e32 vcc_lo, 32, v4
	s_cselect_b32 s17, -1, 0
	s_sub_i32 s2, 0, s14
	s_lshl_b32 s12, s12, 2
	v_dual_mov_b32 v22, 0 :: v_dual_cndmask_b32 v1, v1, v4
	s_waitcnt_depctr 0xfff
	v_dual_mul_f32 v0, 0x4f7ffffe, v0 :: v_dual_lshlrev_b32 v33, 2, v1
	s_delay_alu instid0(VALU_DEP_1) | instskip(NEXT) | instid1(VALU_DEP_1)
	v_cvt_u32_f32_e32 v0, v0
	v_mul_lo_u32 v3, s2, v0
	s_clause 0x1
	s_load_b64 s[2:3], s[0:1], 0x18
	s_load_b64 s[10:11], s[0:1], 0x30
	v_cmp_eq_u32_e64 s0, 63, v2
	s_mov_b32 s1, 0
	s_delay_alu instid0(VALU_DEP_2) | instskip(NEXT) | instid1(VALU_DEP_1)
	v_mul_hi_u32 v3, v0, v3
	v_add_nc_u32_e32 v34, v0, v3
	s_branch .LBB182_8
.LBB182_6:                              ;   in Loop: Header=BB182_8 Depth=1
	s_or_b32 exec_lo, exec_lo, s18
	global_store_d16_hi_b16 v[0:1], v3, off offset:6
.LBB182_7:                              ;   in Loop: Header=BB182_8 Depth=1
	s_or_b32 exec_lo, exec_lo, s13
	v_add_nc_u32_e32 v20, s12, v20
	s_delay_alu instid0(VALU_DEP_1) | instskip(SKIP_1) | instid1(SALU_CYCLE_1)
	v_cmp_le_u32_e32 vcc_lo, s7, v20
	s_or_b32 s1, vcc_lo, s1
	s_and_not1_b32 exec_lo, exec_lo, s1
	s_cbranch_execz .LBB182_32
.LBB182_8:                              ; =>This Loop Header: Depth=1
                                        ;     Child Loop BB182_11 Depth 2
	v_mov_b32_e32 v35, v22
	v_mov_b32_e32 v36, v22
	v_mov_b32_e32 v38, v22
	v_mov_b32_e32 v39, v22
	s_and_not1_b32 vcc_lo, exec_lo, s6
	s_cbranch_vccnz .LBB182_13
; %bb.9:                                ;   in Loop: Header=BB182_8 Depth=1
	v_or_b32_e32 v0, 1, v20
	s_waitcnt lgkmcnt(0)
	v_or_b32_e32 v1, 2, v20
	v_or_b32_e32 v2, 3, v20
	v_min_u32_e32 v3, s16, v20
	v_mov_b32_e32 v5, v22
	v_min_u32_e32 v0, s16, v0
	v_min_u32_e32 v1, s16, v1
	v_min_u32_e32 v4, s16, v2
	v_mul_lo_u32 v21, v3, s5
	v_dual_mov_b32 v3, v22 :: v_dual_mov_b32 v36, 0
	v_mul_lo_u32 v0, v0, s5
	v_mul_lo_u32 v2, v1, s5
	;; [unrolled: 1-line block ×3, first 2 shown]
	v_dual_mov_b32 v1, v22 :: v_dual_mov_b32 v38, 0
	v_lshlrev_b64 v[23:24], 1, v[21:22]
	v_mov_b32_e32 v39, 0
	v_mov_b32_e32 v37, v32
	s_delay_alu instid0(VALU_DEP_4)
	v_lshlrev_b64 v[25:26], 1, v[0:1]
	v_lshlrev_b64 v[27:28], 1, v[2:3]
	;; [unrolled: 1-line block ×3, first 2 shown]
	v_mov_b32_e32 v35, 0
	s_mov_b32 s13, 0
	s_branch .LBB182_11
.LBB182_10:                             ;   in Loop: Header=BB182_11 Depth=2
	s_or_b32 exec_lo, exec_lo, s18
	s_waitcnt lgkmcnt(0)
	v_and_b32_e32 v41, 0xffff0000, v17
	s_waitcnt vmcnt(3)
	v_and_b32_e32 v42, 0xffff0000, v13
	v_and_b32_e32 v21, 0xffff0000, v16
	v_lshlrev_b32_e32 v17, 16, v17
	s_addk_i32 s13, 0x200
	s_delay_alu instid0(VALU_DEP_3) | instskip(SKIP_4) | instid1(VALU_DEP_1)
	v_dual_mul_f32 v42, v41, v42 :: v_dual_add_nc_u32 v37, 0x400, v37
	v_and_b32_e32 v43, 0xffff0000, v18
	v_lshlrev_b32_e32 v13, 16, v13
	s_cmp_ge_u32 s13, s4
	s_waitcnt vmcnt(2)
	v_dual_fmac_f32 v42, v17, v13 :: v_dual_and_b32 v13, 0xffff0000, v8
	v_and_b32_e32 v40, 0xffff0000, v12
	s_delay_alu instid0(VALU_DEP_2) | instskip(NEXT) | instid1(VALU_DEP_2)
	v_dual_mul_f32 v13, v21, v13 :: v_dual_lshlrev_b32 v8, 16, v8
	v_mul_f32_e32 v40, v21, v40
	v_lshlrev_b32_e32 v16, 16, v16
	s_delay_alu instid0(VALU_DEP_1) | instskip(NEXT) | instid1(VALU_DEP_1)
	v_dual_fmac_f32 v13, v16, v8 :: v_dual_lshlrev_b32 v18, 16, v18
	v_dual_add_f32 v13, v38, v13 :: v_dual_lshlrev_b32 v12, 16, v12
	s_delay_alu instid0(VALU_DEP_1) | instskip(SKIP_2) | instid1(VALU_DEP_3)
	v_fmac_f32_e32 v40, v16, v12
	v_lshlrev_b32_e32 v8, 16, v9
	v_and_b32_e32 v12, 0xffff0000, v14
	v_dual_add_f32 v39, v39, v40 :: v_dual_lshlrev_b32 v14, 16, v14
	s_delay_alu instid0(VALU_DEP_2) | instskip(NEXT) | instid1(VALU_DEP_1)
	v_mul_f32_e32 v12, v43, v12
	v_fmac_f32_e32 v12, v18, v14
	s_delay_alu instid0(VALU_DEP_3) | instskip(NEXT) | instid1(VALU_DEP_1)
	v_dual_add_f32 v14, v39, v42 :: v_dual_and_b32 v39, 0xffff0000, v9
	v_dual_add_f32 v12, v14, v12 :: v_dual_mul_f32 v9, v41, v39
	s_delay_alu instid0(VALU_DEP_1) | instskip(NEXT) | instid1(VALU_DEP_1)
	v_dual_fmac_f32 v9, v17, v8 :: v_dual_lshlrev_b32 v14, 16, v19
	v_dual_add_f32 v9, v13, v9 :: v_dual_lshlrev_b32 v8, 16, v10
	s_waitcnt vmcnt(1)
	v_and_b32_e32 v13, 0xffff0000, v5
	v_and_b32_e32 v40, 0xffff0000, v19
	;; [unrolled: 1-line block ×3, first 2 shown]
	s_delay_alu instid0(VALU_DEP_1) | instskip(SKIP_2) | instid1(VALU_DEP_3)
	v_dual_mul_f32 v10, v43, v19 :: v_dual_and_b32 v19, 0xffff0000, v4
	v_and_b32_e32 v39, 0xffff0000, v15
	v_lshlrev_b32_e32 v4, 16, v4
	v_fmac_f32_e32 v10, v18, v8
	s_delay_alu instid0(VALU_DEP_4) | instskip(SKIP_1) | instid1(VALU_DEP_2)
	v_mul_f32_e32 v8, v21, v19
	v_lshlrev_b32_e32 v15, 16, v15
	v_dual_add_f32 v9, v9, v10 :: v_dual_fmac_f32 v8, v16, v4
	v_lshlrev_b32_e32 v4, 16, v5
	v_dual_mul_f32 v5, v41, v13 :: v_dual_mul_f32 v38, v40, v39
	s_waitcnt vmcnt(0)
	v_and_b32_e32 v13, 0xffff0000, v0
	v_lshlrev_b32_e32 v0, 16, v0
	s_delay_alu instid0(VALU_DEP_2) | instskip(NEXT) | instid1(VALU_DEP_1)
	v_dual_add_f32 v8, v36, v8 :: v_dual_mul_f32 v13, v21, v13
	v_dual_fmac_f32 v13, v16, v0 :: v_dual_fmac_f32 v38, v14, v15
	v_and_b32_e32 v15, 0xffff0000, v1
	v_lshlrev_b32_e32 v0, 16, v1
	s_delay_alu instid0(VALU_DEP_3) | instskip(NEXT) | instid1(VALU_DEP_4)
	v_add_f32_e32 v13, v35, v13
	v_add_f32_e32 v39, v12, v38
	s_delay_alu instid0(VALU_DEP_4) | instskip(SKIP_2) | instid1(VALU_DEP_3)
	v_mul_f32_e32 v1, v41, v15
	v_dual_fmac_f32 v5, v17, v4 :: v_dual_and_b32 v10, 0xffff0000, v11
	v_lshlrev_b32_e32 v11, 16, v11
	v_dual_fmac_f32 v1, v17, v0 :: v_dual_and_b32 v4, 0xffff0000, v6
	s_delay_alu instid0(VALU_DEP_3) | instskip(NEXT) | instid1(VALU_DEP_2)
	v_dual_add_f32 v5, v8, v5 :: v_dual_lshlrev_b32 v6, 16, v6
	v_dual_add_f32 v1, v13, v1 :: v_dual_and_b32 v8, 0xffff0000, v7
	s_delay_alu instid0(VALU_DEP_3) | instskip(SKIP_2) | instid1(VALU_DEP_4)
	v_mul_f32_e32 v4, v43, v4
	v_lshlrev_b32_e32 v0, 16, v2
	v_mul_f32_e32 v10, v40, v10
	v_mul_f32_e32 v8, v40, v8
	s_delay_alu instid0(VALU_DEP_4) | instskip(SKIP_1) | instid1(VALU_DEP_4)
	v_fmac_f32_e32 v4, v18, v6
	v_and_b32_e32 v6, 0xffff0000, v2
	v_fmac_f32_e32 v10, v14, v11
	s_delay_alu instid0(VALU_DEP_2) | instskip(SKIP_1) | instid1(VALU_DEP_3)
	v_mul_f32_e32 v2, v43, v6
	v_lshlrev_b32_e32 v6, 16, v7
	v_dual_add_f32 v38, v9, v10 :: v_dual_and_b32 v7, 0xffff0000, v3
	s_delay_alu instid0(VALU_DEP_3) | instskip(SKIP_1) | instid1(VALU_DEP_3)
	v_fmac_f32_e32 v2, v18, v0
	v_lshlrev_b32_e32 v0, 16, v3
	v_dual_mul_f32 v3, v40, v7 :: v_dual_fmac_f32 v8, v14, v6
	s_delay_alu instid0(VALU_DEP_3) | instskip(NEXT) | instid1(VALU_DEP_2)
	v_add_f32_e32 v1, v1, v2
	v_fmac_f32_e32 v3, v14, v0
	s_delay_alu instid0(VALU_DEP_1) | instskip(SKIP_1) | instid1(VALU_DEP_1)
	v_add_f32_e32 v35, v1, v3
	v_add_f32_e32 v4, v5, v4
	;; [unrolled: 1-line block ×3, first 2 shown]
	s_cbranch_scc1 .LBB182_13
.LBB182_11:                             ;   Parent Loop BB182_8 Depth=1
                                        ; =>  This Inner Loop Header: Depth=2
	v_dual_mov_b32 v19, 0 :: v_dual_add_nc_u32 v18, s13, v31
	s_delay_alu instid0(VALU_DEP_1) | instskip(NEXT) | instid1(VALU_DEP_1)
	v_min_u32_e32 v21, s15, v18
	v_lshlrev_b64 v[0:1], 1, v[21:22]
	s_waitcnt lgkmcnt(0)
	s_delay_alu instid0(VALU_DEP_1) | instskip(NEXT) | instid1(VALU_DEP_2)
	v_add_co_u32 v6, vcc_lo, s2, v0
	v_add_co_ci_u32_e32 v7, vcc_lo, s3, v1, vcc_lo
	s_delay_alu instid0(VALU_DEP_2) | instskip(NEXT) | instid1(VALU_DEP_2)
	v_add_co_u32 v0, vcc_lo, v6, v23
	v_add_co_ci_u32_e32 v1, vcc_lo, v7, v24, vcc_lo
	v_add_co_u32 v2, vcc_lo, v6, v25
	v_add_co_ci_u32_e32 v3, vcc_lo, v7, v26, vcc_lo
	;; [unrolled: 2-line block ×4, first 2 shown]
	s_clause 0x3
	global_load_b128 v[12:15], v[0:1], off slc dlc
	global_load_b128 v[8:11], v[2:3], off slc dlc
	;; [unrolled: 1-line block ×4, first 2 shown]
	v_cmp_gt_u32_e32 vcc_lo, s4, v18
	v_dual_mov_b32 v18, 0 :: v_dual_mov_b32 v17, 0
	v_mov_b32_e32 v16, 0
	s_and_saveexec_b32 s18, vcc_lo
	s_cbranch_execz .LBB182_10
; %bb.12:                               ;   in Loop: Header=BB182_11 Depth=2
	ds_load_b128 v[16:19], v37
	s_branch .LBB182_10
.LBB182_13:                             ;   in Loop: Header=BB182_8 Depth=1
	; sched_barrier mask(0x00000000)
	s_delay_alu instid0(VALU_DEP_1)
	v_cvt_i32_f32_e32 v0, v39
	s_waitcnt lgkmcnt(0)
	v_cvt_i32_f32_e32 v1, v38
	v_cvt_i32_f32_e32 v2, v36
	;; [unrolled: 1-line block ×3, first 2 shown]
	v_cvt_f32_i32_dpp v0, v0 row_shr:8 row_mask:0xf bank_mask:0xf bound_ctrl:1
	s_delay_alu instid0(VALU_DEP_4) | instskip(NEXT) | instid1(VALU_DEP_4)
	v_cvt_f32_i32_dpp v1, v1 row_shr:8 row_mask:0xf bank_mask:0xf bound_ctrl:1
	v_cvt_f32_i32_dpp v2, v2 row_shr:8 row_mask:0xf bank_mask:0xf bound_ctrl:1
	s_delay_alu instid0(VALU_DEP_4) | instskip(NEXT) | instid1(VALU_DEP_3)
	v_cvt_f32_i32_dpp v3, v3 row_shr:8 row_mask:0xf bank_mask:0xf bound_ctrl:1
	v_dual_add_f32 v0, v39, v0 :: v_dual_add_f32 v1, v38, v1
	s_delay_alu instid0(VALU_DEP_2) | instskip(NEXT) | instid1(VALU_DEP_2)
	v_dual_add_f32 v2, v36, v2 :: v_dual_add_f32 v3, v35, v3
	v_cvt_i32_f32_e32 v4, v0
	s_delay_alu instid0(VALU_DEP_3) | instskip(NEXT) | instid1(VALU_DEP_3)
	v_cvt_i32_f32_e32 v5, v1
	v_cvt_i32_f32_e32 v6, v2
	s_delay_alu instid0(VALU_DEP_4) | instskip(NEXT) | instid1(VALU_DEP_4)
	v_cvt_i32_f32_e32 v7, v3
	v_cvt_f32_i32_dpp v4, v4 row_shr:4 row_mask:0xf bank_mask:0xf bound_ctrl:1
	s_delay_alu instid0(VALU_DEP_4) | instskip(NEXT) | instid1(VALU_DEP_4)
	v_cvt_f32_i32_dpp v5, v5 row_shr:4 row_mask:0xf bank_mask:0xf bound_ctrl:1
	v_cvt_f32_i32_dpp v6, v6 row_shr:4 row_mask:0xf bank_mask:0xf bound_ctrl:1
	s_delay_alu instid0(VALU_DEP_4) | instskip(NEXT) | instid1(VALU_DEP_3)
	v_cvt_f32_i32_dpp v7, v7 row_shr:4 row_mask:0xf bank_mask:0xf bound_ctrl:1
	v_dual_add_f32 v0, v0, v4 :: v_dual_add_f32 v1, v1, v5
	s_delay_alu instid0(VALU_DEP_2) | instskip(NEXT) | instid1(VALU_DEP_2)
	v_dual_add_f32 v2, v2, v6 :: v_dual_add_f32 v3, v3, v7
	v_cvt_i32_f32_e32 v4, v0
	s_delay_alu instid0(VALU_DEP_3) | instskip(NEXT) | instid1(VALU_DEP_3)
	v_cvt_i32_f32_e32 v5, v1
	v_cvt_i32_f32_e32 v6, v2
	s_delay_alu instid0(VALU_DEP_4) | instskip(NEXT) | instid1(VALU_DEP_4)
	v_cvt_i32_f32_e32 v7, v3
	v_cvt_f32_i32_dpp v4, v4 row_shr:2 row_mask:0xf bank_mask:0xf bound_ctrl:1
	s_delay_alu instid0(VALU_DEP_4) | instskip(NEXT) | instid1(VALU_DEP_4)
	v_cvt_f32_i32_dpp v5, v5 row_shr:2 row_mask:0xf bank_mask:0xf bound_ctrl:1
	v_cvt_f32_i32_dpp v6, v6 row_shr:2 row_mask:0xf bank_mask:0xf bound_ctrl:1
	s_delay_alu instid0(VALU_DEP_4) | instskip(NEXT) | instid1(VALU_DEP_3)
	v_cvt_f32_i32_dpp v7, v7 row_shr:2 row_mask:0xf bank_mask:0xf bound_ctrl:1
	v_dual_add_f32 v0, v0, v4 :: v_dual_add_f32 v1, v1, v5
	s_delay_alu instid0(VALU_DEP_2) | instskip(NEXT) | instid1(VALU_DEP_2)
	v_dual_add_f32 v2, v2, v6 :: v_dual_add_f32 v3, v3, v7
	v_cvt_i32_f32_e32 v4, v0
	s_delay_alu instid0(VALU_DEP_3) | instskip(NEXT) | instid1(VALU_DEP_3)
	v_cvt_i32_f32_e32 v5, v1
	v_cvt_i32_f32_e32 v6, v2
	s_delay_alu instid0(VALU_DEP_4) | instskip(NEXT) | instid1(VALU_DEP_4)
	v_cvt_i32_f32_e32 v7, v3
	v_cvt_f32_i32_dpp v4, v4 row_shr:1 row_mask:0xf bank_mask:0xf bound_ctrl:1
	s_delay_alu instid0(VALU_DEP_4) | instskip(NEXT) | instid1(VALU_DEP_4)
	v_cvt_f32_i32_dpp v5, v5 row_shr:1 row_mask:0xf bank_mask:0xf bound_ctrl:1
	v_cvt_f32_i32_dpp v6, v6 row_shr:1 row_mask:0xf bank_mask:0xf bound_ctrl:1
	s_delay_alu instid0(VALU_DEP_4) | instskip(NEXT) | instid1(VALU_DEP_3)
	v_cvt_f32_i32_dpp v8, v7 row_shr:1 row_mask:0xf bank_mask:0xf bound_ctrl:1
	v_dual_add_f32 v7, v0, v4 :: v_dual_add_f32 v0, v1, v5
	s_delay_alu instid0(VALU_DEP_3) | instskip(NEXT) | instid1(VALU_DEP_3)
	v_add_f32_e32 v4, v2, v6
	v_add_f32_e32 v2, v3, v8
	ds_bpermute_b32 v8, v33, v7
	ds_bpermute_b32 v1, v33, v0
	;; [unrolled: 1-line block ×4, first 2 shown]
	s_and_saveexec_b32 s13, s0
	s_cbranch_execz .LBB182_7
; %bb.14:                               ;   in Loop: Header=BB182_8 Depth=1
	v_dual_mov_b32 v6, 0 :: v_dual_mov_b32 v9, 0
	v_dual_mov_b32 v10, 0 :: v_dual_mov_b32 v11, 0
	s_and_not1_b32 vcc_lo, exec_lo, s17
	s_cbranch_vccnz .LBB182_16
; %bb.15:                               ;   in Loop: Header=BB182_8 Depth=1
	v_mul_hi_u32 v6, v20, v34
	v_or_b32_e32 v9, 1, v20
	v_or_b32_e32 v10, 2, v20
	;; [unrolled: 1-line block ×3, first 2 shown]
	s_delay_alu instid0(VALU_DEP_3) | instskip(NEXT) | instid1(VALU_DEP_3)
	v_mul_hi_u32 v12, v9, v34
	v_mul_hi_u32 v13, v10, v34
	v_mul_lo_u32 v6, v6, s14
	s_delay_alu instid0(VALU_DEP_4) | instskip(NEXT) | instid1(VALU_DEP_4)
	v_mul_hi_u32 v14, v11, v34
	v_mul_lo_u32 v12, v12, s14
	s_delay_alu instid0(VALU_DEP_4) | instskip(NEXT) | instid1(VALU_DEP_4)
	v_mul_lo_u32 v13, v13, s14
	v_sub_nc_u32_e32 v6, v20, v6
	s_delay_alu instid0(VALU_DEP_4) | instskip(NEXT) | instid1(VALU_DEP_2)
	v_mul_lo_u32 v14, v14, s14
	v_subrev_nc_u32_e32 v15, s14, v6
	v_sub_nc_u32_e32 v9, v9, v12
	v_cmp_le_u32_e32 vcc_lo, s14, v6
	v_sub_nc_u32_e32 v10, v10, v13
	v_sub_nc_u32_e32 v11, v11, v14
	s_delay_alu instid0(VALU_DEP_4) | instskip(SKIP_4) | instid1(VALU_DEP_4)
	v_subrev_nc_u32_e32 v12, s14, v9
	v_cndmask_b32_e32 v6, v6, v15, vcc_lo
	v_cmp_le_u32_e32 vcc_lo, s14, v9
	v_subrev_nc_u32_e32 v13, s14, v10
	v_subrev_nc_u32_e32 v15, s14, v11
	;; [unrolled: 1-line block ×3, first 2 shown]
	v_cndmask_b32_e32 v12, v9, v12, vcc_lo
	v_cmp_le_u32_e32 vcc_lo, s14, v6
	s_delay_alu instid0(VALU_DEP_3)
	v_cndmask_b32_e32 v21, v6, v14, vcc_lo
	v_cmp_le_u32_e32 vcc_lo, s14, v10
	v_cndmask_b32_e32 v6, v10, v13, vcc_lo
	v_cmp_le_u32_e32 vcc_lo, s14, v11
	v_subrev_nc_u32_e32 v13, s14, v12
	v_lshlrev_b64 v[9:10], 1, v[21:22]
	v_cndmask_b32_e32 v15, v11, v15, vcc_lo
	v_cmp_le_u32_e32 vcc_lo, s14, v12
	s_delay_alu instid0(VALU_DEP_2) | instskip(SKIP_3) | instid1(VALU_DEP_3)
	v_subrev_nc_u32_e32 v16, s14, v15
	v_cndmask_b32_e32 v21, v12, v13, vcc_lo
	v_subrev_nc_u32_e32 v13, s14, v6
	v_cmp_le_u32_e32 vcc_lo, s14, v6
	v_lshlrev_b64 v[11:12], 1, v[21:22]
	s_delay_alu instid0(VALU_DEP_3) | instskip(SKIP_3) | instid1(VALU_DEP_4)
	v_cndmask_b32_e32 v21, v6, v13, vcc_lo
	v_add_co_u32 v9, vcc_lo, s8, v9
	v_add_co_ci_u32_e32 v10, vcc_lo, s9, v10, vcc_lo
	v_cmp_le_u32_e32 vcc_lo, s14, v15
	v_lshlrev_b64 v[13:14], 1, v[21:22]
	v_cndmask_b32_e32 v21, v15, v16, vcc_lo
	v_add_co_u32 v15, vcc_lo, s8, v11
	v_add_co_ci_u32_e32 v16, vcc_lo, s9, v12, vcc_lo
	s_delay_alu instid0(VALU_DEP_3) | instskip(SKIP_2) | instid1(VALU_DEP_3)
	v_lshlrev_b64 v[11:12], 1, v[21:22]
	v_add_co_u32 v13, vcc_lo, s8, v13
	v_add_co_ci_u32_e32 v14, vcc_lo, s9, v14, vcc_lo
	v_add_co_u32 v17, vcc_lo, s8, v11
	s_delay_alu instid0(VALU_DEP_4)
	v_add_co_ci_u32_e32 v18, vcc_lo, s9, v12, vcc_lo
	s_clause 0x3
	global_load_u16 v11, v[9:10], off
	global_load_u16 v10, v[15:16], off
	;; [unrolled: 1-line block ×4, first 2 shown]
.LBB182_16:                             ;   in Loop: Header=BB182_8 Depth=1
	s_waitcnt vmcnt(3) lgkmcnt(0)
	s_delay_alu instid0(VALU_DEP_1) | instskip(NEXT) | instid1(VALU_DEP_1)
	v_dual_add_f32 v7, v7, v8 :: v_dual_lshlrev_b32 v8, 16, v11
	v_add_f32_e32 v8, v7, v8
	s_delay_alu instid0(VALU_DEP_1) | instskip(NEXT) | instid1(VALU_DEP_1)
	v_and_b32_e32 v7, 0x7f800000, v8
	v_cmp_ne_u32_e32 vcc_lo, 0x7f800000, v7
                                        ; implicit-def: $vgpr7
	s_and_saveexec_b32 s18, vcc_lo
	s_delay_alu instid0(SALU_CYCLE_1)
	s_xor_b32 s18, exec_lo, s18
; %bb.17:                               ;   in Loop: Header=BB182_8 Depth=1
	v_bfe_u32 v7, v8, 16, 1
	s_delay_alu instid0(VALU_DEP_1)
	v_add3_u32 v7, v8, v7, 0x7fff
                                        ; implicit-def: $vgpr8
; %bb.18:                               ;   in Loop: Header=BB182_8 Depth=1
	s_and_not1_saveexec_b32 s18, s18
; %bb.19:                               ;   in Loop: Header=BB182_8 Depth=1
	v_and_b32_e32 v7, 0xffff, v8
	v_or_b32_e32 v11, 0x10000, v8
	s_delay_alu instid0(VALU_DEP_2) | instskip(NEXT) | instid1(VALU_DEP_2)
	v_cmp_eq_u32_e32 vcc_lo, 0, v7
	v_cndmask_b32_e32 v7, v11, v8, vcc_lo
; %bb.20:                               ;   in Loop: Header=BB182_8 Depth=1
	s_or_b32 exec_lo, exec_lo, s18
	s_waitcnt vmcnt(2)
	v_dual_add_f32 v0, v0, v1 :: v_dual_lshlrev_b32 v1, 16, v10
	v_mov_b32_e32 v21, v22
	s_mov_b32 s18, exec_lo
	s_delay_alu instid0(VALU_DEP_2) | instskip(NEXT) | instid1(VALU_DEP_2)
	v_add_f32_e32 v8, v0, v1
	v_lshlrev_b64 v[0:1], 1, v[20:21]
	s_delay_alu instid0(VALU_DEP_2) | instskip(NEXT) | instid1(VALU_DEP_2)
	v_and_b32_e32 v10, 0x7f800000, v8
	v_add_co_u32 v0, vcc_lo, s10, v0
	s_delay_alu instid0(VALU_DEP_3)
	v_add_co_ci_u32_e32 v1, vcc_lo, s11, v1, vcc_lo
	global_store_d16_hi_b16 v[0:1], v7, off
                                        ; implicit-def: $vgpr7
	v_cmpx_ne_u32_e32 0x7f800000, v10
	s_xor_b32 s18, exec_lo, s18
; %bb.21:                               ;   in Loop: Header=BB182_8 Depth=1
	v_bfe_u32 v7, v8, 16, 1
	s_delay_alu instid0(VALU_DEP_1)
	v_add3_u32 v7, v8, v7, 0x7fff
                                        ; implicit-def: $vgpr8
; %bb.22:                               ;   in Loop: Header=BB182_8 Depth=1
	s_and_not1_saveexec_b32 s18, s18
; %bb.23:                               ;   in Loop: Header=BB182_8 Depth=1
	v_and_b32_e32 v7, 0xffff, v8
	v_or_b32_e32 v10, 0x10000, v8
	s_delay_alu instid0(VALU_DEP_2) | instskip(NEXT) | instid1(VALU_DEP_2)
	v_cmp_eq_u32_e32 vcc_lo, 0, v7
	v_cndmask_b32_e32 v7, v10, v8, vcc_lo
; %bb.24:                               ;   in Loop: Header=BB182_8 Depth=1
	s_or_b32 exec_lo, exec_lo, s18
	v_add_f32_e32 v4, v4, v5
	s_waitcnt vmcnt(1)
	v_lshlrev_b32_e32 v5, 16, v9
	global_store_d16_hi_b16 v[0:1], v7, off offset:2
	v_add_f32_e32 v5, v4, v5
	s_delay_alu instid0(VALU_DEP_1) | instskip(NEXT) | instid1(VALU_DEP_1)
	v_and_b32_e32 v4, 0x7f800000, v5
	v_cmp_ne_u32_e32 vcc_lo, 0x7f800000, v4
                                        ; implicit-def: $vgpr4
	s_and_saveexec_b32 s18, vcc_lo
	s_delay_alu instid0(SALU_CYCLE_1)
	s_xor_b32 s18, exec_lo, s18
; %bb.25:                               ;   in Loop: Header=BB182_8 Depth=1
	v_bfe_u32 v4, v5, 16, 1
	s_delay_alu instid0(VALU_DEP_1)
	v_add3_u32 v4, v5, v4, 0x7fff
                                        ; implicit-def: $vgpr5
; %bb.26:                               ;   in Loop: Header=BB182_8 Depth=1
	s_and_not1_saveexec_b32 s18, s18
; %bb.27:                               ;   in Loop: Header=BB182_8 Depth=1
	v_and_b32_e32 v4, 0xffff, v5
	v_or_b32_e32 v7, 0x10000, v5
	s_delay_alu instid0(VALU_DEP_2) | instskip(NEXT) | instid1(VALU_DEP_2)
	v_cmp_eq_u32_e32 vcc_lo, 0, v4
	v_cndmask_b32_e32 v4, v7, v5, vcc_lo
; %bb.28:                               ;   in Loop: Header=BB182_8 Depth=1
	s_or_b32 exec_lo, exec_lo, s18
	s_waitcnt vmcnt(0)
	v_dual_add_f32 v2, v2, v3 :: v_dual_lshlrev_b32 v3, 16, v6
	global_store_d16_hi_b16 v[0:1], v4, off offset:4
	v_add_f32_e32 v2, v2, v3
	s_delay_alu instid0(VALU_DEP_1) | instskip(NEXT) | instid1(VALU_DEP_1)
	v_and_b32_e32 v3, 0x7f800000, v2
	v_cmp_ne_u32_e32 vcc_lo, 0x7f800000, v3
                                        ; implicit-def: $vgpr3
	s_and_saveexec_b32 s18, vcc_lo
	s_delay_alu instid0(SALU_CYCLE_1)
	s_xor_b32 s18, exec_lo, s18
; %bb.29:                               ;   in Loop: Header=BB182_8 Depth=1
	v_bfe_u32 v3, v2, 16, 1
	s_delay_alu instid0(VALU_DEP_1)
	v_add3_u32 v3, v2, v3, 0x7fff
                                        ; implicit-def: $vgpr2
; %bb.30:                               ;   in Loop: Header=BB182_8 Depth=1
	s_and_not1_saveexec_b32 s18, s18
	s_cbranch_execz .LBB182_6
; %bb.31:                               ;   in Loop: Header=BB182_8 Depth=1
	v_and_b32_e32 v3, 0xffff, v2
	v_or_b32_e32 v4, 0x10000, v2
	s_delay_alu instid0(VALU_DEP_2) | instskip(NEXT) | instid1(VALU_DEP_2)
	v_cmp_eq_u32_e32 vcc_lo, 0, v3
	v_cndmask_b32_e32 v3, v4, v2, vcc_lo
	s_branch .LBB182_6
.LBB182_32:
	s_nop 0
	s_sendmsg sendmsg(MSG_DEALLOC_VGPRS)
	s_endpgm
	.section	.rodata,"a",@progbits
	.p2align	6, 0x0
	.amdhsa_kernel _Z16wvSplitK_hf_sml_I14__hip_bfloat16Li64ELi4ELi16ELi8ELi1ELi1EEviiiiiiPKT_S3_S3_PS1_ii
		.amdhsa_group_segment_fixed_size 65536
		.amdhsa_private_segment_fixed_size 0
		.amdhsa_kernarg_size 64
		.amdhsa_user_sgpr_count 15
		.amdhsa_user_sgpr_dispatch_ptr 0
		.amdhsa_user_sgpr_queue_ptr 0
		.amdhsa_user_sgpr_kernarg_segment_ptr 1
		.amdhsa_user_sgpr_dispatch_id 0
		.amdhsa_user_sgpr_private_segment_size 0
		.amdhsa_wavefront_size32 1
		.amdhsa_uses_dynamic_stack 0
		.amdhsa_enable_private_segment 0
		.amdhsa_system_sgpr_workgroup_id_x 1
		.amdhsa_system_sgpr_workgroup_id_y 0
		.amdhsa_system_sgpr_workgroup_id_z 0
		.amdhsa_system_sgpr_workgroup_info 0
		.amdhsa_system_vgpr_workitem_id 1
		.amdhsa_next_free_vgpr 44
		.amdhsa_next_free_sgpr 19
		.amdhsa_reserve_vcc 1
		.amdhsa_float_round_mode_32 0
		.amdhsa_float_round_mode_16_64 0
		.amdhsa_float_denorm_mode_32 3
		.amdhsa_float_denorm_mode_16_64 3
		.amdhsa_dx10_clamp 1
		.amdhsa_ieee_mode 1
		.amdhsa_fp16_overflow 0
		.amdhsa_workgroup_processor_mode 1
		.amdhsa_memory_ordered 1
		.amdhsa_forward_progress 0
		.amdhsa_shared_vgpr_count 0
		.amdhsa_exception_fp_ieee_invalid_op 0
		.amdhsa_exception_fp_denorm_src 0
		.amdhsa_exception_fp_ieee_div_zero 0
		.amdhsa_exception_fp_ieee_overflow 0
		.amdhsa_exception_fp_ieee_underflow 0
		.amdhsa_exception_fp_ieee_inexact 0
		.amdhsa_exception_int_div_zero 0
	.end_amdhsa_kernel
	.section	.text._Z16wvSplitK_hf_sml_I14__hip_bfloat16Li64ELi4ELi16ELi8ELi1ELi1EEviiiiiiPKT_S3_S3_PS1_ii,"axG",@progbits,_Z16wvSplitK_hf_sml_I14__hip_bfloat16Li64ELi4ELi16ELi8ELi1ELi1EEviiiiiiPKT_S3_S3_PS1_ii,comdat
.Lfunc_end182:
	.size	_Z16wvSplitK_hf_sml_I14__hip_bfloat16Li64ELi4ELi16ELi8ELi1ELi1EEviiiiiiPKT_S3_S3_PS1_ii, .Lfunc_end182-_Z16wvSplitK_hf_sml_I14__hip_bfloat16Li64ELi4ELi16ELi8ELi1ELi1EEviiiiiiPKT_S3_S3_PS1_ii
                                        ; -- End function
	.section	.AMDGPU.csdata,"",@progbits
; Kernel info:
; codeLenInByte = 2632
; NumSgprs: 21
; NumVgprs: 44
; ScratchSize: 0
; MemoryBound: 0
; FloatMode: 240
; IeeeMode: 1
; LDSByteSize: 65536 bytes/workgroup (compile time only)
; SGPRBlocks: 2
; VGPRBlocks: 5
; NumSGPRsForWavesPerEU: 21
; NumVGPRsForWavesPerEU: 44
; Occupancy: 16
; WaveLimiterHint : 0
; COMPUTE_PGM_RSRC2:SCRATCH_EN: 0
; COMPUTE_PGM_RSRC2:USER_SGPR: 15
; COMPUTE_PGM_RSRC2:TRAP_HANDLER: 0
; COMPUTE_PGM_RSRC2:TGID_X_EN: 1
; COMPUTE_PGM_RSRC2:TGID_Y_EN: 0
; COMPUTE_PGM_RSRC2:TGID_Z_EN: 0
; COMPUTE_PGM_RSRC2:TIDIG_COMP_CNT: 1
	.section	.text._Z12wvSplitK_hf_I14__hip_bfloat16Li64ELi4ELi16ELi8ELi1ELi1EEviiiiiiPKT_S3_S3_PS1_ii,"axG",@progbits,_Z12wvSplitK_hf_I14__hip_bfloat16Li64ELi4ELi16ELi8ELi1ELi1EEviiiiiiPKT_S3_S3_PS1_ii,comdat
	.protected	_Z12wvSplitK_hf_I14__hip_bfloat16Li64ELi4ELi16ELi8ELi1ELi1EEviiiiiiPKT_S3_S3_PS1_ii ; -- Begin function _Z12wvSplitK_hf_I14__hip_bfloat16Li64ELi4ELi16ELi8ELi1ELi1EEviiiiiiPKT_S3_S3_PS1_ii
	.globl	_Z12wvSplitK_hf_I14__hip_bfloat16Li64ELi4ELi16ELi8ELi1ELi1EEviiiiiiPKT_S3_S3_PS1_ii
	.p2align	8
	.type	_Z12wvSplitK_hf_I14__hip_bfloat16Li64ELi4ELi16ELi8ELi1ELi1EEviiiiiiPKT_S3_S3_PS1_ii,@function
_Z12wvSplitK_hf_I14__hip_bfloat16Li64ELi4ELi16ELi8ELi1ELi1EEviiiiiiPKT_S3_S3_PS1_ii: ; @_Z12wvSplitK_hf_I14__hip_bfloat16Li64ELi4ELi16ELi8ELi1ELi1EEviiiiiiPKT_S3_S3_PS1_ii
; %bb.0:
	s_clause 0x1
	s_load_b64 s[16:17], s[0:1], 0x38
	s_load_b128 s[4:7], s[0:1], 0x0
	v_bfe_u32 v7, v0, 10, 10
	s_clause 0x1
	s_load_b64 s[12:13], s[0:1], 0x20
	s_load_b32 s18, s[0:1], 0x10
	s_mov_b32 s8, 1
	s_delay_alu instid0(SALU_CYCLE_1) | instskip(SKIP_4) | instid1(SALU_CYCLE_1)
	s_mov_b32 s9, s8
	s_mov_b32 s10, s8
	;; [unrolled: 1-line block ×3, first 2 shown]
	s_waitcnt lgkmcnt(0)
	s_mul_i32 s15, s15, s16
	v_add_lshl_u32 v25, s15, v7, 2
	s_delay_alu instid0(VALU_DEP_1) | instskip(SKIP_1) | instid1(VALU_DEP_2)
	v_add_nc_u32_e32 v1, 4, v25
	v_cmp_gt_u32_e32 vcc_lo, s7, v25
	v_cmp_le_u32_e64 s2, s7, v1
	v_dual_mov_b32 v1, s8 :: v_dual_mov_b32 v4, s11
	v_dual_mov_b32 v2, s9 :: v_dual_mov_b32 v3, s10
	s_delay_alu instid0(VALU_DEP_3) | instskip(NEXT) | instid1(SALU_CYCLE_1)
	s_and_b32 s2, vcc_lo, s2
	s_and_saveexec_b32 s14, s2
	s_cbranch_execz .LBB183_6
; %bb.1:
	v_dual_mov_b32 v1, s8 :: v_dual_mov_b32 v2, s9
	v_dual_mov_b32 v3, s10 :: v_dual_mov_b32 v4, s11
	s_add_i32 s15, s7, -4
	s_mov_b32 s19, exec_lo
	v_cmpx_ne_u32_e64 s15, v25
	s_cbranch_execz .LBB183_5
; %bb.2:
	v_subrev_nc_u32_e32 v1, s15, v25
	s_mov_b32 s20, 0
	s_mov_b64 s[2:3], 0
	s_mov_b32 s9, s8
	s_mov_b32 s10, s8
	v_cmp_lt_u32_e32 vcc_lo, 1, v1
	s_mov_b32 s11, s8
	v_cndmask_b32_e32 v5, 1, v1, vcc_lo
	.p2align	6
.LBB183_3:                              ; =>This Inner Loop Header: Depth=1
	s_cmp_lg_u32 s2, 3
	s_cselect_b32 s11, s11, 0
	s_cmp_lg_u32 s2, 2
	s_cselect_b32 s10, s10, 0
	;; [unrolled: 2-line block ×4, first 2 shown]
	s_add_u32 s2, s2, 1
	v_dual_mov_b32 v1, s8 :: v_dual_mov_b32 v2, s9
	v_cmp_eq_u32_e32 vcc_lo, s2, v5
	v_dual_mov_b32 v3, s10 :: v_dual_mov_b32 v4, s11
	s_addc_u32 s3, s3, 0
	s_or_b32 s20, vcc_lo, s20
	s_delay_alu instid0(SALU_CYCLE_1)
	s_and_not1_b32 exec_lo, exec_lo, s20
	s_cbranch_execnz .LBB183_3
; %bb.4:
	s_or_b32 exec_lo, exec_lo, s20
	v_mov_b32_e32 v25, s15
.LBB183_5:
	s_or_b32 exec_lo, exec_lo, s19
.LBB183_6:
	s_delay_alu instid0(SALU_CYCLE_1) | instskip(SKIP_4) | instid1(VALU_DEP_1)
	s_or_b32 exec_lo, exec_lo, s14
	s_load_b64 s[8:9], s[0:1], 0x28
	v_and_b32_e32 v8, 0x3ff, v0
	s_min_u32 s3, s6, 0x8000
	s_mov_b32 s6, exec_lo
	v_lshlrev_b32_e32 v0, 3, v8
	s_delay_alu instid0(VALU_DEP_1) | instskip(NEXT) | instid1(VALU_DEP_1)
	v_lshl_add_u32 v9, v7, 9, v0
	v_cmpx_gt_u32_e64 s3, v9
	s_cbranch_execz .LBB183_9
; %bb.7:
	v_lshlrev_b32_e32 v10, 10, v7
	v_lshlrev_b32_e32 v11, 4, v8
	s_mov_b32 s10, 0
	s_delay_alu instid0(VALU_DEP_1) | instskip(NEXT) | instid1(VALU_DEP_1)
	v_add_co_u32 v5, s2, v10, v11
	v_add_co_ci_u32_e64 v6, null, 0, 0, s2
	v_add_nc_u32_e32 v10, v10, v11
	s_delay_alu instid0(VALU_DEP_3) | instskip(NEXT) | instid1(VALU_DEP_3)
	v_add_co_u32 v5, vcc_lo, s12, v5
	v_add_co_ci_u32_e32 v6, vcc_lo, s13, v6, vcc_lo
	.p2align	6
.LBB183_8:                              ; =>This Inner Loop Header: Depth=1
	global_load_b128 v[11:14], v[5:6], off
	v_add_nc_u32_e32 v9, 0x2000, v9
	v_add_co_u32 v5, vcc_lo, 0x4000, v5
	v_add_co_ci_u32_e32 v6, vcc_lo, 0, v6, vcc_lo
	s_delay_alu instid0(VALU_DEP_3) | instskip(NEXT) | instid1(VALU_DEP_1)
	v_cmp_le_u32_e64 s2, s3, v9
	s_or_b32 s10, s2, s10
	s_waitcnt vmcnt(0)
	ds_store_b128 v10, v[11:14]
	v_add_nc_u32_e32 v10, 0x4000, v10
	s_and_not1_b32 exec_lo, exec_lo, s10
	s_cbranch_execnz .LBB183_8
.LBB183_9:
	s_or_b32 exec_lo, exec_lo, s6
	v_cmp_gt_u32_e32 vcc_lo, s16, v7
	v_cmp_gt_u32_e64 s2, s7, v25
	s_waitcnt lgkmcnt(0)
	s_barrier
	buffer_gl0_inv
	s_and_b32 s2, vcc_lo, s2
	s_delay_alu instid0(SALU_CYCLE_1)
	s_and_saveexec_b32 s3, s2
	s_cbranch_execz .LBB183_54
; %bb.10:
	v_cvt_f32_u32_e32 v5, s18
	v_mbcnt_lo_u32_b32 v6, -1, 0
	s_cmp_lg_u32 s4, 0
	s_clause 0x1
	s_load_b64 s[10:11], s[0:1], 0x18
	s_load_b64 s[14:15], s[0:1], 0x30
	s_cselect_b32 s6, -1, 0
	v_rcp_iflag_f32_e32 v5, v5
	v_xor_b32_e32 v9, 16, v6
	s_add_i32 s19, s4, -8
	s_add_i32 s20, s7, -1
	s_cmp_lg_u64 s[8:9], 0
	v_cmp_eq_u32_e64 s0, 63, v8
	v_cmp_gt_i32_e32 vcc_lo, 32, v9
	s_cselect_b32 s21, -1, 0
	s_sub_i32 s2, 0, s18
	v_lshlrev_b32_e32 v41, 4, v8
	v_dual_mov_b32 v27, 0 :: v_dual_cndmask_b32 v6, v6, v9
	s_waitcnt_depctr 0xfff
	v_mul_f32_e32 v5, 0x4f7ffffe, v5
	s_mul_i32 s1, s16, s17
	s_mov_b32 s22, 0
	s_lshl_b32 s23, s1, 2
	v_lshlrev_b32_e32 v42, 2, v6
	v_cvt_u32_f32_e32 v5, v5
	s_add_i32 s24, s7, -4
	s_delay_alu instid0(VALU_DEP_1) | instskip(NEXT) | instid1(VALU_DEP_1)
	v_mul_lo_u32 v7, s2, v5
	v_mul_hi_u32 v7, v5, v7
	s_delay_alu instid0(VALU_DEP_1)
	v_add_nc_u32_e32 v43, v5, v7
	s_branch .LBB183_13
.LBB183_11:                             ;   in Loop: Header=BB183_13 Depth=1
	s_or_b32 exec_lo, exec_lo, s26
	v_mov_b32_e32 v25, s24
.LBB183_12:                             ;   in Loop: Header=BB183_13 Depth=1
	s_or_b32 exec_lo, exec_lo, s25
	s_delay_alu instid0(VALU_DEP_1) | instskip(SKIP_1) | instid1(SALU_CYCLE_1)
	v_cmp_le_u32_e32 vcc_lo, s7, v25
	s_or_b32 s22, vcc_lo, s22
	s_and_not1_b32 exec_lo, exec_lo, s22
	s_cbranch_execz .LBB183_54
.LBB183_13:                             ; =>This Loop Header: Depth=1
                                        ;     Child Loop BB183_17 Depth 2
                                        ;     Child Loop BB183_52 Depth 2
	v_dual_mov_b32 v45, v27 :: v_dual_add_nc_u32 v30, 1, v25
	v_dual_mov_b32 v44, v27 :: v_dual_add_nc_u32 v29, 2, v25
	;; [unrolled: 1-line block ×3, first 2 shown]
	v_mov_b32_e32 v48, v27
	s_and_not1_b32 vcc_lo, exec_lo, s6
	s_cbranch_vccnz .LBB183_22
; %bb.14:                               ;   in Loop: Header=BB183_13 Depth=1
	v_min_u32_e32 v5, s20, v25
	s_waitcnt lgkmcnt(0)
	v_min_u32_e32 v6, s20, v30
	v_min_u32_e32 v7, s20, v29
	v_min_u32_e32 v8, s20, v28
	v_mov_b32_e32 v10, v27
	v_mul_lo_u32 v26, v5, s5
	v_mul_lo_u32 v5, v6, s5
	;; [unrolled: 1-line block ×4, first 2 shown]
	v_dual_mov_b32 v6, v27 :: v_dual_mov_b32 v47, 0
	v_dual_mov_b32 v8, v27 :: v_dual_mov_b32 v45, 0
	v_lshlrev_b64 v[31:32], 1, v[26:27]
	s_delay_alu instid0(VALU_DEP_3) | instskip(SKIP_1) | instid1(VALU_DEP_4)
	v_lshlrev_b64 v[33:34], 1, v[5:6]
	v_mov_b32_e32 v48, 0
	v_lshlrev_b64 v[35:36], 1, v[7:8]
	v_lshlrev_b64 v[37:38], 1, v[9:10]
	v_mov_b32_e32 v46, v41
	v_mov_b32_e32 v44, 0
	s_mov_b32 s1, 0
	s_branch .LBB183_17
.LBB183_15:                             ;   in Loop: Header=BB183_17 Depth=2
	s_or_b32 exec_lo, exec_lo, s3
.LBB183_16:                             ;   in Loop: Header=BB183_17 Depth=2
	s_delay_alu instid0(SALU_CYCLE_1)
	s_or_b32 exec_lo, exec_lo, s2
	s_waitcnt vmcnt(0) lgkmcnt(0)
	v_and_b32_e32 v26, 0xffff0000, v21
	v_and_b32_e32 v40, 0xffff0000, v22
	v_and_b32_e32 v49, 0xffff0000, v18
	v_lshlrev_b32_e32 v22, 16, v22
	v_lshlrev_b32_e32 v18, 16, v18
	s_addk_i32 s1, 0x200
	s_delay_alu instid0(VALU_DEP_3) | instskip(SKIP_2) | instid1(VALU_DEP_2)
	v_dual_mul_f32 v49, v40, v49 :: v_dual_add_nc_u32 v46, 0x400, v46
	v_and_b32_e32 v50, 0xffff0000, v23
	s_cmp_ge_u32 s1, s4
	v_dual_fmac_f32 v49, v22, v18 :: v_dual_and_b32 v18, 0xffff0000, v13
	v_and_b32_e32 v39, 0xffff0000, v17
	v_lshlrev_b32_e32 v17, 16, v17
	v_lshlrev_b32_e32 v13, 16, v13
	s_delay_alu instid0(VALU_DEP_3) | instskip(SKIP_1) | instid1(VALU_DEP_1)
	v_mul_f32_e32 v39, v26, v39
	v_lshlrev_b32_e32 v21, 16, v21
	v_fmac_f32_e32 v39, v21, v17
	s_delay_alu instid0(VALU_DEP_1) | instskip(SKIP_1) | instid1(VALU_DEP_2)
	v_dual_add_f32 v39, v48, v39 :: v_dual_mul_f32 v18, v26, v18
	v_and_b32_e32 v48, 0xffff0000, v24
	v_dual_fmac_f32 v18, v21, v13 :: v_dual_lshlrev_b32 v13, 16, v14
	v_and_b32_e32 v17, 0xffff0000, v19
	s_delay_alu instid0(VALU_DEP_2) | instskip(SKIP_1) | instid1(VALU_DEP_3)
	v_dual_add_f32 v18, v47, v18 :: v_dual_lshlrev_b32 v19, 16, v19
	v_lshlrev_b32_e32 v23, 16, v23
	v_mul_f32_e32 v17, v50, v17
	s_delay_alu instid0(VALU_DEP_1) | instskip(SKIP_2) | instid1(VALU_DEP_1)
	v_fmac_f32_e32 v17, v23, v19
	v_add_f32_e32 v19, v39, v49
	v_and_b32_e32 v39, 0xffff0000, v14
	v_dual_add_f32 v17, v19, v17 :: v_dual_mul_f32 v14, v40, v39
	v_lshlrev_b32_e32 v19, 16, v24
	v_and_b32_e32 v24, 0xffff0000, v15
	s_delay_alu instid0(VALU_DEP_3) | instskip(NEXT) | instid1(VALU_DEP_2)
	v_dual_fmac_f32 v14, v22, v13 :: v_dual_lshlrev_b32 v13, 16, v15
	v_dual_mul_f32 v15, v50, v24 :: v_dual_and_b32 v24, 0xffff0000, v9
	s_delay_alu instid0(VALU_DEP_2) | instskip(NEXT) | instid1(VALU_DEP_2)
	v_dual_add_f32 v14, v18, v14 :: v_dual_lshlrev_b32 v9, 16, v9
	v_dual_fmac_f32 v15, v23, v13 :: v_dual_and_b32 v18, 0xffff0000, v10
	s_delay_alu instid0(VALU_DEP_3) | instskip(NEXT) | instid1(VALU_DEP_1)
	v_mul_f32_e32 v13, v26, v24
	v_dual_add_f32 v14, v14, v15 :: v_dual_fmac_f32 v13, v21, v9
	v_lshlrev_b32_e32 v9, 16, v10
	s_delay_alu instid0(VALU_DEP_4) | instskip(SKIP_1) | instid1(VALU_DEP_4)
	v_mul_f32_e32 v10, v40, v18
	v_and_b32_e32 v18, 0xffff0000, v5
	v_add_f32_e32 v13, v45, v13
	s_delay_alu instid0(VALU_DEP_3) | instskip(SKIP_1) | instid1(VALU_DEP_4)
	v_dual_fmac_f32 v10, v22, v9 :: v_dual_and_b32 v39, 0xffff0000, v20
	v_lshlrev_b32_e32 v20, 16, v20
	v_dual_mul_f32 v18, v26, v18 :: v_dual_lshlrev_b32 v5, 16, v5
	s_delay_alu instid0(VALU_DEP_3) | instskip(NEXT) | instid1(VALU_DEP_4)
	v_dual_add_f32 v10, v13, v10 :: v_dual_and_b32 v9, 0xffff0000, v11
	v_mul_f32_e32 v39, v48, v39
	s_delay_alu instid0(VALU_DEP_3) | instskip(NEXT) | instid1(VALU_DEP_3)
	v_dual_fmac_f32 v18, v21, v5 :: v_dual_lshlrev_b32 v11, 16, v11
	v_mul_f32_e32 v9, v50, v9
	v_lshlrev_b32_e32 v5, 16, v6
	v_and_b32_e32 v15, 0xffff0000, v16
	v_lshlrev_b32_e32 v16, 16, v16
	v_dual_fmac_f32 v39, v19, v20 :: v_dual_and_b32 v20, 0xffff0000, v6
	v_fmac_f32_e32 v9, v23, v11
	v_and_b32_e32 v11, 0xffff0000, v7
	v_dual_add_f32 v18, v44, v18 :: v_dual_and_b32 v13, 0xffff0000, v12
	s_delay_alu instid0(VALU_DEP_3) | instskip(NEXT) | instid1(VALU_DEP_2)
	v_dual_mul_f32 v6, v40, v20 :: v_dual_add_f32 v9, v10, v9
	v_mul_f32_e32 v13, v48, v13
	s_delay_alu instid0(VALU_DEP_2) | instskip(SKIP_3) | instid1(VALU_DEP_3)
	v_dual_fmac_f32 v6, v22, v5 :: v_dual_lshlrev_b32 v5, 16, v7
	v_mul_f32_e32 v7, v50, v11
	v_lshlrev_b32_e32 v11, 16, v12
	v_dual_mul_f32 v15, v48, v15 :: v_dual_and_b32 v12, 0xffff0000, v8
	v_dual_add_f32 v6, v18, v6 :: v_dual_fmac_f32 v7, v23, v5
	v_lshlrev_b32_e32 v5, 16, v8
	s_delay_alu instid0(VALU_DEP_3) | instskip(NEXT) | instid1(VALU_DEP_4)
	v_mul_f32_e32 v8, v48, v12
	v_fmac_f32_e32 v15, v19, v16
	v_fmac_f32_e32 v13, v19, v11
	v_add_f32_e32 v6, v6, v7
	v_add_f32_e32 v48, v17, v39
	s_delay_alu instid0(VALU_DEP_4) | instskip(NEXT) | instid1(VALU_DEP_1)
	v_dual_fmac_f32 v8, v19, v5 :: v_dual_add_f32 v47, v14, v15
	v_dual_add_f32 v45, v9, v13 :: v_dual_add_f32 v44, v6, v8
	s_cbranch_scc1 .LBB183_22
.LBB183_17:                             ;   Parent Loop BB183_13 Depth=1
                                        ; =>  This Inner Loop Header: Depth=2
	v_add_nc_u32_e32 v39, s1, v0
	v_mov_b32_e32 v23, 0
	s_mov_b32 s2, exec_lo
	v_mov_b32_e32 v24, 0
	s_delay_alu instid0(VALU_DEP_3) | instskip(NEXT) | instid1(VALU_DEP_1)
	v_min_u32_e32 v26, s19, v39
	v_lshlrev_b64 v[5:6], 1, v[26:27]
	s_waitcnt vmcnt(0) lgkmcnt(0)
	s_delay_alu instid0(VALU_DEP_1) | instskip(NEXT) | instid1(VALU_DEP_2)
	v_add_co_u32 v11, vcc_lo, s10, v5
	v_add_co_ci_u32_e32 v12, vcc_lo, s11, v6, vcc_lo
	s_delay_alu instid0(VALU_DEP_2) | instskip(NEXT) | instid1(VALU_DEP_2)
	v_add_co_u32 v5, vcc_lo, v11, v31
	v_add_co_ci_u32_e32 v6, vcc_lo, v12, v32, vcc_lo
	v_add_co_u32 v7, vcc_lo, v11, v33
	v_add_co_ci_u32_e32 v8, vcc_lo, v12, v34, vcc_lo
	;; [unrolled: 2-line block ×4, first 2 shown]
	s_clause 0x3
	global_load_b128 v[17:20], v[5:6], off slc dlc
	global_load_b128 v[13:16], v[7:8], off slc dlc
	;; [unrolled: 1-line block ×4, first 2 shown]
	v_dual_mov_b32 v22, 0 :: v_dual_mov_b32 v21, 0
	v_cmpx_gt_u32_e64 s4, v39
	s_cbranch_execz .LBB183_16
; %bb.18:                               ;   in Loop: Header=BB183_17 Depth=2
	s_mov_b32 s3, exec_lo
                                        ; implicit-def: $vgpr24
	v_cmpx_lt_u32_e32 0x7fff, v39
	s_xor_b32 s3, exec_lo, s3
	s_cbranch_execz .LBB183_20
; %bb.19:                               ;   in Loop: Header=BB183_17 Depth=2
	v_mov_b32_e32 v40, v27
	s_delay_alu instid0(VALU_DEP_1) | instskip(NEXT) | instid1(VALU_DEP_1)
	v_lshlrev_b64 v[21:22], 1, v[39:40]
	v_add_co_u32 v21, vcc_lo, s12, v21
	s_delay_alu instid0(VALU_DEP_2)
	v_add_co_ci_u32_e32 v22, vcc_lo, s13, v22, vcc_lo
	global_load_b128 v[21:24], v[21:22], off
.LBB183_20:                             ;   in Loop: Header=BB183_17 Depth=2
	s_and_not1_saveexec_b32 s3, s3
	s_cbranch_execz .LBB183_15
; %bb.21:                               ;   in Loop: Header=BB183_17 Depth=2
	s_waitcnt vmcnt(0)
	ds_load_b128 v[21:24], v46
	s_branch .LBB183_15
.LBB183_22:                             ;   in Loop: Header=BB183_13 Depth=1
	s_delay_alu instid0(VALU_DEP_1)
	v_cvt_i32_f32_e32 v5, v48
	s_waitcnt lgkmcnt(0)
	v_cvt_i32_f32_e32 v6, v47
	v_cvt_i32_f32_e32 v7, v45
	;; [unrolled: 1-line block ×3, first 2 shown]
	v_cvt_f32_i32_dpp v5, v5 row_shr:8 row_mask:0xf bank_mask:0xf bound_ctrl:1
	s_delay_alu instid0(VALU_DEP_4) | instskip(NEXT) | instid1(VALU_DEP_4)
	v_cvt_f32_i32_dpp v6, v6 row_shr:8 row_mask:0xf bank_mask:0xf bound_ctrl:1
	v_cvt_f32_i32_dpp v7, v7 row_shr:8 row_mask:0xf bank_mask:0xf bound_ctrl:1
	s_delay_alu instid0(VALU_DEP_4) | instskip(NEXT) | instid1(VALU_DEP_3)
	v_cvt_f32_i32_dpp v8, v8 row_shr:8 row_mask:0xf bank_mask:0xf bound_ctrl:1
	v_dual_add_f32 v5, v48, v5 :: v_dual_add_f32 v6, v47, v6
	s_delay_alu instid0(VALU_DEP_2) | instskip(NEXT) | instid1(VALU_DEP_2)
	v_dual_add_f32 v7, v45, v7 :: v_dual_add_f32 v8, v44, v8
	v_cvt_i32_f32_e32 v9, v5
	s_delay_alu instid0(VALU_DEP_3) | instskip(SKIP_1) | instid1(VALU_DEP_3)
	v_cvt_i32_f32_e32 v10, v6
	s_waitcnt vmcnt(0)
	v_cvt_i32_f32_e32 v11, v7
	v_cvt_i32_f32_e32 v12, v8
	v_cvt_f32_i32_dpp v9, v9 row_shr:4 row_mask:0xf bank_mask:0xf bound_ctrl:1
	v_cvt_f32_i32_dpp v10, v10 row_shr:4 row_mask:0xf bank_mask:0xf bound_ctrl:1
	s_delay_alu instid0(VALU_DEP_4) | instskip(NEXT) | instid1(VALU_DEP_4)
	v_cvt_f32_i32_dpp v11, v11 row_shr:4 row_mask:0xf bank_mask:0xf bound_ctrl:1
	v_cvt_f32_i32_dpp v12, v12 row_shr:4 row_mask:0xf bank_mask:0xf bound_ctrl:1
	s_delay_alu instid0(VALU_DEP_3) | instskip(NEXT) | instid1(VALU_DEP_2)
	v_dual_add_f32 v5, v5, v9 :: v_dual_add_f32 v6, v6, v10
	v_dual_add_f32 v7, v7, v11 :: v_dual_add_f32 v8, v8, v12
	s_delay_alu instid0(VALU_DEP_2) | instskip(NEXT) | instid1(VALU_DEP_3)
	v_cvt_i32_f32_e32 v9, v5
	v_cvt_i32_f32_e32 v10, v6
	s_delay_alu instid0(VALU_DEP_3) | instskip(NEXT) | instid1(VALU_DEP_4)
	v_cvt_i32_f32_e32 v11, v7
	v_cvt_i32_f32_e32 v12, v8
	s_delay_alu instid0(VALU_DEP_4) | instskip(NEXT) | instid1(VALU_DEP_4)
	v_cvt_f32_i32_dpp v9, v9 row_shr:2 row_mask:0xf bank_mask:0xf bound_ctrl:1
	v_cvt_f32_i32_dpp v10, v10 row_shr:2 row_mask:0xf bank_mask:0xf bound_ctrl:1
	s_delay_alu instid0(VALU_DEP_4) | instskip(NEXT) | instid1(VALU_DEP_4)
	v_cvt_f32_i32_dpp v11, v11 row_shr:2 row_mask:0xf bank_mask:0xf bound_ctrl:1
	v_cvt_f32_i32_dpp v12, v12 row_shr:2 row_mask:0xf bank_mask:0xf bound_ctrl:1
	s_delay_alu instid0(VALU_DEP_3) | instskip(NEXT) | instid1(VALU_DEP_2)
	v_dual_add_f32 v5, v5, v9 :: v_dual_add_f32 v6, v6, v10
	v_dual_add_f32 v7, v7, v11 :: v_dual_add_f32 v8, v8, v12
	s_delay_alu instid0(VALU_DEP_2) | instskip(NEXT) | instid1(VALU_DEP_3)
	v_cvt_i32_f32_e32 v9, v5
	v_cvt_i32_f32_e32 v10, v6
	s_delay_alu instid0(VALU_DEP_3) | instskip(NEXT) | instid1(VALU_DEP_4)
	v_cvt_i32_f32_e32 v11, v7
	v_cvt_i32_f32_e32 v12, v8
	s_delay_alu instid0(VALU_DEP_4) | instskip(NEXT) | instid1(VALU_DEP_4)
	v_cvt_f32_i32_dpp v9, v9 row_shr:1 row_mask:0xf bank_mask:0xf bound_ctrl:1
	v_cvt_f32_i32_dpp v10, v10 row_shr:1 row_mask:0xf bank_mask:0xf bound_ctrl:1
	s_delay_alu instid0(VALU_DEP_4) | instskip(NEXT) | instid1(VALU_DEP_4)
	v_cvt_f32_i32_dpp v11, v11 row_shr:1 row_mask:0xf bank_mask:0xf bound_ctrl:1
	v_cvt_f32_i32_dpp v13, v12 row_shr:1 row_mask:0xf bank_mask:0xf bound_ctrl:1
	s_delay_alu instid0(VALU_DEP_3) | instskip(NEXT) | instid1(VALU_DEP_3)
	v_dual_add_f32 v12, v5, v9 :: v_dual_add_f32 v9, v6, v10
	v_add_f32_e32 v7, v7, v11
	s_delay_alu instid0(VALU_DEP_3)
	v_add_f32_e32 v5, v8, v13
	ds_bpermute_b32 v13, v42, v12
	ds_bpermute_b32 v10, v42, v9
	;; [unrolled: 1-line block ×4, first 2 shown]
	s_and_saveexec_b32 s1, s0
	s_cbranch_execz .LBB183_49
; %bb.23:                               ;   in Loop: Header=BB183_13 Depth=1
	v_dual_mov_b32 v11, 0 :: v_dual_mov_b32 v14, 0
	v_dual_mov_b32 v15, 0 :: v_dual_mov_b32 v16, 0
	s_and_not1_b32 vcc_lo, exec_lo, s21
	s_cbranch_vccnz .LBB183_25
; %bb.24:                               ;   in Loop: Header=BB183_13 Depth=1
	v_mul_hi_u32 v11, v25, v43
	v_mul_hi_u32 v14, v30, v43
	;; [unrolled: 1-line block ×4, first 2 shown]
	s_delay_alu instid0(VALU_DEP_4) | instskip(NEXT) | instid1(VALU_DEP_4)
	v_mul_lo_u32 v11, v11, s18
	v_mul_lo_u32 v14, v14, s18
	s_delay_alu instid0(VALU_DEP_4) | instskip(NEXT) | instid1(VALU_DEP_4)
	v_mul_lo_u32 v16, v16, s18
	v_mul_lo_u32 v15, v15, s18
	s_delay_alu instid0(VALU_DEP_4) | instskip(NEXT) | instid1(VALU_DEP_4)
	v_sub_nc_u32_e32 v11, v25, v11
	v_sub_nc_u32_e32 v14, v30, v14
	s_delay_alu instid0(VALU_DEP_4) | instskip(NEXT) | instid1(VALU_DEP_4)
	v_sub_nc_u32_e32 v16, v28, v16
	v_sub_nc_u32_e32 v15, v29, v15
	s_delay_alu instid0(VALU_DEP_4) | instskip(SKIP_1) | instid1(VALU_DEP_4)
	v_subrev_nc_u32_e32 v17, s18, v11
	v_cmp_le_u32_e32 vcc_lo, s18, v11
	v_subrev_nc_u32_e32 v20, s18, v16
	s_delay_alu instid0(VALU_DEP_4) | instskip(NEXT) | instid1(VALU_DEP_4)
	v_subrev_nc_u32_e32 v18, s18, v15
	v_cndmask_b32_e32 v11, v11, v17, vcc_lo
	v_subrev_nc_u32_e32 v17, s18, v14
	v_cmp_le_u32_e32 vcc_lo, s18, v14
	s_delay_alu instid0(VALU_DEP_3) | instskip(NEXT) | instid1(VALU_DEP_3)
	v_subrev_nc_u32_e32 v19, s18, v11
	v_cndmask_b32_e32 v17, v14, v17, vcc_lo
	v_cmp_le_u32_e32 vcc_lo, s18, v11
	s_delay_alu instid0(VALU_DEP_3)
	v_cndmask_b32_e32 v26, v11, v19, vcc_lo
	v_cmp_le_u32_e32 vcc_lo, s18, v15
	v_cndmask_b32_e32 v11, v15, v18, vcc_lo
	v_cmp_le_u32_e32 vcc_lo, s18, v16
	v_subrev_nc_u32_e32 v18, s18, v17
	v_lshlrev_b64 v[14:15], 1, v[26:27]
	v_cndmask_b32_e32 v20, v16, v20, vcc_lo
	v_cmp_le_u32_e32 vcc_lo, s18, v17
	s_delay_alu instid0(VALU_DEP_2) | instskip(SKIP_3) | instid1(VALU_DEP_3)
	v_subrev_nc_u32_e32 v21, s18, v20
	v_cndmask_b32_e32 v26, v17, v18, vcc_lo
	v_subrev_nc_u32_e32 v18, s18, v11
	v_cmp_le_u32_e32 vcc_lo, s18, v11
	v_lshlrev_b64 v[16:17], 1, v[26:27]
	s_delay_alu instid0(VALU_DEP_3) | instskip(SKIP_3) | instid1(VALU_DEP_4)
	v_cndmask_b32_e32 v26, v11, v18, vcc_lo
	v_add_co_u32 v14, vcc_lo, s8, v14
	v_add_co_ci_u32_e32 v15, vcc_lo, s9, v15, vcc_lo
	v_cmp_le_u32_e32 vcc_lo, s18, v20
	v_lshlrev_b64 v[18:19], 1, v[26:27]
	v_cndmask_b32_e32 v26, v20, v21, vcc_lo
	v_add_co_u32 v20, vcc_lo, s8, v16
	v_add_co_ci_u32_e32 v21, vcc_lo, s9, v17, vcc_lo
	s_delay_alu instid0(VALU_DEP_3) | instskip(SKIP_2) | instid1(VALU_DEP_3)
	v_lshlrev_b64 v[16:17], 1, v[26:27]
	v_add_co_u32 v18, vcc_lo, s8, v18
	v_add_co_ci_u32_e32 v19, vcc_lo, s9, v19, vcc_lo
	v_add_co_u32 v22, vcc_lo, s8, v16
	s_delay_alu instid0(VALU_DEP_4)
	v_add_co_ci_u32_e32 v23, vcc_lo, s9, v17, vcc_lo
	s_clause 0x3
	global_load_u16 v16, v[14:15], off
	global_load_u16 v15, v[20:21], off
	;; [unrolled: 1-line block ×4, first 2 shown]
.LBB183_25:                             ;   in Loop: Header=BB183_13 Depth=1
	s_mov_b32 s2, exec_lo
	v_cmpx_ne_u32_e32 0, v1
	s_cbranch_execz .LBB183_31
; %bb.26:                               ;   in Loop: Header=BB183_13 Depth=1
	s_waitcnt vmcnt(3) lgkmcnt(0)
	v_dual_add_f32 v12, v12, v13 :: v_dual_lshlrev_b32 v13, 16, v16
	s_delay_alu instid0(VALU_DEP_1) | instskip(NEXT) | instid1(VALU_DEP_1)
	v_add_f32_e32 v13, v12, v13
	v_and_b32_e32 v12, 0x7f800000, v13
	s_delay_alu instid0(VALU_DEP_1) | instskip(SKIP_1) | instid1(SALU_CYCLE_1)
	v_cmp_ne_u32_e32 vcc_lo, 0x7f800000, v12
                                        ; implicit-def: $vgpr12
	s_and_saveexec_b32 s3, vcc_lo
	s_xor_b32 s3, exec_lo, s3
; %bb.27:                               ;   in Loop: Header=BB183_13 Depth=1
	v_bfe_u32 v12, v13, 16, 1
	s_delay_alu instid0(VALU_DEP_1)
	v_add3_u32 v12, v13, v12, 0x7fff
                                        ; implicit-def: $vgpr13
; %bb.28:                               ;   in Loop: Header=BB183_13 Depth=1
	s_and_not1_saveexec_b32 s3, s3
; %bb.29:                               ;   in Loop: Header=BB183_13 Depth=1
	v_and_b32_e32 v12, 0xffff, v13
	v_or_b32_e32 v16, 0x10000, v13
	s_delay_alu instid0(VALU_DEP_2) | instskip(NEXT) | instid1(VALU_DEP_2)
	v_cmp_eq_u32_e32 vcc_lo, 0, v12
	v_cndmask_b32_e32 v12, v16, v13, vcc_lo
; %bb.30:                               ;   in Loop: Header=BB183_13 Depth=1
	s_or_b32 exec_lo, exec_lo, s3
	v_mov_b32_e32 v26, v27
	s_delay_alu instid0(VALU_DEP_1) | instskip(NEXT) | instid1(VALU_DEP_1)
	v_lshlrev_b64 v[16:17], 1, v[25:26]
	v_add_co_u32 v16, vcc_lo, s14, v16
	s_delay_alu instid0(VALU_DEP_2)
	v_add_co_ci_u32_e32 v17, vcc_lo, s15, v17, vcc_lo
	global_store_d16_hi_b16 v[16:17], v12, off
.LBB183_31:                             ;   in Loop: Header=BB183_13 Depth=1
	s_or_b32 exec_lo, exec_lo, s2
	s_delay_alu instid0(SALU_CYCLE_1)
	s_mov_b32 s2, exec_lo
	v_cmpx_ne_u32_e32 0, v2
	s_cbranch_execz .LBB183_37
; %bb.32:                               ;   in Loop: Header=BB183_13 Depth=1
	s_waitcnt vmcnt(2) lgkmcnt(0)
	v_dual_add_f32 v9, v9, v10 :: v_dual_lshlrev_b32 v10, 16, v15
	s_delay_alu instid0(VALU_DEP_1) | instskip(NEXT) | instid1(VALU_DEP_1)
	v_add_f32_e32 v10, v9, v10
	v_and_b32_e32 v9, 0x7f800000, v10
	s_delay_alu instid0(VALU_DEP_1) | instskip(SKIP_1) | instid1(SALU_CYCLE_1)
	v_cmp_ne_u32_e32 vcc_lo, 0x7f800000, v9
                                        ; implicit-def: $vgpr9
	s_and_saveexec_b32 s3, vcc_lo
	s_xor_b32 s3, exec_lo, s3
; %bb.33:                               ;   in Loop: Header=BB183_13 Depth=1
	v_bfe_u32 v9, v10, 16, 1
	s_delay_alu instid0(VALU_DEP_1)
	v_add3_u32 v9, v10, v9, 0x7fff
                                        ; implicit-def: $vgpr10
; %bb.34:                               ;   in Loop: Header=BB183_13 Depth=1
	s_and_not1_saveexec_b32 s3, s3
; %bb.35:                               ;   in Loop: Header=BB183_13 Depth=1
	v_and_b32_e32 v9, 0xffff, v10
	v_or_b32_e32 v12, 0x10000, v10
	s_delay_alu instid0(VALU_DEP_2) | instskip(NEXT) | instid1(VALU_DEP_2)
	v_cmp_eq_u32_e32 vcc_lo, 0, v9
	v_cndmask_b32_e32 v9, v12, v10, vcc_lo
; %bb.36:                               ;   in Loop: Header=BB183_13 Depth=1
	s_or_b32 exec_lo, exec_lo, s3
	v_mov_b32_e32 v31, v27
	s_delay_alu instid0(VALU_DEP_1) | instskip(NEXT) | instid1(VALU_DEP_1)
	v_lshlrev_b64 v[12:13], 1, v[30:31]
	v_add_co_u32 v12, vcc_lo, s14, v12
	s_delay_alu instid0(VALU_DEP_2)
	v_add_co_ci_u32_e32 v13, vcc_lo, s15, v13, vcc_lo
	global_store_d16_hi_b16 v[12:13], v9, off
.LBB183_37:                             ;   in Loop: Header=BB183_13 Depth=1
	s_or_b32 exec_lo, exec_lo, s2
	s_delay_alu instid0(SALU_CYCLE_1)
	s_mov_b32 s2, exec_lo
	v_cmpx_ne_u32_e32 0, v3
	s_cbranch_execz .LBB183_43
; %bb.38:                               ;   in Loop: Header=BB183_13 Depth=1
	s_waitcnt vmcnt(1) lgkmcnt(0)
	v_dual_add_f32 v7, v7, v8 :: v_dual_lshlrev_b32 v8, 16, v14
	s_delay_alu instid0(VALU_DEP_1) | instskip(NEXT) | instid1(VALU_DEP_1)
	v_add_f32_e32 v8, v7, v8
	v_and_b32_e32 v7, 0x7f800000, v8
	s_delay_alu instid0(VALU_DEP_1) | instskip(SKIP_1) | instid1(SALU_CYCLE_1)
	v_cmp_ne_u32_e32 vcc_lo, 0x7f800000, v7
                                        ; implicit-def: $vgpr7
	s_and_saveexec_b32 s3, vcc_lo
	s_xor_b32 s3, exec_lo, s3
; %bb.39:                               ;   in Loop: Header=BB183_13 Depth=1
	v_bfe_u32 v7, v8, 16, 1
	s_delay_alu instid0(VALU_DEP_1)
	v_add3_u32 v7, v8, v7, 0x7fff
                                        ; implicit-def: $vgpr8
; %bb.40:                               ;   in Loop: Header=BB183_13 Depth=1
	s_and_not1_saveexec_b32 s3, s3
; %bb.41:                               ;   in Loop: Header=BB183_13 Depth=1
	v_and_b32_e32 v7, 0xffff, v8
	v_or_b32_e32 v9, 0x10000, v8
	s_delay_alu instid0(VALU_DEP_2) | instskip(NEXT) | instid1(VALU_DEP_2)
	v_cmp_eq_u32_e32 vcc_lo, 0, v7
	v_cndmask_b32_e32 v7, v9, v8, vcc_lo
; %bb.42:                               ;   in Loop: Header=BB183_13 Depth=1
	s_or_b32 exec_lo, exec_lo, s3
	v_mov_b32_e32 v30, v27
	s_delay_alu instid0(VALU_DEP_1) | instskip(NEXT) | instid1(VALU_DEP_1)
	v_lshlrev_b64 v[8:9], 1, v[29:30]
	v_add_co_u32 v8, vcc_lo, s14, v8
	s_delay_alu instid0(VALU_DEP_2)
	v_add_co_ci_u32_e32 v9, vcc_lo, s15, v9, vcc_lo
	global_store_d16_hi_b16 v[8:9], v7, off
.LBB183_43:                             ;   in Loop: Header=BB183_13 Depth=1
	s_or_b32 exec_lo, exec_lo, s2
	v_cmp_ne_u32_e32 vcc_lo, 0, v4
	s_and_b32 exec_lo, exec_lo, vcc_lo
	s_cbranch_execz .LBB183_49
; %bb.44:                               ;   in Loop: Header=BB183_13 Depth=1
	s_waitcnt vmcnt(0) lgkmcnt(0)
	v_dual_add_f32 v5, v5, v6 :: v_dual_lshlrev_b32 v6, 16, v11
	s_delay_alu instid0(VALU_DEP_1) | instskip(NEXT) | instid1(VALU_DEP_1)
	v_add_f32_e32 v6, v5, v6
	v_and_b32_e32 v5, 0x7f800000, v6
	s_delay_alu instid0(VALU_DEP_1) | instskip(SKIP_1) | instid1(SALU_CYCLE_1)
	v_cmp_ne_u32_e32 vcc_lo, 0x7f800000, v5
                                        ; implicit-def: $vgpr5
	s_and_saveexec_b32 s2, vcc_lo
	s_xor_b32 s2, exec_lo, s2
; %bb.45:                               ;   in Loop: Header=BB183_13 Depth=1
	v_bfe_u32 v5, v6, 16, 1
	s_delay_alu instid0(VALU_DEP_1)
	v_add3_u32 v5, v6, v5, 0x7fff
                                        ; implicit-def: $vgpr6
; %bb.46:                               ;   in Loop: Header=BB183_13 Depth=1
	s_and_not1_saveexec_b32 s2, s2
; %bb.47:                               ;   in Loop: Header=BB183_13 Depth=1
	v_and_b32_e32 v5, 0xffff, v6
	v_or_b32_e32 v7, 0x10000, v6
	s_delay_alu instid0(VALU_DEP_2) | instskip(NEXT) | instid1(VALU_DEP_2)
	v_cmp_eq_u32_e32 vcc_lo, 0, v5
	v_cndmask_b32_e32 v5, v7, v6, vcc_lo
; %bb.48:                               ;   in Loop: Header=BB183_13 Depth=1
	s_or_b32 exec_lo, exec_lo, s2
	v_mov_b32_e32 v29, v27
	s_delay_alu instid0(VALU_DEP_1) | instskip(NEXT) | instid1(VALU_DEP_1)
	v_lshlrev_b64 v[6:7], 1, v[28:29]
	v_add_co_u32 v6, vcc_lo, s14, v6
	s_delay_alu instid0(VALU_DEP_2)
	v_add_co_ci_u32_e32 v7, vcc_lo, s15, v7, vcc_lo
	global_store_d16_hi_b16 v[6:7], v5, off
.LBB183_49:                             ;   in Loop: Header=BB183_13 Depth=1
	s_or_b32 exec_lo, exec_lo, s1
	v_add_nc_u32_e32 v25, s23, v25
	s_delay_alu instid0(VALU_DEP_1) | instskip(SKIP_1) | instid1(VALU_DEP_2)
	v_add_nc_u32_e32 v5, 4, v25
	v_cmp_gt_u32_e32 vcc_lo, s7, v25
	v_cmp_le_u32_e64 s1, s7, v5
	s_delay_alu instid0(VALU_DEP_1) | instskip(NEXT) | instid1(SALU_CYCLE_1)
	s_and_b32 s1, vcc_lo, s1
	s_and_saveexec_b32 s25, s1
	s_cbranch_execz .LBB183_12
; %bb.50:                               ;   in Loop: Header=BB183_13 Depth=1
	s_mov_b32 s26, exec_lo
	v_cmpx_ne_u32_e64 s24, v25
	s_cbranch_execz .LBB183_11
; %bb.51:                               ;   in Loop: Header=BB183_13 Depth=1
	v_subrev_nc_u32_e32 v5, s24, v25
	s_mov_b32 s27, 0
	s_mov_b64 s[16:17], 0
	s_delay_alu instid0(VALU_DEP_1)
	v_cmp_lt_u32_e32 vcc_lo, 1, v5
	v_cndmask_b32_e32 v5, 1, v5, vcc_lo
	.p2align	6
.LBB183_52:                             ;   Parent Loop BB183_13 Depth=1
                                        ; =>  This Inner Loop Header: Depth=2
	s_cmp_lg_u32 s16, 3
	s_cselect_b32 vcc_lo, -1, 0
	s_cmp_lg_u32 s16, 2
	v_cndmask_b32_e32 v4, 0, v4, vcc_lo
	s_cselect_b32 s1, -1, 0
	s_cmp_lg_u32 s16, 1
	v_cndmask_b32_e64 v3, 0, v3, s1
	s_cselect_b32 s2, -1, 0
	s_cmp_lg_u32 s16, 0
	v_cndmask_b32_e64 v2, 0, v2, s2
	s_cselect_b32 s3, -1, 0
	s_add_u32 s16, s16, 1
	v_cndmask_b32_e64 v1, 0, v1, s3
	v_cmp_eq_u32_e32 vcc_lo, s16, v5
	s_addc_u32 s17, s17, 0
	s_or_b32 s27, vcc_lo, s27
	s_delay_alu instid0(SALU_CYCLE_1)
	s_and_not1_b32 exec_lo, exec_lo, s27
	s_cbranch_execnz .LBB183_52
; %bb.53:                               ;   in Loop: Header=BB183_13 Depth=1
	s_or_b32 exec_lo, exec_lo, s27
	s_branch .LBB183_11
.LBB183_54:
	s_nop 0
	s_sendmsg sendmsg(MSG_DEALLOC_VGPRS)
	s_endpgm
	.section	.rodata,"a",@progbits
	.p2align	6, 0x0
	.amdhsa_kernel _Z12wvSplitK_hf_I14__hip_bfloat16Li64ELi4ELi16ELi8ELi1ELi1EEviiiiiiPKT_S3_S3_PS1_ii
		.amdhsa_group_segment_fixed_size 65536
		.amdhsa_private_segment_fixed_size 0
		.amdhsa_kernarg_size 64
		.amdhsa_user_sgpr_count 15
		.amdhsa_user_sgpr_dispatch_ptr 0
		.amdhsa_user_sgpr_queue_ptr 0
		.amdhsa_user_sgpr_kernarg_segment_ptr 1
		.amdhsa_user_sgpr_dispatch_id 0
		.amdhsa_user_sgpr_private_segment_size 0
		.amdhsa_wavefront_size32 1
		.amdhsa_uses_dynamic_stack 0
		.amdhsa_enable_private_segment 0
		.amdhsa_system_sgpr_workgroup_id_x 1
		.amdhsa_system_sgpr_workgroup_id_y 0
		.amdhsa_system_sgpr_workgroup_id_z 0
		.amdhsa_system_sgpr_workgroup_info 0
		.amdhsa_system_vgpr_workitem_id 1
		.amdhsa_next_free_vgpr 51
		.amdhsa_next_free_sgpr 28
		.amdhsa_reserve_vcc 1
		.amdhsa_float_round_mode_32 0
		.amdhsa_float_round_mode_16_64 0
		.amdhsa_float_denorm_mode_32 3
		.amdhsa_float_denorm_mode_16_64 3
		.amdhsa_dx10_clamp 1
		.amdhsa_ieee_mode 1
		.amdhsa_fp16_overflow 0
		.amdhsa_workgroup_processor_mode 1
		.amdhsa_memory_ordered 1
		.amdhsa_forward_progress 0
		.amdhsa_shared_vgpr_count 0
		.amdhsa_exception_fp_ieee_invalid_op 0
		.amdhsa_exception_fp_denorm_src 0
		.amdhsa_exception_fp_ieee_div_zero 0
		.amdhsa_exception_fp_ieee_overflow 0
		.amdhsa_exception_fp_ieee_underflow 0
		.amdhsa_exception_fp_ieee_inexact 0
		.amdhsa_exception_int_div_zero 0
	.end_amdhsa_kernel
	.section	.text._Z12wvSplitK_hf_I14__hip_bfloat16Li64ELi4ELi16ELi8ELi1ELi1EEviiiiiiPKT_S3_S3_PS1_ii,"axG",@progbits,_Z12wvSplitK_hf_I14__hip_bfloat16Li64ELi4ELi16ELi8ELi1ELi1EEviiiiiiPKT_S3_S3_PS1_ii,comdat
.Lfunc_end183:
	.size	_Z12wvSplitK_hf_I14__hip_bfloat16Li64ELi4ELi16ELi8ELi1ELi1EEviiiiiiPKT_S3_S3_PS1_ii, .Lfunc_end183-_Z12wvSplitK_hf_I14__hip_bfloat16Li64ELi4ELi16ELi8ELi1ELi1EEviiiiiiPKT_S3_S3_PS1_ii
                                        ; -- End function
	.section	.AMDGPU.csdata,"",@progbits
; Kernel info:
; codeLenInByte = 3256
; NumSgprs: 30
; NumVgprs: 51
; ScratchSize: 0
; MemoryBound: 0
; FloatMode: 240
; IeeeMode: 1
; LDSByteSize: 65536 bytes/workgroup (compile time only)
; SGPRBlocks: 3
; VGPRBlocks: 6
; NumSGPRsForWavesPerEU: 30
; NumVGPRsForWavesPerEU: 51
; Occupancy: 16
; WaveLimiterHint : 0
; COMPUTE_PGM_RSRC2:SCRATCH_EN: 0
; COMPUTE_PGM_RSRC2:USER_SGPR: 15
; COMPUTE_PGM_RSRC2:TRAP_HANDLER: 0
; COMPUTE_PGM_RSRC2:TGID_X_EN: 1
; COMPUTE_PGM_RSRC2:TGID_Y_EN: 0
; COMPUTE_PGM_RSRC2:TGID_Z_EN: 0
; COMPUTE_PGM_RSRC2:TIDIG_COMP_CNT: 1
	.section	.text._Z16wvSplitK_hf_big_I14__hip_bfloat16Li64ELi4ELi16ELi8ELi1ELi1EEviiiiiiPKT_S3_S3_PS1_ii,"axG",@progbits,_Z16wvSplitK_hf_big_I14__hip_bfloat16Li64ELi4ELi16ELi8ELi1ELi1EEviiiiiiPKT_S3_S3_PS1_ii,comdat
	.protected	_Z16wvSplitK_hf_big_I14__hip_bfloat16Li64ELi4ELi16ELi8ELi1ELi1EEviiiiiiPKT_S3_S3_PS1_ii ; -- Begin function _Z16wvSplitK_hf_big_I14__hip_bfloat16Li64ELi4ELi16ELi8ELi1ELi1EEviiiiiiPKT_S3_S3_PS1_ii
	.globl	_Z16wvSplitK_hf_big_I14__hip_bfloat16Li64ELi4ELi16ELi8ELi1ELi1EEviiiiiiPKT_S3_S3_PS1_ii
	.p2align	8
	.type	_Z16wvSplitK_hf_big_I14__hip_bfloat16Li64ELi4ELi16ELi8ELi1ELi1EEviiiiiiPKT_S3_S3_PS1_ii,@function
_Z16wvSplitK_hf_big_I14__hip_bfloat16Li64ELi4ELi16ELi8ELi1ELi1EEviiiiiiPKT_S3_S3_PS1_ii: ; @_Z16wvSplitK_hf_big_I14__hip_bfloat16Li64ELi4ELi16ELi8ELi1ELi1EEviiiiiiPKT_S3_S3_PS1_ii
; %bb.0:
	s_load_b64 s[12:13], s[0:1], 0x38
	v_bfe_u32 v5, v0, 10, 10
	s_mov_b32 s2, exec_lo
	s_waitcnt lgkmcnt(0)
	s_delay_alu instid0(VALU_DEP_1)
	v_cmpx_gt_u32_e64 s12, v5
	s_cbranch_execz .LBB184_62
; %bb.1:
	s_load_b128 s[16:19], s[0:1], 0x0
	s_mul_i32 s15, s15, s12
	s_mov_b32 s4, 1
	v_add_lshl_u32 v25, s15, v5, 2
	s_mov_b32 s5, s4
	s_mov_b32 s6, s4
	;; [unrolled: 1-line block ×3, first 2 shown]
	s_delay_alu instid0(VALU_DEP_1) | instskip(SKIP_2) | instid1(VALU_DEP_2)
	v_add_nc_u32_e32 v1, 4, v25
	s_waitcnt lgkmcnt(0)
	v_cmp_gt_u32_e32 vcc_lo, s19, v25
	v_cmp_le_u32_e64 s2, s19, v1
	v_dual_mov_b32 v1, s4 :: v_dual_mov_b32 v4, s7
	v_dual_mov_b32 v2, s5 :: v_dual_mov_b32 v3, s6
	s_delay_alu instid0(VALU_DEP_3) | instskip(NEXT) | instid1(SALU_CYCLE_1)
	s_and_b32 s2, vcc_lo, s2
	s_and_saveexec_b32 s8, s2
	s_cbranch_execz .LBB184_7
; %bb.2:
	v_dual_mov_b32 v1, s4 :: v_dual_mov_b32 v2, s5
	v_dual_mov_b32 v3, s6 :: v_dual_mov_b32 v4, s7
	s_add_i32 s9, s19, -4
	s_mov_b32 s10, exec_lo
	v_cmpx_ne_u32_e64 s9, v25
	s_cbranch_execz .LBB184_6
; %bb.3:
	v_subrev_nc_u32_e32 v1, s9, v25
	s_mov_b32 s11, 0
	s_mov_b64 s[2:3], 0
	s_mov_b32 s5, s4
	s_mov_b32 s6, s4
	v_cmp_lt_u32_e32 vcc_lo, 1, v1
	s_mov_b32 s7, s4
	v_cndmask_b32_e32 v6, 1, v1, vcc_lo
	.p2align	6
.LBB184_4:                              ; =>This Inner Loop Header: Depth=1
	s_cmp_lg_u32 s2, 3
	s_cselect_b32 s7, s7, 0
	s_cmp_lg_u32 s2, 2
	s_cselect_b32 s6, s6, 0
	;; [unrolled: 2-line block ×4, first 2 shown]
	s_add_u32 s2, s2, 1
	v_dual_mov_b32 v1, s4 :: v_dual_mov_b32 v2, s5
	v_cmp_eq_u32_e32 vcc_lo, s2, v6
	v_dual_mov_b32 v3, s6 :: v_dual_mov_b32 v4, s7
	s_addc_u32 s3, s3, 0
	s_or_b32 s11, vcc_lo, s11
	s_delay_alu instid0(SALU_CYCLE_1)
	s_and_not1_b32 exec_lo, exec_lo, s11
	s_cbranch_execnz .LBB184_4
; %bb.5:
	s_or_b32 exec_lo, exec_lo, s11
	v_mov_b32_e32 v25, s9
.LBB184_6:
	s_or_b32 exec_lo, exec_lo, s10
.LBB184_7:
	s_delay_alu instid0(SALU_CYCLE_1)
	s_or_b32 exec_lo, exec_lo, s8
	s_lshl_b32 s2, s12, 2
	s_abs_i32 s6, s19
	s_abs_i32 s3, s2
	s_mov_b32 s15, 0
	v_cvt_f32_u32_e32 v6, s3
	s_sub_i32 s5, 0, s3
	s_delay_alu instid0(VALU_DEP_1) | instskip(SKIP_2) | instid1(VALU_DEP_1)
	v_rcp_iflag_f32_e32 v6, v6
	s_waitcnt_depctr 0xfff
	v_mul_f32_e32 v6, 0x4f7ffffe, v6
	v_cvt_u32_f32_e32 v6, v6
	s_delay_alu instid0(VALU_DEP_1) | instskip(NEXT) | instid1(VALU_DEP_1)
	v_readfirstlane_b32 s4, v6
	s_mul_i32 s5, s5, s4
	s_delay_alu instid0(SALU_CYCLE_1) | instskip(NEXT) | instid1(SALU_CYCLE_1)
	s_mul_hi_u32 s5, s4, s5
	s_add_i32 s4, s4, s5
	s_ashr_i32 s5, s19, 31
	s_mul_hi_u32 s4, s6, s4
	s_delay_alu instid0(SALU_CYCLE_1) | instskip(NEXT) | instid1(SALU_CYCLE_1)
	s_mul_i32 s4, s4, s3
	s_sub_i32 s4, s6, s4
	s_delay_alu instid0(SALU_CYCLE_1) | instskip(SKIP_2) | instid1(SALU_CYCLE_1)
	s_sub_i32 s6, s4, s3
	s_cmp_ge_u32 s4, s3
	s_cselect_b32 s4, s6, s4
	s_sub_i32 s6, s4, s3
	s_cmp_ge_u32 s4, s3
	s_cselect_b32 s3, s6, s4
	s_add_i32 s2, s2, s19
	s_xor_b32 s3, s3, s5
	s_delay_alu instid0(SALU_CYCLE_1) | instskip(NEXT) | instid1(SALU_CYCLE_1)
	s_sub_i32 s3, s3, s5
	s_sub_i32 s2, s2, s3
	s_cmp_eq_u32 s3, 0
	s_cselect_b32 s14, s19, s2
	s_delay_alu instid0(SALU_CYCLE_1)
	v_cmp_gt_u32_e32 vcc_lo, s14, v25
	s_and_b32 exec_lo, exec_lo, vcc_lo
	s_cbranch_execz .LBB184_62
; %bb.8:
	s_clause 0x1
	s_load_b32 s20, s[0:1], 0x10
	s_load_b256 s[4:11], s[0:1], 0x18
	s_min_u32 s21, s18, 0x8000
	v_and_b32_e32 v8, 0x3ff, v0
	s_cmp_lg_u32 s16, 0
	s_mul_i32 s0, s13, s12
	s_cselect_b32 s22, -1, 0
	s_cmp_lg_u32 s18, 0
	v_lshlrev_b32_e32 v0, 3, v8
	s_cselect_b32 s23, -1, 0
	s_lshl_b32 s24, s12, 9
	s_add_i32 s25, s16, -8
	s_add_i32 s26, s19, -1
	s_lshl_b32 s27, s0, 2
	v_lshl_add_u32 v38, v5, 9, v0
	v_mbcnt_lo_u32_b32 v40, -1, 0
	v_lshlrev_b32_e32 v9, 4, v8
	s_waitcnt lgkmcnt(0)
	v_cvt_f32_u32_e32 v6, s20
	s_cmp_lg_u64 s[8:9], 0
	s_delay_alu instid0(VALU_DEP_2)
	v_lshl_add_u32 v37, v5, 10, v9
	s_cselect_b32 s28, -1, 0
	s_sub_i32 s0, 0, s20
	v_rcp_iflag_f32_e32 v6, v6
	s_add_i32 s29, s19, -4
	s_add_u32 s30, s10, 2
	s_addc_u32 s31, s11, 0
	s_lshl_b32 s33, s12, 10
	s_waitcnt_depctr 0xfff
	v_mul_f32_e32 v6, 0x4f7ffffe, v6
	s_delay_alu instid0(VALU_DEP_1) | instskip(NEXT) | instid1(VALU_DEP_1)
	v_cvt_u32_f32_e32 v6, v6
	v_mul_lo_u32 v7, s0, v6
	v_cmp_eq_u32_e64 s0, 63, v8
	s_delay_alu instid0(VALU_DEP_2) | instskip(NEXT) | instid1(VALU_DEP_1)
	v_mul_hi_u32 v7, v6, v7
	v_dual_mov_b32 v28, 0 :: v_dual_add_nc_u32 v39, v6, v7
	s_branch .LBB184_12
.LBB184_9:                              ;   in Loop: Header=BB184_12 Depth=1
	s_or_b32 exec_lo, exec_lo, s36
	v_mov_b32_e32 v25, s29
.LBB184_10:                             ;   in Loop: Header=BB184_12 Depth=1
	s_or_b32 exec_lo, exec_lo, s35
.LBB184_11:                             ;   in Loop: Header=BB184_12 Depth=1
	s_delay_alu instid0(SALU_CYCLE_1) | instskip(NEXT) | instid1(VALU_DEP_1)
	s_or_b32 exec_lo, exec_lo, s34
	v_cmp_le_u32_e32 vcc_lo, s14, v25
	s_or_b32 s15, vcc_lo, s15
	s_delay_alu instid0(SALU_CYCLE_1)
	s_and_not1_b32 exec_lo, exec_lo, s15
	s_cbranch_execz .LBB184_62
.LBB184_12:                             ; =>This Loop Header: Depth=1
                                        ;     Child Loop BB184_16 Depth 2
                                        ;       Child Loop BB184_21 Depth 3
                                        ;     Child Loop BB184_60 Depth 2
	s_delay_alu instid0(VALU_DEP_1)
	v_mov_b32_e32 v26, v28
	v_mov_b32_e32 v41, v28
	;; [unrolled: 1-line block ×4, first 2 shown]
	s_and_not1_b32 vcc_lo, exec_lo, s22
	s_mov_b32 s3, 0
	s_cbranch_vccnz .LBB184_27
; %bb.13:                               ;   in Loop: Header=BB184_12 Depth=1
	v_dual_mov_b32 v43, 0 :: v_dual_add_nc_u32 v6, 2, v25
	v_add_nc_u32_e32 v5, 1, v25
	s_waitcnt lgkmcnt(1)
	v_add_nc_u32_e32 v7, 3, v25
	v_min_u32_e32 v8, s26, v25
	v_min_u32_e32 v6, s26, v6
	v_dual_mov_b32 v10, v28 :: v_dual_mov_b32 v41, 0
	v_cmp_gt_u32_e64 s1, s19, v25
	s_delay_alu instid0(VALU_DEP_4)
	v_mul_lo_u32 v27, v8, s17
	v_mov_b32_e32 v8, v28
	s_waitcnt lgkmcnt(0)
	v_min_u32_e32 v9, s26, v7
	v_mul_lo_u32 v7, v6, s17
	v_mov_b32_e32 v6, v28
	v_min_u32_e32 v5, s26, v5
	v_mov_b32_e32 v42, 0
	v_mul_lo_u32 v9, v9, s17
	v_lshlrev_b64 v[29:30], 1, v[27:28]
	v_mov_b32_e32 v26, 0
	v_mul_lo_u32 v5, v5, s17
	v_lshlrev_b64 v[33:34], 1, v[7:8]
	s_mov_b32 s12, 0
	v_lshlrev_b64 v[35:36], 1, v[9:10]
	s_delay_alu instid0(VALU_DEP_3)
	v_lshlrev_b64 v[31:32], 1, v[5:6]
	s_branch .LBB184_16
.LBB184_14:                             ;   in Loop: Header=BB184_16 Depth=2
	s_or_b32 exec_lo, exec_lo, s13
	s_waitcnt lgkmcnt(0)
	v_and_b32_e32 v45, 0xffff0000, v22
	v_and_b32_e32 v47, 0xffff0000, v23
	s_waitcnt vmcnt(3)
	v_and_b32_e32 v46, 0xffff0000, v18
	v_and_b32_e32 v27, 0xffff0000, v21
	v_lshlrev_b32_e32 v23, 16, v23
	v_and_b32_e32 v44, 0xffff0000, v17
	v_lshlrev_b32_e32 v22, 16, v22
	v_lshlrev_b32_e32 v18, 16, v18
	v_dual_mul_f32 v46, v45, v46 :: v_dual_lshlrev_b32 v21, 16, v21
	s_delay_alu instid0(VALU_DEP_4) | instskip(NEXT) | instid1(VALU_DEP_2)
	v_dual_mul_f32 v44, v27, v44 :: v_dual_lshlrev_b32 v17, 16, v17
	v_fmac_f32_e32 v46, v22, v18
	s_delay_alu instid0(VALU_DEP_2) | instskip(SKIP_1) | instid1(VALU_DEP_1)
	v_fmac_f32_e32 v44, v21, v17
	s_waitcnt vmcnt(2)
	v_dual_add_f32 v43, v43, v44 :: v_dual_and_b32 v18, 0xffff0000, v13
	s_delay_alu instid0(VALU_DEP_1) | instskip(NEXT) | instid1(VALU_DEP_1)
	v_dual_mul_f32 v18, v27, v18 :: v_dual_lshlrev_b32 v13, 16, v13
	v_dual_fmac_f32 v18, v21, v13 :: v_dual_and_b32 v17, 0xffff0000, v19
	s_delay_alu instid0(VALU_DEP_1) | instskip(SKIP_1) | instid1(VALU_DEP_3)
	v_mul_f32_e32 v17, v47, v17
	v_lshlrev_b32_e32 v13, 16, v14
	v_dual_add_f32 v18, v42, v18 :: v_dual_lshlrev_b32 v19, 16, v19
	s_delay_alu instid0(VALU_DEP_1) | instskip(SKIP_1) | instid1(VALU_DEP_1)
	v_fmac_f32_e32 v17, v23, v19
	v_add_f32_e32 v19, v43, v46
	v_add_f32_e32 v17, v19, v17
	v_lshlrev_b32_e32 v19, 16, v24
	v_and_b32_e32 v43, 0xffff0000, v14
	s_delay_alu instid0(VALU_DEP_1) | instskip(NEXT) | instid1(VALU_DEP_1)
	v_mul_f32_e32 v14, v45, v43
	v_fmac_f32_e32 v14, v22, v13
	s_delay_alu instid0(VALU_DEP_1)
	v_add_f32_e32 v14, v18, v14
	s_waitcnt vmcnt(1)
	v_and_b32_e32 v18, 0xffff0000, v10
	v_lshlrev_b32_e32 v13, 16, v15
	v_and_b32_e32 v44, 0xffff0000, v24
	v_and_b32_e32 v24, 0xffff0000, v15
	s_delay_alu instid0(VALU_DEP_1) | instskip(SKIP_1) | instid1(VALU_DEP_2)
	v_dual_mul_f32 v15, v47, v24 :: v_dual_and_b32 v24, 0xffff0000, v9
	v_lshlrev_b32_e32 v9, 16, v9
	v_fmac_f32_e32 v15, v23, v13
	s_delay_alu instid0(VALU_DEP_3) | instskip(NEXT) | instid1(VALU_DEP_2)
	v_mul_f32_e32 v13, v27, v24
	v_dual_add_f32 v14, v14, v15 :: v_dual_and_b32 v43, 0xffff0000, v20
	s_delay_alu instid0(VALU_DEP_2) | instskip(NEXT) | instid1(VALU_DEP_2)
	v_fmac_f32_e32 v13, v21, v9
	v_dual_mul_f32 v42, v44, v43 :: v_dual_lshlrev_b32 v9, 16, v10
	s_delay_alu instid0(VALU_DEP_2) | instskip(SKIP_3) | instid1(VALU_DEP_1)
	v_add_f32_e32 v13, v41, v13
	v_mul_f32_e32 v10, v45, v18
	s_waitcnt vmcnt(0)
	v_and_b32_e32 v18, 0xffff0000, v5
	v_dual_mul_f32 v18, v27, v18 :: v_dual_lshlrev_b32 v5, 16, v5
	s_delay_alu instid0(VALU_DEP_1) | instskip(SKIP_3) | instid1(VALU_DEP_4)
	v_dual_fmac_f32 v18, v21, v5 :: v_dual_and_b32 v15, 0xffff0000, v16
	v_fmac_f32_e32 v10, v22, v9
	v_lshlrev_b32_e32 v20, 16, v20
	v_and_b32_e32 v9, 0xffff0000, v11
	v_dual_add_f32 v18, v26, v18 :: v_dual_lshlrev_b32 v11, 16, v11
	s_delay_alu instid0(VALU_DEP_3) | instskip(SKIP_1) | instid1(VALU_DEP_4)
	v_dual_mul_f32 v15, v44, v15 :: v_dual_fmac_f32 v42, v19, v20
	v_add_f32_e32 v10, v13, v10
	v_dual_mul_f32 v9, v47, v9 :: v_dual_lshlrev_b32 v16, 16, v16
	v_and_b32_e32 v20, 0xffff0000, v6
	v_lshlrev_b32_e32 v5, 16, v6
	v_add_f32_e32 v43, v17, v42
	s_delay_alu instid0(VALU_DEP_4) | instskip(NEXT) | instid1(VALU_DEP_4)
	v_fmac_f32_e32 v15, v19, v16
	v_dual_fmac_f32 v9, v23, v11 :: v_dual_mul_f32 v6, v45, v20
	v_and_b32_e32 v11, 0xffff0000, v7
	s_delay_alu instid0(VALU_DEP_3) | instskip(NEXT) | instid1(VALU_DEP_3)
	v_add_f32_e32 v42, v14, v15
	v_add_f32_e32 v9, v10, v9
	s_delay_alu instid0(VALU_DEP_4) | instskip(SKIP_1) | instid1(VALU_DEP_2)
	v_dual_fmac_f32 v6, v22, v5 :: v_dual_and_b32 v13, 0xffff0000, v12
	v_lshlrev_b32_e32 v5, 16, v7
	v_dual_mul_f32 v7, v47, v11 :: v_dual_add_f32 v6, v18, v6
	v_lshlrev_b32_e32 v11, 16, v12
	s_delay_alu instid0(VALU_DEP_4) | instskip(NEXT) | instid1(VALU_DEP_3)
	v_dual_mul_f32 v13, v44, v13 :: v_dual_and_b32 v12, 0xffff0000, v8
	v_fmac_f32_e32 v7, v23, v5
	v_lshlrev_b32_e32 v5, 16, v8
	s_delay_alu instid0(VALU_DEP_3) | instskip(NEXT) | instid1(VALU_DEP_3)
	v_mul_f32_e32 v8, v44, v12
	v_add_f32_e32 v6, v6, v7
	v_fmac_f32_e32 v13, v19, v11
	s_delay_alu instid0(VALU_DEP_3) | instskip(NEXT) | instid1(VALU_DEP_1)
	v_fmac_f32_e32 v8, v19, v5
	v_dual_add_f32 v41, v9, v13 :: v_dual_add_f32 v26, v6, v8
.LBB184_15:                             ;   in Loop: Header=BB184_16 Depth=2
	s_or_b32 exec_lo, exec_lo, s2
	s_addk_i32 s12, 0x200
	s_delay_alu instid0(SALU_CYCLE_1)
	s_cmp_ge_u32 s12, s16
	s_cbranch_scc1 .LBB184_27
.LBB184_16:                             ;   Parent Loop BB184_12 Depth=1
                                        ; =>  This Loop Header: Depth=2
                                        ;       Child Loop BB184_21 Depth 3
	s_cmp_eq_u32 s12, 0
	s_cselect_b32 s13, -1, 0
	s_add_i32 s2, s3, s21
	s_delay_alu instid0(SALU_CYCLE_1) | instskip(SKIP_1) | instid1(SALU_CYCLE_1)
	s_cmp_eq_u32 s12, s2
	s_cselect_b32 s34, -1, 0
	s_or_b32 s34, s13, s34
	s_delay_alu instid0(SALU_CYCLE_1)
	s_and_not1_b32 vcc_lo, exec_lo, s34
	s_cbranch_vccz .LBB184_18
; %bb.17:                               ;   in Loop: Header=BB184_16 Depth=2
	s_and_saveexec_b32 s2, s1
	s_cbranch_execz .LBB184_15
	s_branch .LBB184_25
.LBB184_18:                             ;   in Loop: Header=BB184_16 Depth=2
	s_and_b32 s13, s13, exec_lo
	s_cselect_b32 s3, s3, s2
	s_and_not1_b32 vcc_lo, exec_lo, s23
	s_waitcnt vmcnt(0)
	s_waitcnt_vscnt null, 0x0
	s_barrier
	buffer_gl0_inv
	s_cbranch_vccnz .LBB184_24
; %bb.19:                               ;   in Loop: Header=BB184_16 Depth=2
	v_dual_mov_b32 v6, v37 :: v_dual_add_nc_u32 v5, s3, v38
	s_mov_b32 s13, 0
	s_mov_b32 s34, 0
                                        ; implicit-def: $sgpr35
	s_set_inst_prefetch_distance 0x1
	s_branch .LBB184_21
	.p2align	6
.LBB184_20:                             ;   in Loop: Header=BB184_21 Depth=3
	s_or_b32 exec_lo, exec_lo, s2
	s_delay_alu instid0(SALU_CYCLE_1) | instskip(NEXT) | instid1(SALU_CYCLE_1)
	s_and_b32 s2, exec_lo, s35
	s_or_b32 s13, s2, s13
	s_delay_alu instid0(SALU_CYCLE_1)
	s_and_not1_b32 exec_lo, exec_lo, s13
	s_cbranch_execz .LBB184_23
.LBB184_21:                             ;   Parent Loop BB184_12 Depth=1
                                        ;     Parent Loop BB184_16 Depth=2
                                        ; =>    This Inner Loop Header: Depth=3
	v_add_nc_u32_e32 v27, s34, v5
	v_add_nc_u32_e32 v7, s34, v38
	s_or_b32 s35, s35, exec_lo
	s_delay_alu instid0(VALU_DEP_2) | instskip(NEXT) | instid1(VALU_DEP_2)
	v_cmp_gt_u32_e32 vcc_lo, s18, v27
	v_cmp_gt_u32_e64 s2, s21, v7
	s_delay_alu instid0(VALU_DEP_1) | instskip(NEXT) | instid1(SALU_CYCLE_1)
	s_and_b32 s36, s2, vcc_lo
	s_and_saveexec_b32 s2, s36
	s_cbranch_execz .LBB184_20
; %bb.22:                               ;   in Loop: Header=BB184_21 Depth=3
	v_lshlrev_b64 v[7:8], 1, v[27:28]
	s_add_i32 s34, s34, s24
	s_delay_alu instid0(SALU_CYCLE_1) | instskip(SKIP_1) | instid1(VALU_DEP_1)
	s_cmp_ge_u32 s34, s21
	s_cselect_b32 s36, -1, 0
	v_add_co_u32 v7, vcc_lo, s6, v7
	s_delay_alu instid0(VALU_DEP_2) | instskip(SKIP_2) | instid1(SALU_CYCLE_1)
	v_add_co_ci_u32_e32 v8, vcc_lo, s7, v8, vcc_lo
	s_and_not1_b32 s35, s35, exec_lo
	s_and_b32 s36, s36, exec_lo
	s_or_b32 s35, s35, s36
	global_load_b128 v[7:10], v[7:8], off
	s_waitcnt vmcnt(0)
	ds_store_b128 v6, v[7:10]
	v_add_nc_u32_e32 v6, s33, v6
	s_branch .LBB184_20
.LBB184_23:                             ;   in Loop: Header=BB184_16 Depth=2
	s_set_inst_prefetch_distance 0x2
	s_or_b32 exec_lo, exec_lo, s13
.LBB184_24:                             ;   in Loop: Header=BB184_16 Depth=2
	s_waitcnt lgkmcnt(0)
	s_barrier
	buffer_gl0_inv
	s_and_saveexec_b32 s2, s1
	s_cbranch_execz .LBB184_15
.LBB184_25:                             ;   in Loop: Header=BB184_16 Depth=2
	v_dual_mov_b32 v23, 0 :: v_dual_add_nc_u32 v44, s12, v0
	v_mov_b32_e32 v24, 0
	s_mov_b32 s13, exec_lo
	s_delay_alu instid0(VALU_DEP_2) | instskip(NEXT) | instid1(VALU_DEP_1)
	v_min_u32_e32 v27, s25, v44
	v_lshlrev_b64 v[5:6], 1, v[27:28]
	s_delay_alu instid0(VALU_DEP_1) | instskip(SKIP_1) | instid1(VALU_DEP_2)
	v_add_co_u32 v11, vcc_lo, s4, v5
	s_waitcnt vmcnt(0)
	v_add_co_ci_u32_e32 v12, vcc_lo, s5, v6, vcc_lo
	s_delay_alu instid0(VALU_DEP_2) | instskip(NEXT) | instid1(VALU_DEP_2)
	v_add_co_u32 v5, vcc_lo, v11, v29
	v_add_co_ci_u32_e32 v6, vcc_lo, v12, v30, vcc_lo
	v_add_co_u32 v7, vcc_lo, v11, v31
	v_add_co_ci_u32_e32 v8, vcc_lo, v12, v32, vcc_lo
	;; [unrolled: 2-line block ×4, first 2 shown]
	s_clause 0x3
	global_load_b128 v[17:20], v[5:6], off slc dlc
	global_load_b128 v[13:16], v[7:8], off slc dlc
	global_load_b128 v[9:12], v[9:10], off slc dlc
	global_load_b128 v[5:8], v[21:22], off slc dlc
	v_dual_mov_b32 v21, 0 :: v_dual_mov_b32 v22, 0
	v_cmpx_gt_u32_e64 s16, v44
	s_cbranch_execz .LBB184_14
; %bb.26:                               ;   in Loop: Header=BB184_16 Depth=2
	v_subrev_nc_u32_e32 v21, s3, v44
	s_delay_alu instid0(VALU_DEP_1)
	v_lshlrev_b32_e32 v21, 1, v21
	ds_load_b128 v[21:24], v21
	s_branch .LBB184_14
.LBB184_27:                             ;   in Loop: Header=BB184_12 Depth=1
	s_mov_b32 s1, exec_lo
	v_cmpx_le_u32_e64 s19, v25
	s_xor_b32 s1, exec_lo, s1
; %bb.28:                               ;   in Loop: Header=BB184_12 Depth=1
	v_add_nc_u32_e32 v25, s27, v25
                                        ; implicit-def: $vgpr43
                                        ; implicit-def: $vgpr42
                                        ; implicit-def: $vgpr41
                                        ; implicit-def: $vgpr26
; %bb.29:                               ;   in Loop: Header=BB184_12 Depth=1
	s_and_not1_saveexec_b32 s34, s1
	s_cbranch_execz .LBB184_11
; %bb.30:                               ;   in Loop: Header=BB184_12 Depth=1
	v_cvt_i32_f32_e32 v5, v43
	v_cvt_i32_f32_e32 v6, v42
	s_waitcnt lgkmcnt(1)
	v_cvt_i32_f32_e32 v7, v41
	v_cvt_i32_f32_e32 v8, v26
	v_cvt_f32_i32_dpp v5, v5 row_shr:8 row_mask:0xf bank_mask:0xf bound_ctrl:1
	v_cvt_f32_i32_dpp v6, v6 row_shr:8 row_mask:0xf bank_mask:0xf bound_ctrl:1
	s_delay_alu instid0(VALU_DEP_4) | instskip(NEXT) | instid1(VALU_DEP_4)
	v_cvt_f32_i32_dpp v7, v7 row_shr:8 row_mask:0xf bank_mask:0xf bound_ctrl:1
	v_cvt_f32_i32_dpp v8, v8 row_shr:8 row_mask:0xf bank_mask:0xf bound_ctrl:1
	s_delay_alu instid0(VALU_DEP_3) | instskip(NEXT) | instid1(VALU_DEP_2)
	v_dual_add_f32 v5, v43, v5 :: v_dual_add_f32 v6, v42, v6
	v_dual_add_f32 v7, v41, v7 :: v_dual_add_f32 v8, v26, v8
	s_waitcnt lgkmcnt(0)
	s_delay_alu instid0(VALU_DEP_2) | instskip(NEXT) | instid1(VALU_DEP_3)
	v_cvt_i32_f32_e32 v9, v5
	v_cvt_i32_f32_e32 v10, v6
	s_delay_alu instid0(VALU_DEP_3)
	v_cvt_i32_f32_e32 v11, v7
	s_waitcnt vmcnt(0)
	v_cvt_i32_f32_e32 v12, v8
	v_cvt_f32_i32_dpp v9, v9 row_shr:4 row_mask:0xf bank_mask:0xf bound_ctrl:1
	v_cvt_f32_i32_dpp v10, v10 row_shr:4 row_mask:0xf bank_mask:0xf bound_ctrl:1
	;; [unrolled: 1-line block ×3, first 2 shown]
	s_delay_alu instid0(VALU_DEP_4) | instskip(NEXT) | instid1(VALU_DEP_3)
	v_cvt_f32_i32_dpp v12, v12 row_shr:4 row_mask:0xf bank_mask:0xf bound_ctrl:1
	v_dual_add_f32 v5, v5, v9 :: v_dual_add_f32 v6, v6, v10
	s_delay_alu instid0(VALU_DEP_2) | instskip(NEXT) | instid1(VALU_DEP_2)
	v_dual_add_f32 v7, v7, v11 :: v_dual_add_f32 v8, v8, v12
	v_cvt_i32_f32_e32 v9, v5
	s_delay_alu instid0(VALU_DEP_3) | instskip(NEXT) | instid1(VALU_DEP_3)
	v_cvt_i32_f32_e32 v10, v6
	v_cvt_i32_f32_e32 v11, v7
	s_delay_alu instid0(VALU_DEP_4) | instskip(NEXT) | instid1(VALU_DEP_4)
	v_cvt_i32_f32_e32 v12, v8
	v_cvt_f32_i32_dpp v9, v9 row_shr:2 row_mask:0xf bank_mask:0xf bound_ctrl:1
	s_delay_alu instid0(VALU_DEP_4) | instskip(NEXT) | instid1(VALU_DEP_4)
	v_cvt_f32_i32_dpp v10, v10 row_shr:2 row_mask:0xf bank_mask:0xf bound_ctrl:1
	v_cvt_f32_i32_dpp v11, v11 row_shr:2 row_mask:0xf bank_mask:0xf bound_ctrl:1
	s_delay_alu instid0(VALU_DEP_4) | instskip(NEXT) | instid1(VALU_DEP_3)
	v_cvt_f32_i32_dpp v12, v12 row_shr:2 row_mask:0xf bank_mask:0xf bound_ctrl:1
	v_dual_add_f32 v5, v5, v9 :: v_dual_add_f32 v6, v6, v10
	s_delay_alu instid0(VALU_DEP_2) | instskip(SKIP_1) | instid1(VALU_DEP_3)
	v_add_f32_e32 v9, v8, v12
	v_xor_b32_e32 v8, 16, v40
	v_cvt_i32_f32_e32 v10, v5
	s_delay_alu instid0(VALU_DEP_3) | instskip(NEXT) | instid1(VALU_DEP_3)
	v_cvt_i32_f32_e32 v13, v9
	v_cmp_gt_i32_e32 vcc_lo, 32, v8
	v_add_f32_e32 v7, v7, v11
	v_cvt_i32_f32_e32 v11, v6
	v_cvt_f32_i32_dpp v10, v10 row_shr:1 row_mask:0xf bank_mask:0xf bound_ctrl:1
	v_cvt_f32_i32_dpp v14, v13 row_shr:1 row_mask:0xf bank_mask:0xf bound_ctrl:1
	v_cndmask_b32_e32 v8, v40, v8, vcc_lo
	v_cvt_i32_f32_e32 v12, v7
	v_cvt_f32_i32_dpp v11, v11 row_shr:1 row_mask:0xf bank_mask:0xf bound_ctrl:1
	s_delay_alu instid0(VALU_DEP_3) | instskip(NEXT) | instid1(VALU_DEP_3)
	v_lshlrev_b32_e32 v15, 2, v8
	v_cvt_f32_i32_dpp v12, v12 row_shr:1 row_mask:0xf bank_mask:0xf bound_ctrl:1
	s_delay_alu instid0(VALU_DEP_3) | instskip(SKIP_1) | instid1(VALU_DEP_3)
	v_dual_add_f32 v13, v5, v10 :: v_dual_add_f32 v10, v6, v11
	v_add_f32_e32 v6, v9, v14
	v_add_f32_e32 v8, v7, v12
	ds_bpermute_b32 v14, v15, v13
	ds_bpermute_b32 v11, v15, v10
	;; [unrolled: 1-line block ×4, first 2 shown]
	s_and_saveexec_b32 s1, s0
	s_cbranch_execz .LBB184_57
; %bb.31:                               ;   in Loop: Header=BB184_12 Depth=1
	v_dual_mov_b32 v12, 0 :: v_dual_add_nc_u32 v27, 2, v25
	v_dual_mov_b32 v16, 0 :: v_dual_add_nc_u32 v5, 3, v25
	v_mov_b32_e32 v15, 0
	v_mov_b32_e32 v17, 0
	s_and_not1_b32 vcc_lo, exec_lo, s28
	s_cbranch_vccnz .LBB184_33
; %bb.32:                               ;   in Loop: Header=BB184_12 Depth=1
	v_mul_hi_u32 v12, v25, v39
	v_mul_hi_u32 v16, v27, v39
	v_add_nc_u32_e32 v15, 1, v25
	v_mul_hi_u32 v17, v5, v39
	s_delay_alu instid0(VALU_DEP_4) | instskip(NEXT) | instid1(VALU_DEP_4)
	v_mul_lo_u32 v12, v12, s20
	v_mul_lo_u32 v19, v16, s20
	v_mov_b32_e32 v16, v28
	v_mul_hi_u32 v18, v15, v39
	v_mul_lo_u32 v17, v17, s20
	v_sub_nc_u32_e32 v12, v25, v12
	v_sub_nc_u32_e32 v19, v27, v19
	s_delay_alu instid0(VALU_DEP_4) | instskip(NEXT) | instid1(VALU_DEP_4)
	v_mul_lo_u32 v21, v18, s20
	v_sub_nc_u32_e32 v17, v5, v17
	s_delay_alu instid0(VALU_DEP_4) | instskip(SKIP_1) | instid1(VALU_DEP_3)
	v_subrev_nc_u32_e32 v23, s20, v12
	v_cmp_le_u32_e32 vcc_lo, s20, v12
	v_subrev_nc_u32_e32 v24, s20, v17
	v_sub_nc_u32_e32 v15, v15, v21
	v_subrev_nc_u32_e32 v21, s20, v19
	v_cndmask_b32_e32 v12, v12, v23, vcc_lo
	v_cmp_le_u32_e32 vcc_lo, s20, v19
	v_mov_b32_e32 v18, v28
	v_subrev_nc_u32_e32 v23, s20, v15
	v_cndmask_b32_e32 v19, v19, v21, vcc_lo
	v_cmp_le_u32_e32 vcc_lo, s20, v17
	v_mov_b32_e32 v20, v28
	;; [unrolled: 4-line block ×3, first 2 shown]
	v_subrev_nc_u32_e32 v24, s20, v19
	s_delay_alu instid0(VALU_DEP_4) | instskip(SKIP_4) | instid1(VALU_DEP_4)
	v_subrev_nc_u32_e32 v26, s20, v17
	v_cndmask_b32_e32 v23, v15, v23, vcc_lo
	v_cmp_le_u32_e32 vcc_lo, s20, v12
	v_cndmask_b32_e32 v15, v12, v21, vcc_lo
	v_cmp_le_u32_e32 vcc_lo, s20, v19
	v_subrev_nc_u32_e32 v12, s20, v23
	s_delay_alu instid0(VALU_DEP_3) | instskip(SKIP_2) | instid1(VALU_DEP_2)
	v_lshlrev_b64 v[15:16], 1, v[15:16]
	v_cndmask_b32_e32 v19, v19, v24, vcc_lo
	v_cmp_le_u32_e32 vcc_lo, s20, v17
	v_lshlrev_b64 v[19:20], 1, v[19:20]
	v_cndmask_b32_e32 v21, v17, v26, vcc_lo
	v_cmp_le_u32_e32 vcc_lo, s20, v23
	s_delay_alu instid0(VALU_DEP_2) | instskip(SKIP_3) | instid1(VALU_DEP_3)
	v_lshlrev_b64 v[21:22], 1, v[21:22]
	v_cndmask_b32_e32 v17, v23, v12, vcc_lo
	v_add_co_u32 v15, vcc_lo, s8, v15
	v_add_co_ci_u32_e32 v16, vcc_lo, s9, v16, vcc_lo
	v_lshlrev_b64 v[17:18], 1, v[17:18]
	s_delay_alu instid0(VALU_DEP_1) | instskip(NEXT) | instid1(VALU_DEP_2)
	v_add_co_u32 v23, vcc_lo, s8, v17
	v_add_co_ci_u32_e32 v24, vcc_lo, s9, v18, vcc_lo
	v_add_co_u32 v18, vcc_lo, s8, v19
	v_add_co_ci_u32_e32 v19, vcc_lo, s9, v20, vcc_lo
	v_add_co_u32 v20, vcc_lo, s8, v21
	v_add_co_ci_u32_e32 v21, vcc_lo, s9, v22, vcc_lo
	s_clause 0x3
	global_load_u16 v17, v[15:16], off
	global_load_u16 v16, v[23:24], off
	;; [unrolled: 1-line block ×4, first 2 shown]
.LBB184_33:                             ;   in Loop: Header=BB184_12 Depth=1
	s_mov_b32 s2, exec_lo
	v_cmpx_ne_u32_e32 0, v1
	s_cbranch_execz .LBB184_39
; %bb.34:                               ;   in Loop: Header=BB184_12 Depth=1
	s_waitcnt vmcnt(3) lgkmcnt(3)
	v_dual_add_f32 v13, v13, v14 :: v_dual_lshlrev_b32 v14, 16, v17
	s_delay_alu instid0(VALU_DEP_1) | instskip(NEXT) | instid1(VALU_DEP_1)
	v_add_f32_e32 v14, v13, v14
	v_and_b32_e32 v13, 0x7f800000, v14
	s_delay_alu instid0(VALU_DEP_1) | instskip(SKIP_1) | instid1(SALU_CYCLE_1)
	v_cmp_ne_u32_e32 vcc_lo, 0x7f800000, v13
                                        ; implicit-def: $vgpr13
	s_and_saveexec_b32 s3, vcc_lo
	s_xor_b32 s3, exec_lo, s3
; %bb.35:                               ;   in Loop: Header=BB184_12 Depth=1
	v_bfe_u32 v13, v14, 16, 1
	s_delay_alu instid0(VALU_DEP_1)
	v_add3_u32 v13, v14, v13, 0x7fff
                                        ; implicit-def: $vgpr14
; %bb.36:                               ;   in Loop: Header=BB184_12 Depth=1
	s_and_not1_saveexec_b32 s3, s3
; %bb.37:                               ;   in Loop: Header=BB184_12 Depth=1
	v_and_b32_e32 v13, 0xffff, v14
	v_or_b32_e32 v17, 0x10000, v14
	s_delay_alu instid0(VALU_DEP_2) | instskip(NEXT) | instid1(VALU_DEP_2)
	v_cmp_eq_u32_e32 vcc_lo, 0, v13
	v_cndmask_b32_e32 v13, v17, v14, vcc_lo
; %bb.38:                               ;   in Loop: Header=BB184_12 Depth=1
	s_or_b32 exec_lo, exec_lo, s3
	v_mov_b32_e32 v26, v28
	s_delay_alu instid0(VALU_DEP_1) | instskip(NEXT) | instid1(VALU_DEP_1)
	v_lshlrev_b64 v[17:18], 1, v[25:26]
	v_add_co_u32 v17, vcc_lo, s10, v17
	s_delay_alu instid0(VALU_DEP_2)
	v_add_co_ci_u32_e32 v18, vcc_lo, s11, v18, vcc_lo
	global_store_d16_hi_b16 v[17:18], v13, off
.LBB184_39:                             ;   in Loop: Header=BB184_12 Depth=1
	s_or_b32 exec_lo, exec_lo, s2
	s_delay_alu instid0(SALU_CYCLE_1)
	s_mov_b32 s2, exec_lo
	v_cmpx_ne_u32_e32 0, v2
	s_cbranch_execz .LBB184_45
; %bb.40:                               ;   in Loop: Header=BB184_12 Depth=1
	s_waitcnt vmcnt(2) lgkmcnt(2)
	v_dual_add_f32 v10, v10, v11 :: v_dual_lshlrev_b32 v11, 16, v16
	s_delay_alu instid0(VALU_DEP_1) | instskip(NEXT) | instid1(VALU_DEP_1)
	v_add_f32_e32 v11, v10, v11
	v_and_b32_e32 v10, 0x7f800000, v11
	s_delay_alu instid0(VALU_DEP_1) | instskip(SKIP_1) | instid1(SALU_CYCLE_1)
	v_cmp_ne_u32_e32 vcc_lo, 0x7f800000, v10
                                        ; implicit-def: $vgpr10
	s_and_saveexec_b32 s3, vcc_lo
	s_xor_b32 s3, exec_lo, s3
; %bb.41:                               ;   in Loop: Header=BB184_12 Depth=1
	v_bfe_u32 v10, v11, 16, 1
	s_delay_alu instid0(VALU_DEP_1)
	v_add3_u32 v10, v11, v10, 0x7fff
                                        ; implicit-def: $vgpr11
; %bb.42:                               ;   in Loop: Header=BB184_12 Depth=1
	s_and_not1_saveexec_b32 s3, s3
; %bb.43:                               ;   in Loop: Header=BB184_12 Depth=1
	v_and_b32_e32 v10, 0xffff, v11
	v_or_b32_e32 v13, 0x10000, v11
	s_delay_alu instid0(VALU_DEP_2) | instskip(NEXT) | instid1(VALU_DEP_2)
	v_cmp_eq_u32_e32 vcc_lo, 0, v10
	v_cndmask_b32_e32 v10, v13, v11, vcc_lo
; %bb.44:                               ;   in Loop: Header=BB184_12 Depth=1
	s_or_b32 exec_lo, exec_lo, s3
	v_mov_b32_e32 v26, v28
	s_delay_alu instid0(VALU_DEP_1) | instskip(NEXT) | instid1(VALU_DEP_1)
	v_lshlrev_b64 v[13:14], 1, v[25:26]
	v_add_co_u32 v13, vcc_lo, s30, v13
	s_delay_alu instid0(VALU_DEP_2)
	v_add_co_ci_u32_e32 v14, vcc_lo, s31, v14, vcc_lo
	global_store_d16_hi_b16 v[13:14], v10, off
.LBB184_45:                             ;   in Loop: Header=BB184_12 Depth=1
	s_or_b32 exec_lo, exec_lo, s2
	s_delay_alu instid0(SALU_CYCLE_1)
	s_mov_b32 s2, exec_lo
	v_cmpx_ne_u32_e32 0, v3
	s_cbranch_execz .LBB184_51
; %bb.46:                               ;   in Loop: Header=BB184_12 Depth=1
	s_waitcnt vmcnt(1) lgkmcnt(0)
	v_dual_add_f32 v8, v8, v9 :: v_dual_lshlrev_b32 v9, 16, v15
	s_delay_alu instid0(VALU_DEP_1) | instskip(NEXT) | instid1(VALU_DEP_1)
	v_add_f32_e32 v9, v8, v9
	v_and_b32_e32 v8, 0x7f800000, v9
	s_delay_alu instid0(VALU_DEP_1) | instskip(SKIP_1) | instid1(SALU_CYCLE_1)
	v_cmp_ne_u32_e32 vcc_lo, 0x7f800000, v8
                                        ; implicit-def: $vgpr8
	s_and_saveexec_b32 s3, vcc_lo
	s_xor_b32 s3, exec_lo, s3
; %bb.47:                               ;   in Loop: Header=BB184_12 Depth=1
	v_bfe_u32 v8, v9, 16, 1
	s_delay_alu instid0(VALU_DEP_1)
	v_add3_u32 v8, v9, v8, 0x7fff
                                        ; implicit-def: $vgpr9
; %bb.48:                               ;   in Loop: Header=BB184_12 Depth=1
	s_and_not1_saveexec_b32 s3, s3
; %bb.49:                               ;   in Loop: Header=BB184_12 Depth=1
	v_and_b32_e32 v8, 0xffff, v9
	v_or_b32_e32 v10, 0x10000, v9
	s_delay_alu instid0(VALU_DEP_2) | instskip(NEXT) | instid1(VALU_DEP_2)
	v_cmp_eq_u32_e32 vcc_lo, 0, v8
	v_cndmask_b32_e32 v8, v10, v9, vcc_lo
; %bb.50:                               ;   in Loop: Header=BB184_12 Depth=1
	s_or_b32 exec_lo, exec_lo, s3
	v_lshlrev_b64 v[9:10], 1, v[27:28]
	s_delay_alu instid0(VALU_DEP_1) | instskip(NEXT) | instid1(VALU_DEP_2)
	v_add_co_u32 v9, vcc_lo, s10, v9
	v_add_co_ci_u32_e32 v10, vcc_lo, s11, v10, vcc_lo
	global_store_d16_hi_b16 v[9:10], v8, off
.LBB184_51:                             ;   in Loop: Header=BB184_12 Depth=1
	s_or_b32 exec_lo, exec_lo, s2
	v_cmp_ne_u32_e32 vcc_lo, 0, v4
	s_and_b32 exec_lo, exec_lo, vcc_lo
	s_cbranch_execz .LBB184_57
; %bb.52:                               ;   in Loop: Header=BB184_12 Depth=1
	s_waitcnt vmcnt(0) lgkmcnt(1)
	v_dual_add_f32 v6, v6, v7 :: v_dual_lshlrev_b32 v7, 16, v12
	s_delay_alu instid0(VALU_DEP_1) | instskip(NEXT) | instid1(VALU_DEP_1)
	v_add_f32_e32 v6, v6, v7
	v_and_b32_e32 v7, 0x7f800000, v6
	s_delay_alu instid0(VALU_DEP_1) | instskip(SKIP_1) | instid1(SALU_CYCLE_1)
	v_cmp_ne_u32_e32 vcc_lo, 0x7f800000, v7
                                        ; implicit-def: $vgpr7
	s_and_saveexec_b32 s2, vcc_lo
	s_xor_b32 s2, exec_lo, s2
; %bb.53:                               ;   in Loop: Header=BB184_12 Depth=1
	v_bfe_u32 v7, v6, 16, 1
	s_delay_alu instid0(VALU_DEP_1)
	v_add3_u32 v7, v6, v7, 0x7fff
                                        ; implicit-def: $vgpr6
; %bb.54:                               ;   in Loop: Header=BB184_12 Depth=1
	s_and_not1_saveexec_b32 s2, s2
; %bb.55:                               ;   in Loop: Header=BB184_12 Depth=1
	v_and_b32_e32 v7, 0xffff, v6
	v_or_b32_e32 v8, 0x10000, v6
	s_delay_alu instid0(VALU_DEP_2) | instskip(NEXT) | instid1(VALU_DEP_2)
	v_cmp_eq_u32_e32 vcc_lo, 0, v7
	v_cndmask_b32_e32 v7, v8, v6, vcc_lo
; %bb.56:                               ;   in Loop: Header=BB184_12 Depth=1
	s_or_b32 exec_lo, exec_lo, s2
	v_mov_b32_e32 v6, v28
	s_delay_alu instid0(VALU_DEP_1) | instskip(NEXT) | instid1(VALU_DEP_1)
	v_lshlrev_b64 v[5:6], 1, v[5:6]
	v_add_co_u32 v5, vcc_lo, s10, v5
	s_delay_alu instid0(VALU_DEP_2)
	v_add_co_ci_u32_e32 v6, vcc_lo, s11, v6, vcc_lo
	global_store_d16_hi_b16 v[5:6], v7, off
.LBB184_57:                             ;   in Loop: Header=BB184_12 Depth=1
	s_or_b32 exec_lo, exec_lo, s1
	v_add_nc_u32_e32 v25, s27, v25
	s_delay_alu instid0(VALU_DEP_1) | instskip(SKIP_1) | instid1(VALU_DEP_2)
	v_add_nc_u32_e32 v5, 4, v25
	v_cmp_gt_u32_e32 vcc_lo, s19, v25
	v_cmp_le_u32_e64 s1, s19, v5
	s_delay_alu instid0(VALU_DEP_1) | instskip(NEXT) | instid1(SALU_CYCLE_1)
	s_and_b32 s1, vcc_lo, s1
	s_and_saveexec_b32 s35, s1
	s_cbranch_execz .LBB184_10
; %bb.58:                               ;   in Loop: Header=BB184_12 Depth=1
	s_mov_b32 s36, exec_lo
	v_cmpx_ne_u32_e64 s29, v25
	s_cbranch_execz .LBB184_9
; %bb.59:                               ;   in Loop: Header=BB184_12 Depth=1
	v_subrev_nc_u32_e32 v5, s29, v25
	s_mov_b32 s37, 0
	s_mov_b64 s[12:13], 0
	s_delay_alu instid0(VALU_DEP_1)
	v_cmp_lt_u32_e32 vcc_lo, 1, v5
	v_cndmask_b32_e32 v5, 1, v5, vcc_lo
	.p2align	6
.LBB184_60:                             ;   Parent Loop BB184_12 Depth=1
                                        ; =>  This Inner Loop Header: Depth=2
	s_cmp_lg_u32 s12, 3
	s_cselect_b32 vcc_lo, -1, 0
	s_cmp_lg_u32 s12, 2
	v_cndmask_b32_e32 v4, 0, v4, vcc_lo
	s_cselect_b32 s1, -1, 0
	s_cmp_lg_u32 s12, 1
	v_cndmask_b32_e64 v3, 0, v3, s1
	s_cselect_b32 s2, -1, 0
	s_cmp_lg_u32 s12, 0
	v_cndmask_b32_e64 v2, 0, v2, s2
	s_cselect_b32 s3, -1, 0
	s_add_u32 s12, s12, 1
	v_cndmask_b32_e64 v1, 0, v1, s3
	v_cmp_eq_u32_e32 vcc_lo, s12, v5
	s_addc_u32 s13, s13, 0
	s_or_b32 s37, vcc_lo, s37
	s_delay_alu instid0(SALU_CYCLE_1)
	s_and_not1_b32 exec_lo, exec_lo, s37
	s_cbranch_execnz .LBB184_60
; %bb.61:                               ;   in Loop: Header=BB184_12 Depth=1
	s_or_b32 exec_lo, exec_lo, s37
	s_branch .LBB184_9
.LBB184_62:
	s_nop 0
	s_sendmsg sendmsg(MSG_DEALLOC_VGPRS)
	s_endpgm
	.section	.rodata,"a",@progbits
	.p2align	6, 0x0
	.amdhsa_kernel _Z16wvSplitK_hf_big_I14__hip_bfloat16Li64ELi4ELi16ELi8ELi1ELi1EEviiiiiiPKT_S3_S3_PS1_ii
		.amdhsa_group_segment_fixed_size 65536
		.amdhsa_private_segment_fixed_size 0
		.amdhsa_kernarg_size 64
		.amdhsa_user_sgpr_count 15
		.amdhsa_user_sgpr_dispatch_ptr 0
		.amdhsa_user_sgpr_queue_ptr 0
		.amdhsa_user_sgpr_kernarg_segment_ptr 1
		.amdhsa_user_sgpr_dispatch_id 0
		.amdhsa_user_sgpr_private_segment_size 0
		.amdhsa_wavefront_size32 1
		.amdhsa_uses_dynamic_stack 0
		.amdhsa_enable_private_segment 0
		.amdhsa_system_sgpr_workgroup_id_x 1
		.amdhsa_system_sgpr_workgroup_id_y 0
		.amdhsa_system_sgpr_workgroup_id_z 0
		.amdhsa_system_sgpr_workgroup_info 0
		.amdhsa_system_vgpr_workitem_id 1
		.amdhsa_next_free_vgpr 48
		.amdhsa_next_free_sgpr 38
		.amdhsa_reserve_vcc 1
		.amdhsa_float_round_mode_32 0
		.amdhsa_float_round_mode_16_64 0
		.amdhsa_float_denorm_mode_32 3
		.amdhsa_float_denorm_mode_16_64 3
		.amdhsa_dx10_clamp 1
		.amdhsa_ieee_mode 1
		.amdhsa_fp16_overflow 0
		.amdhsa_workgroup_processor_mode 1
		.amdhsa_memory_ordered 1
		.amdhsa_forward_progress 0
		.amdhsa_shared_vgpr_count 0
		.amdhsa_exception_fp_ieee_invalid_op 0
		.amdhsa_exception_fp_denorm_src 0
		.amdhsa_exception_fp_ieee_div_zero 0
		.amdhsa_exception_fp_ieee_overflow 0
		.amdhsa_exception_fp_ieee_underflow 0
		.amdhsa_exception_fp_ieee_inexact 0
		.amdhsa_exception_int_div_zero 0
	.end_amdhsa_kernel
	.section	.text._Z16wvSplitK_hf_big_I14__hip_bfloat16Li64ELi4ELi16ELi8ELi1ELi1EEviiiiiiPKT_S3_S3_PS1_ii,"axG",@progbits,_Z16wvSplitK_hf_big_I14__hip_bfloat16Li64ELi4ELi16ELi8ELi1ELi1EEviiiiiiPKT_S3_S3_PS1_ii,comdat
.Lfunc_end184:
	.size	_Z16wvSplitK_hf_big_I14__hip_bfloat16Li64ELi4ELi16ELi8ELi1ELi1EEviiiiiiPKT_S3_S3_PS1_ii, .Lfunc_end184-_Z16wvSplitK_hf_big_I14__hip_bfloat16Li64ELi4ELi16ELi8ELi1ELi1EEviiiiiiPKT_S3_S3_PS1_ii
                                        ; -- End function
	.section	.AMDGPU.csdata,"",@progbits
; Kernel info:
; codeLenInByte = 3548
; NumSgprs: 40
; NumVgprs: 48
; ScratchSize: 0
; MemoryBound: 0
; FloatMode: 240
; IeeeMode: 1
; LDSByteSize: 65536 bytes/workgroup (compile time only)
; SGPRBlocks: 4
; VGPRBlocks: 5
; NumSGPRsForWavesPerEU: 40
; NumVGPRsForWavesPerEU: 48
; Occupancy: 16
; WaveLimiterHint : 0
; COMPUTE_PGM_RSRC2:SCRATCH_EN: 0
; COMPUTE_PGM_RSRC2:USER_SGPR: 15
; COMPUTE_PGM_RSRC2:TRAP_HANDLER: 0
; COMPUTE_PGM_RSRC2:TGID_X_EN: 1
; COMPUTE_PGM_RSRC2:TGID_Y_EN: 0
; COMPUTE_PGM_RSRC2:TGID_Z_EN: 0
; COMPUTE_PGM_RSRC2:TIDIG_COMP_CNT: 1
	.section	.text._Z16wvSplitK_hf_sml_I14__hip_bfloat16Li64ELi4ELi16ELi8ELi2ELi1EEviiiiiiPKT_S3_S3_PS1_ii,"axG",@progbits,_Z16wvSplitK_hf_sml_I14__hip_bfloat16Li64ELi4ELi16ELi8ELi2ELi1EEviiiiiiPKT_S3_S3_PS1_ii,comdat
	.protected	_Z16wvSplitK_hf_sml_I14__hip_bfloat16Li64ELi4ELi16ELi8ELi2ELi1EEviiiiiiPKT_S3_S3_PS1_ii ; -- Begin function _Z16wvSplitK_hf_sml_I14__hip_bfloat16Li64ELi4ELi16ELi8ELi2ELi1EEviiiiiiPKT_S3_S3_PS1_ii
	.globl	_Z16wvSplitK_hf_sml_I14__hip_bfloat16Li64ELi4ELi16ELi8ELi2ELi1EEviiiiiiPKT_S3_S3_PS1_ii
	.p2align	8
	.type	_Z16wvSplitK_hf_sml_I14__hip_bfloat16Li64ELi4ELi16ELi8ELi2ELi1EEviiiiiiPKT_S3_S3_PS1_ii,@function
_Z16wvSplitK_hf_sml_I14__hip_bfloat16Li64ELi4ELi16ELi8ELi2ELi1EEviiiiiiPKT_S3_S3_PS1_ii: ; @_Z16wvSplitK_hf_sml_I14__hip_bfloat16Li64ELi4ELi16ELi8ELi2ELi1EEviiiiiiPKT_S3_S3_PS1_ii
; %bb.0:
	s_clause 0x2
	s_load_b128 s[4:7], s[0:1], 0x0
	s_load_b32 s14, s[0:1], 0x10
	s_load_b64 s[8:9], s[0:1], 0x28
	v_and_b32_e32 v2, 0x3ff, v0
	v_bfe_u32 v3, v0, 10, 10
	s_delay_alu instid0(VALU_DEP_2) | instskip(NEXT) | instid1(VALU_DEP_1)
	v_lshlrev_b32_e32 v51, 3, v2
	v_lshl_add_u32 v4, v3, 9, v51
	s_waitcnt lgkmcnt(0)
	s_min_u32 s3, s6, 0x8000
	s_mov_b32 s6, exec_lo
	s_delay_alu instid0(VALU_DEP_1)
	v_cmpx_gt_u32_e64 s3, v4
	s_cbranch_execz .LBB185_3
; %bb.1:
	s_load_b64 s[10:11], s[0:1], 0x20
	v_lshlrev_b32_e32 v5, 10, v3
	v_lshlrev_b32_e32 v6, 4, v2
	s_delay_alu instid0(VALU_DEP_1) | instskip(NEXT) | instid1(VALU_DEP_1)
	v_add_co_u32 v0, s2, v5, v6
	v_add_co_ci_u32_e64 v1, null, 0, 0, s2
	v_add_nc_u32_e32 v5, v5, v6
	s_waitcnt lgkmcnt(0)
	s_delay_alu instid0(VALU_DEP_3) | instskip(NEXT) | instid1(VALU_DEP_3)
	v_add_co_u32 v0, vcc_lo, s10, v0
	v_add_co_ci_u32_e32 v1, vcc_lo, s11, v1, vcc_lo
	s_mov_b32 s10, 0
	.p2align	6
.LBB185_2:                              ; =>This Inner Loop Header: Depth=1
	global_load_b128 v[6:9], v[0:1], off
	v_add_nc_u32_e32 v4, 0x2000, v4
	v_add_co_u32 v0, vcc_lo, 0x4000, v0
	v_add_co_ci_u32_e32 v1, vcc_lo, 0, v1, vcc_lo
	s_delay_alu instid0(VALU_DEP_3) | instskip(NEXT) | instid1(VALU_DEP_1)
	v_cmp_le_u32_e64 s2, s3, v4
	s_or_b32 s10, s2, s10
	s_waitcnt vmcnt(0)
	ds_store_b128 v5, v[6:9]
	v_add_nc_u32_e32 v5, 0x4000, v5
	s_and_not1_b32 exec_lo, exec_lo, s10
	s_cbranch_execnz .LBB185_2
.LBB185_3:
	s_or_b32 exec_lo, exec_lo, s6
	s_load_b64 s[12:13], s[0:1], 0x38
	s_waitcnt lgkmcnt(0)
	s_barrier
	buffer_gl0_inv
	s_mov_b32 s2, exec_lo
	v_cmpx_gt_u32_e64 s12, v3
	s_cbranch_execz .LBB185_34
; %bb.4:
	s_mul_i32 s15, s15, s12
	s_delay_alu instid0(SALU_CYCLE_1) | instskip(NEXT) | instid1(VALU_DEP_1)
	v_add_lshl_u32 v40, s15, v3, 2
	v_cmp_gt_u32_e32 vcc_lo, s7, v40
	s_and_b32 exec_lo, exec_lo, vcc_lo
	s_cbranch_execz .LBB185_34
; %bb.5:
	v_cvt_f32_u32_e32 v0, s14
	v_mbcnt_lo_u32_b32 v1, -1, 0
	s_cmp_lg_u32 s4, 0
	v_lshlrev_b32_e32 v52, 4, v2
	s_cselect_b32 s6, -1, 0
	v_rcp_iflag_f32_e32 v0, v0
	v_xor_b32_e32 v4, 16, v1
	s_add_i32 s15, s4, -8
	s_add_i32 s16, s7, -1
	s_cmp_lg_u64 s[8:9], 0
	s_mul_i32 s12, s12, s13
	v_cmp_gt_i32_e32 vcc_lo, 32, v4
	s_cselect_b32 s17, -1, 0
	s_sub_i32 s2, 0, s14
	s_lshl_b32 s12, s12, 2
	v_dual_mov_b32 v42, 0 :: v_dual_cndmask_b32 v1, v1, v4
	s_waitcnt_depctr 0xfff
	v_dual_mul_f32 v0, 0x4f7ffffe, v0 :: v_dual_lshlrev_b32 v53, 2, v1
	s_delay_alu instid0(VALU_DEP_1) | instskip(NEXT) | instid1(VALU_DEP_1)
	v_cvt_u32_f32_e32 v0, v0
	v_mul_lo_u32 v3, s2, v0
	s_clause 0x1
	s_load_b64 s[2:3], s[0:1], 0x18
	s_load_b64 s[10:11], s[0:1], 0x30
	v_cmp_eq_u32_e64 s0, 63, v2
	s_mov_b32 s1, 0
	s_delay_alu instid0(VALU_DEP_2) | instskip(NEXT) | instid1(VALU_DEP_1)
	v_mul_hi_u32 v3, v0, v3
	v_add_nc_u32_e32 v54, v0, v3
	s_branch .LBB185_8
.LBB185_6:                              ;   in Loop: Header=BB185_8 Depth=1
	s_or_b32 exec_lo, exec_lo, s18
	global_store_d16_hi_b16 v[0:1], v3, off offset:6
.LBB185_7:                              ;   in Loop: Header=BB185_8 Depth=1
	s_or_b32 exec_lo, exec_lo, s13
	v_add_nc_u32_e32 v40, s12, v40
	s_delay_alu instid0(VALU_DEP_1) | instskip(SKIP_1) | instid1(SALU_CYCLE_1)
	v_cmp_le_u32_e32 vcc_lo, s7, v40
	s_or_b32 s1, vcc_lo, s1
	s_and_not1_b32 exec_lo, exec_lo, s1
	s_cbranch_execz .LBB185_34
.LBB185_8:                              ; =>This Loop Header: Depth=1
                                        ;     Child Loop BB185_12 Depth 2
	v_mov_b32_e32 v56, v42
	v_mov_b32_e32 v57, v42
	;; [unrolled: 1-line block ×4, first 2 shown]
	s_and_not1_b32 vcc_lo, exec_lo, s6
	s_cbranch_vccnz .LBB185_15
; %bb.9:                                ;   in Loop: Header=BB185_8 Depth=1
	v_or_b32_e32 v0, 1, v40
	s_waitcnt lgkmcnt(0)
	v_or_b32_e32 v1, 2, v40
	v_or_b32_e32 v2, 3, v40
	v_min_u32_e32 v3, s16, v40
	v_mov_b32_e32 v5, v42
	v_min_u32_e32 v0, s16, v0
	v_min_u32_e32 v1, s16, v1
	v_min_u32_e32 v4, s16, v2
	v_mul_lo_u32 v41, v3, s5
	v_dual_mov_b32 v3, v42 :: v_dual_mov_b32 v56, 0
	v_mul_lo_u32 v0, v0, s5
	v_mul_lo_u32 v2, v1, s5
	;; [unrolled: 1-line block ×3, first 2 shown]
	v_dual_mov_b32 v1, v42 :: v_dual_mov_b32 v58, 0
	v_lshlrev_b64 v[43:44], 1, v[41:42]
	v_mov_b32_e32 v59, 0
	v_mov_b32_e32 v55, v52
	s_delay_alu instid0(VALU_DEP_4)
	v_lshlrev_b64 v[45:46], 1, v[0:1]
	v_lshlrev_b64 v[47:48], 1, v[2:3]
	;; [unrolled: 1-line block ×3, first 2 shown]
	v_mov_b32_e32 v57, 0
	s_mov_b32 s13, 0
	s_branch .LBB185_12
.LBB185_10:                             ;   in Loop: Header=BB185_12 Depth=2
	s_or_b32 exec_lo, exec_lo, s19
.LBB185_11:                             ;   in Loop: Header=BB185_12 Depth=2
	s_delay_alu instid0(SALU_CYCLE_1)
	s_or_b32 exec_lo, exec_lo, s18
	s_waitcnt lgkmcnt(0)
	v_and_b32_e32 v61, 0xffff0000, v37
	s_waitcnt vmcnt(7)
	v_and_b32_e32 v62, 0xffff0000, v33
	v_and_b32_e32 v41, 0xffff0000, v36
	v_lshlrev_b32_e32 v36, 16, v36
	v_lshlrev_b32_e32 v37, 16, v37
	s_addk_i32 s13, 0x400
	v_mul_f32_e32 v62, v61, v62
	v_and_b32_e32 v63, 0xffff0000, v38
	v_lshlrev_b32_e32 v33, 16, v33
	s_cmp_ge_u32 s13, s4
	s_delay_alu instid0(VALU_DEP_1) | instskip(SKIP_3) | instid1(VALU_DEP_2)
	v_dual_fmac_f32 v62, v37, v33 :: v_dual_add_nc_u32 v55, 0x800, v55
	s_waitcnt vmcnt(6)
	v_and_b32_e32 v33, 0xffff0000, v28
	v_and_b32_e32 v60, 0xffff0000, v32
	v_dual_mul_f32 v33, v41, v33 :: v_dual_lshlrev_b32 v28, 16, v28
	v_lshlrev_b32_e32 v38, 16, v38
	s_delay_alu instid0(VALU_DEP_3) | instskip(NEXT) | instid1(VALU_DEP_3)
	v_mul_f32_e32 v60, v41, v60
	v_dual_fmac_f32 v33, v36, v28 :: v_dual_lshlrev_b32 v28, 16, v29
	s_delay_alu instid0(VALU_DEP_1) | instskip(NEXT) | instid1(VALU_DEP_1)
	v_dual_add_f32 v33, v58, v33 :: v_dual_lshlrev_b32 v32, 16, v32
	v_fmac_f32_e32 v60, v36, v32
	s_delay_alu instid0(VALU_DEP_1) | instskip(NEXT) | instid1(VALU_DEP_1)
	v_dual_add_f32 v59, v59, v60 :: v_dual_and_b32 v60, 0xffff0000, v29
	v_dual_mul_f32 v29, v61, v60 :: v_dual_and_b32 v32, 0xffff0000, v34
	v_lshlrev_b32_e32 v34, 16, v34
	s_delay_alu instid0(VALU_DEP_2) | instskip(NEXT) | instid1(VALU_DEP_1)
	v_mul_f32_e32 v32, v63, v32
	v_dual_fmac_f32 v29, v37, v28 :: v_dual_fmac_f32 v32, v38, v34
	v_dual_add_f32 v34, v59, v62 :: v_dual_and_b32 v59, 0xffff0000, v39
	s_delay_alu instid0(VALU_DEP_1) | instskip(SKIP_2) | instid1(VALU_DEP_1)
	v_dual_add_f32 v29, v33, v29 :: v_dual_add_f32 v32, v34, v32
	s_waitcnt vmcnt(5)
	v_and_b32_e32 v34, 0xffff0000, v24
	v_dual_mul_f32 v33, v41, v34 :: v_dual_lshlrev_b32 v24, 16, v24
	v_and_b32_e32 v62, 0xffff0000, v35
	s_delay_alu instid0(VALU_DEP_2) | instskip(SKIP_1) | instid1(VALU_DEP_3)
	v_dual_fmac_f32 v33, v36, v24 :: v_dual_and_b32 v34, 0xffff0000, v25
	v_and_b32_e32 v60, 0xffff0000, v30
	v_dual_mul_f32 v62, v59, v62 :: v_dual_lshlrev_b32 v39, 16, v39
	v_lshlrev_b32_e32 v35, 16, v35
	s_delay_alu instid0(VALU_DEP_4) | instskip(SKIP_2) | instid1(VALU_DEP_3)
	v_dual_mul_f32 v25, v61, v34 :: v_dual_lshlrev_b32 v24, 16, v25
	v_lshlrev_b32_e32 v28, 16, v30
	v_mul_f32_e32 v30, v63, v60
	v_dual_fmac_f32 v62, v39, v35 :: v_dual_fmac_f32 v25, v37, v24
	s_delay_alu instid0(VALU_DEP_2) | instskip(SKIP_1) | instid1(VALU_DEP_1)
	v_fmac_f32_e32 v30, v38, v28
	v_and_b32_e32 v28, 0xffff0000, v31
	v_dual_mul_f32 v28, v59, v28 :: v_dual_lshlrev_b32 v31, 16, v31
	s_delay_alu instid0(VALU_DEP_1) | instskip(NEXT) | instid1(VALU_DEP_1)
	v_dual_fmac_f32 v28, v39, v31 :: v_dual_add_f32 v31, v57, v33
	v_add_f32_e32 v25, v31, v25
	v_and_b32_e32 v31, 0xffff0000, v27
	v_add_f32_e32 v29, v29, v30
	v_lshlrev_b32_e32 v27, 16, v27
	s_delay_alu instid0(VALU_DEP_2) | instskip(SKIP_2) | instid1(VALU_DEP_2)
	v_dual_mul_f32 v31, v59, v31 :: v_dual_add_f32 v24, v29, v28
	s_waitcnt vmcnt(4)
	v_and_b32_e32 v28, 0xffff0000, v20
	v_dual_fmac_f32 v31, v39, v27 :: v_dual_lshlrev_b32 v20, 16, v20
	s_delay_alu instid0(VALU_DEP_2) | instskip(NEXT) | instid1(VALU_DEP_1)
	v_mul_f32_e32 v28, v41, v28
	v_fmac_f32_e32 v28, v36, v20
	v_lshlrev_b32_e32 v20, 16, v21
	v_add_f32_e32 v30, v32, v62
	v_and_b32_e32 v32, 0xffff0000, v26
	s_delay_alu instid0(VALU_DEP_4) | instskip(SKIP_4) | instid1(VALU_DEP_1)
	v_dual_add_f32 v27, v56, v28 :: v_dual_lshlrev_b32 v26, 16, v26
	s_waitcnt vmcnt(3)
	v_and_b32_e32 v28, 0xffff0000, v12
	v_lshlrev_b32_e32 v12, 16, v12
	v_mul_f32_e32 v29, v63, v32
	v_dual_fmac_f32 v29, v38, v26 :: v_dual_and_b32 v26, 0xffff0000, v21
	s_delay_alu instid0(VALU_DEP_1) | instskip(NEXT) | instid1(VALU_DEP_2)
	v_add_f32_e32 v25, v25, v29
	v_mul_f32_e32 v21, v61, v26
	v_and_b32_e32 v29, 0xffff0000, v13
	s_delay_alu instid0(VALU_DEP_3) | instskip(NEXT) | instid1(VALU_DEP_3)
	v_add_f32_e32 v25, v25, v31
	v_fmac_f32_e32 v21, v37, v20
	v_lshlrev_b32_e32 v13, 16, v13
	v_and_b32_e32 v26, 0xffff0000, v22
	v_lshlrev_b32_e32 v20, 16, v22
	v_and_b32_e32 v31, 0xffff0000, v14
	v_add_f32_e32 v21, v27, v21
	s_delay_alu instid0(VALU_DEP_4) | instskip(SKIP_2) | instid1(VALU_DEP_3)
	v_dual_mul_f32 v22, v63, v26 :: v_dual_and_b32 v27, 0xffff0000, v23
	v_lshlrev_b32_e32 v23, 16, v23
	v_and_b32_e32 v26, 0xffff0000, v16
	v_dual_mul_f32 v27, v59, v27 :: v_dual_lshlrev_b32 v16, 16, v16
	s_delay_alu instid0(VALU_DEP_4) | instskip(NEXT) | instid1(VALU_DEP_2)
	v_fmac_f32_e32 v22, v38, v20
	v_dual_mul_f32 v20, v26, v28 :: v_dual_fmac_f32 v27, v39, v23
	s_delay_alu instid0(VALU_DEP_1) | instskip(SKIP_2) | instid1(VALU_DEP_1)
	v_fmac_f32_e32 v20, v16, v12
	v_lshlrev_b32_e32 v12, 16, v17
	v_and_b32_e32 v28, 0xffff0000, v17
	v_dual_mul_f32 v17, v28, v29 :: v_dual_lshlrev_b32 v14, 16, v14
	v_and_b32_e32 v29, 0xffff0000, v18
	s_waitcnt vmcnt(2)
	v_dual_add_f32 v21, v21, v22 :: v_dual_and_b32 v22, 0xffff0000, v8
	s_delay_alu instid0(VALU_DEP_3) | instskip(SKIP_1) | instid1(VALU_DEP_1)
	v_fmac_f32_e32 v17, v12, v13
	v_dual_add_f32 v20, v30, v20 :: v_dual_lshlrev_b32 v13, 16, v18
	v_dual_mul_f32 v18, v29, v31 :: v_dual_add_f32 v17, v20, v17
	s_delay_alu instid0(VALU_DEP_4) | instskip(NEXT) | instid1(VALU_DEP_2)
	v_dual_add_f32 v20, v21, v27 :: v_dual_and_b32 v21, 0xffff0000, v9
	v_fmac_f32_e32 v18, v13, v14
	v_mul_f32_e32 v14, v26, v22
	v_and_b32_e32 v22, 0xffff0000, v15
	v_lshlrev_b32_e32 v15, 16, v15
	s_delay_alu instid0(VALU_DEP_4) | instskip(NEXT) | instid1(VALU_DEP_1)
	v_dual_add_f32 v17, v17, v18 :: v_dual_and_b32 v18, 0xffff0000, v19
	v_dual_mul_f32 v22, v18, v22 :: v_dual_lshlrev_b32 v19, 16, v19
	s_waitcnt vmcnt(0)
	s_delay_alu instid0(VALU_DEP_1) | instskip(NEXT) | instid1(VALU_DEP_1)
	v_dual_fmac_f32 v22, v19, v15 :: v_dual_and_b32 v15, 0xffff0000, v1
	v_dual_add_f32 v59, v17, v22 :: v_dual_lshlrev_b32 v8, 16, v8
	s_delay_alu instid0(VALU_DEP_1) | instskip(SKIP_3) | instid1(VALU_DEP_4)
	v_fmac_f32_e32 v14, v16, v8
	v_lshlrev_b32_e32 v8, 16, v9
	v_mul_f32_e32 v9, v28, v21
	v_and_b32_e32 v21, 0xffff0000, v10
	v_add_f32_e32 v14, v24, v14
	s_delay_alu instid0(VALU_DEP_3) | instskip(NEXT) | instid1(VALU_DEP_3)
	v_dual_fmac_f32 v9, v12, v8 :: v_dual_lshlrev_b32 v8, 16, v10
	v_dual_mul_f32 v10, v29, v21 :: v_dual_and_b32 v21, 0xffff0000, v4
	s_delay_alu instid0(VALU_DEP_2) | instskip(SKIP_1) | instid1(VALU_DEP_3)
	v_dual_add_f32 v9, v14, v9 :: v_dual_lshlrev_b32 v4, 16, v4
	v_and_b32_e32 v14, 0xffff0000, v5
	v_fmac_f32_e32 v10, v13, v8
	s_delay_alu instid0(VALU_DEP_1) | instskip(NEXT) | instid1(VALU_DEP_1)
	v_dual_mul_f32 v8, v26, v21 :: v_dual_add_f32 v9, v9, v10
	v_fmac_f32_e32 v8, v16, v4
	s_delay_alu instid0(VALU_DEP_4) | instskip(SKIP_2) | instid1(VALU_DEP_4)
	v_dual_mul_f32 v5, v28, v14 :: v_dual_lshlrev_b32 v4, 16, v5
	v_and_b32_e32 v14, 0xffff0000, v0
	v_lshlrev_b32_e32 v0, 16, v0
	v_add_f32_e32 v8, v25, v8
	s_delay_alu instid0(VALU_DEP_4) | instskip(SKIP_4) | instid1(VALU_DEP_4)
	v_dual_fmac_f32 v5, v12, v4 :: v_dual_and_b32 v10, 0xffff0000, v11
	v_and_b32_e32 v4, 0xffff0000, v6
	v_mul_f32_e32 v14, v26, v14
	v_lshlrev_b32_e32 v6, 16, v6
	v_lshlrev_b32_e32 v11, 16, v11
	v_dual_add_f32 v5, v8, v5 :: v_dual_mul_f32 v4, v29, v4
	s_delay_alu instid0(VALU_DEP_4) | instskip(SKIP_2) | instid1(VALU_DEP_4)
	v_fmac_f32_e32 v14, v16, v0
	v_dual_mul_f32 v1, v28, v15 :: v_dual_lshlrev_b32 v0, 16, v1
	v_and_b32_e32 v8, 0xffff0000, v7
	v_fmac_f32_e32 v4, v13, v6
	v_and_b32_e32 v6, 0xffff0000, v2
	v_add_f32_e32 v14, v20, v14
	v_dual_fmac_f32 v1, v12, v0 :: v_dual_lshlrev_b32 v0, 16, v2
	v_mul_f32_e32 v10, v18, v10
	s_delay_alu instid0(VALU_DEP_4) | instskip(SKIP_2) | instid1(VALU_DEP_3)
	v_mul_f32_e32 v2, v29, v6
	v_lshlrev_b32_e32 v6, 16, v7
	v_dual_mul_f32 v8, v18, v8 :: v_dual_and_b32 v7, 0xffff0000, v3
	v_dual_add_f32 v1, v14, v1 :: v_dual_fmac_f32 v2, v13, v0
	v_lshlrev_b32_e32 v0, 16, v3
	s_delay_alu instid0(VALU_DEP_3) | instskip(SKIP_4) | instid1(VALU_DEP_4)
	v_mul_f32_e32 v3, v18, v7
	v_fmac_f32_e32 v10, v19, v11
	v_add_f32_e32 v4, v5, v4
	v_fmac_f32_e32 v8, v19, v6
	v_add_f32_e32 v1, v1, v2
	v_dual_fmac_f32 v3, v19, v0 :: v_dual_add_f32 v58, v9, v10
	s_delay_alu instid0(VALU_DEP_1)
	v_dual_add_f32 v57, v4, v8 :: v_dual_add_f32 v56, v1, v3
	s_cbranch_scc1 .LBB185_15
.LBB185_12:                             ;   Parent Loop BB185_8 Depth=1
                                        ; =>  This Inner Loop Header: Depth=2
	v_add_nc_u32_e32 v36, s13, v51
	v_dual_mov_b32 v38, 0 :: v_dual_mov_b32 v39, 0
	v_mov_b32_e32 v37, 0
	s_delay_alu instid0(VALU_DEP_3) | instskip(SKIP_1) | instid1(VALU_DEP_2)
	v_min_u32_e32 v41, s15, v36
	v_add_nc_u32_e32 v60, 0x200, v36
	v_lshlrev_b64 v[0:1], 1, v[41:42]
	s_delay_alu instid0(VALU_DEP_2) | instskip(SKIP_1) | instid1(VALU_DEP_2)
	v_min_u32_e32 v41, s15, v60
	s_waitcnt lgkmcnt(0)
	v_add_co_u32 v8, vcc_lo, s2, v0
	s_delay_alu instid0(VALU_DEP_3) | instskip(NEXT) | instid1(VALU_DEP_3)
	v_add_co_ci_u32_e32 v9, vcc_lo, s3, v1, vcc_lo
	v_lshlrev_b64 v[0:1], 1, v[41:42]
	s_delay_alu instid0(VALU_DEP_3) | instskip(NEXT) | instid1(VALU_DEP_3)
	v_add_co_u32 v2, vcc_lo, v8, v43
	v_add_co_ci_u32_e32 v3, vcc_lo, v9, v44, vcc_lo
	v_add_co_u32 v4, vcc_lo, v8, v45
	v_add_co_ci_u32_e32 v5, vcc_lo, v9, v46, vcc_lo
	;; [unrolled: 2-line block ×5, first 2 shown]
	s_clause 0x1
	global_load_b128 v[32:35], v[2:3], off slc dlc
	global_load_b128 v[28:31], v[4:5], off slc dlc
	v_add_co_u32 v2, vcc_lo, v10, v43
	v_add_co_ci_u32_e32 v3, vcc_lo, v11, v44, vcc_lo
	v_add_co_u32 v4, vcc_lo, v10, v45
	v_add_co_ci_u32_e32 v5, vcc_lo, v11, v46, vcc_lo
	;; [unrolled: 2-line block ×4, first 2 shown]
	s_clause 0x5
	global_load_b128 v[24:27], v[6:7], off slc dlc
	global_load_b128 v[20:23], v[0:1], off slc dlc
	;; [unrolled: 1-line block ×6, first 2 shown]
	v_mov_b32_e32 v17, 0
	v_mov_b32_e32 v19, 0
	v_cmp_gt_u32_e32 vcc_lo, s4, v36
	v_mov_b32_e32 v18, 0
	v_mov_b32_e32 v16, 0
	;; [unrolled: 1-line block ×3, first 2 shown]
	s_and_saveexec_b32 s18, vcc_lo
	s_cbranch_execz .LBB185_11
; %bb.13:                               ;   in Loop: Header=BB185_12 Depth=2
	ds_load_b128 v[36:39], v55
	v_dual_mov_b32 v16, 0 :: v_dual_mov_b32 v17, 0
	v_dual_mov_b32 v18, 0 :: v_dual_mov_b32 v19, 0
	s_mov_b32 s19, exec_lo
	v_cmpx_gt_u32_e64 s4, v60
	s_cbranch_execz .LBB185_10
; %bb.14:                               ;   in Loop: Header=BB185_12 Depth=2
	ds_load_b128 v[16:19], v55 offset:1024
	s_branch .LBB185_10
.LBB185_15:                             ;   in Loop: Header=BB185_8 Depth=1
	; sched_barrier mask(0x00000000)
	s_delay_alu instid0(VALU_DEP_1)
	v_cvt_i32_f32_e32 v0, v59
	s_waitcnt lgkmcnt(0)
	v_cvt_i32_f32_e32 v1, v58
	v_cvt_i32_f32_e32 v2, v57
	;; [unrolled: 1-line block ×3, first 2 shown]
	v_cvt_f32_i32_dpp v0, v0 row_shr:8 row_mask:0xf bank_mask:0xf bound_ctrl:1
	s_delay_alu instid0(VALU_DEP_4) | instskip(NEXT) | instid1(VALU_DEP_4)
	v_cvt_f32_i32_dpp v1, v1 row_shr:8 row_mask:0xf bank_mask:0xf bound_ctrl:1
	v_cvt_f32_i32_dpp v2, v2 row_shr:8 row_mask:0xf bank_mask:0xf bound_ctrl:1
	s_delay_alu instid0(VALU_DEP_4) | instskip(NEXT) | instid1(VALU_DEP_3)
	v_cvt_f32_i32_dpp v3, v3 row_shr:8 row_mask:0xf bank_mask:0xf bound_ctrl:1
	v_dual_add_f32 v0, v59, v0 :: v_dual_add_f32 v1, v58, v1
	s_delay_alu instid0(VALU_DEP_2) | instskip(NEXT) | instid1(VALU_DEP_2)
	v_dual_add_f32 v2, v57, v2 :: v_dual_add_f32 v3, v56, v3
	v_cvt_i32_f32_e32 v4, v0
	s_delay_alu instid0(VALU_DEP_3) | instskip(NEXT) | instid1(VALU_DEP_3)
	v_cvt_i32_f32_e32 v5, v1
	v_cvt_i32_f32_e32 v6, v2
	s_delay_alu instid0(VALU_DEP_4) | instskip(NEXT) | instid1(VALU_DEP_4)
	v_cvt_i32_f32_e32 v7, v3
	v_cvt_f32_i32_dpp v4, v4 row_shr:4 row_mask:0xf bank_mask:0xf bound_ctrl:1
	s_delay_alu instid0(VALU_DEP_4) | instskip(NEXT) | instid1(VALU_DEP_4)
	v_cvt_f32_i32_dpp v5, v5 row_shr:4 row_mask:0xf bank_mask:0xf bound_ctrl:1
	v_cvt_f32_i32_dpp v6, v6 row_shr:4 row_mask:0xf bank_mask:0xf bound_ctrl:1
	s_delay_alu instid0(VALU_DEP_4) | instskip(NEXT) | instid1(VALU_DEP_3)
	v_cvt_f32_i32_dpp v7, v7 row_shr:4 row_mask:0xf bank_mask:0xf bound_ctrl:1
	v_dual_add_f32 v0, v0, v4 :: v_dual_add_f32 v1, v1, v5
	s_delay_alu instid0(VALU_DEP_2) | instskip(NEXT) | instid1(VALU_DEP_2)
	v_dual_add_f32 v2, v2, v6 :: v_dual_add_f32 v3, v3, v7
	v_cvt_i32_f32_e32 v4, v0
	s_delay_alu instid0(VALU_DEP_3) | instskip(NEXT) | instid1(VALU_DEP_3)
	v_cvt_i32_f32_e32 v5, v1
	v_cvt_i32_f32_e32 v6, v2
	s_delay_alu instid0(VALU_DEP_4) | instskip(NEXT) | instid1(VALU_DEP_4)
	v_cvt_i32_f32_e32 v7, v3
	v_cvt_f32_i32_dpp v4, v4 row_shr:2 row_mask:0xf bank_mask:0xf bound_ctrl:1
	s_delay_alu instid0(VALU_DEP_4) | instskip(NEXT) | instid1(VALU_DEP_4)
	v_cvt_f32_i32_dpp v5, v5 row_shr:2 row_mask:0xf bank_mask:0xf bound_ctrl:1
	v_cvt_f32_i32_dpp v6, v6 row_shr:2 row_mask:0xf bank_mask:0xf bound_ctrl:1
	s_delay_alu instid0(VALU_DEP_4) | instskip(NEXT) | instid1(VALU_DEP_3)
	v_cvt_f32_i32_dpp v7, v7 row_shr:2 row_mask:0xf bank_mask:0xf bound_ctrl:1
	v_dual_add_f32 v0, v0, v4 :: v_dual_add_f32 v1, v1, v5
	s_delay_alu instid0(VALU_DEP_2) | instskip(NEXT) | instid1(VALU_DEP_2)
	v_dual_add_f32 v2, v2, v6 :: v_dual_add_f32 v3, v3, v7
	v_cvt_i32_f32_e32 v4, v0
	s_delay_alu instid0(VALU_DEP_3) | instskip(NEXT) | instid1(VALU_DEP_3)
	v_cvt_i32_f32_e32 v5, v1
	v_cvt_i32_f32_e32 v6, v2
	s_delay_alu instid0(VALU_DEP_4) | instskip(NEXT) | instid1(VALU_DEP_4)
	v_cvt_i32_f32_e32 v7, v3
	v_cvt_f32_i32_dpp v4, v4 row_shr:1 row_mask:0xf bank_mask:0xf bound_ctrl:1
	s_delay_alu instid0(VALU_DEP_4) | instskip(NEXT) | instid1(VALU_DEP_4)
	v_cvt_f32_i32_dpp v5, v5 row_shr:1 row_mask:0xf bank_mask:0xf bound_ctrl:1
	v_cvt_f32_i32_dpp v6, v6 row_shr:1 row_mask:0xf bank_mask:0xf bound_ctrl:1
	s_delay_alu instid0(VALU_DEP_4) | instskip(NEXT) | instid1(VALU_DEP_3)
	v_cvt_f32_i32_dpp v8, v7 row_shr:1 row_mask:0xf bank_mask:0xf bound_ctrl:1
	v_dual_add_f32 v7, v0, v4 :: v_dual_add_f32 v0, v1, v5
	s_delay_alu instid0(VALU_DEP_3) | instskip(NEXT) | instid1(VALU_DEP_3)
	v_add_f32_e32 v4, v2, v6
	v_add_f32_e32 v2, v3, v8
	ds_bpermute_b32 v8, v53, v7
	ds_bpermute_b32 v1, v53, v0
	;; [unrolled: 1-line block ×4, first 2 shown]
	s_and_saveexec_b32 s13, s0
	s_cbranch_execz .LBB185_7
; %bb.16:                               ;   in Loop: Header=BB185_8 Depth=1
	v_dual_mov_b32 v6, 0 :: v_dual_mov_b32 v9, 0
	v_dual_mov_b32 v10, 0 :: v_dual_mov_b32 v11, 0
	s_and_not1_b32 vcc_lo, exec_lo, s17
	s_cbranch_vccnz .LBB185_18
; %bb.17:                               ;   in Loop: Header=BB185_8 Depth=1
	v_mul_hi_u32 v6, v40, v54
	v_or_b32_e32 v9, 1, v40
	v_or_b32_e32 v10, 2, v40
	;; [unrolled: 1-line block ×3, first 2 shown]
	s_delay_alu instid0(VALU_DEP_3) | instskip(NEXT) | instid1(VALU_DEP_3)
	v_mul_hi_u32 v12, v9, v54
	v_mul_hi_u32 v13, v10, v54
	v_mul_lo_u32 v6, v6, s14
	s_delay_alu instid0(VALU_DEP_4) | instskip(NEXT) | instid1(VALU_DEP_4)
	v_mul_hi_u32 v14, v11, v54
	v_mul_lo_u32 v12, v12, s14
	s_delay_alu instid0(VALU_DEP_4) | instskip(NEXT) | instid1(VALU_DEP_4)
	v_mul_lo_u32 v13, v13, s14
	v_sub_nc_u32_e32 v6, v40, v6
	s_delay_alu instid0(VALU_DEP_4) | instskip(NEXT) | instid1(VALU_DEP_2)
	v_mul_lo_u32 v14, v14, s14
	v_subrev_nc_u32_e32 v15, s14, v6
	v_sub_nc_u32_e32 v9, v9, v12
	v_cmp_le_u32_e32 vcc_lo, s14, v6
	v_sub_nc_u32_e32 v10, v10, v13
	v_sub_nc_u32_e32 v11, v11, v14
	s_delay_alu instid0(VALU_DEP_4) | instskip(SKIP_4) | instid1(VALU_DEP_4)
	v_subrev_nc_u32_e32 v12, s14, v9
	v_cndmask_b32_e32 v6, v6, v15, vcc_lo
	v_cmp_le_u32_e32 vcc_lo, s14, v9
	v_subrev_nc_u32_e32 v13, s14, v10
	v_subrev_nc_u32_e32 v15, s14, v11
	;; [unrolled: 1-line block ×3, first 2 shown]
	v_cndmask_b32_e32 v12, v9, v12, vcc_lo
	v_cmp_le_u32_e32 vcc_lo, s14, v6
	s_delay_alu instid0(VALU_DEP_3)
	v_cndmask_b32_e32 v41, v6, v14, vcc_lo
	v_cmp_le_u32_e32 vcc_lo, s14, v10
	v_cndmask_b32_e32 v6, v10, v13, vcc_lo
	v_cmp_le_u32_e32 vcc_lo, s14, v11
	v_subrev_nc_u32_e32 v13, s14, v12
	v_lshlrev_b64 v[9:10], 1, v[41:42]
	v_cndmask_b32_e32 v15, v11, v15, vcc_lo
	v_cmp_le_u32_e32 vcc_lo, s14, v12
	s_delay_alu instid0(VALU_DEP_2) | instskip(SKIP_3) | instid1(VALU_DEP_3)
	v_subrev_nc_u32_e32 v16, s14, v15
	v_cndmask_b32_e32 v41, v12, v13, vcc_lo
	v_subrev_nc_u32_e32 v13, s14, v6
	v_cmp_le_u32_e32 vcc_lo, s14, v6
	v_lshlrev_b64 v[11:12], 1, v[41:42]
	s_delay_alu instid0(VALU_DEP_3) | instskip(SKIP_3) | instid1(VALU_DEP_4)
	v_cndmask_b32_e32 v41, v6, v13, vcc_lo
	v_add_co_u32 v9, vcc_lo, s8, v9
	v_add_co_ci_u32_e32 v10, vcc_lo, s9, v10, vcc_lo
	v_cmp_le_u32_e32 vcc_lo, s14, v15
	v_lshlrev_b64 v[13:14], 1, v[41:42]
	v_cndmask_b32_e32 v41, v15, v16, vcc_lo
	v_add_co_u32 v15, vcc_lo, s8, v11
	v_add_co_ci_u32_e32 v16, vcc_lo, s9, v12, vcc_lo
	s_delay_alu instid0(VALU_DEP_3) | instskip(SKIP_2) | instid1(VALU_DEP_3)
	v_lshlrev_b64 v[11:12], 1, v[41:42]
	v_add_co_u32 v13, vcc_lo, s8, v13
	v_add_co_ci_u32_e32 v14, vcc_lo, s9, v14, vcc_lo
	v_add_co_u32 v17, vcc_lo, s8, v11
	s_delay_alu instid0(VALU_DEP_4)
	v_add_co_ci_u32_e32 v18, vcc_lo, s9, v12, vcc_lo
	s_clause 0x3
	global_load_u16 v11, v[9:10], off
	global_load_u16 v10, v[15:16], off
	;; [unrolled: 1-line block ×4, first 2 shown]
.LBB185_18:                             ;   in Loop: Header=BB185_8 Depth=1
	s_waitcnt vmcnt(3) lgkmcnt(0)
	s_delay_alu instid0(VALU_DEP_1) | instskip(NEXT) | instid1(VALU_DEP_1)
	v_dual_add_f32 v7, v7, v8 :: v_dual_lshlrev_b32 v8, 16, v11
	v_add_f32_e32 v8, v7, v8
	s_delay_alu instid0(VALU_DEP_1) | instskip(NEXT) | instid1(VALU_DEP_1)
	v_and_b32_e32 v7, 0x7f800000, v8
	v_cmp_ne_u32_e32 vcc_lo, 0x7f800000, v7
                                        ; implicit-def: $vgpr7
	s_and_saveexec_b32 s18, vcc_lo
	s_delay_alu instid0(SALU_CYCLE_1)
	s_xor_b32 s18, exec_lo, s18
; %bb.19:                               ;   in Loop: Header=BB185_8 Depth=1
	v_bfe_u32 v7, v8, 16, 1
	s_delay_alu instid0(VALU_DEP_1)
	v_add3_u32 v7, v8, v7, 0x7fff
                                        ; implicit-def: $vgpr8
; %bb.20:                               ;   in Loop: Header=BB185_8 Depth=1
	s_and_not1_saveexec_b32 s18, s18
; %bb.21:                               ;   in Loop: Header=BB185_8 Depth=1
	v_and_b32_e32 v7, 0xffff, v8
	v_or_b32_e32 v11, 0x10000, v8
	s_delay_alu instid0(VALU_DEP_2) | instskip(NEXT) | instid1(VALU_DEP_2)
	v_cmp_eq_u32_e32 vcc_lo, 0, v7
	v_cndmask_b32_e32 v7, v11, v8, vcc_lo
; %bb.22:                               ;   in Loop: Header=BB185_8 Depth=1
	s_or_b32 exec_lo, exec_lo, s18
	s_waitcnt vmcnt(2)
	v_dual_add_f32 v0, v0, v1 :: v_dual_lshlrev_b32 v1, 16, v10
	v_mov_b32_e32 v41, v42
	s_mov_b32 s18, exec_lo
	s_delay_alu instid0(VALU_DEP_2) | instskip(NEXT) | instid1(VALU_DEP_2)
	v_add_f32_e32 v8, v0, v1
	v_lshlrev_b64 v[0:1], 1, v[40:41]
	s_delay_alu instid0(VALU_DEP_2) | instskip(NEXT) | instid1(VALU_DEP_2)
	v_and_b32_e32 v10, 0x7f800000, v8
	v_add_co_u32 v0, vcc_lo, s10, v0
	s_delay_alu instid0(VALU_DEP_3)
	v_add_co_ci_u32_e32 v1, vcc_lo, s11, v1, vcc_lo
	global_store_d16_hi_b16 v[0:1], v7, off
                                        ; implicit-def: $vgpr7
	v_cmpx_ne_u32_e32 0x7f800000, v10
	s_xor_b32 s18, exec_lo, s18
; %bb.23:                               ;   in Loop: Header=BB185_8 Depth=1
	v_bfe_u32 v7, v8, 16, 1
	s_delay_alu instid0(VALU_DEP_1)
	v_add3_u32 v7, v8, v7, 0x7fff
                                        ; implicit-def: $vgpr8
; %bb.24:                               ;   in Loop: Header=BB185_8 Depth=1
	s_and_not1_saveexec_b32 s18, s18
; %bb.25:                               ;   in Loop: Header=BB185_8 Depth=1
	v_and_b32_e32 v7, 0xffff, v8
	v_or_b32_e32 v10, 0x10000, v8
	s_delay_alu instid0(VALU_DEP_2) | instskip(NEXT) | instid1(VALU_DEP_2)
	v_cmp_eq_u32_e32 vcc_lo, 0, v7
	v_cndmask_b32_e32 v7, v10, v8, vcc_lo
; %bb.26:                               ;   in Loop: Header=BB185_8 Depth=1
	s_or_b32 exec_lo, exec_lo, s18
	v_add_f32_e32 v4, v4, v5
	s_waitcnt vmcnt(1)
	v_lshlrev_b32_e32 v5, 16, v9
	global_store_d16_hi_b16 v[0:1], v7, off offset:2
	v_add_f32_e32 v5, v4, v5
	s_delay_alu instid0(VALU_DEP_1) | instskip(NEXT) | instid1(VALU_DEP_1)
	v_and_b32_e32 v4, 0x7f800000, v5
	v_cmp_ne_u32_e32 vcc_lo, 0x7f800000, v4
                                        ; implicit-def: $vgpr4
	s_and_saveexec_b32 s18, vcc_lo
	s_delay_alu instid0(SALU_CYCLE_1)
	s_xor_b32 s18, exec_lo, s18
; %bb.27:                               ;   in Loop: Header=BB185_8 Depth=1
	v_bfe_u32 v4, v5, 16, 1
	s_delay_alu instid0(VALU_DEP_1)
	v_add3_u32 v4, v5, v4, 0x7fff
                                        ; implicit-def: $vgpr5
; %bb.28:                               ;   in Loop: Header=BB185_8 Depth=1
	s_and_not1_saveexec_b32 s18, s18
; %bb.29:                               ;   in Loop: Header=BB185_8 Depth=1
	v_and_b32_e32 v4, 0xffff, v5
	v_or_b32_e32 v7, 0x10000, v5
	s_delay_alu instid0(VALU_DEP_2) | instskip(NEXT) | instid1(VALU_DEP_2)
	v_cmp_eq_u32_e32 vcc_lo, 0, v4
	v_cndmask_b32_e32 v4, v7, v5, vcc_lo
; %bb.30:                               ;   in Loop: Header=BB185_8 Depth=1
	s_or_b32 exec_lo, exec_lo, s18
	s_waitcnt vmcnt(0)
	v_dual_add_f32 v2, v2, v3 :: v_dual_lshlrev_b32 v3, 16, v6
	global_store_d16_hi_b16 v[0:1], v4, off offset:4
	v_add_f32_e32 v2, v2, v3
	s_delay_alu instid0(VALU_DEP_1) | instskip(NEXT) | instid1(VALU_DEP_1)
	v_and_b32_e32 v3, 0x7f800000, v2
	v_cmp_ne_u32_e32 vcc_lo, 0x7f800000, v3
                                        ; implicit-def: $vgpr3
	s_and_saveexec_b32 s18, vcc_lo
	s_delay_alu instid0(SALU_CYCLE_1)
	s_xor_b32 s18, exec_lo, s18
; %bb.31:                               ;   in Loop: Header=BB185_8 Depth=1
	v_bfe_u32 v3, v2, 16, 1
	s_delay_alu instid0(VALU_DEP_1)
	v_add3_u32 v3, v2, v3, 0x7fff
                                        ; implicit-def: $vgpr2
; %bb.32:                               ;   in Loop: Header=BB185_8 Depth=1
	s_and_not1_saveexec_b32 s18, s18
	s_cbranch_execz .LBB185_6
; %bb.33:                               ;   in Loop: Header=BB185_8 Depth=1
	v_and_b32_e32 v3, 0xffff, v2
	v_or_b32_e32 v4, 0x10000, v2
	s_delay_alu instid0(VALU_DEP_2) | instskip(NEXT) | instid1(VALU_DEP_2)
	v_cmp_eq_u32_e32 vcc_lo, 0, v3
	v_cndmask_b32_e32 v3, v4, v2, vcc_lo
	s_branch .LBB185_6
.LBB185_34:
	s_nop 0
	s_sendmsg sendmsg(MSG_DEALLOC_VGPRS)
	s_endpgm
	.section	.rodata,"a",@progbits
	.p2align	6, 0x0
	.amdhsa_kernel _Z16wvSplitK_hf_sml_I14__hip_bfloat16Li64ELi4ELi16ELi8ELi2ELi1EEviiiiiiPKT_S3_S3_PS1_ii
		.amdhsa_group_segment_fixed_size 65536
		.amdhsa_private_segment_fixed_size 0
		.amdhsa_kernarg_size 64
		.amdhsa_user_sgpr_count 15
		.amdhsa_user_sgpr_dispatch_ptr 0
		.amdhsa_user_sgpr_queue_ptr 0
		.amdhsa_user_sgpr_kernarg_segment_ptr 1
		.amdhsa_user_sgpr_dispatch_id 0
		.amdhsa_user_sgpr_private_segment_size 0
		.amdhsa_wavefront_size32 1
		.amdhsa_uses_dynamic_stack 0
		.amdhsa_enable_private_segment 0
		.amdhsa_system_sgpr_workgroup_id_x 1
		.amdhsa_system_sgpr_workgroup_id_y 0
		.amdhsa_system_sgpr_workgroup_id_z 0
		.amdhsa_system_sgpr_workgroup_info 0
		.amdhsa_system_vgpr_workitem_id 1
		.amdhsa_next_free_vgpr 64
		.amdhsa_next_free_sgpr 20
		.amdhsa_reserve_vcc 1
		.amdhsa_float_round_mode_32 0
		.amdhsa_float_round_mode_16_64 0
		.amdhsa_float_denorm_mode_32 3
		.amdhsa_float_denorm_mode_16_64 3
		.amdhsa_dx10_clamp 1
		.amdhsa_ieee_mode 1
		.amdhsa_fp16_overflow 0
		.amdhsa_workgroup_processor_mode 1
		.amdhsa_memory_ordered 1
		.amdhsa_forward_progress 0
		.amdhsa_shared_vgpr_count 0
		.amdhsa_exception_fp_ieee_invalid_op 0
		.amdhsa_exception_fp_denorm_src 0
		.amdhsa_exception_fp_ieee_div_zero 0
		.amdhsa_exception_fp_ieee_overflow 0
		.amdhsa_exception_fp_ieee_underflow 0
		.amdhsa_exception_fp_ieee_inexact 0
		.amdhsa_exception_int_div_zero 0
	.end_amdhsa_kernel
	.section	.text._Z16wvSplitK_hf_sml_I14__hip_bfloat16Li64ELi4ELi16ELi8ELi2ELi1EEviiiiiiPKT_S3_S3_PS1_ii,"axG",@progbits,_Z16wvSplitK_hf_sml_I14__hip_bfloat16Li64ELi4ELi16ELi8ELi2ELi1EEviiiiiiPKT_S3_S3_PS1_ii,comdat
.Lfunc_end185:
	.size	_Z16wvSplitK_hf_sml_I14__hip_bfloat16Li64ELi4ELi16ELi8ELi2ELi1EEviiiiiiPKT_S3_S3_PS1_ii, .Lfunc_end185-_Z16wvSplitK_hf_sml_I14__hip_bfloat16Li64ELi4ELi16ELi8ELi2ELi1EEviiiiiiPKT_S3_S3_PS1_ii
                                        ; -- End function
	.section	.AMDGPU.csdata,"",@progbits
; Kernel info:
; codeLenInByte = 3312
; NumSgprs: 22
; NumVgprs: 64
; ScratchSize: 0
; MemoryBound: 0
; FloatMode: 240
; IeeeMode: 1
; LDSByteSize: 65536 bytes/workgroup (compile time only)
; SGPRBlocks: 2
; VGPRBlocks: 7
; NumSGPRsForWavesPerEU: 22
; NumVGPRsForWavesPerEU: 64
; Occupancy: 16
; WaveLimiterHint : 0
; COMPUTE_PGM_RSRC2:SCRATCH_EN: 0
; COMPUTE_PGM_RSRC2:USER_SGPR: 15
; COMPUTE_PGM_RSRC2:TRAP_HANDLER: 0
; COMPUTE_PGM_RSRC2:TGID_X_EN: 1
; COMPUTE_PGM_RSRC2:TGID_Y_EN: 0
; COMPUTE_PGM_RSRC2:TGID_Z_EN: 0
; COMPUTE_PGM_RSRC2:TIDIG_COMP_CNT: 1
	.section	.text._Z12wvSplitK_hf_I14__hip_bfloat16Li64ELi4ELi16ELi8ELi2ELi1EEviiiiiiPKT_S3_S3_PS1_ii,"axG",@progbits,_Z12wvSplitK_hf_I14__hip_bfloat16Li64ELi4ELi16ELi8ELi2ELi1EEviiiiiiPKT_S3_S3_PS1_ii,comdat
	.protected	_Z12wvSplitK_hf_I14__hip_bfloat16Li64ELi4ELi16ELi8ELi2ELi1EEviiiiiiPKT_S3_S3_PS1_ii ; -- Begin function _Z12wvSplitK_hf_I14__hip_bfloat16Li64ELi4ELi16ELi8ELi2ELi1EEviiiiiiPKT_S3_S3_PS1_ii
	.globl	_Z12wvSplitK_hf_I14__hip_bfloat16Li64ELi4ELi16ELi8ELi2ELi1EEviiiiiiPKT_S3_S3_PS1_ii
	.p2align	8
	.type	_Z12wvSplitK_hf_I14__hip_bfloat16Li64ELi4ELi16ELi8ELi2ELi1EEviiiiiiPKT_S3_S3_PS1_ii,@function
_Z12wvSplitK_hf_I14__hip_bfloat16Li64ELi4ELi16ELi8ELi2ELi1EEviiiiiiPKT_S3_S3_PS1_ii: ; @_Z12wvSplitK_hf_I14__hip_bfloat16Li64ELi4ELi16ELi8ELi2ELi1EEviiiiiiPKT_S3_S3_PS1_ii
; %bb.0:
	s_clause 0x1
	s_load_b64 s[16:17], s[0:1], 0x38
	s_load_b128 s[4:7], s[0:1], 0x0
	v_bfe_u32 v7, v0, 10, 10
	s_clause 0x1
	s_load_b64 s[12:13], s[0:1], 0x20
	s_load_b32 s18, s[0:1], 0x10
	s_mov_b32 s8, 1
	s_delay_alu instid0(SALU_CYCLE_1) | instskip(SKIP_4) | instid1(SALU_CYCLE_1)
	s_mov_b32 s9, s8
	s_mov_b32 s10, s8
	;; [unrolled: 1-line block ×3, first 2 shown]
	s_waitcnt lgkmcnt(0)
	s_mul_i32 s15, s15, s16
	v_add_lshl_u32 v45, s15, v7, 2
	s_delay_alu instid0(VALU_DEP_1) | instskip(SKIP_1) | instid1(VALU_DEP_2)
	v_add_nc_u32_e32 v1, 4, v45
	v_cmp_gt_u32_e32 vcc_lo, s7, v45
	v_cmp_le_u32_e64 s2, s7, v1
	v_dual_mov_b32 v1, s8 :: v_dual_mov_b32 v4, s11
	v_dual_mov_b32 v2, s9 :: v_dual_mov_b32 v3, s10
	s_delay_alu instid0(VALU_DEP_3) | instskip(NEXT) | instid1(SALU_CYCLE_1)
	s_and_b32 s2, vcc_lo, s2
	s_and_saveexec_b32 s14, s2
	s_cbranch_execz .LBB186_6
; %bb.1:
	v_dual_mov_b32 v1, s8 :: v_dual_mov_b32 v2, s9
	v_dual_mov_b32 v3, s10 :: v_dual_mov_b32 v4, s11
	s_add_i32 s15, s7, -4
	s_mov_b32 s19, exec_lo
	v_cmpx_ne_u32_e64 s15, v45
	s_cbranch_execz .LBB186_5
; %bb.2:
	v_subrev_nc_u32_e32 v1, s15, v45
	s_mov_b32 s20, 0
	s_mov_b64 s[2:3], 0
	s_mov_b32 s9, s8
	s_mov_b32 s10, s8
	v_cmp_lt_u32_e32 vcc_lo, 1, v1
	s_mov_b32 s11, s8
	v_cndmask_b32_e32 v5, 1, v1, vcc_lo
	.p2align	6
.LBB186_3:                              ; =>This Inner Loop Header: Depth=1
	s_cmp_lg_u32 s2, 3
	s_cselect_b32 s11, s11, 0
	s_cmp_lg_u32 s2, 2
	s_cselect_b32 s10, s10, 0
	;; [unrolled: 2-line block ×4, first 2 shown]
	s_add_u32 s2, s2, 1
	v_dual_mov_b32 v1, s8 :: v_dual_mov_b32 v2, s9
	v_cmp_eq_u32_e32 vcc_lo, s2, v5
	v_dual_mov_b32 v3, s10 :: v_dual_mov_b32 v4, s11
	s_addc_u32 s3, s3, 0
	s_or_b32 s20, vcc_lo, s20
	s_delay_alu instid0(SALU_CYCLE_1)
	s_and_not1_b32 exec_lo, exec_lo, s20
	s_cbranch_execnz .LBB186_3
; %bb.4:
	s_or_b32 exec_lo, exec_lo, s20
	v_mov_b32_e32 v45, s15
.LBB186_5:
	s_or_b32 exec_lo, exec_lo, s19
.LBB186_6:
	s_delay_alu instid0(SALU_CYCLE_1) | instskip(SKIP_4) | instid1(VALU_DEP_1)
	s_or_b32 exec_lo, exec_lo, s14
	s_load_b64 s[8:9], s[0:1], 0x28
	v_and_b32_e32 v8, 0x3ff, v0
	s_min_u32 s3, s6, 0x8000
	s_mov_b32 s6, exec_lo
	v_lshlrev_b32_e32 v0, 3, v8
	s_delay_alu instid0(VALU_DEP_1) | instskip(NEXT) | instid1(VALU_DEP_1)
	v_lshl_add_u32 v9, v7, 9, v0
	v_cmpx_gt_u32_e64 s3, v9
	s_cbranch_execz .LBB186_9
; %bb.7:
	v_lshlrev_b32_e32 v10, 10, v7
	v_lshlrev_b32_e32 v11, 4, v8
	s_mov_b32 s10, 0
	s_delay_alu instid0(VALU_DEP_1) | instskip(NEXT) | instid1(VALU_DEP_1)
	v_add_co_u32 v5, s2, v10, v11
	v_add_co_ci_u32_e64 v6, null, 0, 0, s2
	v_add_nc_u32_e32 v10, v10, v11
	s_delay_alu instid0(VALU_DEP_3) | instskip(NEXT) | instid1(VALU_DEP_3)
	v_add_co_u32 v5, vcc_lo, s12, v5
	v_add_co_ci_u32_e32 v6, vcc_lo, s13, v6, vcc_lo
	.p2align	6
.LBB186_8:                              ; =>This Inner Loop Header: Depth=1
	global_load_b128 v[11:14], v[5:6], off
	v_add_nc_u32_e32 v9, 0x2000, v9
	v_add_co_u32 v5, vcc_lo, 0x4000, v5
	v_add_co_ci_u32_e32 v6, vcc_lo, 0, v6, vcc_lo
	s_delay_alu instid0(VALU_DEP_3) | instskip(NEXT) | instid1(VALU_DEP_1)
	v_cmp_le_u32_e64 s2, s3, v9
	s_or_b32 s10, s2, s10
	s_waitcnt vmcnt(0)
	ds_store_b128 v10, v[11:14]
	v_add_nc_u32_e32 v10, 0x4000, v10
	s_and_not1_b32 exec_lo, exec_lo, s10
	s_cbranch_execnz .LBB186_8
.LBB186_9:
	s_or_b32 exec_lo, exec_lo, s6
	v_cmp_gt_u32_e32 vcc_lo, s16, v7
	v_cmp_gt_u32_e64 s2, s7, v45
	s_waitcnt lgkmcnt(0)
	s_barrier
	buffer_gl0_inv
	s_and_b32 s2, vcc_lo, s2
	s_delay_alu instid0(SALU_CYCLE_1)
	s_and_saveexec_b32 s3, s2
	s_cbranch_execz .LBB186_60
; %bb.10:
	v_cvt_f32_u32_e32 v5, s18
	s_cmp_lg_u32 s4, 0
	v_mbcnt_lo_u32_b32 v6, -1, 0
	s_cselect_b32 s6, -1, 0
	s_add_i32 s19, s4, -8
	v_rcp_iflag_f32_e32 v5, v5
	s_add_i32 s20, s7, -1
	s_cmp_lg_u64 s[8:9], 0
	s_clause 0x1
	s_load_b64 s[10:11], s[0:1], 0x18
	s_load_b64 s[14:15], s[0:1], 0x30
	s_cselect_b32 s21, -1, 0
	s_sub_i32 s2, 0, s18
	v_xor_b32_e32 v9, 16, v6
	v_cmp_eq_u32_e64 s0, 63, v8
	s_mul_i32 s1, s16, s17
	s_mov_b32 s22, 0
	s_waitcnt_depctr 0xfff
	v_dual_mul_f32 v5, 0x4f7ffffe, v5 :: v_dual_lshlrev_b32 v62, 4, v8
	v_cmp_gt_i32_e32 vcc_lo, 32, v9
	v_mov_b32_e32 v47, 0
	s_lshl_b32 s23, s1, 2
	s_delay_alu instid0(VALU_DEP_3) | instskip(SKIP_2) | instid1(VALU_DEP_2)
	v_cvt_u32_f32_e32 v5, v5
	s_add_i32 s24, s7, -4
	v_cndmask_b32_e32 v6, v6, v9, vcc_lo
	v_mul_lo_u32 v7, s2, v5
	s_delay_alu instid0(VALU_DEP_2) | instskip(NEXT) | instid1(VALU_DEP_2)
	v_lshlrev_b32_e32 v63, 2, v6
	v_mul_hi_u32 v7, v5, v7
	s_delay_alu instid0(VALU_DEP_1)
	v_add_nc_u32_e32 v64, v5, v7
	s_branch .LBB186_13
.LBB186_11:                             ;   in Loop: Header=BB186_13 Depth=1
	s_or_b32 exec_lo, exec_lo, s26
	v_mov_b32_e32 v45, s24
.LBB186_12:                             ;   in Loop: Header=BB186_13 Depth=1
	s_or_b32 exec_lo, exec_lo, s25
	s_delay_alu instid0(VALU_DEP_1) | instskip(SKIP_1) | instid1(SALU_CYCLE_1)
	v_cmp_le_u32_e32 vcc_lo, s7, v45
	s_or_b32 s22, vcc_lo, s22
	s_and_not1_b32 exec_lo, exec_lo, s22
	s_cbranch_execz .LBB186_60
.LBB186_13:                             ; =>This Loop Header: Depth=1
                                        ;     Child Loop BB186_18 Depth 2
                                        ;     Child Loop BB186_58 Depth 2
	v_dual_mov_b32 v67, v47 :: v_dual_add_nc_u32 v50, 1, v45
	v_dual_mov_b32 v66, v47 :: v_dual_add_nc_u32 v49, 2, v45
	;; [unrolled: 1-line block ×3, first 2 shown]
	v_mov_b32_e32 v68, v47
	s_and_not1_b32 vcc_lo, exec_lo, s6
	s_cbranch_vccnz .LBB186_28
; %bb.14:                               ;   in Loop: Header=BB186_13 Depth=1
	v_min_u32_e32 v5, s20, v45
	s_waitcnt lgkmcnt(0)
	v_min_u32_e32 v6, s20, v50
	v_min_u32_e32 v7, s20, v49
	;; [unrolled: 1-line block ×3, first 2 shown]
	v_dual_mov_b32 v10, v47 :: v_dual_mov_b32 v67, 0
	v_mul_lo_u32 v46, v5, s5
	v_mul_lo_u32 v5, v6, s5
	;; [unrolled: 1-line block ×4, first 2 shown]
	v_dual_mov_b32 v6, v47 :: v_dual_mov_b32 v69, 0
	v_dual_mov_b32 v8, v47 :: v_dual_mov_b32 v65, v62
	v_lshlrev_b64 v[51:52], 1, v[46:47]
	s_delay_alu instid0(VALU_DEP_3) | instskip(SKIP_1) | instid1(VALU_DEP_4)
	v_lshlrev_b64 v[53:54], 1, v[5:6]
	v_mov_b32_e32 v68, 0
	v_lshlrev_b64 v[55:56], 1, v[7:8]
	v_lshlrev_b64 v[57:58], 1, v[9:10]
	v_mov_b32_e32 v66, 0
	s_mov_b32 s1, 0
	s_branch .LBB186_18
.LBB186_15:                             ;   in Loop: Header=BB186_18 Depth=2
	s_or_b32 exec_lo, exec_lo, s16
.LBB186_16:                             ;   in Loop: Header=BB186_18 Depth=2
	s_delay_alu instid0(SALU_CYCLE_1)
	s_or_b32 exec_lo, exec_lo, s3
.LBB186_17:                             ;   in Loop: Header=BB186_18 Depth=2
	s_delay_alu instid0(SALU_CYCLE_1)
	s_or_b32 exec_lo, exec_lo, s2
	s_waitcnt vmcnt(0) lgkmcnt(0)
	v_and_b32_e32 v46, 0xffff0000, v41
	v_lshlrev_b32_e32 v41, 16, v41
	v_and_b32_e32 v60, 0xffff0000, v42
	v_and_b32_e32 v61, 0xffff0000, v38
	v_lshlrev_b32_e32 v42, 16, v42
	v_lshlrev_b32_e32 v38, 16, v38
	v_add_nc_u32_e32 v65, 0x800, v65
	s_addk_i32 s1, 0x400
	v_dual_mul_f32 v61, v60, v61 :: v_dual_and_b32 v70, 0xffff0000, v43
	s_cmp_ge_u32 s1, s4
	s_delay_alu instid0(VALU_DEP_1) | instskip(SKIP_2) | instid1(VALU_DEP_2)
	v_dual_fmac_f32 v61, v42, v38 :: v_dual_and_b32 v38, 0xffff0000, v33
	v_and_b32_e32 v59, 0xffff0000, v37
	v_lshlrev_b32_e32 v37, 16, v37
	v_mul_f32_e32 v59, v46, v59
	s_delay_alu instid0(VALU_DEP_1) | instskip(SKIP_1) | instid1(VALU_DEP_2)
	v_fmac_f32_e32 v59, v41, v37
	v_and_b32_e32 v37, 0xffff0000, v39
	v_add_f32_e32 v59, v69, v59
	v_dual_mul_f32 v38, v46, v38 :: v_dual_lshlrev_b32 v33, 16, v33
	s_delay_alu instid0(VALU_DEP_3) | instskip(SKIP_2) | instid1(VALU_DEP_4)
	v_mul_f32_e32 v37, v70, v37
	v_and_b32_e32 v69, 0xffff0000, v40
	v_lshlrev_b32_e32 v40, 16, v40
	v_dual_fmac_f32 v38, v41, v33 :: v_dual_lshlrev_b32 v33, 16, v34
	s_delay_alu instid0(VALU_DEP_1) | instskip(SKIP_1) | instid1(VALU_DEP_1)
	v_dual_add_f32 v38, v68, v38 :: v_dual_lshlrev_b32 v43, 16, v43
	v_lshlrev_b32_e32 v39, 16, v39
	v_fmac_f32_e32 v37, v43, v39
	v_add_f32_e32 v39, v59, v61
	v_and_b32_e32 v61, 0xffff0000, v34
	s_delay_alu instid0(VALU_DEP_2) | instskip(NEXT) | instid1(VALU_DEP_2)
	v_add_f32_e32 v37, v39, v37
	v_dual_mul_f32 v34, v60, v61 :: v_dual_and_b32 v61, 0xffff0000, v35
	v_and_b32_e32 v39, 0xffff0000, v29
	s_delay_alu instid0(VALU_DEP_2) | instskip(NEXT) | instid1(VALU_DEP_3)
	v_dual_fmac_f32 v34, v42, v33 :: v_dual_lshlrev_b32 v33, 16, v35
	v_mul_f32_e32 v35, v70, v61
	s_delay_alu instid0(VALU_DEP_2) | instskip(NEXT) | instid1(VALU_DEP_2)
	v_add_f32_e32 v34, v38, v34
	v_dual_mul_f32 v38, v46, v39 :: v_dual_fmac_f32 v35, v43, v33
	v_and_b32_e32 v59, 0xffff0000, v44
	v_and_b32_e32 v33, 0xffff0000, v36
	v_lshlrev_b32_e32 v44, 16, v44
	v_lshlrev_b32_e32 v29, 16, v29
	;; [unrolled: 1-line block ×3, first 2 shown]
	v_dual_add_f32 v34, v34, v35 :: v_dual_and_b32 v39, 0xffff0000, v30
	v_mul_f32_e32 v33, v59, v33
	s_delay_alu instid0(VALU_DEP_4) | instskip(NEXT) | instid1(VALU_DEP_3)
	v_dual_fmac_f32 v38, v41, v29 :: v_dual_lshlrev_b32 v29, 16, v30
	v_mul_f32_e32 v30, v60, v39
	s_delay_alu instid0(VALU_DEP_2) | instskip(NEXT) | instid1(VALU_DEP_2)
	v_dual_fmac_f32 v33, v44, v36 :: v_dual_add_f32 v36, v67, v38
	v_fmac_f32_e32 v30, v42, v29
	v_mul_f32_e32 v69, v59, v69
	s_delay_alu instid0(VALU_DEP_3) | instskip(SKIP_1) | instid1(VALU_DEP_4)
	v_add_f32_e32 v29, v34, v33
	v_and_b32_e32 v33, 0xffff0000, v21
	v_dual_add_f32 v30, v36, v30 :: v_dual_lshlrev_b32 v21, 16, v21
	v_and_b32_e32 v36, 0xffff0000, v32
	v_fmac_f32_e32 v69, v44, v40
	s_delay_alu instid0(VALU_DEP_4) | instskip(NEXT) | instid1(VALU_DEP_1)
	v_dual_mul_f32 v33, v46, v33 :: v_dual_lshlrev_b32 v32, 16, v32
	v_dual_mul_f32 v36, v59, v36 :: v_dual_fmac_f32 v33, v41, v21
	s_delay_alu instid0(VALU_DEP_1) | instskip(NEXT) | instid1(VALU_DEP_2)
	v_dual_fmac_f32 v36, v44, v32 :: v_dual_lshlrev_b32 v21, 16, v22
	v_add_f32_e32 v32, v66, v33
	v_add_f32_e32 v35, v37, v69
	v_and_b32_e32 v37, 0xffff0000, v31
	v_lshlrev_b32_e32 v31, 16, v31
	v_and_b32_e32 v33, 0xffff0000, v17
	v_lshlrev_b32_e32 v17, 16, v17
	s_delay_alu instid0(VALU_DEP_4) | instskip(NEXT) | instid1(VALU_DEP_1)
	v_mul_f32_e32 v34, v70, v37
	v_dual_fmac_f32 v34, v43, v31 :: v_dual_and_b32 v31, 0xffff0000, v22
	s_delay_alu instid0(VALU_DEP_1) | instskip(NEXT) | instid1(VALU_DEP_2)
	v_add_f32_e32 v30, v30, v34
	v_mul_f32_e32 v22, v60, v31
	v_and_b32_e32 v31, 0xffff0000, v23
	v_and_b32_e32 v34, 0xffff0000, v18
	v_lshlrev_b32_e32 v18, 16, v18
	v_add_f32_e32 v30, v30, v36
	v_dual_fmac_f32 v22, v42, v21 :: v_dual_lshlrev_b32 v21, 16, v23
	v_mul_f32_e32 v23, v70, v31
	v_and_b32_e32 v31, 0xffff0000, v25
	v_and_b32_e32 v36, 0xffff0000, v19
	s_delay_alu instid0(VALU_DEP_4) | instskip(NEXT) | instid1(VALU_DEP_4)
	v_add_f32_e32 v22, v32, v22
	v_dual_fmac_f32 v23, v43, v21 :: v_dual_and_b32 v32, 0xffff0000, v24
	v_lshlrev_b32_e32 v21, 16, v25
	v_dual_mul_f32 v25, v31, v33 :: v_dual_lshlrev_b32 v24, 16, v24
	s_delay_alu instid0(VALU_DEP_3) | instskip(NEXT) | instid1(VALU_DEP_2)
	v_dual_mul_f32 v32, v59, v32 :: v_dual_lshlrev_b32 v19, 16, v19
	v_fmac_f32_e32 v25, v21, v17
	v_lshlrev_b32_e32 v17, 16, v26
	s_delay_alu instid0(VALU_DEP_3) | instskip(NEXT) | instid1(VALU_DEP_1)
	v_dual_fmac_f32 v32, v44, v24 :: v_dual_and_b32 v33, 0xffff0000, v26
	v_mul_f32_e32 v26, v33, v34
	v_and_b32_e32 v34, 0xffff0000, v27
	v_dual_add_f32 v22, v22, v23 :: v_dual_and_b32 v23, 0xffff0000, v13
	s_delay_alu instid0(VALU_DEP_3) | instskip(SKIP_1) | instid1(VALU_DEP_4)
	v_dual_fmac_f32 v26, v17, v18 :: v_dual_lshlrev_b32 v13, 16, v13
	v_dual_add_f32 v25, v35, v25 :: v_dual_lshlrev_b32 v18, 16, v27
	v_mul_f32_e32 v27, v34, v36
	s_delay_alu instid0(VALU_DEP_4) | instskip(NEXT) | instid1(VALU_DEP_2)
	v_add_f32_e32 v22, v22, v32
	v_dual_add_f32 v24, v25, v26 :: v_dual_fmac_f32 v27, v18, v19
	v_and_b32_e32 v25, 0xffff0000, v28
	v_and_b32_e32 v26, 0xffff0000, v15
	s_delay_alu instid0(VALU_DEP_3) | instskip(SKIP_2) | instid1(VALU_DEP_2)
	v_add_f32_e32 v24, v24, v27
	v_mul_f32_e32 v19, v31, v23
	v_and_b32_e32 v23, 0xffff0000, v14
	v_fmac_f32_e32 v19, v21, v13
	s_delay_alu instid0(VALU_DEP_2) | instskip(NEXT) | instid1(VALU_DEP_2)
	v_dual_mul_f32 v14, v33, v23 :: v_dual_lshlrev_b32 v13, 16, v14
	v_add_f32_e32 v19, v29, v19
	s_delay_alu instid0(VALU_DEP_2) | instskip(SKIP_1) | instid1(VALU_DEP_2)
	v_dual_fmac_f32 v14, v17, v13 :: v_dual_lshlrev_b32 v13, 16, v15
	v_dual_mul_f32 v15, v34, v26 :: v_dual_and_b32 v26, 0xffff0000, v9
	v_dual_add_f32 v14, v19, v14 :: v_dual_lshlrev_b32 v9, 16, v9
	v_and_b32_e32 v19, 0xffff0000, v10
	s_delay_alu instid0(VALU_DEP_3) | instskip(NEXT) | instid1(VALU_DEP_1)
	v_fmac_f32_e32 v15, v18, v13
	v_dual_mul_f32 v13, v31, v26 :: v_dual_add_f32 v14, v14, v15
	v_lshlrev_b32_e32 v23, 16, v28
	v_and_b32_e32 v27, 0xffff0000, v20
	s_delay_alu instid0(VALU_DEP_3) | instskip(SKIP_1) | instid1(VALU_DEP_3)
	v_fmac_f32_e32 v13, v21, v9
	v_dual_mul_f32 v10, v33, v19 :: v_dual_lshlrev_b32 v9, 16, v10
	v_dual_mul_f32 v27, v25, v27 :: v_dual_lshlrev_b32 v20, 16, v20
	v_and_b32_e32 v19, 0xffff0000, v5
	v_lshlrev_b32_e32 v5, 16, v5
	s_delay_alu instid0(VALU_DEP_4) | instskip(NEXT) | instid1(VALU_DEP_4)
	v_dual_fmac_f32 v10, v17, v9 :: v_dual_and_b32 v9, 0xffff0000, v11
	v_fmac_f32_e32 v27, v23, v20
	s_delay_alu instid0(VALU_DEP_4) | instskip(SKIP_1) | instid1(VALU_DEP_4)
	v_mul_f32_e32 v19, v31, v19
	v_lshlrev_b32_e32 v11, 16, v11
	v_dual_mul_f32 v9, v34, v9 :: v_dual_and_b32 v20, 0xffff0000, v6
	v_and_b32_e32 v15, 0xffff0000, v16
	s_delay_alu instid0(VALU_DEP_4) | instskip(NEXT) | instid1(VALU_DEP_3)
	v_fmac_f32_e32 v19, v21, v5
	v_dual_mul_f32 v6, v33, v20 :: v_dual_lshlrev_b32 v5, 16, v6
	s_delay_alu instid0(VALU_DEP_4) | instskip(SKIP_1) | instid1(VALU_DEP_4)
	v_fmac_f32_e32 v9, v18, v11
	v_and_b32_e32 v11, 0xffff0000, v7
	v_add_f32_e32 v19, v22, v19
	v_add_f32_e32 v13, v30, v13
	v_dual_fmac_f32 v6, v17, v5 :: v_dual_lshlrev_b32 v5, 16, v7
	s_delay_alu instid0(VALU_DEP_4) | instskip(NEXT) | instid1(VALU_DEP_3)
	v_dual_mul_f32 v7, v34, v11 :: v_dual_lshlrev_b32 v16, 16, v16
	v_add_f32_e32 v10, v13, v10
	s_delay_alu instid0(VALU_DEP_3) | instskip(NEXT) | instid1(VALU_DEP_3)
	v_dual_add_f32 v6, v19, v6 :: v_dual_and_b32 v13, 0xffff0000, v12
	v_fmac_f32_e32 v7, v18, v5
	v_lshlrev_b32_e32 v11, 16, v12
	v_and_b32_e32 v12, 0xffff0000, v8
	v_lshlrev_b32_e32 v5, 16, v8
	v_add_f32_e32 v9, v10, v9
	v_add_f32_e32 v6, v6, v7
	v_mul_f32_e32 v15, v25, v15
	v_mul_f32_e32 v13, v25, v13
	v_dual_mul_f32 v8, v25, v12 :: v_dual_add_f32 v69, v24, v27
	s_delay_alu instid0(VALU_DEP_3) | instskip(NEXT) | instid1(VALU_DEP_1)
	v_fmac_f32_e32 v15, v23, v16
	v_add_f32_e32 v68, v14, v15
	s_delay_alu instid0(VALU_DEP_3) | instskip(NEXT) | instid1(VALU_DEP_1)
	v_fmac_f32_e32 v8, v23, v5
	v_dual_fmac_f32 v13, v23, v11 :: v_dual_add_f32 v66, v6, v8
	s_delay_alu instid0(VALU_DEP_1)
	v_add_f32_e32 v67, v9, v13
	s_cbranch_scc1 .LBB186_28
.LBB186_18:                             ;   Parent Loop BB186_13 Depth=1
                                        ; =>  This Inner Loop Header: Depth=2
	v_add_nc_u32_e32 v60, s1, v0
	v_dual_mov_b32 v44, 0 :: v_dual_mov_b32 v43, 0
	v_dual_mov_b32 v42, 0 :: v_dual_mov_b32 v41, 0
	s_delay_alu instid0(VALU_DEP_3) | instskip(SKIP_2) | instid1(VALU_DEP_2)
	v_min_u32_e32 v46, s19, v60
	v_add_nc_u32_e32 v59, 0x200, v60
	s_mov_b32 s2, exec_lo
	v_lshlrev_b64 v[5:6], 1, v[46:47]
	s_delay_alu instid0(VALU_DEP_2) | instskip(SKIP_1) | instid1(VALU_DEP_2)
	v_min_u32_e32 v46, s19, v59
	s_waitcnt lgkmcnt(0)
	v_add_co_u32 v13, vcc_lo, s10, v5
	s_waitcnt vmcnt(1)
	s_delay_alu instid0(VALU_DEP_3) | instskip(SKIP_1) | instid1(VALU_DEP_3)
	v_add_co_ci_u32_e32 v14, vcc_lo, s11, v6, vcc_lo
	v_lshlrev_b64 v[5:6], 1, v[46:47]
	v_add_co_u32 v7, vcc_lo, v13, v51
	s_delay_alu instid0(VALU_DEP_3)
	v_add_co_ci_u32_e32 v8, vcc_lo, v14, v52, vcc_lo
	v_add_co_u32 v9, vcc_lo, v13, v53
	v_add_co_ci_u32_e32 v10, vcc_lo, v14, v54, vcc_lo
	s_waitcnt vmcnt(0)
	v_add_co_u32 v11, vcc_lo, v13, v55
	v_add_co_ci_u32_e32 v12, vcc_lo, v14, v56, vcc_lo
	v_add_co_u32 v15, vcc_lo, s10, v5
	v_add_co_ci_u32_e32 v16, vcc_lo, s11, v6, vcc_lo
	;; [unrolled: 2-line block ×3, first 2 shown]
	s_clause 0x1
	global_load_b128 v[37:40], v[7:8], off slc dlc
	global_load_b128 v[33:36], v[9:10], off slc dlc
	v_add_co_u32 v7, vcc_lo, v15, v51
	v_add_co_ci_u32_e32 v8, vcc_lo, v16, v52, vcc_lo
	v_add_co_u32 v9, vcc_lo, v15, v53
	v_add_co_ci_u32_e32 v10, vcc_lo, v16, v54, vcc_lo
	;; [unrolled: 2-line block ×4, first 2 shown]
	s_clause 0x5
	global_load_b128 v[29:32], v[11:12], off slc dlc
	global_load_b128 v[21:24], v[5:6], off slc dlc
	;; [unrolled: 1-line block ×6, first 2 shown]
	v_dual_mov_b32 v28, 0 :: v_dual_mov_b32 v27, 0
	v_dual_mov_b32 v26, 0 :: v_dual_mov_b32 v25, 0
	v_cmpx_gt_u32_e64 s4, v60
	s_cbranch_execz .LBB186_17
; %bb.19:                               ;   in Loop: Header=BB186_18 Depth=2
	s_mov_b32 s3, exec_lo
                                        ; implicit-def: $vgpr44
	v_cmpx_lt_u32_e32 0x7fff, v60
	s_xor_b32 s3, exec_lo, s3
	s_cbranch_execz .LBB186_21
; %bb.20:                               ;   in Loop: Header=BB186_18 Depth=2
	v_mov_b32_e32 v61, v47
	s_delay_alu instid0(VALU_DEP_1) | instskip(NEXT) | instid1(VALU_DEP_1)
	v_lshlrev_b64 v[25:26], 1, v[60:61]
	v_add_co_u32 v25, vcc_lo, s12, v25
	s_delay_alu instid0(VALU_DEP_2)
	v_add_co_ci_u32_e32 v26, vcc_lo, s13, v26, vcc_lo
	global_load_b128 v[41:44], v[25:26], off
.LBB186_21:                             ;   in Loop: Header=BB186_18 Depth=2
	s_and_not1_saveexec_b32 s3, s3
	s_cbranch_execz .LBB186_23
; %bb.22:                               ;   in Loop: Header=BB186_18 Depth=2
	s_waitcnt vmcnt(0)
	ds_load_b128 v[41:44], v65
.LBB186_23:                             ;   in Loop: Header=BB186_18 Depth=2
	s_or_b32 exec_lo, exec_lo, s3
	v_dual_mov_b32 v28, 0 :: v_dual_mov_b32 v27, 0
	v_dual_mov_b32 v26, 0 :: v_dual_mov_b32 v25, 0
	s_mov_b32 s3, exec_lo
	v_cmpx_gt_u32_e64 s4, v59
	s_cbranch_execz .LBB186_16
; %bb.24:                               ;   in Loop: Header=BB186_18 Depth=2
	s_mov_b32 s16, exec_lo
                                        ; implicit-def: $vgpr28
	v_cmpx_lt_u32_e32 0x7fff, v59
	s_xor_b32 s16, exec_lo, s16
	s_cbranch_execz .LBB186_26
; %bb.25:                               ;   in Loop: Header=BB186_18 Depth=2
	v_mov_b32_e32 v60, v47
	s_delay_alu instid0(VALU_DEP_1) | instskip(NEXT) | instid1(VALU_DEP_1)
	v_lshlrev_b64 v[25:26], 1, v[59:60]
	v_add_co_u32 v25, vcc_lo, s12, v25
	s_delay_alu instid0(VALU_DEP_2)
	v_add_co_ci_u32_e32 v26, vcc_lo, s13, v26, vcc_lo
	global_load_b128 v[25:28], v[25:26], off
.LBB186_26:                             ;   in Loop: Header=BB186_18 Depth=2
	s_and_not1_saveexec_b32 s16, s16
	s_cbranch_execz .LBB186_15
; %bb.27:                               ;   in Loop: Header=BB186_18 Depth=2
	s_waitcnt vmcnt(0)
	ds_load_b128 v[25:28], v65 offset:1024
	s_branch .LBB186_15
.LBB186_28:                             ;   in Loop: Header=BB186_13 Depth=1
	s_delay_alu instid0(VALU_DEP_2)
	v_cvt_i32_f32_e32 v5, v69
	s_waitcnt lgkmcnt(0)
	v_cvt_i32_f32_e32 v6, v68
	v_cvt_i32_f32_e32 v7, v67
	;; [unrolled: 1-line block ×3, first 2 shown]
	v_cvt_f32_i32_dpp v5, v5 row_shr:8 row_mask:0xf bank_mask:0xf bound_ctrl:1
	s_delay_alu instid0(VALU_DEP_4) | instskip(NEXT) | instid1(VALU_DEP_4)
	v_cvt_f32_i32_dpp v6, v6 row_shr:8 row_mask:0xf bank_mask:0xf bound_ctrl:1
	v_cvt_f32_i32_dpp v7, v7 row_shr:8 row_mask:0xf bank_mask:0xf bound_ctrl:1
	s_delay_alu instid0(VALU_DEP_4) | instskip(NEXT) | instid1(VALU_DEP_3)
	v_cvt_f32_i32_dpp v8, v8 row_shr:8 row_mask:0xf bank_mask:0xf bound_ctrl:1
	v_dual_add_f32 v5, v69, v5 :: v_dual_add_f32 v6, v68, v6
	s_delay_alu instid0(VALU_DEP_2) | instskip(NEXT) | instid1(VALU_DEP_2)
	v_dual_add_f32 v7, v67, v7 :: v_dual_add_f32 v8, v66, v8
	v_cvt_i32_f32_e32 v9, v5
	s_delay_alu instid0(VALU_DEP_3) | instskip(SKIP_1) | instid1(VALU_DEP_3)
	v_cvt_i32_f32_e32 v10, v6
	s_waitcnt vmcnt(0)
	v_cvt_i32_f32_e32 v11, v7
	v_cvt_i32_f32_e32 v12, v8
	v_cvt_f32_i32_dpp v9, v9 row_shr:4 row_mask:0xf bank_mask:0xf bound_ctrl:1
	v_cvt_f32_i32_dpp v10, v10 row_shr:4 row_mask:0xf bank_mask:0xf bound_ctrl:1
	s_delay_alu instid0(VALU_DEP_4) | instskip(NEXT) | instid1(VALU_DEP_4)
	v_cvt_f32_i32_dpp v11, v11 row_shr:4 row_mask:0xf bank_mask:0xf bound_ctrl:1
	v_cvt_f32_i32_dpp v12, v12 row_shr:4 row_mask:0xf bank_mask:0xf bound_ctrl:1
	s_delay_alu instid0(VALU_DEP_3) | instskip(NEXT) | instid1(VALU_DEP_2)
	v_dual_add_f32 v5, v5, v9 :: v_dual_add_f32 v6, v6, v10
	v_dual_add_f32 v7, v7, v11 :: v_dual_add_f32 v8, v8, v12
	s_delay_alu instid0(VALU_DEP_2) | instskip(NEXT) | instid1(VALU_DEP_3)
	v_cvt_i32_f32_e32 v9, v5
	v_cvt_i32_f32_e32 v10, v6
	s_delay_alu instid0(VALU_DEP_3) | instskip(NEXT) | instid1(VALU_DEP_4)
	v_cvt_i32_f32_e32 v11, v7
	v_cvt_i32_f32_e32 v12, v8
	s_delay_alu instid0(VALU_DEP_4) | instskip(NEXT) | instid1(VALU_DEP_4)
	v_cvt_f32_i32_dpp v9, v9 row_shr:2 row_mask:0xf bank_mask:0xf bound_ctrl:1
	v_cvt_f32_i32_dpp v10, v10 row_shr:2 row_mask:0xf bank_mask:0xf bound_ctrl:1
	s_delay_alu instid0(VALU_DEP_4) | instskip(NEXT) | instid1(VALU_DEP_4)
	v_cvt_f32_i32_dpp v11, v11 row_shr:2 row_mask:0xf bank_mask:0xf bound_ctrl:1
	v_cvt_f32_i32_dpp v12, v12 row_shr:2 row_mask:0xf bank_mask:0xf bound_ctrl:1
	s_delay_alu instid0(VALU_DEP_3) | instskip(NEXT) | instid1(VALU_DEP_2)
	v_dual_add_f32 v5, v5, v9 :: v_dual_add_f32 v6, v6, v10
	v_dual_add_f32 v7, v7, v11 :: v_dual_add_f32 v8, v8, v12
	s_delay_alu instid0(VALU_DEP_2) | instskip(NEXT) | instid1(VALU_DEP_3)
	v_cvt_i32_f32_e32 v9, v5
	v_cvt_i32_f32_e32 v10, v6
	s_delay_alu instid0(VALU_DEP_3) | instskip(NEXT) | instid1(VALU_DEP_4)
	v_cvt_i32_f32_e32 v11, v7
	v_cvt_i32_f32_e32 v12, v8
	s_delay_alu instid0(VALU_DEP_4) | instskip(NEXT) | instid1(VALU_DEP_4)
	v_cvt_f32_i32_dpp v9, v9 row_shr:1 row_mask:0xf bank_mask:0xf bound_ctrl:1
	v_cvt_f32_i32_dpp v10, v10 row_shr:1 row_mask:0xf bank_mask:0xf bound_ctrl:1
	s_delay_alu instid0(VALU_DEP_4) | instskip(NEXT) | instid1(VALU_DEP_4)
	v_cvt_f32_i32_dpp v11, v11 row_shr:1 row_mask:0xf bank_mask:0xf bound_ctrl:1
	v_cvt_f32_i32_dpp v13, v12 row_shr:1 row_mask:0xf bank_mask:0xf bound_ctrl:1
	s_delay_alu instid0(VALU_DEP_3) | instskip(NEXT) | instid1(VALU_DEP_3)
	v_dual_add_f32 v12, v5, v9 :: v_dual_add_f32 v9, v6, v10
	v_add_f32_e32 v7, v7, v11
	s_delay_alu instid0(VALU_DEP_3)
	v_add_f32_e32 v5, v8, v13
	ds_bpermute_b32 v13, v63, v12
	ds_bpermute_b32 v10, v63, v9
	;; [unrolled: 1-line block ×4, first 2 shown]
	s_and_saveexec_b32 s1, s0
	s_cbranch_execz .LBB186_55
; %bb.29:                               ;   in Loop: Header=BB186_13 Depth=1
	v_dual_mov_b32 v11, 0 :: v_dual_mov_b32 v14, 0
	v_dual_mov_b32 v15, 0 :: v_dual_mov_b32 v16, 0
	s_and_not1_b32 vcc_lo, exec_lo, s21
	s_cbranch_vccnz .LBB186_31
; %bb.30:                               ;   in Loop: Header=BB186_13 Depth=1
	v_mul_hi_u32 v11, v45, v64
	v_mul_hi_u32 v14, v50, v64
	;; [unrolled: 1-line block ×4, first 2 shown]
	s_delay_alu instid0(VALU_DEP_4) | instskip(NEXT) | instid1(VALU_DEP_4)
	v_mul_lo_u32 v11, v11, s18
	v_mul_lo_u32 v14, v14, s18
	s_delay_alu instid0(VALU_DEP_4) | instskip(NEXT) | instid1(VALU_DEP_4)
	v_mul_lo_u32 v16, v16, s18
	v_mul_lo_u32 v15, v15, s18
	s_delay_alu instid0(VALU_DEP_4) | instskip(NEXT) | instid1(VALU_DEP_4)
	v_sub_nc_u32_e32 v11, v45, v11
	v_sub_nc_u32_e32 v14, v50, v14
	s_delay_alu instid0(VALU_DEP_4) | instskip(NEXT) | instid1(VALU_DEP_4)
	v_sub_nc_u32_e32 v16, v48, v16
	v_sub_nc_u32_e32 v15, v49, v15
	s_delay_alu instid0(VALU_DEP_4) | instskip(SKIP_1) | instid1(VALU_DEP_4)
	v_subrev_nc_u32_e32 v17, s18, v11
	v_cmp_le_u32_e32 vcc_lo, s18, v11
	v_subrev_nc_u32_e32 v20, s18, v16
	s_delay_alu instid0(VALU_DEP_4) | instskip(NEXT) | instid1(VALU_DEP_4)
	v_subrev_nc_u32_e32 v18, s18, v15
	v_cndmask_b32_e32 v11, v11, v17, vcc_lo
	v_subrev_nc_u32_e32 v17, s18, v14
	v_cmp_le_u32_e32 vcc_lo, s18, v14
	s_delay_alu instid0(VALU_DEP_3) | instskip(NEXT) | instid1(VALU_DEP_3)
	v_subrev_nc_u32_e32 v19, s18, v11
	v_cndmask_b32_e32 v17, v14, v17, vcc_lo
	v_cmp_le_u32_e32 vcc_lo, s18, v11
	s_delay_alu instid0(VALU_DEP_3)
	v_cndmask_b32_e32 v46, v11, v19, vcc_lo
	v_cmp_le_u32_e32 vcc_lo, s18, v15
	v_cndmask_b32_e32 v11, v15, v18, vcc_lo
	v_cmp_le_u32_e32 vcc_lo, s18, v16
	v_subrev_nc_u32_e32 v18, s18, v17
	v_lshlrev_b64 v[14:15], 1, v[46:47]
	v_cndmask_b32_e32 v20, v16, v20, vcc_lo
	v_cmp_le_u32_e32 vcc_lo, s18, v17
	s_delay_alu instid0(VALU_DEP_2) | instskip(SKIP_3) | instid1(VALU_DEP_3)
	v_subrev_nc_u32_e32 v21, s18, v20
	v_cndmask_b32_e32 v46, v17, v18, vcc_lo
	v_subrev_nc_u32_e32 v18, s18, v11
	v_cmp_le_u32_e32 vcc_lo, s18, v11
	v_lshlrev_b64 v[16:17], 1, v[46:47]
	s_delay_alu instid0(VALU_DEP_3) | instskip(SKIP_3) | instid1(VALU_DEP_4)
	v_cndmask_b32_e32 v46, v11, v18, vcc_lo
	v_add_co_u32 v14, vcc_lo, s8, v14
	v_add_co_ci_u32_e32 v15, vcc_lo, s9, v15, vcc_lo
	v_cmp_le_u32_e32 vcc_lo, s18, v20
	v_lshlrev_b64 v[18:19], 1, v[46:47]
	v_cndmask_b32_e32 v46, v20, v21, vcc_lo
	v_add_co_u32 v20, vcc_lo, s8, v16
	v_add_co_ci_u32_e32 v21, vcc_lo, s9, v17, vcc_lo
	s_delay_alu instid0(VALU_DEP_3) | instskip(SKIP_2) | instid1(VALU_DEP_3)
	v_lshlrev_b64 v[16:17], 1, v[46:47]
	v_add_co_u32 v18, vcc_lo, s8, v18
	v_add_co_ci_u32_e32 v19, vcc_lo, s9, v19, vcc_lo
	v_add_co_u32 v22, vcc_lo, s8, v16
	s_delay_alu instid0(VALU_DEP_4)
	v_add_co_ci_u32_e32 v23, vcc_lo, s9, v17, vcc_lo
	s_clause 0x3
	global_load_u16 v16, v[14:15], off
	global_load_u16 v15, v[20:21], off
	;; [unrolled: 1-line block ×4, first 2 shown]
.LBB186_31:                             ;   in Loop: Header=BB186_13 Depth=1
	s_mov_b32 s2, exec_lo
	v_cmpx_ne_u32_e32 0, v1
	s_cbranch_execz .LBB186_37
; %bb.32:                               ;   in Loop: Header=BB186_13 Depth=1
	s_waitcnt vmcnt(3) lgkmcnt(0)
	v_dual_add_f32 v12, v12, v13 :: v_dual_lshlrev_b32 v13, 16, v16
	s_delay_alu instid0(VALU_DEP_1) | instskip(NEXT) | instid1(VALU_DEP_1)
	v_add_f32_e32 v13, v12, v13
	v_and_b32_e32 v12, 0x7f800000, v13
	s_delay_alu instid0(VALU_DEP_1) | instskip(SKIP_1) | instid1(SALU_CYCLE_1)
	v_cmp_ne_u32_e32 vcc_lo, 0x7f800000, v12
                                        ; implicit-def: $vgpr12
	s_and_saveexec_b32 s3, vcc_lo
	s_xor_b32 s3, exec_lo, s3
; %bb.33:                               ;   in Loop: Header=BB186_13 Depth=1
	v_bfe_u32 v12, v13, 16, 1
	s_delay_alu instid0(VALU_DEP_1)
	v_add3_u32 v12, v13, v12, 0x7fff
                                        ; implicit-def: $vgpr13
; %bb.34:                               ;   in Loop: Header=BB186_13 Depth=1
	s_and_not1_saveexec_b32 s3, s3
; %bb.35:                               ;   in Loop: Header=BB186_13 Depth=1
	v_and_b32_e32 v12, 0xffff, v13
	v_or_b32_e32 v16, 0x10000, v13
	s_delay_alu instid0(VALU_DEP_2) | instskip(NEXT) | instid1(VALU_DEP_2)
	v_cmp_eq_u32_e32 vcc_lo, 0, v12
	v_cndmask_b32_e32 v12, v16, v13, vcc_lo
; %bb.36:                               ;   in Loop: Header=BB186_13 Depth=1
	s_or_b32 exec_lo, exec_lo, s3
	v_mov_b32_e32 v46, v47
	s_delay_alu instid0(VALU_DEP_1) | instskip(NEXT) | instid1(VALU_DEP_1)
	v_lshlrev_b64 v[16:17], 1, v[45:46]
	v_add_co_u32 v16, vcc_lo, s14, v16
	s_delay_alu instid0(VALU_DEP_2)
	v_add_co_ci_u32_e32 v17, vcc_lo, s15, v17, vcc_lo
	global_store_d16_hi_b16 v[16:17], v12, off
.LBB186_37:                             ;   in Loop: Header=BB186_13 Depth=1
	s_or_b32 exec_lo, exec_lo, s2
	s_delay_alu instid0(SALU_CYCLE_1)
	s_mov_b32 s2, exec_lo
	v_cmpx_ne_u32_e32 0, v2
	s_cbranch_execz .LBB186_43
; %bb.38:                               ;   in Loop: Header=BB186_13 Depth=1
	s_waitcnt vmcnt(2) lgkmcnt(0)
	v_dual_add_f32 v9, v9, v10 :: v_dual_lshlrev_b32 v10, 16, v15
	s_delay_alu instid0(VALU_DEP_1) | instskip(NEXT) | instid1(VALU_DEP_1)
	v_add_f32_e32 v10, v9, v10
	v_and_b32_e32 v9, 0x7f800000, v10
	s_delay_alu instid0(VALU_DEP_1) | instskip(SKIP_1) | instid1(SALU_CYCLE_1)
	v_cmp_ne_u32_e32 vcc_lo, 0x7f800000, v9
                                        ; implicit-def: $vgpr9
	s_and_saveexec_b32 s3, vcc_lo
	s_xor_b32 s3, exec_lo, s3
; %bb.39:                               ;   in Loop: Header=BB186_13 Depth=1
	v_bfe_u32 v9, v10, 16, 1
	s_delay_alu instid0(VALU_DEP_1)
	v_add3_u32 v9, v10, v9, 0x7fff
                                        ; implicit-def: $vgpr10
; %bb.40:                               ;   in Loop: Header=BB186_13 Depth=1
	s_and_not1_saveexec_b32 s3, s3
; %bb.41:                               ;   in Loop: Header=BB186_13 Depth=1
	v_and_b32_e32 v9, 0xffff, v10
	v_or_b32_e32 v12, 0x10000, v10
	s_delay_alu instid0(VALU_DEP_2) | instskip(NEXT) | instid1(VALU_DEP_2)
	v_cmp_eq_u32_e32 vcc_lo, 0, v9
	v_cndmask_b32_e32 v9, v12, v10, vcc_lo
; %bb.42:                               ;   in Loop: Header=BB186_13 Depth=1
	s_or_b32 exec_lo, exec_lo, s3
	v_mov_b32_e32 v51, v47
	s_delay_alu instid0(VALU_DEP_1) | instskip(NEXT) | instid1(VALU_DEP_1)
	v_lshlrev_b64 v[12:13], 1, v[50:51]
	v_add_co_u32 v12, vcc_lo, s14, v12
	s_delay_alu instid0(VALU_DEP_2)
	v_add_co_ci_u32_e32 v13, vcc_lo, s15, v13, vcc_lo
	global_store_d16_hi_b16 v[12:13], v9, off
.LBB186_43:                             ;   in Loop: Header=BB186_13 Depth=1
	s_or_b32 exec_lo, exec_lo, s2
	s_delay_alu instid0(SALU_CYCLE_1)
	s_mov_b32 s2, exec_lo
	v_cmpx_ne_u32_e32 0, v3
	s_cbranch_execz .LBB186_49
; %bb.44:                               ;   in Loop: Header=BB186_13 Depth=1
	s_waitcnt vmcnt(1) lgkmcnt(0)
	v_dual_add_f32 v7, v7, v8 :: v_dual_lshlrev_b32 v8, 16, v14
	s_delay_alu instid0(VALU_DEP_1) | instskip(NEXT) | instid1(VALU_DEP_1)
	v_add_f32_e32 v8, v7, v8
	v_and_b32_e32 v7, 0x7f800000, v8
	s_delay_alu instid0(VALU_DEP_1) | instskip(SKIP_1) | instid1(SALU_CYCLE_1)
	v_cmp_ne_u32_e32 vcc_lo, 0x7f800000, v7
                                        ; implicit-def: $vgpr7
	s_and_saveexec_b32 s3, vcc_lo
	s_xor_b32 s3, exec_lo, s3
; %bb.45:                               ;   in Loop: Header=BB186_13 Depth=1
	v_bfe_u32 v7, v8, 16, 1
	s_delay_alu instid0(VALU_DEP_1)
	v_add3_u32 v7, v8, v7, 0x7fff
                                        ; implicit-def: $vgpr8
; %bb.46:                               ;   in Loop: Header=BB186_13 Depth=1
	s_and_not1_saveexec_b32 s3, s3
; %bb.47:                               ;   in Loop: Header=BB186_13 Depth=1
	v_and_b32_e32 v7, 0xffff, v8
	v_or_b32_e32 v9, 0x10000, v8
	s_delay_alu instid0(VALU_DEP_2) | instskip(NEXT) | instid1(VALU_DEP_2)
	v_cmp_eq_u32_e32 vcc_lo, 0, v7
	v_cndmask_b32_e32 v7, v9, v8, vcc_lo
; %bb.48:                               ;   in Loop: Header=BB186_13 Depth=1
	s_or_b32 exec_lo, exec_lo, s3
	v_mov_b32_e32 v50, v47
	s_delay_alu instid0(VALU_DEP_1) | instskip(NEXT) | instid1(VALU_DEP_1)
	v_lshlrev_b64 v[8:9], 1, v[49:50]
	v_add_co_u32 v8, vcc_lo, s14, v8
	s_delay_alu instid0(VALU_DEP_2)
	v_add_co_ci_u32_e32 v9, vcc_lo, s15, v9, vcc_lo
	global_store_d16_hi_b16 v[8:9], v7, off
.LBB186_49:                             ;   in Loop: Header=BB186_13 Depth=1
	s_or_b32 exec_lo, exec_lo, s2
	v_cmp_ne_u32_e32 vcc_lo, 0, v4
	s_and_b32 exec_lo, exec_lo, vcc_lo
	s_cbranch_execz .LBB186_55
; %bb.50:                               ;   in Loop: Header=BB186_13 Depth=1
	s_waitcnt vmcnt(0) lgkmcnt(0)
	v_dual_add_f32 v5, v5, v6 :: v_dual_lshlrev_b32 v6, 16, v11
	s_delay_alu instid0(VALU_DEP_1) | instskip(NEXT) | instid1(VALU_DEP_1)
	v_add_f32_e32 v6, v5, v6
	v_and_b32_e32 v5, 0x7f800000, v6
	s_delay_alu instid0(VALU_DEP_1) | instskip(SKIP_1) | instid1(SALU_CYCLE_1)
	v_cmp_ne_u32_e32 vcc_lo, 0x7f800000, v5
                                        ; implicit-def: $vgpr5
	s_and_saveexec_b32 s2, vcc_lo
	s_xor_b32 s2, exec_lo, s2
; %bb.51:                               ;   in Loop: Header=BB186_13 Depth=1
	v_bfe_u32 v5, v6, 16, 1
	s_delay_alu instid0(VALU_DEP_1)
	v_add3_u32 v5, v6, v5, 0x7fff
                                        ; implicit-def: $vgpr6
; %bb.52:                               ;   in Loop: Header=BB186_13 Depth=1
	s_and_not1_saveexec_b32 s2, s2
; %bb.53:                               ;   in Loop: Header=BB186_13 Depth=1
	v_and_b32_e32 v5, 0xffff, v6
	v_or_b32_e32 v7, 0x10000, v6
	s_delay_alu instid0(VALU_DEP_2) | instskip(NEXT) | instid1(VALU_DEP_2)
	v_cmp_eq_u32_e32 vcc_lo, 0, v5
	v_cndmask_b32_e32 v5, v7, v6, vcc_lo
; %bb.54:                               ;   in Loop: Header=BB186_13 Depth=1
	s_or_b32 exec_lo, exec_lo, s2
	v_mov_b32_e32 v49, v47
	s_delay_alu instid0(VALU_DEP_1) | instskip(NEXT) | instid1(VALU_DEP_1)
	v_lshlrev_b64 v[6:7], 1, v[48:49]
	v_add_co_u32 v6, vcc_lo, s14, v6
	s_delay_alu instid0(VALU_DEP_2)
	v_add_co_ci_u32_e32 v7, vcc_lo, s15, v7, vcc_lo
	global_store_d16_hi_b16 v[6:7], v5, off
.LBB186_55:                             ;   in Loop: Header=BB186_13 Depth=1
	s_or_b32 exec_lo, exec_lo, s1
	v_add_nc_u32_e32 v45, s23, v45
	s_delay_alu instid0(VALU_DEP_1) | instskip(SKIP_1) | instid1(VALU_DEP_2)
	v_add_nc_u32_e32 v5, 4, v45
	v_cmp_gt_u32_e32 vcc_lo, s7, v45
	v_cmp_le_u32_e64 s1, s7, v5
	s_delay_alu instid0(VALU_DEP_1) | instskip(NEXT) | instid1(SALU_CYCLE_1)
	s_and_b32 s1, vcc_lo, s1
	s_and_saveexec_b32 s25, s1
	s_cbranch_execz .LBB186_12
; %bb.56:                               ;   in Loop: Header=BB186_13 Depth=1
	s_mov_b32 s26, exec_lo
	v_cmpx_ne_u32_e64 s24, v45
	s_cbranch_execz .LBB186_11
; %bb.57:                               ;   in Loop: Header=BB186_13 Depth=1
	v_subrev_nc_u32_e32 v5, s24, v45
	s_mov_b32 s27, 0
	s_mov_b64 s[16:17], 0
	s_delay_alu instid0(VALU_DEP_1)
	v_cmp_lt_u32_e32 vcc_lo, 1, v5
	v_cndmask_b32_e32 v5, 1, v5, vcc_lo
	.p2align	6
.LBB186_58:                             ;   Parent Loop BB186_13 Depth=1
                                        ; =>  This Inner Loop Header: Depth=2
	s_cmp_lg_u32 s16, 3
	s_cselect_b32 vcc_lo, -1, 0
	s_cmp_lg_u32 s16, 2
	v_cndmask_b32_e32 v4, 0, v4, vcc_lo
	s_cselect_b32 s1, -1, 0
	s_cmp_lg_u32 s16, 1
	v_cndmask_b32_e64 v3, 0, v3, s1
	s_cselect_b32 s2, -1, 0
	s_cmp_lg_u32 s16, 0
	v_cndmask_b32_e64 v2, 0, v2, s2
	s_cselect_b32 s3, -1, 0
	s_add_u32 s16, s16, 1
	v_cndmask_b32_e64 v1, 0, v1, s3
	v_cmp_eq_u32_e32 vcc_lo, s16, v5
	s_addc_u32 s17, s17, 0
	s_or_b32 s27, vcc_lo, s27
	s_delay_alu instid0(SALU_CYCLE_1)
	s_and_not1_b32 exec_lo, exec_lo, s27
	s_cbranch_execnz .LBB186_58
; %bb.59:                               ;   in Loop: Header=BB186_13 Depth=1
	s_or_b32 exec_lo, exec_lo, s27
	s_branch .LBB186_11
.LBB186_60:
	s_nop 0
	s_sendmsg sendmsg(MSG_DEALLOC_VGPRS)
	s_endpgm
	.section	.rodata,"a",@progbits
	.p2align	6, 0x0
	.amdhsa_kernel _Z12wvSplitK_hf_I14__hip_bfloat16Li64ELi4ELi16ELi8ELi2ELi1EEviiiiiiPKT_S3_S3_PS1_ii
		.amdhsa_group_segment_fixed_size 65536
		.amdhsa_private_segment_fixed_size 0
		.amdhsa_kernarg_size 64
		.amdhsa_user_sgpr_count 15
		.amdhsa_user_sgpr_dispatch_ptr 0
		.amdhsa_user_sgpr_queue_ptr 0
		.amdhsa_user_sgpr_kernarg_segment_ptr 1
		.amdhsa_user_sgpr_dispatch_id 0
		.amdhsa_user_sgpr_private_segment_size 0
		.amdhsa_wavefront_size32 1
		.amdhsa_uses_dynamic_stack 0
		.amdhsa_enable_private_segment 0
		.amdhsa_system_sgpr_workgroup_id_x 1
		.amdhsa_system_sgpr_workgroup_id_y 0
		.amdhsa_system_sgpr_workgroup_id_z 0
		.amdhsa_system_sgpr_workgroup_info 0
		.amdhsa_system_vgpr_workitem_id 1
		.amdhsa_next_free_vgpr 71
		.amdhsa_next_free_sgpr 28
		.amdhsa_reserve_vcc 1
		.amdhsa_float_round_mode_32 0
		.amdhsa_float_round_mode_16_64 0
		.amdhsa_float_denorm_mode_32 3
		.amdhsa_float_denorm_mode_16_64 3
		.amdhsa_dx10_clamp 1
		.amdhsa_ieee_mode 1
		.amdhsa_fp16_overflow 0
		.amdhsa_workgroup_processor_mode 1
		.amdhsa_memory_ordered 1
		.amdhsa_forward_progress 0
		.amdhsa_shared_vgpr_count 0
		.amdhsa_exception_fp_ieee_invalid_op 0
		.amdhsa_exception_fp_denorm_src 0
		.amdhsa_exception_fp_ieee_div_zero 0
		.amdhsa_exception_fp_ieee_overflow 0
		.amdhsa_exception_fp_ieee_underflow 0
		.amdhsa_exception_fp_ieee_inexact 0
		.amdhsa_exception_int_div_zero 0
	.end_amdhsa_kernel
	.section	.text._Z12wvSplitK_hf_I14__hip_bfloat16Li64ELi4ELi16ELi8ELi2ELi1EEviiiiiiPKT_S3_S3_PS1_ii,"axG",@progbits,_Z12wvSplitK_hf_I14__hip_bfloat16Li64ELi4ELi16ELi8ELi2ELi1EEviiiiiiPKT_S3_S3_PS1_ii,comdat
.Lfunc_end186:
	.size	_Z12wvSplitK_hf_I14__hip_bfloat16Li64ELi4ELi16ELi8ELi2ELi1EEviiiiiiPKT_S3_S3_PS1_ii, .Lfunc_end186-_Z12wvSplitK_hf_I14__hip_bfloat16Li64ELi4ELi16ELi8ELi2ELi1EEviiiiiiPKT_S3_S3_PS1_ii
                                        ; -- End function
	.section	.AMDGPU.csdata,"",@progbits
; Kernel info:
; codeLenInByte = 4028
; NumSgprs: 30
; NumVgprs: 71
; ScratchSize: 0
; MemoryBound: 0
; FloatMode: 240
; IeeeMode: 1
; LDSByteSize: 65536 bytes/workgroup (compile time only)
; SGPRBlocks: 3
; VGPRBlocks: 8
; NumSGPRsForWavesPerEU: 30
; NumVGPRsForWavesPerEU: 71
; Occupancy: 16
; WaveLimiterHint : 0
; COMPUTE_PGM_RSRC2:SCRATCH_EN: 0
; COMPUTE_PGM_RSRC2:USER_SGPR: 15
; COMPUTE_PGM_RSRC2:TRAP_HANDLER: 0
; COMPUTE_PGM_RSRC2:TGID_X_EN: 1
; COMPUTE_PGM_RSRC2:TGID_Y_EN: 0
; COMPUTE_PGM_RSRC2:TGID_Z_EN: 0
; COMPUTE_PGM_RSRC2:TIDIG_COMP_CNT: 1
	.section	.text._Z16wvSplitK_hf_big_I14__hip_bfloat16Li64ELi4ELi16ELi8ELi2ELi1EEviiiiiiPKT_S3_S3_PS1_ii,"axG",@progbits,_Z16wvSplitK_hf_big_I14__hip_bfloat16Li64ELi4ELi16ELi8ELi2ELi1EEviiiiiiPKT_S3_S3_PS1_ii,comdat
	.protected	_Z16wvSplitK_hf_big_I14__hip_bfloat16Li64ELi4ELi16ELi8ELi2ELi1EEviiiiiiPKT_S3_S3_PS1_ii ; -- Begin function _Z16wvSplitK_hf_big_I14__hip_bfloat16Li64ELi4ELi16ELi8ELi2ELi1EEviiiiiiPKT_S3_S3_PS1_ii
	.globl	_Z16wvSplitK_hf_big_I14__hip_bfloat16Li64ELi4ELi16ELi8ELi2ELi1EEviiiiiiPKT_S3_S3_PS1_ii
	.p2align	8
	.type	_Z16wvSplitK_hf_big_I14__hip_bfloat16Li64ELi4ELi16ELi8ELi2ELi1EEviiiiiiPKT_S3_S3_PS1_ii,@function
_Z16wvSplitK_hf_big_I14__hip_bfloat16Li64ELi4ELi16ELi8ELi2ELi1EEviiiiiiPKT_S3_S3_PS1_ii: ; @_Z16wvSplitK_hf_big_I14__hip_bfloat16Li64ELi4ELi16ELi8ELi2ELi1EEviiiiiiPKT_S3_S3_PS1_ii
; %bb.0:
	s_load_b64 s[12:13], s[0:1], 0x38
	v_bfe_u32 v5, v0, 10, 10
	s_mov_b32 s2, exec_lo
	s_waitcnt lgkmcnt(0)
	s_delay_alu instid0(VALU_DEP_1)
	v_cmpx_gt_u32_e64 s12, v5
	s_cbranch_execz .LBB187_64
; %bb.1:
	s_load_b128 s[16:19], s[0:1], 0x0
	s_mul_i32 s15, s15, s12
	s_mov_b32 s4, 1
	v_add_lshl_u32 v45, s15, v5, 2
	s_mov_b32 s5, s4
	s_mov_b32 s6, s4
	s_mov_b32 s7, s4
	s_delay_alu instid0(VALU_DEP_1) | instskip(SKIP_2) | instid1(VALU_DEP_2)
	v_add_nc_u32_e32 v1, 4, v45
	s_waitcnt lgkmcnt(0)
	v_cmp_gt_u32_e32 vcc_lo, s19, v45
	v_cmp_le_u32_e64 s2, s19, v1
	v_dual_mov_b32 v1, s4 :: v_dual_mov_b32 v4, s7
	v_dual_mov_b32 v2, s5 :: v_dual_mov_b32 v3, s6
	s_delay_alu instid0(VALU_DEP_3) | instskip(NEXT) | instid1(SALU_CYCLE_1)
	s_and_b32 s2, vcc_lo, s2
	s_and_saveexec_b32 s8, s2
	s_cbranch_execz .LBB187_7
; %bb.2:
	v_dual_mov_b32 v1, s4 :: v_dual_mov_b32 v2, s5
	v_dual_mov_b32 v3, s6 :: v_dual_mov_b32 v4, s7
	s_add_i32 s9, s19, -4
	s_mov_b32 s10, exec_lo
	v_cmpx_ne_u32_e64 s9, v45
	s_cbranch_execz .LBB187_6
; %bb.3:
	v_subrev_nc_u32_e32 v1, s9, v45
	s_mov_b32 s11, 0
	s_mov_b64 s[2:3], 0
	s_mov_b32 s5, s4
	s_mov_b32 s6, s4
	v_cmp_lt_u32_e32 vcc_lo, 1, v1
	s_mov_b32 s7, s4
	v_cndmask_b32_e32 v6, 1, v1, vcc_lo
	.p2align	6
.LBB187_4:                              ; =>This Inner Loop Header: Depth=1
	s_cmp_lg_u32 s2, 3
	s_cselect_b32 s7, s7, 0
	s_cmp_lg_u32 s2, 2
	s_cselect_b32 s6, s6, 0
	;; [unrolled: 2-line block ×4, first 2 shown]
	s_add_u32 s2, s2, 1
	v_dual_mov_b32 v1, s4 :: v_dual_mov_b32 v2, s5
	v_cmp_eq_u32_e32 vcc_lo, s2, v6
	v_dual_mov_b32 v3, s6 :: v_dual_mov_b32 v4, s7
	s_addc_u32 s3, s3, 0
	s_or_b32 s11, vcc_lo, s11
	s_delay_alu instid0(SALU_CYCLE_1)
	s_and_not1_b32 exec_lo, exec_lo, s11
	s_cbranch_execnz .LBB187_4
; %bb.5:
	s_or_b32 exec_lo, exec_lo, s11
	v_mov_b32_e32 v45, s9
.LBB187_6:
	s_or_b32 exec_lo, exec_lo, s10
.LBB187_7:
	s_delay_alu instid0(SALU_CYCLE_1)
	s_or_b32 exec_lo, exec_lo, s8
	s_lshl_b32 s2, s12, 2
	s_abs_i32 s6, s19
	s_abs_i32 s3, s2
	s_mov_b32 s15, 0
	v_cvt_f32_u32_e32 v6, s3
	s_sub_i32 s5, 0, s3
	s_delay_alu instid0(VALU_DEP_1) | instskip(SKIP_2) | instid1(VALU_DEP_1)
	v_rcp_iflag_f32_e32 v6, v6
	s_waitcnt_depctr 0xfff
	v_mul_f32_e32 v6, 0x4f7ffffe, v6
	v_cvt_u32_f32_e32 v6, v6
	s_delay_alu instid0(VALU_DEP_1) | instskip(NEXT) | instid1(VALU_DEP_1)
	v_readfirstlane_b32 s4, v6
	s_mul_i32 s5, s5, s4
	s_delay_alu instid0(SALU_CYCLE_1) | instskip(NEXT) | instid1(SALU_CYCLE_1)
	s_mul_hi_u32 s5, s4, s5
	s_add_i32 s4, s4, s5
	s_ashr_i32 s5, s19, 31
	s_mul_hi_u32 s4, s6, s4
	s_delay_alu instid0(SALU_CYCLE_1) | instskip(NEXT) | instid1(SALU_CYCLE_1)
	s_mul_i32 s4, s4, s3
	s_sub_i32 s4, s6, s4
	s_delay_alu instid0(SALU_CYCLE_1) | instskip(SKIP_2) | instid1(SALU_CYCLE_1)
	s_sub_i32 s6, s4, s3
	s_cmp_ge_u32 s4, s3
	s_cselect_b32 s4, s6, s4
	s_sub_i32 s6, s4, s3
	s_cmp_ge_u32 s4, s3
	s_cselect_b32 s3, s6, s4
	s_add_i32 s2, s2, s19
	s_xor_b32 s3, s3, s5
	s_delay_alu instid0(SALU_CYCLE_1) | instskip(NEXT) | instid1(SALU_CYCLE_1)
	s_sub_i32 s3, s3, s5
	s_sub_i32 s2, s2, s3
	s_cmp_eq_u32 s3, 0
	s_cselect_b32 s14, s19, s2
	s_delay_alu instid0(SALU_CYCLE_1)
	v_cmp_gt_u32_e32 vcc_lo, s14, v45
	s_and_b32 exec_lo, exec_lo, vcc_lo
	s_cbranch_execz .LBB187_64
; %bb.8:
	s_clause 0x1
	s_load_b32 s20, s[0:1], 0x10
	s_load_b256 s[4:11], s[0:1], 0x18
	s_min_u32 s21, s18, 0x8000
	v_and_b32_e32 v8, 0x3ff, v0
	s_cmp_lg_u32 s16, 0
	s_mul_i32 s0, s13, s12
	s_cselect_b32 s22, -1, 0
	s_cmp_lg_u32 s18, 0
	v_lshlrev_b32_e32 v0, 3, v8
	s_cselect_b32 s23, -1, 0
	s_lshl_b32 s24, s12, 9
	s_add_i32 s25, s16, -8
	s_add_i32 s26, s19, -1
	s_lshl_b32 s27, s0, 2
	v_lshl_add_u32 v58, v5, 9, v0
	v_mbcnt_lo_u32_b32 v60, -1, 0
	v_lshlrev_b32_e32 v9, 4, v8
	s_waitcnt lgkmcnt(0)
	v_cvt_f32_u32_e32 v6, s20
	s_cmp_lg_u64 s[8:9], 0
	s_delay_alu instid0(VALU_DEP_2)
	v_lshl_add_u32 v57, v5, 10, v9
	s_cselect_b32 s28, -1, 0
	s_sub_i32 s0, 0, s20
	v_rcp_iflag_f32_e32 v6, v6
	s_add_i32 s29, s19, -4
	s_add_u32 s30, s10, 2
	s_addc_u32 s31, s11, 0
	s_lshl_b32 s33, s12, 10
	s_waitcnt_depctr 0xfff
	v_mul_f32_e32 v6, 0x4f7ffffe, v6
	s_delay_alu instid0(VALU_DEP_1) | instskip(NEXT) | instid1(VALU_DEP_1)
	v_cvt_u32_f32_e32 v6, v6
	v_mul_lo_u32 v7, s0, v6
	v_cmp_eq_u32_e64 s0, 63, v8
	s_delay_alu instid0(VALU_DEP_2) | instskip(NEXT) | instid1(VALU_DEP_1)
	v_mul_hi_u32 v7, v6, v7
	v_dual_mov_b32 v48, 0 :: v_dual_add_nc_u32 v59, v6, v7
	s_branch .LBB187_12
.LBB187_9:                              ;   in Loop: Header=BB187_12 Depth=1
	s_or_b32 exec_lo, exec_lo, s36
	v_mov_b32_e32 v45, s29
.LBB187_10:                             ;   in Loop: Header=BB187_12 Depth=1
	s_or_b32 exec_lo, exec_lo, s35
.LBB187_11:                             ;   in Loop: Header=BB187_12 Depth=1
	s_delay_alu instid0(SALU_CYCLE_1) | instskip(NEXT) | instid1(VALU_DEP_1)
	s_or_b32 exec_lo, exec_lo, s34
	v_cmp_le_u32_e32 vcc_lo, s14, v45
	s_or_b32 s15, vcc_lo, s15
	s_delay_alu instid0(SALU_CYCLE_1)
	s_and_not1_b32 exec_lo, exec_lo, s15
	s_cbranch_execz .LBB187_64
.LBB187_12:                             ; =>This Loop Header: Depth=1
                                        ;     Child Loop BB187_17 Depth 2
                                        ;       Child Loop BB187_22 Depth 3
                                        ;     Child Loop BB187_62 Depth 2
	s_delay_alu instid0(VALU_DEP_1)
	v_mov_b32_e32 v46, v48
	v_mov_b32_e32 v61, v48
	;; [unrolled: 1-line block ×4, first 2 shown]
	s_and_not1_b32 vcc_lo, exec_lo, s22
	s_mov_b32 s3, 0
	s_cbranch_vccnz .LBB187_29
; %bb.13:                               ;   in Loop: Header=BB187_12 Depth=1
	v_dual_mov_b32 v63, 0 :: v_dual_add_nc_u32 v6, 2, v45
	v_add_nc_u32_e32 v5, 1, v45
	s_waitcnt lgkmcnt(1)
	v_add_nc_u32_e32 v7, 3, v45
	v_min_u32_e32 v8, s26, v45
	v_min_u32_e32 v6, s26, v6
	v_dual_mov_b32 v10, v48 :: v_dual_mov_b32 v61, 0
	v_cmp_gt_u32_e64 s1, s19, v45
	s_delay_alu instid0(VALU_DEP_4)
	v_mul_lo_u32 v47, v8, s17
	v_mov_b32_e32 v8, v48
	s_waitcnt lgkmcnt(0)
	v_min_u32_e32 v9, s26, v7
	v_mul_lo_u32 v7, v6, s17
	v_mov_b32_e32 v6, v48
	v_min_u32_e32 v5, s26, v5
	v_mov_b32_e32 v62, 0
	v_mul_lo_u32 v9, v9, s17
	v_lshlrev_b64 v[49:50], 1, v[47:48]
	v_mov_b32_e32 v46, 0
	v_mul_lo_u32 v5, v5, s17
	v_lshlrev_b64 v[53:54], 1, v[7:8]
	s_mov_b32 s12, 0
	v_lshlrev_b64 v[55:56], 1, v[9:10]
	s_delay_alu instid0(VALU_DEP_3)
	v_lshlrev_b64 v[51:52], 1, v[5:6]
	s_branch .LBB187_17
.LBB187_14:                             ;   in Loop: Header=BB187_17 Depth=2
	s_or_b32 exec_lo, exec_lo, s34
.LBB187_15:                             ;   in Loop: Header=BB187_17 Depth=2
	s_delay_alu instid0(SALU_CYCLE_1)
	s_or_b32 exec_lo, exec_lo, s13
	s_waitcnt lgkmcnt(0)
	v_and_b32_e32 v65, 0xffff0000, v42
	v_and_b32_e32 v67, 0xffff0000, v43
	s_waitcnt vmcnt(7)
	v_and_b32_e32 v66, 0xffff0000, v38
	v_and_b32_e32 v47, 0xffff0000, v41
	v_lshlrev_b32_e32 v43, 16, v43
	v_and_b32_e32 v64, 0xffff0000, v37
	v_lshlrev_b32_e32 v42, 16, v42
	v_lshlrev_b32_e32 v38, 16, v38
	v_dual_mul_f32 v66, v65, v66 :: v_dual_lshlrev_b32 v41, 16, v41
	s_delay_alu instid0(VALU_DEP_4) | instskip(NEXT) | instid1(VALU_DEP_2)
	v_dual_mul_f32 v64, v47, v64 :: v_dual_lshlrev_b32 v37, 16, v37
	v_fmac_f32_e32 v66, v42, v38
	s_delay_alu instid0(VALU_DEP_2) | instskip(SKIP_1) | instid1(VALU_DEP_1)
	v_fmac_f32_e32 v64, v41, v37
	s_waitcnt vmcnt(6)
	v_dual_add_f32 v63, v63, v64 :: v_dual_and_b32 v38, 0xffff0000, v33
	v_lshlrev_b32_e32 v33, 16, v33
	v_and_b32_e32 v64, 0xffff0000, v34
	s_delay_alu instid0(VALU_DEP_3) | instskip(NEXT) | instid1(VALU_DEP_1)
	v_dual_mul_f32 v38, v47, v38 :: v_dual_and_b32 v37, 0xffff0000, v39
	v_dual_fmac_f32 v38, v41, v33 :: v_dual_lshlrev_b32 v39, 16, v39
	s_delay_alu instid0(VALU_DEP_2) | instskip(NEXT) | instid1(VALU_DEP_4)
	v_mul_f32_e32 v37, v67, v37
	v_dual_mul_f32 v34, v65, v64 :: v_dual_lshlrev_b32 v33, 16, v34
	v_and_b32_e32 v64, 0xffff0000, v35
	s_delay_alu instid0(VALU_DEP_3) | instskip(SKIP_1) | instid1(VALU_DEP_4)
	v_dual_add_f32 v38, v62, v38 :: v_dual_fmac_f32 v37, v43, v39
	v_add_f32_e32 v39, v63, v66
	v_dual_fmac_f32 v34, v42, v33 :: v_dual_and_b32 v63, 0xffff0000, v44
	v_lshlrev_b32_e32 v33, 16, v35
	v_mul_f32_e32 v35, v67, v64
	s_delay_alu instid0(VALU_DEP_3) | instskip(NEXT) | instid1(VALU_DEP_2)
	v_dual_add_f32 v37, v39, v37 :: v_dual_add_f32 v34, v38, v34
	v_dual_fmac_f32 v35, v43, v33 :: v_dual_lshlrev_b32 v44, 16, v44
	s_waitcnt vmcnt(5)
	s_delay_alu instid0(VALU_DEP_1) | instskip(NEXT) | instid1(VALU_DEP_1)
	v_dual_add_f32 v34, v34, v35 :: v_dual_and_b32 v39, 0xffff0000, v29
	v_dual_mul_f32 v38, v47, v39 :: v_dual_and_b32 v33, 0xffff0000, v36
	v_and_b32_e32 v66, 0xffff0000, v40
	v_lshlrev_b32_e32 v40, 16, v40
	v_and_b32_e32 v39, 0xffff0000, v30
	v_lshlrev_b32_e32 v29, 16, v29
	v_mul_f32_e32 v33, v63, v33
	v_mul_f32_e32 v66, v63, v66
	v_lshlrev_b32_e32 v36, 16, v36
	s_delay_alu instid0(VALU_DEP_4) | instskip(NEXT) | instid1(VALU_DEP_3)
	v_fmac_f32_e32 v38, v41, v29
	v_fmac_f32_e32 v66, v44, v40
	s_delay_alu instid0(VALU_DEP_2) | instskip(NEXT) | instid1(VALU_DEP_2)
	v_dual_fmac_f32 v33, v44, v36 :: v_dual_add_f32 v36, v61, v38
	v_add_f32_e32 v35, v37, v66
	v_and_b32_e32 v37, 0xffff0000, v31
	v_dual_mul_f32 v30, v65, v39 :: v_dual_lshlrev_b32 v29, 16, v30
	s_delay_alu instid0(VALU_DEP_1)
	v_dual_fmac_f32 v30, v42, v29 :: v_dual_lshlrev_b32 v31, 16, v31
	v_add_f32_e32 v29, v34, v33
	s_waitcnt vmcnt(4)
	v_and_b32_e32 v33, 0xffff0000, v25
	v_mul_f32_e32 v34, v67, v37
	v_dual_add_f32 v30, v36, v30 :: v_dual_lshlrev_b32 v25, 16, v25
	s_delay_alu instid0(VALU_DEP_3) | instskip(NEXT) | instid1(VALU_DEP_3)
	v_dual_mul_f32 v33, v47, v33 :: v_dual_and_b32 v36, 0xffff0000, v32
	v_dual_fmac_f32 v34, v43, v31 :: v_dual_and_b32 v31, 0xffff0000, v26
	v_lshlrev_b32_e32 v32, 16, v32
	s_delay_alu instid0(VALU_DEP_3) | instskip(NEXT) | instid1(VALU_DEP_3)
	v_dual_mul_f32 v36, v63, v36 :: v_dual_fmac_f32 v33, v41, v25
	v_dual_mul_f32 v26, v65, v31 :: v_dual_lshlrev_b32 v25, 16, v26
	s_delay_alu instid0(VALU_DEP_4) | instskip(NEXT) | instid1(VALU_DEP_3)
	v_dual_add_f32 v30, v30, v34 :: v_dual_and_b32 v31, 0xffff0000, v27
	v_fmac_f32_e32 v36, v44, v32
	s_delay_alu instid0(VALU_DEP_4) | instskip(NEXT) | instid1(VALU_DEP_4)
	v_add_f32_e32 v32, v46, v33
	v_dual_fmac_f32 v26, v42, v25 :: v_dual_lshlrev_b32 v25, 16, v27
	s_delay_alu instid0(VALU_DEP_3) | instskip(SKIP_3) | instid1(VALU_DEP_3)
	v_dual_mul_f32 v27, v67, v31 :: v_dual_add_f32 v30, v30, v36
	v_and_b32_e32 v31, 0xffff0000, v21
	s_waitcnt vmcnt(3)
	v_and_b32_e32 v33, 0xffff0000, v17
	v_dual_fmac_f32 v27, v43, v25 :: v_dual_and_b32 v34, 0xffff0000, v18
	s_delay_alu instid0(VALU_DEP_2) | instskip(SKIP_3) | instid1(VALU_DEP_2)
	v_mul_f32_e32 v25, v31, v33
	v_and_b32_e32 v33, 0xffff0000, v22
	v_dual_add_f32 v26, v32, v26 :: v_dual_lshlrev_b32 v21, 16, v21
	v_and_b32_e32 v32, 0xffff0000, v28
	v_dual_add_f32 v26, v26, v27 :: v_dual_lshlrev_b32 v17, 16, v17
	s_delay_alu instid0(VALU_DEP_2) | instskip(NEXT) | instid1(VALU_DEP_2)
	v_mul_f32_e32 v32, v63, v32
	v_dual_fmac_f32 v25, v21, v17 :: v_dual_lshlrev_b32 v28, 16, v28
	v_lshlrev_b32_e32 v17, 16, v22
	v_lshlrev_b32_e32 v18, 16, v18
	s_waitcnt vmcnt(2)
	v_dual_mul_f32 v22, v33, v34 :: v_dual_and_b32 v27, 0xffff0000, v13
	v_fmac_f32_e32 v32, v44, v28
	v_dual_add_f32 v25, v35, v25 :: v_dual_and_b32 v34, 0xffff0000, v23
	s_delay_alu instid0(VALU_DEP_3) | instskip(SKIP_1) | instid1(VALU_DEP_2)
	v_dual_fmac_f32 v22, v17, v18 :: v_dual_lshlrev_b32 v13, 16, v13
	v_and_b32_e32 v36, 0xffff0000, v19
	v_dual_add_f32 v22, v25, v22 :: v_dual_lshlrev_b32 v19, 16, v19
	v_dual_add_f32 v25, v26, v32 :: v_dual_lshlrev_b32 v18, 16, v23
	s_delay_alu instid0(VALU_DEP_3) | instskip(NEXT) | instid1(VALU_DEP_1)
	v_dual_mul_f32 v23, v34, v36 :: v_dual_and_b32 v26, 0xffff0000, v14
	v_fmac_f32_e32 v23, v18, v19
	v_mul_f32_e32 v19, v31, v27
	s_delay_alu instid0(VALU_DEP_2) | instskip(NEXT) | instid1(VALU_DEP_2)
	v_dual_add_f32 v22, v22, v23 :: v_dual_and_b32 v23, 0xffff0000, v24
	v_fmac_f32_e32 v19, v21, v13
	v_lshlrev_b32_e32 v13, 16, v14
	v_mul_f32_e32 v14, v33, v26
	v_lshlrev_b32_e32 v24, 16, v24
	v_and_b32_e32 v27, 0xffff0000, v20
	v_dual_add_f32 v19, v29, v19 :: v_dual_lshlrev_b32 v20, 16, v20
	s_delay_alu instid0(VALU_DEP_4) | instskip(NEXT) | instid1(VALU_DEP_3)
	v_dual_fmac_f32 v14, v17, v13 :: v_dual_lshlrev_b32 v13, 16, v15
	v_mul_f32_e32 v27, v23, v27
	s_delay_alu instid0(VALU_DEP_2) | instskip(SKIP_3) | instid1(VALU_DEP_2)
	v_add_f32_e32 v14, v19, v14
	v_and_b32_e32 v26, 0xffff0000, v15
	s_waitcnt vmcnt(1)
	v_and_b32_e32 v19, 0xffff0000, v10
	v_dual_mul_f32 v15, v34, v26 :: v_dual_and_b32 v26, 0xffff0000, v9
	v_lshlrev_b32_e32 v9, 16, v9
	s_delay_alu instid0(VALU_DEP_2) | instskip(NEXT) | instid1(VALU_DEP_1)
	v_fmac_f32_e32 v15, v18, v13
	v_dual_mul_f32 v13, v31, v26 :: v_dual_add_f32 v14, v14, v15
	v_and_b32_e32 v15, 0xffff0000, v16
	s_delay_alu instid0(VALU_DEP_2)
	v_dual_fmac_f32 v13, v21, v9 :: v_dual_lshlrev_b32 v16, 16, v16
	v_dual_mul_f32 v10, v33, v19 :: v_dual_lshlrev_b32 v9, 16, v10
	s_waitcnt vmcnt(0)
	v_and_b32_e32 v19, 0xffff0000, v5
	v_fmac_f32_e32 v27, v24, v20
	v_lshlrev_b32_e32 v5, 16, v5
	s_delay_alu instid0(VALU_DEP_3) | instskip(NEXT) | instid1(VALU_DEP_1)
	v_dual_mul_f32 v19, v31, v19 :: v_dual_and_b32 v20, 0xffff0000, v6
	v_fmac_f32_e32 v19, v21, v5
	s_delay_alu instid0(VALU_DEP_2) | instskip(NEXT) | instid1(VALU_DEP_2)
	v_dual_mul_f32 v6, v33, v20 :: v_dual_lshlrev_b32 v5, 16, v6
	v_add_f32_e32 v19, v25, v19
	s_delay_alu instid0(VALU_DEP_2) | instskip(SKIP_2) | instid1(VALU_DEP_3)
	v_fmac_f32_e32 v6, v17, v5
	v_dual_fmac_f32 v10, v17, v9 :: v_dual_and_b32 v9, 0xffff0000, v11
	v_lshlrev_b32_e32 v11, 16, v11
	v_dual_add_f32 v13, v30, v13 :: v_dual_add_f32 v6, v19, v6
	v_lshlrev_b32_e32 v5, 16, v7
	s_delay_alu instid0(VALU_DEP_4) | instskip(NEXT) | instid1(VALU_DEP_3)
	v_mul_f32_e32 v9, v34, v9
	v_dual_add_f32 v63, v22, v27 :: v_dual_add_f32 v10, v13, v10
	v_mul_f32_e32 v15, v23, v15
	v_and_b32_e32 v13, 0xffff0000, v12
	s_delay_alu instid0(VALU_DEP_4) | instskip(SKIP_1) | instid1(VALU_DEP_3)
	v_fmac_f32_e32 v9, v18, v11
	v_and_b32_e32 v11, 0xffff0000, v7
	v_mul_f32_e32 v13, v23, v13
	s_delay_alu instid0(VALU_DEP_3) | instskip(NEXT) | instid1(VALU_DEP_3)
	v_add_f32_e32 v9, v10, v9
	v_mul_f32_e32 v7, v34, v11
	v_lshlrev_b32_e32 v11, 16, v12
	v_and_b32_e32 v12, 0xffff0000, v8
	v_fmac_f32_e32 v15, v24, v16
	s_delay_alu instid0(VALU_DEP_4) | instskip(SKIP_1) | instid1(VALU_DEP_4)
	v_fmac_f32_e32 v7, v18, v5
	v_lshlrev_b32_e32 v5, 16, v8
	v_dual_mul_f32 v8, v23, v12 :: v_dual_fmac_f32 v13, v24, v11
	s_delay_alu instid0(VALU_DEP_4) | instskip(NEXT) | instid1(VALU_DEP_4)
	v_add_f32_e32 v62, v14, v15
	v_add_f32_e32 v6, v6, v7
	s_delay_alu instid0(VALU_DEP_3) | instskip(NEXT) | instid1(VALU_DEP_1)
	v_fmac_f32_e32 v8, v24, v5
	v_dual_add_f32 v61, v9, v13 :: v_dual_add_f32 v46, v6, v8
.LBB187_16:                             ;   in Loop: Header=BB187_17 Depth=2
	s_or_b32 exec_lo, exec_lo, s2
	s_addk_i32 s12, 0x400
	s_delay_alu instid0(SALU_CYCLE_1)
	s_cmp_ge_u32 s12, s16
	s_cbranch_scc1 .LBB187_29
.LBB187_17:                             ;   Parent Loop BB187_12 Depth=1
                                        ; =>  This Loop Header: Depth=2
                                        ;       Child Loop BB187_22 Depth 3
	s_cmp_eq_u32 s12, 0
	s_cselect_b32 s13, -1, 0
	s_add_i32 s2, s3, s21
	s_delay_alu instid0(SALU_CYCLE_1) | instskip(SKIP_1) | instid1(SALU_CYCLE_1)
	s_cmp_eq_u32 s12, s2
	s_cselect_b32 s34, -1, 0
	s_or_b32 s34, s13, s34
	s_delay_alu instid0(SALU_CYCLE_1)
	s_and_not1_b32 vcc_lo, exec_lo, s34
	s_cbranch_vccz .LBB187_19
; %bb.18:                               ;   in Loop: Header=BB187_17 Depth=2
	s_and_saveexec_b32 s2, s1
	s_cbranch_execz .LBB187_16
	s_branch .LBB187_26
.LBB187_19:                             ;   in Loop: Header=BB187_17 Depth=2
	s_and_b32 s13, s13, exec_lo
	s_cselect_b32 s3, s3, s2
	s_and_not1_b32 vcc_lo, exec_lo, s23
	s_waitcnt vmcnt(0)
	s_waitcnt_vscnt null, 0x0
	s_barrier
	buffer_gl0_inv
	s_cbranch_vccnz .LBB187_25
; %bb.20:                               ;   in Loop: Header=BB187_17 Depth=2
	v_dual_mov_b32 v6, v57 :: v_dual_add_nc_u32 v5, s3, v58
	s_mov_b32 s13, 0
	s_mov_b32 s34, 0
                                        ; implicit-def: $sgpr35
	s_set_inst_prefetch_distance 0x1
	s_branch .LBB187_22
	.p2align	6
.LBB187_21:                             ;   in Loop: Header=BB187_22 Depth=3
	s_or_b32 exec_lo, exec_lo, s2
	s_delay_alu instid0(SALU_CYCLE_1) | instskip(NEXT) | instid1(SALU_CYCLE_1)
	s_and_b32 s2, exec_lo, s35
	s_or_b32 s13, s2, s13
	s_delay_alu instid0(SALU_CYCLE_1)
	s_and_not1_b32 exec_lo, exec_lo, s13
	s_cbranch_execz .LBB187_24
.LBB187_22:                             ;   Parent Loop BB187_12 Depth=1
                                        ;     Parent Loop BB187_17 Depth=2
                                        ; =>    This Inner Loop Header: Depth=3
	v_add_nc_u32_e32 v47, s34, v5
	v_add_nc_u32_e32 v7, s34, v58
	s_or_b32 s35, s35, exec_lo
	s_delay_alu instid0(VALU_DEP_2) | instskip(NEXT) | instid1(VALU_DEP_2)
	v_cmp_gt_u32_e32 vcc_lo, s18, v47
	v_cmp_gt_u32_e64 s2, s21, v7
	s_delay_alu instid0(VALU_DEP_1) | instskip(NEXT) | instid1(SALU_CYCLE_1)
	s_and_b32 s36, s2, vcc_lo
	s_and_saveexec_b32 s2, s36
	s_cbranch_execz .LBB187_21
; %bb.23:                               ;   in Loop: Header=BB187_22 Depth=3
	v_lshlrev_b64 v[7:8], 1, v[47:48]
	s_add_i32 s34, s34, s24
	s_delay_alu instid0(SALU_CYCLE_1) | instskip(SKIP_1) | instid1(VALU_DEP_1)
	s_cmp_ge_u32 s34, s21
	s_cselect_b32 s36, -1, 0
	v_add_co_u32 v7, vcc_lo, s6, v7
	s_delay_alu instid0(VALU_DEP_2) | instskip(SKIP_2) | instid1(SALU_CYCLE_1)
	v_add_co_ci_u32_e32 v8, vcc_lo, s7, v8, vcc_lo
	s_and_not1_b32 s35, s35, exec_lo
	s_and_b32 s36, s36, exec_lo
	s_or_b32 s35, s35, s36
	global_load_b128 v[7:10], v[7:8], off
	s_waitcnt vmcnt(0)
	ds_store_b128 v6, v[7:10]
	v_add_nc_u32_e32 v6, s33, v6
	s_branch .LBB187_21
.LBB187_24:                             ;   in Loop: Header=BB187_17 Depth=2
	s_set_inst_prefetch_distance 0x2
	s_or_b32 exec_lo, exec_lo, s13
.LBB187_25:                             ;   in Loop: Header=BB187_17 Depth=2
	s_waitcnt lgkmcnt(0)
	s_barrier
	buffer_gl0_inv
	s_and_saveexec_b32 s2, s1
	s_cbranch_execz .LBB187_16
.LBB187_26:                             ;   in Loop: Header=BB187_17 Depth=2
	v_add_nc_u32_e32 v64, s12, v0
	v_dual_mov_b32 v44, 0 :: v_dual_mov_b32 v43, 0
	v_dual_mov_b32 v42, 0 :: v_dual_mov_b32 v41, 0
	s_delay_alu instid0(VALU_DEP_3) | instskip(SKIP_2) | instid1(VALU_DEP_2)
	v_min_u32_e32 v47, s25, v64
	v_add_nc_u32_e32 v65, 0x200, v64
	s_mov_b32 s13, exec_lo
	v_lshlrev_b64 v[5:6], 1, v[47:48]
	s_delay_alu instid0(VALU_DEP_2) | instskip(NEXT) | instid1(VALU_DEP_2)
	v_min_u32_e32 v47, s25, v65
	v_add_co_u32 v13, vcc_lo, s4, v5
	s_delay_alu instid0(VALU_DEP_3) | instskip(NEXT) | instid1(VALU_DEP_3)
	v_add_co_ci_u32_e32 v14, vcc_lo, s5, v6, vcc_lo
	v_lshlrev_b64 v[5:6], 1, v[47:48]
	s_delay_alu instid0(VALU_DEP_3) | instskip(NEXT) | instid1(VALU_DEP_3)
	v_add_co_u32 v7, vcc_lo, v13, v49
	v_add_co_ci_u32_e32 v8, vcc_lo, v14, v50, vcc_lo
	v_add_co_u32 v9, vcc_lo, v13, v51
	v_add_co_ci_u32_e32 v10, vcc_lo, v14, v52, vcc_lo
	v_add_co_u32 v11, vcc_lo, v13, v53
	s_waitcnt vmcnt(0)
	v_add_co_ci_u32_e32 v12, vcc_lo, v14, v54, vcc_lo
	v_add_co_u32 v15, vcc_lo, s4, v5
	v_add_co_ci_u32_e32 v16, vcc_lo, s5, v6, vcc_lo
	v_add_co_u32 v5, vcc_lo, v13, v55
	v_add_co_ci_u32_e32 v6, vcc_lo, v14, v56, vcc_lo
	s_clause 0x1
	global_load_b128 v[37:40], v[7:8], off slc dlc
	global_load_b128 v[33:36], v[9:10], off slc dlc
	v_add_co_u32 v7, vcc_lo, v15, v49
	v_add_co_ci_u32_e32 v8, vcc_lo, v16, v50, vcc_lo
	v_add_co_u32 v9, vcc_lo, v15, v51
	v_add_co_ci_u32_e32 v10, vcc_lo, v16, v52, vcc_lo
	;; [unrolled: 2-line block ×4, first 2 shown]
	s_clause 0x5
	global_load_b128 v[29:32], v[11:12], off slc dlc
	global_load_b128 v[25:28], v[5:6], off slc dlc
	;; [unrolled: 1-line block ×6, first 2 shown]
	v_dual_mov_b32 v24, 0 :: v_dual_mov_b32 v23, 0
	v_dual_mov_b32 v22, 0 :: v_dual_mov_b32 v21, 0
	v_cmpx_gt_u32_e64 s16, v64
	s_cbranch_execz .LBB187_15
; %bb.27:                               ;   in Loop: Header=BB187_17 Depth=2
	v_subrev_nc_u32_e32 v21, s3, v64
	v_mov_b32_e32 v23, 0
	s_mov_b32 s34, exec_lo
	v_mov_b32_e32 v22, 0
	s_delay_alu instid0(VALU_DEP_3)
	v_dual_mov_b32 v24, 0 :: v_dual_lshlrev_b32 v47, 1, v21
	v_mov_b32_e32 v21, 0
	ds_load_b128 v[41:44], v47
	v_cmpx_gt_u32_e64 s16, v65
	s_cbranch_execz .LBB187_14
; %bb.28:                               ;   in Loop: Header=BB187_17 Depth=2
	ds_load_b128 v[21:24], v47 offset:1024
	s_branch .LBB187_14
.LBB187_29:                             ;   in Loop: Header=BB187_12 Depth=1
	s_mov_b32 s1, exec_lo
	v_cmpx_le_u32_e64 s19, v45
	s_xor_b32 s1, exec_lo, s1
; %bb.30:                               ;   in Loop: Header=BB187_12 Depth=1
	v_add_nc_u32_e32 v45, s27, v45
                                        ; implicit-def: $vgpr63
                                        ; implicit-def: $vgpr62
                                        ; implicit-def: $vgpr61
                                        ; implicit-def: $vgpr46
; %bb.31:                               ;   in Loop: Header=BB187_12 Depth=1
	s_and_not1_saveexec_b32 s34, s1
	s_cbranch_execz .LBB187_11
; %bb.32:                               ;   in Loop: Header=BB187_12 Depth=1
	v_cvt_i32_f32_e32 v5, v63
	v_cvt_i32_f32_e32 v6, v62
	s_waitcnt lgkmcnt(1)
	v_cvt_i32_f32_e32 v7, v61
	v_cvt_i32_f32_e32 v8, v46
	v_cvt_f32_i32_dpp v5, v5 row_shr:8 row_mask:0xf bank_mask:0xf bound_ctrl:1
	v_cvt_f32_i32_dpp v6, v6 row_shr:8 row_mask:0xf bank_mask:0xf bound_ctrl:1
	s_delay_alu instid0(VALU_DEP_4) | instskip(NEXT) | instid1(VALU_DEP_4)
	v_cvt_f32_i32_dpp v7, v7 row_shr:8 row_mask:0xf bank_mask:0xf bound_ctrl:1
	v_cvt_f32_i32_dpp v8, v8 row_shr:8 row_mask:0xf bank_mask:0xf bound_ctrl:1
	s_delay_alu instid0(VALU_DEP_3) | instskip(NEXT) | instid1(VALU_DEP_2)
	v_dual_add_f32 v5, v63, v5 :: v_dual_add_f32 v6, v62, v6
	v_dual_add_f32 v7, v61, v7 :: v_dual_add_f32 v8, v46, v8
	s_waitcnt lgkmcnt(0)
	s_delay_alu instid0(VALU_DEP_2) | instskip(NEXT) | instid1(VALU_DEP_3)
	v_cvt_i32_f32_e32 v9, v5
	v_cvt_i32_f32_e32 v10, v6
	s_delay_alu instid0(VALU_DEP_3)
	v_cvt_i32_f32_e32 v11, v7
	s_waitcnt vmcnt(0)
	v_cvt_i32_f32_e32 v12, v8
	v_cvt_f32_i32_dpp v9, v9 row_shr:4 row_mask:0xf bank_mask:0xf bound_ctrl:1
	v_cvt_f32_i32_dpp v10, v10 row_shr:4 row_mask:0xf bank_mask:0xf bound_ctrl:1
	;; [unrolled: 1-line block ×3, first 2 shown]
	s_delay_alu instid0(VALU_DEP_4) | instskip(NEXT) | instid1(VALU_DEP_3)
	v_cvt_f32_i32_dpp v12, v12 row_shr:4 row_mask:0xf bank_mask:0xf bound_ctrl:1
	v_dual_add_f32 v5, v5, v9 :: v_dual_add_f32 v6, v6, v10
	s_delay_alu instid0(VALU_DEP_2) | instskip(NEXT) | instid1(VALU_DEP_2)
	v_dual_add_f32 v7, v7, v11 :: v_dual_add_f32 v8, v8, v12
	v_cvt_i32_f32_e32 v9, v5
	s_delay_alu instid0(VALU_DEP_3) | instskip(NEXT) | instid1(VALU_DEP_3)
	v_cvt_i32_f32_e32 v10, v6
	v_cvt_i32_f32_e32 v11, v7
	s_delay_alu instid0(VALU_DEP_4) | instskip(NEXT) | instid1(VALU_DEP_4)
	v_cvt_i32_f32_e32 v12, v8
	v_cvt_f32_i32_dpp v9, v9 row_shr:2 row_mask:0xf bank_mask:0xf bound_ctrl:1
	s_delay_alu instid0(VALU_DEP_4) | instskip(NEXT) | instid1(VALU_DEP_4)
	v_cvt_f32_i32_dpp v10, v10 row_shr:2 row_mask:0xf bank_mask:0xf bound_ctrl:1
	v_cvt_f32_i32_dpp v11, v11 row_shr:2 row_mask:0xf bank_mask:0xf bound_ctrl:1
	s_delay_alu instid0(VALU_DEP_4) | instskip(NEXT) | instid1(VALU_DEP_3)
	v_cvt_f32_i32_dpp v12, v12 row_shr:2 row_mask:0xf bank_mask:0xf bound_ctrl:1
	v_dual_add_f32 v5, v5, v9 :: v_dual_add_f32 v6, v6, v10
	s_delay_alu instid0(VALU_DEP_2) | instskip(SKIP_1) | instid1(VALU_DEP_3)
	v_add_f32_e32 v9, v8, v12
	v_xor_b32_e32 v8, 16, v60
	v_cvt_i32_f32_e32 v10, v5
	s_delay_alu instid0(VALU_DEP_3) | instskip(NEXT) | instid1(VALU_DEP_3)
	v_cvt_i32_f32_e32 v13, v9
	v_cmp_gt_i32_e32 vcc_lo, 32, v8
	v_add_f32_e32 v7, v7, v11
	v_cvt_i32_f32_e32 v11, v6
	v_cvt_f32_i32_dpp v10, v10 row_shr:1 row_mask:0xf bank_mask:0xf bound_ctrl:1
	v_cvt_f32_i32_dpp v14, v13 row_shr:1 row_mask:0xf bank_mask:0xf bound_ctrl:1
	v_cndmask_b32_e32 v8, v60, v8, vcc_lo
	v_cvt_i32_f32_e32 v12, v7
	v_cvt_f32_i32_dpp v11, v11 row_shr:1 row_mask:0xf bank_mask:0xf bound_ctrl:1
	s_delay_alu instid0(VALU_DEP_3) | instskip(NEXT) | instid1(VALU_DEP_3)
	v_lshlrev_b32_e32 v15, 2, v8
	v_cvt_f32_i32_dpp v12, v12 row_shr:1 row_mask:0xf bank_mask:0xf bound_ctrl:1
	s_delay_alu instid0(VALU_DEP_3) | instskip(SKIP_1) | instid1(VALU_DEP_3)
	v_dual_add_f32 v13, v5, v10 :: v_dual_add_f32 v10, v6, v11
	v_add_f32_e32 v6, v9, v14
	v_add_f32_e32 v8, v7, v12
	ds_bpermute_b32 v14, v15, v13
	ds_bpermute_b32 v11, v15, v10
	;; [unrolled: 1-line block ×4, first 2 shown]
	s_and_saveexec_b32 s1, s0
	s_cbranch_execz .LBB187_59
; %bb.33:                               ;   in Loop: Header=BB187_12 Depth=1
	v_dual_mov_b32 v12, 0 :: v_dual_add_nc_u32 v47, 2, v45
	v_dual_mov_b32 v16, 0 :: v_dual_add_nc_u32 v5, 3, v45
	v_mov_b32_e32 v15, 0
	v_mov_b32_e32 v17, 0
	s_and_not1_b32 vcc_lo, exec_lo, s28
	s_cbranch_vccnz .LBB187_35
; %bb.34:                               ;   in Loop: Header=BB187_12 Depth=1
	v_mul_hi_u32 v12, v45, v59
	v_mul_hi_u32 v16, v47, v59
	v_add_nc_u32_e32 v15, 1, v45
	v_mul_hi_u32 v17, v5, v59
	s_delay_alu instid0(VALU_DEP_4) | instskip(NEXT) | instid1(VALU_DEP_4)
	v_mul_lo_u32 v12, v12, s20
	v_mul_lo_u32 v19, v16, s20
	v_mov_b32_e32 v16, v48
	v_mul_hi_u32 v18, v15, v59
	v_mul_lo_u32 v17, v17, s20
	v_sub_nc_u32_e32 v12, v45, v12
	v_sub_nc_u32_e32 v19, v47, v19
	s_delay_alu instid0(VALU_DEP_4) | instskip(NEXT) | instid1(VALU_DEP_4)
	v_mul_lo_u32 v21, v18, s20
	v_sub_nc_u32_e32 v17, v5, v17
	s_delay_alu instid0(VALU_DEP_4) | instskip(SKIP_1) | instid1(VALU_DEP_3)
	v_subrev_nc_u32_e32 v23, s20, v12
	v_cmp_le_u32_e32 vcc_lo, s20, v12
	v_subrev_nc_u32_e32 v24, s20, v17
	v_sub_nc_u32_e32 v15, v15, v21
	v_subrev_nc_u32_e32 v21, s20, v19
	v_cndmask_b32_e32 v12, v12, v23, vcc_lo
	v_cmp_le_u32_e32 vcc_lo, s20, v19
	v_mov_b32_e32 v18, v48
	v_subrev_nc_u32_e32 v23, s20, v15
	v_cndmask_b32_e32 v19, v19, v21, vcc_lo
	v_cmp_le_u32_e32 vcc_lo, s20, v17
	v_mov_b32_e32 v20, v48
	;; [unrolled: 4-line block ×3, first 2 shown]
	v_subrev_nc_u32_e32 v24, s20, v19
	s_delay_alu instid0(VALU_DEP_4) | instskip(SKIP_4) | instid1(VALU_DEP_4)
	v_subrev_nc_u32_e32 v25, s20, v17
	v_cndmask_b32_e32 v23, v15, v23, vcc_lo
	v_cmp_le_u32_e32 vcc_lo, s20, v12
	v_cndmask_b32_e32 v15, v12, v21, vcc_lo
	v_cmp_le_u32_e32 vcc_lo, s20, v19
	v_subrev_nc_u32_e32 v12, s20, v23
	s_delay_alu instid0(VALU_DEP_3) | instskip(SKIP_2) | instid1(VALU_DEP_2)
	v_lshlrev_b64 v[15:16], 1, v[15:16]
	v_cndmask_b32_e32 v19, v19, v24, vcc_lo
	v_cmp_le_u32_e32 vcc_lo, s20, v17
	v_lshlrev_b64 v[19:20], 1, v[19:20]
	v_cndmask_b32_e32 v21, v17, v25, vcc_lo
	v_cmp_le_u32_e32 vcc_lo, s20, v23
	s_delay_alu instid0(VALU_DEP_2) | instskip(SKIP_3) | instid1(VALU_DEP_3)
	v_lshlrev_b64 v[21:22], 1, v[21:22]
	v_cndmask_b32_e32 v17, v23, v12, vcc_lo
	v_add_co_u32 v15, vcc_lo, s8, v15
	v_add_co_ci_u32_e32 v16, vcc_lo, s9, v16, vcc_lo
	v_lshlrev_b64 v[17:18], 1, v[17:18]
	s_delay_alu instid0(VALU_DEP_1) | instskip(NEXT) | instid1(VALU_DEP_2)
	v_add_co_u32 v23, vcc_lo, s8, v17
	v_add_co_ci_u32_e32 v24, vcc_lo, s9, v18, vcc_lo
	v_add_co_u32 v18, vcc_lo, s8, v19
	v_add_co_ci_u32_e32 v19, vcc_lo, s9, v20, vcc_lo
	;; [unrolled: 2-line block ×3, first 2 shown]
	s_clause 0x3
	global_load_u16 v17, v[15:16], off
	global_load_u16 v16, v[23:24], off
	;; [unrolled: 1-line block ×4, first 2 shown]
.LBB187_35:                             ;   in Loop: Header=BB187_12 Depth=1
	s_mov_b32 s2, exec_lo
	v_cmpx_ne_u32_e32 0, v1
	s_cbranch_execz .LBB187_41
; %bb.36:                               ;   in Loop: Header=BB187_12 Depth=1
	s_waitcnt vmcnt(3) lgkmcnt(3)
	v_dual_add_f32 v13, v13, v14 :: v_dual_lshlrev_b32 v14, 16, v17
	s_delay_alu instid0(VALU_DEP_1) | instskip(NEXT) | instid1(VALU_DEP_1)
	v_add_f32_e32 v14, v13, v14
	v_and_b32_e32 v13, 0x7f800000, v14
	s_delay_alu instid0(VALU_DEP_1) | instskip(SKIP_1) | instid1(SALU_CYCLE_1)
	v_cmp_ne_u32_e32 vcc_lo, 0x7f800000, v13
                                        ; implicit-def: $vgpr13
	s_and_saveexec_b32 s3, vcc_lo
	s_xor_b32 s3, exec_lo, s3
; %bb.37:                               ;   in Loop: Header=BB187_12 Depth=1
	v_bfe_u32 v13, v14, 16, 1
	s_delay_alu instid0(VALU_DEP_1)
	v_add3_u32 v13, v14, v13, 0x7fff
                                        ; implicit-def: $vgpr14
; %bb.38:                               ;   in Loop: Header=BB187_12 Depth=1
	s_and_not1_saveexec_b32 s3, s3
; %bb.39:                               ;   in Loop: Header=BB187_12 Depth=1
	v_and_b32_e32 v13, 0xffff, v14
	v_or_b32_e32 v17, 0x10000, v14
	s_delay_alu instid0(VALU_DEP_2) | instskip(NEXT) | instid1(VALU_DEP_2)
	v_cmp_eq_u32_e32 vcc_lo, 0, v13
	v_cndmask_b32_e32 v13, v17, v14, vcc_lo
; %bb.40:                               ;   in Loop: Header=BB187_12 Depth=1
	s_or_b32 exec_lo, exec_lo, s3
	v_mov_b32_e32 v46, v48
	s_delay_alu instid0(VALU_DEP_1) | instskip(NEXT) | instid1(VALU_DEP_1)
	v_lshlrev_b64 v[17:18], 1, v[45:46]
	v_add_co_u32 v17, vcc_lo, s10, v17
	s_delay_alu instid0(VALU_DEP_2)
	v_add_co_ci_u32_e32 v18, vcc_lo, s11, v18, vcc_lo
	global_store_d16_hi_b16 v[17:18], v13, off
.LBB187_41:                             ;   in Loop: Header=BB187_12 Depth=1
	s_or_b32 exec_lo, exec_lo, s2
	s_delay_alu instid0(SALU_CYCLE_1)
	s_mov_b32 s2, exec_lo
	v_cmpx_ne_u32_e32 0, v2
	s_cbranch_execz .LBB187_47
; %bb.42:                               ;   in Loop: Header=BB187_12 Depth=1
	s_waitcnt vmcnt(2) lgkmcnt(2)
	v_dual_add_f32 v10, v10, v11 :: v_dual_lshlrev_b32 v11, 16, v16
	s_delay_alu instid0(VALU_DEP_1) | instskip(NEXT) | instid1(VALU_DEP_1)
	v_add_f32_e32 v11, v10, v11
	v_and_b32_e32 v10, 0x7f800000, v11
	s_delay_alu instid0(VALU_DEP_1) | instskip(SKIP_1) | instid1(SALU_CYCLE_1)
	v_cmp_ne_u32_e32 vcc_lo, 0x7f800000, v10
                                        ; implicit-def: $vgpr10
	s_and_saveexec_b32 s3, vcc_lo
	s_xor_b32 s3, exec_lo, s3
; %bb.43:                               ;   in Loop: Header=BB187_12 Depth=1
	v_bfe_u32 v10, v11, 16, 1
	s_delay_alu instid0(VALU_DEP_1)
	v_add3_u32 v10, v11, v10, 0x7fff
                                        ; implicit-def: $vgpr11
; %bb.44:                               ;   in Loop: Header=BB187_12 Depth=1
	s_and_not1_saveexec_b32 s3, s3
; %bb.45:                               ;   in Loop: Header=BB187_12 Depth=1
	v_and_b32_e32 v10, 0xffff, v11
	v_or_b32_e32 v13, 0x10000, v11
	s_delay_alu instid0(VALU_DEP_2) | instskip(NEXT) | instid1(VALU_DEP_2)
	v_cmp_eq_u32_e32 vcc_lo, 0, v10
	v_cndmask_b32_e32 v10, v13, v11, vcc_lo
; %bb.46:                               ;   in Loop: Header=BB187_12 Depth=1
	s_or_b32 exec_lo, exec_lo, s3
	v_mov_b32_e32 v46, v48
	s_delay_alu instid0(VALU_DEP_1) | instskip(NEXT) | instid1(VALU_DEP_1)
	v_lshlrev_b64 v[13:14], 1, v[45:46]
	v_add_co_u32 v13, vcc_lo, s30, v13
	s_delay_alu instid0(VALU_DEP_2)
	v_add_co_ci_u32_e32 v14, vcc_lo, s31, v14, vcc_lo
	global_store_d16_hi_b16 v[13:14], v10, off
.LBB187_47:                             ;   in Loop: Header=BB187_12 Depth=1
	s_or_b32 exec_lo, exec_lo, s2
	s_delay_alu instid0(SALU_CYCLE_1)
	s_mov_b32 s2, exec_lo
	v_cmpx_ne_u32_e32 0, v3
	s_cbranch_execz .LBB187_53
; %bb.48:                               ;   in Loop: Header=BB187_12 Depth=1
	s_waitcnt vmcnt(1) lgkmcnt(0)
	v_dual_add_f32 v8, v8, v9 :: v_dual_lshlrev_b32 v9, 16, v15
	s_delay_alu instid0(VALU_DEP_1) | instskip(NEXT) | instid1(VALU_DEP_1)
	v_add_f32_e32 v9, v8, v9
	v_and_b32_e32 v8, 0x7f800000, v9
	s_delay_alu instid0(VALU_DEP_1) | instskip(SKIP_1) | instid1(SALU_CYCLE_1)
	v_cmp_ne_u32_e32 vcc_lo, 0x7f800000, v8
                                        ; implicit-def: $vgpr8
	s_and_saveexec_b32 s3, vcc_lo
	s_xor_b32 s3, exec_lo, s3
; %bb.49:                               ;   in Loop: Header=BB187_12 Depth=1
	v_bfe_u32 v8, v9, 16, 1
	s_delay_alu instid0(VALU_DEP_1)
	v_add3_u32 v8, v9, v8, 0x7fff
                                        ; implicit-def: $vgpr9
; %bb.50:                               ;   in Loop: Header=BB187_12 Depth=1
	s_and_not1_saveexec_b32 s3, s3
; %bb.51:                               ;   in Loop: Header=BB187_12 Depth=1
	v_and_b32_e32 v8, 0xffff, v9
	v_or_b32_e32 v10, 0x10000, v9
	s_delay_alu instid0(VALU_DEP_2) | instskip(NEXT) | instid1(VALU_DEP_2)
	v_cmp_eq_u32_e32 vcc_lo, 0, v8
	v_cndmask_b32_e32 v8, v10, v9, vcc_lo
; %bb.52:                               ;   in Loop: Header=BB187_12 Depth=1
	s_or_b32 exec_lo, exec_lo, s3
	v_lshlrev_b64 v[9:10], 1, v[47:48]
	s_delay_alu instid0(VALU_DEP_1) | instskip(NEXT) | instid1(VALU_DEP_2)
	v_add_co_u32 v9, vcc_lo, s10, v9
	v_add_co_ci_u32_e32 v10, vcc_lo, s11, v10, vcc_lo
	global_store_d16_hi_b16 v[9:10], v8, off
.LBB187_53:                             ;   in Loop: Header=BB187_12 Depth=1
	s_or_b32 exec_lo, exec_lo, s2
	v_cmp_ne_u32_e32 vcc_lo, 0, v4
	s_and_b32 exec_lo, exec_lo, vcc_lo
	s_cbranch_execz .LBB187_59
; %bb.54:                               ;   in Loop: Header=BB187_12 Depth=1
	s_waitcnt vmcnt(0) lgkmcnt(1)
	v_dual_add_f32 v6, v6, v7 :: v_dual_lshlrev_b32 v7, 16, v12
	s_delay_alu instid0(VALU_DEP_1) | instskip(NEXT) | instid1(VALU_DEP_1)
	v_add_f32_e32 v6, v6, v7
	v_and_b32_e32 v7, 0x7f800000, v6
	s_delay_alu instid0(VALU_DEP_1) | instskip(SKIP_1) | instid1(SALU_CYCLE_1)
	v_cmp_ne_u32_e32 vcc_lo, 0x7f800000, v7
                                        ; implicit-def: $vgpr7
	s_and_saveexec_b32 s2, vcc_lo
	s_xor_b32 s2, exec_lo, s2
; %bb.55:                               ;   in Loop: Header=BB187_12 Depth=1
	v_bfe_u32 v7, v6, 16, 1
	s_delay_alu instid0(VALU_DEP_1)
	v_add3_u32 v7, v6, v7, 0x7fff
                                        ; implicit-def: $vgpr6
; %bb.56:                               ;   in Loop: Header=BB187_12 Depth=1
	s_and_not1_saveexec_b32 s2, s2
; %bb.57:                               ;   in Loop: Header=BB187_12 Depth=1
	v_and_b32_e32 v7, 0xffff, v6
	v_or_b32_e32 v8, 0x10000, v6
	s_delay_alu instid0(VALU_DEP_2) | instskip(NEXT) | instid1(VALU_DEP_2)
	v_cmp_eq_u32_e32 vcc_lo, 0, v7
	v_cndmask_b32_e32 v7, v8, v6, vcc_lo
; %bb.58:                               ;   in Loop: Header=BB187_12 Depth=1
	s_or_b32 exec_lo, exec_lo, s2
	v_mov_b32_e32 v6, v48
	s_delay_alu instid0(VALU_DEP_1) | instskip(NEXT) | instid1(VALU_DEP_1)
	v_lshlrev_b64 v[5:6], 1, v[5:6]
	v_add_co_u32 v5, vcc_lo, s10, v5
	s_delay_alu instid0(VALU_DEP_2)
	v_add_co_ci_u32_e32 v6, vcc_lo, s11, v6, vcc_lo
	global_store_d16_hi_b16 v[5:6], v7, off
.LBB187_59:                             ;   in Loop: Header=BB187_12 Depth=1
	s_or_b32 exec_lo, exec_lo, s1
	v_add_nc_u32_e32 v45, s27, v45
	s_delay_alu instid0(VALU_DEP_1) | instskip(SKIP_1) | instid1(VALU_DEP_2)
	v_add_nc_u32_e32 v5, 4, v45
	v_cmp_gt_u32_e32 vcc_lo, s19, v45
	v_cmp_le_u32_e64 s1, s19, v5
	s_delay_alu instid0(VALU_DEP_1) | instskip(NEXT) | instid1(SALU_CYCLE_1)
	s_and_b32 s1, vcc_lo, s1
	s_and_saveexec_b32 s35, s1
	s_cbranch_execz .LBB187_10
; %bb.60:                               ;   in Loop: Header=BB187_12 Depth=1
	s_mov_b32 s36, exec_lo
	v_cmpx_ne_u32_e64 s29, v45
	s_cbranch_execz .LBB187_9
; %bb.61:                               ;   in Loop: Header=BB187_12 Depth=1
	v_subrev_nc_u32_e32 v5, s29, v45
	s_mov_b32 s37, 0
	s_mov_b64 s[12:13], 0
	s_delay_alu instid0(VALU_DEP_1)
	v_cmp_lt_u32_e32 vcc_lo, 1, v5
	v_cndmask_b32_e32 v5, 1, v5, vcc_lo
	.p2align	6
.LBB187_62:                             ;   Parent Loop BB187_12 Depth=1
                                        ; =>  This Inner Loop Header: Depth=2
	s_cmp_lg_u32 s12, 3
	s_cselect_b32 vcc_lo, -1, 0
	s_cmp_lg_u32 s12, 2
	v_cndmask_b32_e32 v4, 0, v4, vcc_lo
	s_cselect_b32 s1, -1, 0
	s_cmp_lg_u32 s12, 1
	v_cndmask_b32_e64 v3, 0, v3, s1
	s_cselect_b32 s2, -1, 0
	s_cmp_lg_u32 s12, 0
	v_cndmask_b32_e64 v2, 0, v2, s2
	s_cselect_b32 s3, -1, 0
	s_add_u32 s12, s12, 1
	v_cndmask_b32_e64 v1, 0, v1, s3
	v_cmp_eq_u32_e32 vcc_lo, s12, v5
	s_addc_u32 s13, s13, 0
	s_or_b32 s37, vcc_lo, s37
	s_delay_alu instid0(SALU_CYCLE_1)
	s_and_not1_b32 exec_lo, exec_lo, s37
	s_cbranch_execnz .LBB187_62
; %bb.63:                               ;   in Loop: Header=BB187_12 Depth=1
	s_or_b32 exec_lo, exec_lo, s37
	s_branch .LBB187_9
.LBB187_64:
	s_nop 0
	s_sendmsg sendmsg(MSG_DEALLOC_VGPRS)
	s_endpgm
	.section	.rodata,"a",@progbits
	.p2align	6, 0x0
	.amdhsa_kernel _Z16wvSplitK_hf_big_I14__hip_bfloat16Li64ELi4ELi16ELi8ELi2ELi1EEviiiiiiPKT_S3_S3_PS1_ii
		.amdhsa_group_segment_fixed_size 65536
		.amdhsa_private_segment_fixed_size 0
		.amdhsa_kernarg_size 64
		.amdhsa_user_sgpr_count 15
		.amdhsa_user_sgpr_dispatch_ptr 0
		.amdhsa_user_sgpr_queue_ptr 0
		.amdhsa_user_sgpr_kernarg_segment_ptr 1
		.amdhsa_user_sgpr_dispatch_id 0
		.amdhsa_user_sgpr_private_segment_size 0
		.amdhsa_wavefront_size32 1
		.amdhsa_uses_dynamic_stack 0
		.amdhsa_enable_private_segment 0
		.amdhsa_system_sgpr_workgroup_id_x 1
		.amdhsa_system_sgpr_workgroup_id_y 0
		.amdhsa_system_sgpr_workgroup_id_z 0
		.amdhsa_system_sgpr_workgroup_info 0
		.amdhsa_system_vgpr_workitem_id 1
		.amdhsa_next_free_vgpr 68
		.amdhsa_next_free_sgpr 38
		.amdhsa_reserve_vcc 1
		.amdhsa_float_round_mode_32 0
		.amdhsa_float_round_mode_16_64 0
		.amdhsa_float_denorm_mode_32 3
		.amdhsa_float_denorm_mode_16_64 3
		.amdhsa_dx10_clamp 1
		.amdhsa_ieee_mode 1
		.amdhsa_fp16_overflow 0
		.amdhsa_workgroup_processor_mode 1
		.amdhsa_memory_ordered 1
		.amdhsa_forward_progress 0
		.amdhsa_shared_vgpr_count 0
		.amdhsa_exception_fp_ieee_invalid_op 0
		.amdhsa_exception_fp_denorm_src 0
		.amdhsa_exception_fp_ieee_div_zero 0
		.amdhsa_exception_fp_ieee_overflow 0
		.amdhsa_exception_fp_ieee_underflow 0
		.amdhsa_exception_fp_ieee_inexact 0
		.amdhsa_exception_int_div_zero 0
	.end_amdhsa_kernel
	.section	.text._Z16wvSplitK_hf_big_I14__hip_bfloat16Li64ELi4ELi16ELi8ELi2ELi1EEviiiiiiPKT_S3_S3_PS1_ii,"axG",@progbits,_Z16wvSplitK_hf_big_I14__hip_bfloat16Li64ELi4ELi16ELi8ELi2ELi1EEviiiiiiPKT_S3_S3_PS1_ii,comdat
.Lfunc_end187:
	.size	_Z16wvSplitK_hf_big_I14__hip_bfloat16Li64ELi4ELi16ELi8ELi2ELi1EEviiiiiiPKT_S3_S3_PS1_ii, .Lfunc_end187-_Z16wvSplitK_hf_big_I14__hip_bfloat16Li64ELi4ELi16ELi8ELi2ELi1EEviiiiiiPKT_S3_S3_PS1_ii
                                        ; -- End function
	.section	.AMDGPU.csdata,"",@progbits
; Kernel info:
; codeLenInByte = 4236
; NumSgprs: 40
; NumVgprs: 68
; ScratchSize: 0
; MemoryBound: 0
; FloatMode: 240
; IeeeMode: 1
; LDSByteSize: 65536 bytes/workgroup (compile time only)
; SGPRBlocks: 4
; VGPRBlocks: 8
; NumSGPRsForWavesPerEU: 40
; NumVGPRsForWavesPerEU: 68
; Occupancy: 16
; WaveLimiterHint : 0
; COMPUTE_PGM_RSRC2:SCRATCH_EN: 0
; COMPUTE_PGM_RSRC2:USER_SGPR: 15
; COMPUTE_PGM_RSRC2:TRAP_HANDLER: 0
; COMPUTE_PGM_RSRC2:TGID_X_EN: 1
; COMPUTE_PGM_RSRC2:TGID_Y_EN: 0
; COMPUTE_PGM_RSRC2:TGID_Z_EN: 0
; COMPUTE_PGM_RSRC2:TIDIG_COMP_CNT: 1
	.section	.text._Z16wvSplitK_hf_sml_I14__hip_bfloat16Li32ELi1ELi16ELi8ELi4ELi2EEviiiiiiPKT_S3_S3_PS1_ii,"axG",@progbits,_Z16wvSplitK_hf_sml_I14__hip_bfloat16Li32ELi1ELi16ELi8ELi4ELi2EEviiiiiiPKT_S3_S3_PS1_ii,comdat
	.protected	_Z16wvSplitK_hf_sml_I14__hip_bfloat16Li32ELi1ELi16ELi8ELi4ELi2EEviiiiiiPKT_S3_S3_PS1_ii ; -- Begin function _Z16wvSplitK_hf_sml_I14__hip_bfloat16Li32ELi1ELi16ELi8ELi4ELi2EEviiiiiiPKT_S3_S3_PS1_ii
	.globl	_Z16wvSplitK_hf_sml_I14__hip_bfloat16Li32ELi1ELi16ELi8ELi4ELi2EEviiiiiiPKT_S3_S3_PS1_ii
	.p2align	8
	.type	_Z16wvSplitK_hf_sml_I14__hip_bfloat16Li32ELi1ELi16ELi8ELi4ELi2EEviiiiiiPKT_S3_S3_PS1_ii,@function
_Z16wvSplitK_hf_sml_I14__hip_bfloat16Li32ELi1ELi16ELi8ELi4ELi2EEviiiiiiPKT_S3_S3_PS1_ii: ; @_Z16wvSplitK_hf_sml_I14__hip_bfloat16Li32ELi1ELi16ELi8ELi4ELi2EEviiiiiiPKT_S3_S3_PS1_ii
; %bb.0:
	s_load_b128 s[4:7], s[0:1], 0x0
	v_and_b32_e32 v1, 0x3ff, v0
	v_bfe_u32 v0, v0, 10, 10
	s_mov_b32 s8, exec_lo
	s_delay_alu instid0(VALU_DEP_2) | instskip(NEXT) | instid1(VALU_DEP_1)
	v_lshlrev_b32_e32 v51, 3, v1
	v_lshl_add_u32 v3, v0, 8, v51
	s_waitcnt lgkmcnt(0)
	s_lshl_b32 s6, s6, 1
	s_delay_alu instid0(SALU_CYCLE_1)
	s_min_u32 s9, s6, 0x8000
	s_delay_alu instid0(VALU_DEP_1) | instid1(SALU_CYCLE_1)
	v_cmpx_gt_u32_e64 s9, v3
	s_cbranch_execz .LBB188_9
; %bb.1:
	s_load_b64 s[2:3], s[0:1], 0x20
	v_lshlrev_b32_e32 v2, 1, v3
	v_add_nc_u32_e32 v8, 0x1000, v3
	s_mov_b32 s10, exec_lo
	s_waitcnt lgkmcnt(0)
	global_load_b128 v[4:7], v2, s[2:3]
	s_waitcnt vmcnt(0)
	ds_store_b128 v2, v[4:7]
	v_cmpx_gt_u32_e64 s9, v8
	s_xor_b32 s10, exec_lo, s10
	s_cbranch_execz .LBB188_9
; %bb.2:
	v_add_co_u32 v4, s2, s2, v2
	s_delay_alu instid0(VALU_DEP_1) | instskip(SKIP_1) | instid1(VALU_DEP_3)
	v_add_co_ci_u32_e64 v5, null, s3, 0, s2
	v_add_nc_u32_e32 v10, 0x2000, v3
	v_add_co_u32 v6, vcc_lo, 0x2000, v4
	s_delay_alu instid0(VALU_DEP_3)
	v_add_co_ci_u32_e32 v7, vcc_lo, 0, v5, vcc_lo
	s_mov_b32 s2, exec_lo
	global_load_b128 v[6:9], v[6:7], off
	s_waitcnt vmcnt(0)
	ds_store_b128 v2, v[6:9] offset:8192
	v_cmpx_gt_u32_e64 s9, v10
	s_xor_b32 s2, exec_lo, s2
	s_cbranch_execz .LBB188_9
; %bb.3:
	v_add_co_u32 v6, vcc_lo, 0x4000, v4
	v_add_co_ci_u32_e32 v7, vcc_lo, 0, v5, vcc_lo
	v_add_nc_u32_e32 v10, 0x3000, v3
	s_mov_b32 s2, exec_lo
	global_load_b128 v[6:9], v[6:7], off
	s_waitcnt vmcnt(0)
	ds_store_b128 v2, v[6:9] offset:16384
	v_cmpx_gt_u32_e64 s9, v10
	s_xor_b32 s2, exec_lo, s2
	s_cbranch_execz .LBB188_9
; %bb.4:
	v_add_co_u32 v6, vcc_lo, 0x6000, v4
	v_add_co_ci_u32_e32 v7, vcc_lo, 0, v5, vcc_lo
	v_add_nc_u32_e32 v10, 0x4000, v3
	;; [unrolled: 11-line block ×5, first 2 shown]
	s_mov_b32 s2, exec_lo
	global_load_b128 v[6:9], v[6:7], off
	s_waitcnt vmcnt(0)
	ds_store_b128 v2, v[6:9] offset:49152
	v_cmpx_gt_u32_e64 s9, v3
	s_xor_b32 s2, exec_lo, s2
	s_cbranch_execz .LBB188_9
; %bb.8:
	v_add_co_u32 v3, vcc_lo, 0xe000, v4
	v_add_co_ci_u32_e32 v4, vcc_lo, 0, v5, vcc_lo
	global_load_b128 v[3:6], v[3:4], off
	s_waitcnt vmcnt(0)
	ds_store_b128 v2, v[3:6] offset:57344
.LBB188_9:
	s_or_b32 exec_lo, exec_lo, s8
	s_load_b64 s[16:17], s[0:1], 0x38
	s_waitcnt lgkmcnt(0)
	s_barrier
	buffer_gl0_inv
	s_mov_b32 s2, exec_lo
	v_cmpx_gt_u32_e64 s16, v0
	s_cbranch_execz .LBB188_36
; %bb.10:
	s_load_b64 s[2:3], s[0:1], 0x10
	v_mad_u64_u32 v[48:49], null, s15, s16, v[0:1]
	s_delay_alu instid0(VALU_DEP_1)
	v_cmp_gt_u32_e32 vcc_lo, s7, v48
	s_and_b32 exec_lo, exec_lo, vcc_lo
	s_cbranch_execz .LBB188_36
; %bb.11:
	s_waitcnt lgkmcnt(0)
	v_cvt_f32_u32_e32 v0, s2
	v_mbcnt_lo_u32_b32 v2, -1, 0
	s_clause 0x1
	s_load_b128 s[8:11], s[0:1], 0x28
	s_load_b64 s[12:13], s[0:1], 0x18
	s_cmp_lg_u32 s4, 0
	v_rcp_iflag_f32_e32 v0, v0
	v_xor_b32_e32 v3, 16, v2
	s_cselect_b32 s1, -1, 0
	s_add_i32 s14, s4, -8
	s_add_i32 s15, s7, -1
	v_mov_b32_e32 v50, 0
	v_cmp_gt_i32_e32 vcc_lo, 32, v3
	v_lshlrev_b32_e32 v52, 4, v1
	s_mov_b32 s19, 0
	v_cndmask_b32_e32 v2, v2, v3, vcc_lo
	s_waitcnt_depctr 0xfff
	v_dual_mul_f32 v0, 0x4f7ffffe, v0 :: v_dual_lshlrev_b32 v53, 2, v2
	s_delay_alu instid0(VALU_DEP_1)
	v_cvt_u32_f32_e32 v0, v0
	s_waitcnt lgkmcnt(0)
	s_cmp_lg_u64 s[8:9], 0
	s_cselect_b32 s18, -1, 0
	s_sub_i32 s0, 0, s2
	s_abs_i32 s3, s3
	v_mul_lo_u32 v4, s0, v0
	s_sub_i32 s20, 1, s3
	s_cmp_lt_u32 s3, 2
	v_cmp_eq_u32_e64 s0, 31, v1
	s_cselect_b32 s20, s20, 1
	s_delay_alu instid0(SALU_CYCLE_1) | instskip(SKIP_1) | instid1(VALU_DEP_2)
	s_sub_i32 s21, s20, s3
	s_cmp_ge_u32 s20, s3
	v_mul_hi_u32 v3, v0, v4
	s_cselect_b32 s20, s21, s20
	s_mul_i32 s3, s17, s16
	s_mul_i32 s16, s20, s2
	s_delay_alu instid0(VALU_DEP_1)
	v_add_nc_u32_e32 v54, v0, v3
	s_branch .LBB188_14
.LBB188_12:                             ;   in Loop: Header=BB188_14 Depth=1
	s_or_b32 exec_lo, exec_lo, s20
	v_add_nc_u32_e32 v49, s7, v48
	s_delay_alu instid0(VALU_DEP_1) | instskip(NEXT) | instid1(VALU_DEP_1)
	v_lshlrev_b64 v[1:2], 1, v[49:50]
	v_add_co_u32 v1, vcc_lo, s10, v1
	s_delay_alu instid0(VALU_DEP_2)
	v_add_co_ci_u32_e32 v2, vcc_lo, s11, v2, vcc_lo
	global_store_d16_hi_b16 v[1:2], v0, off
.LBB188_13:                             ;   in Loop: Header=BB188_14 Depth=1
	s_or_b32 exec_lo, exec_lo, s17
	v_add_nc_u32_e32 v48, s3, v48
	s_delay_alu instid0(VALU_DEP_1) | instskip(SKIP_1) | instid1(SALU_CYCLE_1)
	v_cmp_le_u32_e32 vcc_lo, s7, v48
	s_or_b32 s19, vcc_lo, s19
	s_and_not1_b32 exec_lo, exec_lo, s19
	s_cbranch_execz .LBB188_36
.LBB188_14:                             ; =>This Loop Header: Depth=1
                                        ;     Child Loop BB188_20 Depth 2
	v_mov_b32_e32 v59, v50
	v_mov_b32_e32 v58, v50
	s_and_not1_b32 vcc_lo, exec_lo, s1
	s_cbranch_vccnz .LBB188_25
; %bb.15:                               ;   in Loop: Header=BB188_14 Depth=1
	v_min_u32_e32 v0, s15, v48
	v_dual_mov_b32 v58, 0 :: v_dual_mov_b32 v55, v52
	v_mov_b32_e32 v59, 0
	s_mov_b32 s17, 0
	s_delay_alu instid0(VALU_DEP_3) | instskip(SKIP_1) | instid1(VALU_DEP_1)
	v_mul_lo_u32 v49, v0, s5
	s_waitcnt lgkmcnt(0)
	v_lshlrev_b64 v[0:1], 1, v[49:50]
	s_delay_alu instid0(VALU_DEP_1) | instskip(NEXT) | instid1(VALU_DEP_2)
	v_add_co_u32 v56, vcc_lo, s12, v0
	v_add_co_ci_u32_e32 v57, vcc_lo, s13, v1, vcc_lo
	s_branch .LBB188_20
.LBB188_16:                             ;   in Loop: Header=BB188_20 Depth=2
	s_or_b32 exec_lo, exec_lo, s23
.LBB188_17:                             ;   in Loop: Header=BB188_20 Depth=2
	s_delay_alu instid0(SALU_CYCLE_1)
	s_or_b32 exec_lo, exec_lo, s22
.LBB188_18:                             ;   in Loop: Header=BB188_20 Depth=2
	s_delay_alu instid0(SALU_CYCLE_1)
	s_or_b32 exec_lo, exec_lo, s21
.LBB188_19:                             ;   in Loop: Header=BB188_20 Depth=2
	s_delay_alu instid0(SALU_CYCLE_1)
	s_or_b32 exec_lo, exec_lo, s20
	s_waitcnt lgkmcnt(1)
	v_and_b32_e32 v61, 0xffff0000, v45
	s_waitcnt vmcnt(3)
	v_and_b32_e32 v62, 0xffff0000, v37
	v_and_b32_e32 v49, 0xffff0000, v44
	;; [unrolled: 1-line block ×3, first 2 shown]
	v_lshlrev_b32_e32 v44, 16, v44
	v_lshlrev_b32_e32 v45, 16, v45
	;; [unrolled: 1-line block ×3, first 2 shown]
	v_dual_mul_f32 v61, v61, v62 :: v_dual_lshlrev_b32 v36, 16, v36
	v_mul_f32_e32 v49, v49, v60
	s_addk_i32 s17, 0x400
	v_add_nc_u32_e32 v55, 0x800, v55
	s_delay_alu instid0(VALU_DEP_3)
	v_fmac_f32_e32 v61, v45, v37
	s_waitcnt lgkmcnt(0)
	v_and_b32_e32 v45, 0xffff0000, v40
	v_dual_fmac_f32 v49, v44, v36 :: v_dual_and_b32 v44, 0xffff0000, v38
	v_lshlrev_b32_e32 v38, 16, v38
	v_lshlrev_b32_e32 v40, 16, v40
	s_delay_alu instid0(VALU_DEP_4) | instskip(NEXT) | instid1(VALU_DEP_4)
	v_mul_f32_e32 v45, v45, v60
	v_add_f32_e32 v49, v59, v49
	v_and_b32_e32 v63, 0xffff0000, v46
	v_lshlrev_b32_e32 v46, 16, v46
	s_delay_alu instid0(VALU_DEP_4) | instskip(NEXT) | instid1(VALU_DEP_3)
	v_dual_fmac_f32 v45, v40, v36 :: v_dual_and_b32 v60, 0xffff0000, v41
	v_dual_mul_f32 v59, v63, v44 :: v_dual_lshlrev_b32 v36, 16, v41
	v_and_b32_e32 v41, 0xffff0000, v42
	s_delay_alu instid0(VALU_DEP_3) | instskip(SKIP_1) | instid1(VALU_DEP_3)
	v_dual_mul_f32 v40, v60, v62 :: v_dual_add_f32 v45, v58, v45
	s_cmp_ge_u32 s17, s4
	v_dual_fmac_f32 v59, v46, v38 :: v_dual_add_f32 v46, v49, v61
	s_delay_alu instid0(VALU_DEP_2) | instskip(SKIP_2) | instid1(VALU_DEP_3)
	v_fmac_f32_e32 v40, v36, v37
	v_dual_mul_f32 v37, v41, v44 :: v_dual_lshlrev_b32 v36, 16, v42
	v_and_b32_e32 v61, 0xffff0000, v39
	v_dual_add_f32 v41, v46, v59 :: v_dual_add_f32 v40, v45, v40
	s_delay_alu instid0(VALU_DEP_3) | instskip(SKIP_3) | instid1(VALU_DEP_4)
	v_dual_fmac_f32 v37, v36, v38 :: v_dual_lshlrev_b32 v42, 16, v43
	v_and_b32_e32 v38, 0xffff0000, v32
	v_and_b32_e32 v49, 0xffff0000, v47
	v_lshlrev_b32_e32 v47, 16, v47
	v_dual_add_f32 v37, v40, v37 :: v_dual_lshlrev_b32 v32, 16, v32
	v_and_b32_e32 v40, 0xffff0000, v43
	v_lshlrev_b32_e32 v39, 16, v39
	v_mul_f32_e32 v49, v49, v61
	s_delay_alu instid0(VALU_DEP_1) | instskip(SKIP_1) | instid1(VALU_DEP_1)
	v_fmac_f32_e32 v49, v47, v39
	s_waitcnt vmcnt(2)
	v_dual_add_f32 v36, v41, v49 :: v_dual_and_b32 v41, 0xffff0000, v24
	v_lshlrev_b32_e32 v24, 16, v24
	s_delay_alu instid0(VALU_DEP_2) | instskip(NEXT) | instid1(VALU_DEP_1)
	v_mul_f32_e32 v38, v38, v41
	v_fmac_f32_e32 v38, v32, v24
	s_delay_alu instid0(VALU_DEP_1) | instskip(SKIP_1) | instid1(VALU_DEP_1)
	v_add_f32_e32 v36, v36, v38
	v_mul_f32_e32 v40, v40, v61
	v_fmac_f32_e32 v40, v42, v39
	s_delay_alu instid0(VALU_DEP_1)
	v_dual_add_f32 v37, v37, v40 :: v_dual_and_b32 v44, 0xffff0000, v25
	v_lshlrev_b32_e32 v25, 16, v25
	v_and_b32_e32 v42, 0xffff0000, v26
	v_lshlrev_b32_e32 v26, 16, v26
	v_and_b32_e32 v43, 0xffff0000, v33
	v_lshlrev_b32_e32 v32, 16, v33
	v_and_b32_e32 v38, 0xffff0000, v28
	v_and_b32_e32 v39, 0xffff0000, v34
	s_delay_alu instid0(VALU_DEP_4) | instskip(NEXT) | instid1(VALU_DEP_1)
	v_mul_f32_e32 v33, v43, v44
	v_dual_fmac_f32 v33, v32, v25 :: v_dual_lshlrev_b32 v32, 16, v34
	s_delay_alu instid0(VALU_DEP_1) | instskip(NEXT) | instid1(VALU_DEP_1)
	v_dual_mul_f32 v34, v39, v42 :: v_dual_add_f32 v33, v36, v33
	v_fmac_f32_e32 v34, v32, v26
	v_lshlrev_b32_e32 v28, 16, v28
	v_mul_f32_e32 v32, v38, v41
	v_and_b32_e32 v38, 0xffff0000, v29
	s_delay_alu instid0(VALU_DEP_2) | instskip(SKIP_1) | instid1(VALU_DEP_3)
	v_fmac_f32_e32 v32, v28, v24
	v_lshlrev_b32_e32 v24, 16, v29
	v_dual_mul_f32 v28, v38, v44 :: v_dual_and_b32 v39, 0xffff0000, v27
	s_delay_alu instid0(VALU_DEP_3) | instskip(NEXT) | instid1(VALU_DEP_2)
	v_add_f32_e32 v32, v37, v32
	v_dual_fmac_f32 v28, v24, v25 :: v_dual_and_b32 v29, 0xffff0000, v30
	v_lshlrev_b32_e32 v24, 16, v30
	v_lshlrev_b32_e32 v27, 16, v27
	;; [unrolled: 1-line block ×3, first 2 shown]
	s_delay_alu instid0(VALU_DEP_4) | instskip(SKIP_3) | instid1(VALU_DEP_4)
	v_dual_add_f32 v28, v32, v28 :: v_dual_mul_f32 v25, v29, v42
	v_and_b32_e32 v36, 0xffff0000, v35
	v_lshlrev_b32_e32 v35, 16, v35
	v_add_f32_e32 v29, v33, v34
	v_fmac_f32_e32 v25, v24, v26
	s_delay_alu instid0(VALU_DEP_4) | instskip(NEXT) | instid1(VALU_DEP_2)
	v_mul_f32_e32 v36, v36, v39
	v_dual_add_f32 v25, v28, v25 :: v_dual_and_b32 v26, 0xffff0000, v20
	s_delay_alu instid0(VALU_DEP_2) | instskip(SKIP_1) | instid1(VALU_DEP_2)
	v_fmac_f32_e32 v36, v35, v27
	v_and_b32_e32 v28, 0xffff0000, v31
	v_dual_add_f32 v24, v29, v36 :: v_dual_and_b32 v31, 0xffff0000, v21
	s_waitcnt vmcnt(1)
	s_delay_alu instid0(VALU_DEP_2) | instskip(SKIP_1) | instid1(VALU_DEP_2)
	v_dual_mul_f32 v28, v28, v39 :: v_dual_and_b32 v29, 0xffff0000, v12
	v_lshlrev_b32_e32 v12, 16, v12
	v_mul_f32_e32 v26, v26, v29
	s_delay_alu instid0(VALU_DEP_3)
	v_fmac_f32_e32 v28, v30, v27
	v_and_b32_e32 v30, 0xffff0000, v14
	v_lshlrev_b32_e32 v20, 16, v20
	v_lshlrev_b32_e32 v14, 16, v14
	v_and_b32_e32 v32, 0xffff0000, v13
	v_lshlrev_b32_e32 v13, 16, v13
	s_delay_alu instid0(VALU_DEP_4) | instskip(NEXT) | instid1(VALU_DEP_3)
	v_dual_fmac_f32 v26, v20, v12 :: v_dual_and_b32 v27, 0xffff0000, v22
	v_dual_mul_f32 v21, v31, v32 :: v_dual_lshlrev_b32 v20, 16, v21
	s_delay_alu instid0(VALU_DEP_1) | instskip(NEXT) | instid1(VALU_DEP_3)
	v_dual_fmac_f32 v21, v20, v13 :: v_dual_lshlrev_b32 v20, 16, v22
	v_dual_mul_f32 v22, v27, v30 :: v_dual_and_b32 v27, 0xffff0000, v17
	s_delay_alu instid0(VALU_DEP_1) | instskip(SKIP_4) | instid1(VALU_DEP_3)
	v_dual_add_f32 v25, v25, v28 :: v_dual_fmac_f32 v22, v20, v14
	v_and_b32_e32 v20, 0xffff0000, v23
	v_dual_add_f32 v24, v24, v26 :: v_dual_lshlrev_b32 v23, 16, v23
	v_and_b32_e32 v26, 0xffff0000, v15
	v_lshlrev_b32_e32 v15, 16, v15
	v_dual_add_f32 v21, v24, v21 :: v_dual_and_b32 v24, 0xffff0000, v16
	v_lshlrev_b32_e32 v16, 16, v16
	s_delay_alu instid0(VALU_DEP_4) | instskip(NEXT) | instid1(VALU_DEP_3)
	v_mul_f32_e32 v20, v20, v26
	v_mul_f32_e32 v24, v24, v29
	s_delay_alu instid0(VALU_DEP_2) | instskip(NEXT) | instid1(VALU_DEP_2)
	v_fmac_f32_e32 v20, v23, v15
	v_fmac_f32_e32 v24, v16, v12
	v_lshlrev_b32_e32 v12, 16, v17
	v_dual_mul_f32 v16, v27, v32 :: v_dual_add_f32 v17, v21, v22
	s_delay_alu instid0(VALU_DEP_1) | instskip(SKIP_3) | instid1(VALU_DEP_4)
	v_dual_fmac_f32 v16, v12, v13 :: v_dual_and_b32 v21, 0xffff0000, v18
	v_lshlrev_b32_e32 v12, 16, v18
	v_and_b32_e32 v18, 0xffff0000, v19
	v_lshlrev_b32_e32 v19, 16, v19
	v_mul_f32_e32 v13, v21, v30
	s_waitcnt vmcnt(0)
	v_dual_add_f32 v17, v17, v20 :: v_dual_and_b32 v20, 0xffff0000, v1
	v_dual_mul_f32 v18, v18, v26 :: v_dual_lshlrev_b32 v1, 16, v1
	s_delay_alu instid0(VALU_DEP_3) | instskip(SKIP_1) | instid1(VALU_DEP_3)
	v_dual_fmac_f32 v13, v12, v14 :: v_dual_and_b32 v12, 0xffff0000, v8
	v_and_b32_e32 v14, 0xffff0000, v0
	v_dual_fmac_f32 v18, v19, v15 :: v_dual_and_b32 v15, 0xffff0000, v10
	v_add_f32_e32 v22, v25, v24
	v_lshlrev_b32_e32 v8, 16, v8
	v_lshlrev_b32_e32 v0, 16, v0
	v_mul_f32_e32 v12, v12, v14
	v_lshlrev_b32_e32 v10, 16, v10
	v_add_f32_e32 v16, v22, v16
	s_delay_alu instid0(VALU_DEP_3) | instskip(SKIP_1) | instid1(VALU_DEP_3)
	v_fmac_f32_e32 v12, v8, v0
	v_lshlrev_b32_e32 v8, 16, v9
	v_add_f32_e32 v13, v16, v13
	v_and_b32_e32 v16, 0xffff0000, v9
	s_delay_alu instid0(VALU_DEP_4) | instskip(NEXT) | instid1(VALU_DEP_3)
	v_add_f32_e32 v12, v17, v12
	v_add_f32_e32 v13, v13, v18
	s_delay_alu instid0(VALU_DEP_3) | instskip(NEXT) | instid1(VALU_DEP_1)
	v_dual_mul_f32 v9, v16, v20 :: v_dual_and_b32 v16, 0xffff0000, v2
	v_dual_fmac_f32 v9, v8, v1 :: v_dual_lshlrev_b32 v2, 16, v2
	v_and_b32_e32 v8, 0xffff0000, v4
	s_delay_alu instid0(VALU_DEP_3) | instskip(NEXT) | instid1(VALU_DEP_3)
	v_mul_f32_e32 v15, v15, v16
	v_dual_add_f32 v9, v12, v9 :: v_dual_lshlrev_b32 v4, 16, v4
	s_delay_alu instid0(VALU_DEP_3) | instskip(NEXT) | instid1(VALU_DEP_3)
	v_mul_f32_e32 v8, v8, v14
	v_dual_fmac_f32 v15, v10, v2 :: v_dual_and_b32 v12, 0xffff0000, v5
	v_and_b32_e32 v10, 0xffff0000, v11
	s_delay_alu instid0(VALU_DEP_3) | instskip(SKIP_1) | instid1(VALU_DEP_4)
	v_fmac_f32_e32 v8, v4, v0
	v_lshlrev_b32_e32 v0, 16, v5
	v_dual_mul_f32 v4, v12, v20 :: v_dual_lshlrev_b32 v5, 16, v11
	v_and_b32_e32 v11, 0xffff0000, v6
	v_and_b32_e32 v12, 0xffff0000, v3
	v_dual_add_f32 v8, v13, v8 :: v_dual_lshlrev_b32 v3, 16, v3
	s_delay_alu instid0(VALU_DEP_4) | instskip(NEXT) | instid1(VALU_DEP_4)
	v_fmac_f32_e32 v4, v0, v1
	v_dual_mul_f32 v1, v11, v16 :: v_dual_lshlrev_b32 v0, 16, v6
	v_and_b32_e32 v6, 0xffff0000, v7
	v_mul_f32_e32 v10, v10, v12
	s_delay_alu instid0(VALU_DEP_4) | instskip(NEXT) | instid1(VALU_DEP_4)
	v_add_f32_e32 v4, v8, v4
	v_dual_fmac_f32 v1, v0, v2 :: v_dual_lshlrev_b32 v0, 16, v7
	s_delay_alu instid0(VALU_DEP_4) | instskip(SKIP_1) | instid1(VALU_DEP_3)
	v_mul_f32_e32 v2, v6, v12
	v_add_f32_e32 v6, v9, v15
	v_dual_fmac_f32 v10, v5, v3 :: v_dual_add_f32 v1, v4, v1
	s_delay_alu instid0(VALU_DEP_1) | instskip(NEXT) | instid1(VALU_DEP_1)
	v_dual_fmac_f32 v2, v0, v3 :: v_dual_add_f32 v59, v6, v10
	v_add_f32_e32 v58, v1, v2
	s_cbranch_scc1 .LBB188_25
.LBB188_20:                             ;   Parent Loop BB188_14 Depth=1
                                        ; =>  This Inner Loop Header: Depth=2
	v_add_nc_u32_e32 v8, s17, v51
	v_dual_mov_b32 v10, 0 :: v_dual_mov_b32 v19, 0
	v_dual_mov_b32 v18, 0 :: v_dual_mov_b32 v23, 0
	s_delay_alu instid0(VALU_DEP_3) | instskip(SKIP_3) | instid1(VALU_DEP_4)
	v_min_u32_e32 v49, s14, v8
	v_add_nc_u32_e32 v62, 0x100, v8
	v_add_nc_u32_e32 v61, 0x200, v8
	v_dual_mov_b32 v11, 0 :: v_dual_add_nc_u32 v60, 0x300, v8
	v_lshlrev_b64 v[0:1], 1, v[49:50]
	s_delay_alu instid0(VALU_DEP_4) | instskip(SKIP_2) | instid1(VALU_DEP_3)
	v_min_u32_e32 v49, s14, v62
	v_dual_mov_b32 v16, 0 :: v_dual_mov_b32 v21, 0
	v_dual_mov_b32 v22, 0 :: v_dual_mov_b32 v31, 0
	v_lshlrev_b64 v[2:3], 1, v[49:50]
	v_min_u32_e32 v49, s14, v61
	v_add_co_u32 v0, vcc_lo, v56, v0
	v_add_co_ci_u32_e32 v1, vcc_lo, v57, v1, vcc_lo
	s_delay_alu instid0(VALU_DEP_3) | instskip(SKIP_3) | instid1(VALU_DEP_3)
	v_lshlrev_b64 v[4:5], 1, v[49:50]
	v_min_u32_e32 v49, s14, v60
	v_add_co_u32 v2, vcc_lo, v56, v2
	v_add_co_ci_u32_e32 v3, vcc_lo, v57, v3, vcc_lo
	v_lshlrev_b64 v[6:7], 1, v[49:50]
	v_add_co_u32 v4, vcc_lo, v56, v4
	v_add_co_ci_u32_e32 v5, vcc_lo, v57, v5, vcc_lo
	v_dual_mov_b32 v20, 0 :: v_dual_mov_b32 v29, 0
	s_delay_alu instid0(VALU_DEP_4)
	v_add_co_u32 v6, vcc_lo, v56, v6
	v_add_co_ci_u32_e32 v7, vcc_lo, v57, v7, vcc_lo
	s_clause 0x3
	global_load_b128 v[36:39], v[0:1], off slc dlc
	global_load_b128 v[24:27], v[2:3], off slc dlc
	;; [unrolled: 1-line block ×4, first 2 shown]
	v_mov_b32_e32 v7, 0
	v_cmp_gt_u32_e32 vcc_lo, s4, v8
	v_dual_mov_b32 v6, 0 :: v_dual_mov_b32 v5, 0
	v_dual_mov_b32 v4, 0 :: v_dual_mov_b32 v9, 0
	;; [unrolled: 1-line block ×9, first 2 shown]
	v_mov_b32_e32 v46, 0
	v_mov_b32_e32 v44, 0
	s_and_saveexec_b32 s20, vcc_lo
	s_cbranch_execz .LBB188_19
; %bb.21:                               ;   in Loop: Header=BB188_20 Depth=2
	v_dual_mov_b32 v32, 0 :: v_dual_add_nc_u32 v49, s6, v55
	v_cmp_gt_u32_e32 vcc_lo, s4, v62
	v_dual_mov_b32 v33, 0 :: v_dual_mov_b32 v34, 0
	ds_load_b128 v[44:47], v55
	ds_load_b128 v[40:43], v49
	v_dual_mov_b32 v35, 0 :: v_dual_mov_b32 v28, 0
	v_dual_mov_b32 v29, 0 :: v_dual_mov_b32 v30, 0
	v_dual_mov_b32 v31, 0 :: v_dual_mov_b32 v20, 0
	v_dual_mov_b32 v21, 0 :: v_dual_mov_b32 v22, 0
	v_dual_mov_b32 v23, 0 :: v_dual_mov_b32 v16, 0
	v_dual_mov_b32 v17, 0 :: v_dual_mov_b32 v18, 0
	v_dual_mov_b32 v19, 0 :: v_dual_mov_b32 v8, 0
	v_dual_mov_b32 v9, 0 :: v_dual_mov_b32 v10, 0
	v_dual_mov_b32 v11, 0 :: v_dual_mov_b32 v4, 0
	v_dual_mov_b32 v5, 0 :: v_dual_mov_b32 v6, 0
	v_mov_b32_e32 v7, 0
	s_and_saveexec_b32 s21, vcc_lo
	s_cbranch_execz .LBB188_18
; %bb.22:                               ;   in Loop: Header=BB188_20 Depth=2
	ds_load_b128 v[32:35], v55 offset:512
	ds_load_b128 v[28:31], v49 offset:512
	v_dual_mov_b32 v20, 0 :: v_dual_mov_b32 v21, 0
	v_dual_mov_b32 v22, 0 :: v_dual_mov_b32 v23, 0
	;; [unrolled: 1-line block ×8, first 2 shown]
	s_mov_b32 s22, exec_lo
	v_cmpx_gt_u32_e64 s4, v61
	s_cbranch_execz .LBB188_17
; %bb.23:                               ;   in Loop: Header=BB188_20 Depth=2
	ds_load_b128 v[20:23], v55 offset:1024
	ds_load_b128 v[16:19], v49 offset:1024
	v_dual_mov_b32 v8, 0 :: v_dual_mov_b32 v9, 0
	v_dual_mov_b32 v10, 0 :: v_dual_mov_b32 v11, 0
	;; [unrolled: 1-line block ×4, first 2 shown]
	s_mov_b32 s23, exec_lo
	v_cmpx_gt_u32_e64 s4, v60
	s_cbranch_execz .LBB188_16
; %bb.24:                               ;   in Loop: Header=BB188_20 Depth=2
	ds_load_b128 v[8:11], v55 offset:1536
	ds_load_b128 v[4:7], v49 offset:1536
	s_branch .LBB188_16
.LBB188_25:                             ;   in Loop: Header=BB188_14 Depth=1
	; sched_barrier mask(0x00000000)
	s_delay_alu instid0(VALU_DEP_2) | instskip(SKIP_1) | instid1(VALU_DEP_2)
	v_cvt_i32_f32_e32 v0, v59
	s_waitcnt lgkmcnt(0)
	v_cvt_i32_f32_e32 v1, v58
	s_delay_alu instid0(VALU_DEP_2) | instskip(NEXT) | instid1(VALU_DEP_2)
	v_cvt_f32_i32_dpp v0, v0 row_shr:8 row_mask:0xf bank_mask:0xf bound_ctrl:1
	v_cvt_f32_i32_dpp v1, v1 row_shr:8 row_mask:0xf bank_mask:0xf bound_ctrl:1
	s_delay_alu instid0(VALU_DEP_1) | instskip(NEXT) | instid1(VALU_DEP_1)
	v_dual_add_f32 v0, v59, v0 :: v_dual_add_f32 v1, v58, v1
	v_cvt_i32_f32_e32 v2, v0
	s_delay_alu instid0(VALU_DEP_2) | instskip(NEXT) | instid1(VALU_DEP_2)
	v_cvt_i32_f32_e32 v3, v1
	v_cvt_f32_i32_dpp v2, v2 row_shr:4 row_mask:0xf bank_mask:0xf bound_ctrl:1
	s_delay_alu instid0(VALU_DEP_2) | instskip(NEXT) | instid1(VALU_DEP_1)
	v_cvt_f32_i32_dpp v3, v3 row_shr:4 row_mask:0xf bank_mask:0xf bound_ctrl:1
	v_dual_add_f32 v0, v0, v2 :: v_dual_add_f32 v1, v1, v3
	s_delay_alu instid0(VALU_DEP_1) | instskip(NEXT) | instid1(VALU_DEP_2)
	v_cvt_i32_f32_e32 v2, v0
	v_cvt_i32_f32_e32 v3, v1
	s_delay_alu instid0(VALU_DEP_2) | instskip(NEXT) | instid1(VALU_DEP_2)
	v_cvt_f32_i32_dpp v2, v2 row_shr:2 row_mask:0xf bank_mask:0xf bound_ctrl:1
	v_cvt_f32_i32_dpp v3, v3 row_shr:2 row_mask:0xf bank_mask:0xf bound_ctrl:1
	s_delay_alu instid0(VALU_DEP_1) | instskip(NEXT) | instid1(VALU_DEP_1)
	v_dual_add_f32 v0, v0, v2 :: v_dual_add_f32 v1, v1, v3
	v_cvt_i32_f32_e32 v2, v0
	s_delay_alu instid0(VALU_DEP_2) | instskip(NEXT) | instid1(VALU_DEP_2)
	v_cvt_i32_f32_e32 v3, v1
	v_cvt_f32_i32_dpp v2, v2 row_shr:1 row_mask:0xf bank_mask:0xf bound_ctrl:1
	s_delay_alu instid0(VALU_DEP_2) | instskip(NEXT) | instid1(VALU_DEP_1)
	v_cvt_f32_i32_dpp v4, v3 row_shr:1 row_mask:0xf bank_mask:0xf bound_ctrl:1
	v_dual_add_f32 v3, v0, v2 :: v_dual_add_f32 v0, v1, v4
	ds_bpermute_b32 v4, v53, v3
	ds_bpermute_b32 v1, v53, v0
	s_and_saveexec_b32 s17, s0
	s_cbranch_execz .LBB188_13
; %bb.26:                               ;   in Loop: Header=BB188_14 Depth=1
	v_dual_mov_b32 v2, 0 :: v_dual_mov_b32 v5, 0
	s_and_not1_b32 vcc_lo, exec_lo, s18
	s_cbranch_vccnz .LBB188_28
; %bb.27:                               ;   in Loop: Header=BB188_14 Depth=1
	v_mul_hi_u32 v2, v48, v54
	s_delay_alu instid0(VALU_DEP_1) | instskip(NEXT) | instid1(VALU_DEP_1)
	v_mul_lo_u32 v2, v2, s2
	v_sub_nc_u32_e32 v2, v48, v2
	s_delay_alu instid0(VALU_DEP_1) | instskip(SKIP_1) | instid1(VALU_DEP_2)
	v_subrev_nc_u32_e32 v5, s2, v2
	v_cmp_le_u32_e32 vcc_lo, s2, v2
	v_cndmask_b32_e32 v2, v2, v5, vcc_lo
	s_delay_alu instid0(VALU_DEP_1) | instskip(SKIP_1) | instid1(VALU_DEP_2)
	v_subrev_nc_u32_e32 v5, s2, v2
	v_cmp_le_u32_e32 vcc_lo, s2, v2
	v_cndmask_b32_e32 v49, v2, v5, vcc_lo
	s_delay_alu instid0(VALU_DEP_1) | instskip(SKIP_1) | instid1(VALU_DEP_1)
	v_lshlrev_b64 v[5:6], 1, v[49:50]
	v_add_nc_u32_e32 v49, s16, v49
	v_lshlrev_b64 v[7:8], 1, v[49:50]
	s_delay_alu instid0(VALU_DEP_3) | instskip(NEXT) | instid1(VALU_DEP_4)
	v_add_co_u32 v5, vcc_lo, s8, v5
	v_add_co_ci_u32_e32 v6, vcc_lo, s9, v6, vcc_lo
	s_delay_alu instid0(VALU_DEP_3) | instskip(NEXT) | instid1(VALU_DEP_4)
	v_add_co_u32 v7, vcc_lo, s8, v7
	v_add_co_ci_u32_e32 v8, vcc_lo, s9, v8, vcc_lo
	s_clause 0x1
	global_load_u16 v5, v[5:6], off
	global_load_u16 v2, v[7:8], off
.LBB188_28:                             ;   in Loop: Header=BB188_14 Depth=1
	s_waitcnt vmcnt(1) lgkmcnt(1)
	s_delay_alu instid0(VALU_DEP_1) | instskip(NEXT) | instid1(VALU_DEP_1)
	v_dual_add_f32 v3, v3, v4 :: v_dual_lshlrev_b32 v4, 16, v5
	v_add_f32_e32 v4, v3, v4
	s_delay_alu instid0(VALU_DEP_1) | instskip(NEXT) | instid1(VALU_DEP_1)
	v_and_b32_e32 v3, 0x7f800000, v4
	v_cmp_ne_u32_e32 vcc_lo, 0x7f800000, v3
                                        ; implicit-def: $vgpr3
	s_and_saveexec_b32 s20, vcc_lo
	s_delay_alu instid0(SALU_CYCLE_1)
	s_xor_b32 s20, exec_lo, s20
; %bb.29:                               ;   in Loop: Header=BB188_14 Depth=1
	v_bfe_u32 v3, v4, 16, 1
	s_delay_alu instid0(VALU_DEP_1)
	v_add3_u32 v3, v4, v3, 0x7fff
                                        ; implicit-def: $vgpr4
; %bb.30:                               ;   in Loop: Header=BB188_14 Depth=1
	s_and_not1_saveexec_b32 s20, s20
; %bb.31:                               ;   in Loop: Header=BB188_14 Depth=1
	v_and_b32_e32 v3, 0xffff, v4
	v_or_b32_e32 v5, 0x10000, v4
	s_delay_alu instid0(VALU_DEP_2) | instskip(NEXT) | instid1(VALU_DEP_2)
	v_cmp_eq_u32_e32 vcc_lo, 0, v3
	v_cndmask_b32_e32 v3, v5, v4, vcc_lo
; %bb.32:                               ;   in Loop: Header=BB188_14 Depth=1
	s_or_b32 exec_lo, exec_lo, s20
	s_waitcnt vmcnt(0) lgkmcnt(0)
	v_dual_add_f32 v0, v0, v1 :: v_dual_lshlrev_b32 v1, 16, v2
	s_delay_alu instid0(VALU_DEP_1) | instskip(NEXT) | instid1(VALU_DEP_1)
	v_add_f32_e32 v1, v0, v1
	v_dual_mov_b32 v49, v50 :: v_dual_and_b32 v0, 0x7f800000, v1
	s_delay_alu instid0(VALU_DEP_1) | instskip(NEXT) | instid1(VALU_DEP_1)
	v_lshlrev_b64 v[4:5], 1, v[48:49]
	v_add_co_u32 v4, vcc_lo, s10, v4
	s_delay_alu instid0(VALU_DEP_2) | instskip(NEXT) | instid1(VALU_DEP_4)
	v_add_co_ci_u32_e32 v5, vcc_lo, s11, v5, vcc_lo
	v_cmp_ne_u32_e32 vcc_lo, 0x7f800000, v0
                                        ; implicit-def: $vgpr0
	global_store_d16_hi_b16 v[4:5], v3, off
	s_and_saveexec_b32 s20, vcc_lo
	s_delay_alu instid0(SALU_CYCLE_1)
	s_xor_b32 s20, exec_lo, s20
; %bb.33:                               ;   in Loop: Header=BB188_14 Depth=1
	v_bfe_u32 v0, v1, 16, 1
	s_delay_alu instid0(VALU_DEP_1)
	v_add3_u32 v0, v1, v0, 0x7fff
                                        ; implicit-def: $vgpr1
; %bb.34:                               ;   in Loop: Header=BB188_14 Depth=1
	s_and_not1_saveexec_b32 s20, s20
	s_cbranch_execz .LBB188_12
; %bb.35:                               ;   in Loop: Header=BB188_14 Depth=1
	v_and_b32_e32 v0, 0xffff, v1
	v_or_b32_e32 v2, 0x10000, v1
	s_delay_alu instid0(VALU_DEP_2) | instskip(NEXT) | instid1(VALU_DEP_2)
	v_cmp_eq_u32_e32 vcc_lo, 0, v0
	v_cndmask_b32_e32 v0, v2, v1, vcc_lo
	s_branch .LBB188_12
.LBB188_36:
	s_nop 0
	s_sendmsg sendmsg(MSG_DEALLOC_VGPRS)
	s_endpgm
	.section	.rodata,"a",@progbits
	.p2align	6, 0x0
	.amdhsa_kernel _Z16wvSplitK_hf_sml_I14__hip_bfloat16Li32ELi1ELi16ELi8ELi4ELi2EEviiiiiiPKT_S3_S3_PS1_ii
		.amdhsa_group_segment_fixed_size 65536
		.amdhsa_private_segment_fixed_size 0
		.amdhsa_kernarg_size 64
		.amdhsa_user_sgpr_count 15
		.amdhsa_user_sgpr_dispatch_ptr 0
		.amdhsa_user_sgpr_queue_ptr 0
		.amdhsa_user_sgpr_kernarg_segment_ptr 1
		.amdhsa_user_sgpr_dispatch_id 0
		.amdhsa_user_sgpr_private_segment_size 0
		.amdhsa_wavefront_size32 1
		.amdhsa_uses_dynamic_stack 0
		.amdhsa_enable_private_segment 0
		.amdhsa_system_sgpr_workgroup_id_x 1
		.amdhsa_system_sgpr_workgroup_id_y 0
		.amdhsa_system_sgpr_workgroup_id_z 0
		.amdhsa_system_sgpr_workgroup_info 0
		.amdhsa_system_vgpr_workitem_id 1
		.amdhsa_next_free_vgpr 64
		.amdhsa_next_free_sgpr 24
		.amdhsa_reserve_vcc 1
		.amdhsa_float_round_mode_32 0
		.amdhsa_float_round_mode_16_64 0
		.amdhsa_float_denorm_mode_32 3
		.amdhsa_float_denorm_mode_16_64 3
		.amdhsa_dx10_clamp 1
		.amdhsa_ieee_mode 1
		.amdhsa_fp16_overflow 0
		.amdhsa_workgroup_processor_mode 1
		.amdhsa_memory_ordered 1
		.amdhsa_forward_progress 0
		.amdhsa_shared_vgpr_count 0
		.amdhsa_exception_fp_ieee_invalid_op 0
		.amdhsa_exception_fp_denorm_src 0
		.amdhsa_exception_fp_ieee_div_zero 0
		.amdhsa_exception_fp_ieee_overflow 0
		.amdhsa_exception_fp_ieee_underflow 0
		.amdhsa_exception_fp_ieee_inexact 0
		.amdhsa_exception_int_div_zero 0
	.end_amdhsa_kernel
	.section	.text._Z16wvSplitK_hf_sml_I14__hip_bfloat16Li32ELi1ELi16ELi8ELi4ELi2EEviiiiiiPKT_S3_S3_PS1_ii,"axG",@progbits,_Z16wvSplitK_hf_sml_I14__hip_bfloat16Li32ELi1ELi16ELi8ELi4ELi2EEviiiiiiPKT_S3_S3_PS1_ii,comdat
.Lfunc_end188:
	.size	_Z16wvSplitK_hf_sml_I14__hip_bfloat16Li32ELi1ELi16ELi8ELi4ELi2EEviiiiiiPKT_S3_S3_PS1_ii, .Lfunc_end188-_Z16wvSplitK_hf_sml_I14__hip_bfloat16Li32ELi1ELi16ELi8ELi4ELi2EEviiiiiiPKT_S3_S3_PS1_ii
                                        ; -- End function
	.section	.AMDGPU.csdata,"",@progbits
; Kernel info:
; codeLenInByte = 3432
; NumSgprs: 26
; NumVgprs: 64
; ScratchSize: 0
; MemoryBound: 0
; FloatMode: 240
; IeeeMode: 1
; LDSByteSize: 65536 bytes/workgroup (compile time only)
; SGPRBlocks: 3
; VGPRBlocks: 7
; NumSGPRsForWavesPerEU: 26
; NumVGPRsForWavesPerEU: 64
; Occupancy: 8
; WaveLimiterHint : 0
; COMPUTE_PGM_RSRC2:SCRATCH_EN: 0
; COMPUTE_PGM_RSRC2:USER_SGPR: 15
; COMPUTE_PGM_RSRC2:TRAP_HANDLER: 0
; COMPUTE_PGM_RSRC2:TGID_X_EN: 1
; COMPUTE_PGM_RSRC2:TGID_Y_EN: 0
; COMPUTE_PGM_RSRC2:TGID_Z_EN: 0
; COMPUTE_PGM_RSRC2:TIDIG_COMP_CNT: 1
	.section	.text._Z12wvSplitK_hf_I14__hip_bfloat16Li32ELi1ELi16ELi8ELi4ELi2EEviiiiiiPKT_S3_S3_PS1_ii,"axG",@progbits,_Z12wvSplitK_hf_I14__hip_bfloat16Li32ELi1ELi16ELi8ELi4ELi2EEviiiiiiPKT_S3_S3_PS1_ii,comdat
	.protected	_Z12wvSplitK_hf_I14__hip_bfloat16Li32ELi1ELi16ELi8ELi4ELi2EEviiiiiiPKT_S3_S3_PS1_ii ; -- Begin function _Z12wvSplitK_hf_I14__hip_bfloat16Li32ELi1ELi16ELi8ELi4ELi2EEviiiiiiPKT_S3_S3_PS1_ii
	.globl	_Z12wvSplitK_hf_I14__hip_bfloat16Li32ELi1ELi16ELi8ELi4ELi2EEviiiiiiPKT_S3_S3_PS1_ii
	.p2align	8
	.type	_Z12wvSplitK_hf_I14__hip_bfloat16Li32ELi1ELi16ELi8ELi4ELi2EEviiiiiiPKT_S3_S3_PS1_ii,@function
_Z12wvSplitK_hf_I14__hip_bfloat16Li32ELi1ELi16ELi8ELi4ELi2EEviiiiiiPKT_S3_S3_PS1_ii: ; @_Z12wvSplitK_hf_I14__hip_bfloat16Li32ELi1ELi16ELi8ELi4ELi2EEviiiiiiPKT_S3_S3_PS1_ii
; %bb.0:
	s_clause 0x1
	s_load_b64 s[18:19], s[0:1], 0x38
	s_load_b128 s[4:7], s[0:1], 0x0
	v_bfe_u32 v1, v0, 10, 10
	s_clause 0x1
	s_load_b64 s[12:13], s[0:1], 0x20
	s_load_b64 s[16:17], s[0:1], 0x10
	v_mov_b32_e32 v56, 1
	s_waitcnt lgkmcnt(0)
	v_mad_u64_u32 v[48:49], null, s15, s18, v[1:2]
	s_delay_alu instid0(VALU_DEP_1) | instskip(SKIP_1) | instid1(VALU_DEP_2)
	v_add_nc_u32_e32 v2, 1, v48
	v_cmp_gt_u32_e32 vcc_lo, s7, v48
	v_cmp_le_u32_e64 s2, s7, v2
	s_delay_alu instid0(VALU_DEP_1) | instskip(NEXT) | instid1(SALU_CYCLE_1)
	s_and_b32 s3, vcc_lo, s2
	s_and_saveexec_b32 s2, s3
; %bb.1:
	v_subrev_nc_u32_e32 v2, s7, v48
	s_add_i32 s3, s7, -1
	s_delay_alu instid0(SALU_CYCLE_1) | instskip(NEXT) | instid1(VALU_DEP_2)
	v_mov_b32_e32 v48, s3
	v_cmp_eq_u32_e32 vcc_lo, -1, v2
	v_cndmask_b32_e64 v56, 0, 1, vcc_lo
; %bb.2:
	s_or_b32 exec_lo, exec_lo, s2
	v_and_b32_e32 v0, 0x3ff, v0
	s_lshl_b32 s3, s6, 1
	s_mov_b32 s2, exec_lo
	s_min_u32 s8, s3, 0x8000
	s_delay_alu instid0(VALU_DEP_1) | instskip(NEXT) | instid1(VALU_DEP_1)
	v_lshlrev_b32_e32 v57, 3, v0
	v_lshl_add_u32 v3, v1, 8, v57
	s_delay_alu instid0(VALU_DEP_1)
	v_cmpx_gt_u32_e64 s8, v3
	s_cbranch_execz .LBB189_11
; %bb.3:
	v_lshlrev_b32_e32 v2, 1, v3
	v_add_nc_u32_e32 v8, 0x1000, v3
	s_mov_b32 s9, exec_lo
	global_load_b128 v[4:7], v2, s[12:13]
	s_waitcnt vmcnt(0)
	ds_store_b128 v2, v[4:7]
	v_cmpx_gt_u32_e64 s8, v8
	s_xor_b32 s9, exec_lo, s9
	s_cbranch_execz .LBB189_11
; %bb.4:
	v_add_co_u32 v4, s9, s12, v2
	s_delay_alu instid0(VALU_DEP_1) | instskip(SKIP_1) | instid1(VALU_DEP_3)
	v_add_co_ci_u32_e64 v5, null, s13, 0, s9
	v_add_nc_u32_e32 v10, 0x2000, v3
	v_add_co_u32 v6, vcc_lo, 0x2000, v4
	s_delay_alu instid0(VALU_DEP_3)
	v_add_co_ci_u32_e32 v7, vcc_lo, 0, v5, vcc_lo
	s_mov_b32 s9, exec_lo
	global_load_b128 v[6:9], v[6:7], off
	s_waitcnt vmcnt(0)
	ds_store_b128 v2, v[6:9] offset:8192
	v_cmpx_gt_u32_e64 s8, v10
	s_xor_b32 s9, exec_lo, s9
	s_cbranch_execz .LBB189_11
; %bb.5:
	v_add_co_u32 v6, vcc_lo, 0x4000, v4
	v_add_co_ci_u32_e32 v7, vcc_lo, 0, v5, vcc_lo
	v_add_nc_u32_e32 v10, 0x3000, v3
	s_mov_b32 s9, exec_lo
	global_load_b128 v[6:9], v[6:7], off
	s_waitcnt vmcnt(0)
	ds_store_b128 v2, v[6:9] offset:16384
	v_cmpx_gt_u32_e64 s8, v10
	s_xor_b32 s9, exec_lo, s9
	s_cbranch_execz .LBB189_11
; %bb.6:
	v_add_co_u32 v6, vcc_lo, 0x6000, v4
	v_add_co_ci_u32_e32 v7, vcc_lo, 0, v5, vcc_lo
	v_add_nc_u32_e32 v10, 0x4000, v3
	;; [unrolled: 11-line block ×5, first 2 shown]
	global_load_b128 v[6:9], v[6:7], off
	v_cmp_gt_u32_e32 vcc_lo, s8, v3
	s_waitcnt vmcnt(0)
	ds_store_b128 v2, v[6:9] offset:49152
	s_and_saveexec_b32 s8, vcc_lo
	s_delay_alu instid0(SALU_CYCLE_1)
	s_xor_b32 s8, exec_lo, s8
	s_cbranch_execz .LBB189_11
; %bb.10:
	v_add_co_u32 v3, vcc_lo, 0xe000, v4
	v_add_co_ci_u32_e32 v4, vcc_lo, 0, v5, vcc_lo
	global_load_b128 v[3:6], v[3:4], off
	s_waitcnt vmcnt(0)
	ds_store_b128 v2, v[3:6] offset:57344
.LBB189_11:
	s_or_b32 exec_lo, exec_lo, s2
	v_cmp_gt_u32_e32 vcc_lo, s18, v1
	v_cmp_gt_u32_e64 s2, s7, v48
	s_waitcnt lgkmcnt(0)
	s_barrier
	buffer_gl0_inv
	s_and_b32 s2, vcc_lo, s2
	s_delay_alu instid0(SALU_CYCLE_1)
	s_and_saveexec_b32 s8, s2
	s_cbranch_execz .LBB189_70
; %bb.12:
	v_cvt_f32_u32_e32 v1, s16
	s_clause 0x1
	s_load_b128 s[8:11], s[0:1], 0x28
	s_load_b64 s[14:15], s[0:1], 0x18
	s_cmp_lg_u32 s4, 0
	v_mbcnt_lo_u32_b32 v2, -1, 0
	v_rcp_iflag_f32_e32 v1, v1
	s_cselect_b32 s20, -1, 0
	s_add_i32 s21, s4, -8
	s_add_i32 s22, s7, -1
	v_xor_b32_e32 v3, 16, v2
	s_mul_i32 s18, s19, s18
	v_cmp_eq_u32_e64 s0, 31, v0
	v_lshlrev_b32_e32 v58, 4, v0
	v_mov_b32_e32 v50, 0
	v_cmp_gt_i32_e32 vcc_lo, 32, v3
	s_waitcnt_depctr 0xfff
	v_mul_f32_e32 v1, 0x4f7ffffe, v1
	v_dual_cndmask_b32 v0, v2, v3 :: v_dual_add_nc_u32 v59, s6, v57
	s_delay_alu instid0(VALU_DEP_2)
	v_cvt_u32_f32_e32 v1, v1
	s_waitcnt lgkmcnt(0)
	s_cmp_lg_u64 s[8:9], 0
	s_cselect_b32 s23, -1, 0
	s_sub_i32 s1, 0, s16
	s_abs_i32 s2, s17
	v_mul_lo_u32 v4, s1, v1
	s_sub_i32 s1, s18, s7
	v_lshlrev_b32_e32 v60, 2, v0
	s_add_i32 s17, s1, 2
	s_sub_i32 s1, 1, s2
	s_cmp_lt_u32 s2, 2
	s_cselect_b32 s1, s1, 1
	s_delay_alu instid0(VALU_DEP_2)
	v_mul_hi_u32 v2, v1, v4
	s_sub_i32 s6, s1, s2
	s_cmp_ge_u32 s1, s2
	s_cselect_b32 s19, s6, s1
	s_mov_b32 s6, 0
	s_mul_i32 s19, s19, s16
	s_delay_alu instid0(VALU_DEP_1)
	v_add_nc_u32_e32 v61, v1, v2
	s_branch .LBB189_15
.LBB189_13:                             ;   in Loop: Header=BB189_15 Depth=1
	s_or_b32 exec_lo, exec_lo, s2
	v_add_nc_u32_e32 v49, s7, v48
	s_delay_alu instid0(VALU_DEP_1) | instskip(NEXT) | instid1(VALU_DEP_1)
	v_lshlrev_b64 v[1:2], 1, v[49:50]
	v_add_co_u32 v1, vcc_lo, s10, v1
	s_delay_alu instid0(VALU_DEP_2)
	v_add_co_ci_u32_e32 v2, vcc_lo, s11, v2, vcc_lo
	global_store_d16_hi_b16 v[1:2], v0, off
.LBB189_14:                             ;   in Loop: Header=BB189_15 Depth=1
	s_or_b32 exec_lo, exec_lo, s1
	v_add_nc_u32_e32 v0, s18, v48
	s_waitcnt lgkmcnt(0)
	s_delay_alu instid0(VALU_DEP_1) | instskip(SKIP_1) | instid1(VALU_DEP_2)
	v_add_nc_u32_e32 v1, 1, v0
	v_cmp_le_u32_e32 vcc_lo, s7, v0
	v_cmp_gt_u32_e64 s1, s7, v1
	v_add_nc_u32_e32 v1, s17, v48
	s_delay_alu instid0(VALU_DEP_2) | instskip(NEXT) | instid1(VALU_DEP_1)
	s_or_b32 vcc_lo, vcc_lo, s1
	v_cmp_eq_u32_e64 s1, 1, v1
	v_cndmask_b32_e32 v48, s22, v0, vcc_lo
	s_delay_alu instid0(VALU_DEP_2) | instskip(NEXT) | instid1(VALU_DEP_1)
	s_or_b32 vcc_lo, vcc_lo, s1
	v_cmp_le_u32_e64 s2, s7, v48
	v_cndmask_b32_e32 v56, 0, v56, vcc_lo
	s_delay_alu instid0(VALU_DEP_2) | instskip(NEXT) | instid1(SALU_CYCLE_1)
	s_or_b32 s6, s2, s6
	s_and_not1_b32 exec_lo, exec_lo, s6
	s_cbranch_execz .LBB189_70
.LBB189_15:                             ; =>This Loop Header: Depth=1
                                        ;     Child Loop BB189_22 Depth 2
	v_mov_b32_e32 v66, v50
	v_mov_b32_e32 v65, v50
	s_and_not1_b32 vcc_lo, exec_lo, s20
	s_cbranch_vccnz .LBB189_58
; %bb.16:                               ;   in Loop: Header=BB189_15 Depth=1
	v_min_u32_e32 v0, s22, v48
	v_dual_mov_b32 v65, 0 :: v_dual_mov_b32 v62, v58
	v_mov_b32_e32 v66, 0
	s_mov_b32 s1, 0
	s_delay_alu instid0(VALU_DEP_3) | instskip(NEXT) | instid1(VALU_DEP_1)
	v_mul_lo_u32 v49, v0, s5
	v_lshlrev_b64 v[0:1], 1, v[49:50]
	s_delay_alu instid0(VALU_DEP_1) | instskip(NEXT) | instid1(VALU_DEP_2)
	v_add_co_u32 v63, vcc_lo, s14, v0
	v_add_co_ci_u32_e32 v64, vcc_lo, s15, v1, vcc_lo
	s_branch .LBB189_22
.LBB189_17:                             ;   in Loop: Header=BB189_22 Depth=2
	s_or_b32 exec_lo, exec_lo, s27
.LBB189_18:                             ;   in Loop: Header=BB189_22 Depth=2
	s_delay_alu instid0(SALU_CYCLE_1)
	s_or_b32 exec_lo, exec_lo, s26
.LBB189_19:                             ;   in Loop: Header=BB189_22 Depth=2
	s_delay_alu instid0(SALU_CYCLE_1)
	s_or_b32 exec_lo, exec_lo, s25
.LBB189_20:                             ;   in Loop: Header=BB189_22 Depth=2
	s_delay_alu instid0(SALU_CYCLE_1)
	s_or_b32 exec_lo, exec_lo, s24
.LBB189_21:                             ;   in Loop: Header=BB189_22 Depth=2
	s_delay_alu instid0(SALU_CYCLE_1)
	s_or_b32 exec_lo, exec_lo, s2
	s_waitcnt vmcnt(0) lgkmcnt(0)
	v_and_b32_e32 v52, 0xffff0000, v25
	v_and_b32_e32 v55, 0xffff0000, v19
	;; [unrolled: 1-line block ×5, first 2 shown]
	v_lshlrev_b32_e32 v17, 16, v17
	v_lshlrev_b32_e32 v19, 16, v19
	;; [unrolled: 1-line block ×4, first 2 shown]
	v_dual_mul_f32 v52, v52, v53 :: v_dual_and_b32 v51, 0xffff0000, v16
	v_lshlrev_b32_e32 v16, 16, v16
	v_add_nc_u32_e32 v62, 0x800, v62
	s_addk_i32 s1, 0x400
	s_delay_alu instid0(VALU_DEP_3) | instskip(SKIP_2) | instid1(VALU_DEP_1)
	v_fmac_f32_e32 v52, v25, v17
	v_dual_mul_f32 v49, v49, v51 :: v_dual_lshlrev_b32 v24, 16, v24
	s_cmp_ge_u32 s1, s4
	v_fmac_f32_e32 v49, v24, v16
	s_delay_alu instid0(VALU_DEP_1) | instskip(NEXT) | instid1(VALU_DEP_1)
	v_dual_add_f32 v25, v66, v49 :: v_dual_and_b32 v24, 0xffff0000, v26
	v_dual_add_f32 v25, v25, v52 :: v_dual_lshlrev_b32 v26, 16, v26
	s_delay_alu instid0(VALU_DEP_2) | instskip(SKIP_2) | instid1(VALU_DEP_3)
	v_mul_f32_e32 v24, v24, v54
	v_and_b32_e32 v52, 0xffff0000, v12
	v_lshlrev_b32_e32 v12, 16, v12
	v_fmac_f32_e32 v24, v26, v18
	v_lshlrev_b32_e32 v26, 16, v27
	s_delay_alu instid0(VALU_DEP_2) | instskip(SKIP_2) | instid1(VALU_DEP_1)
	v_add_f32_e32 v24, v25, v24
	v_lshlrev_b32_e32 v25, 16, v32
	v_and_b32_e32 v49, 0xffff0000, v27
	v_mul_f32_e32 v27, v49, v55
	s_delay_alu instid0(VALU_DEP_1) | instskip(SKIP_2) | instid1(VALU_DEP_3)
	v_fmac_f32_e32 v27, v26, v19
	v_and_b32_e32 v49, 0xffff0000, v32
	v_and_b32_e32 v32, 0xffff0000, v33
	v_add_f32_e32 v24, v24, v27
	s_delay_alu instid0(VALU_DEP_3) | instskip(NEXT) | instid1(VALU_DEP_1)
	v_mul_f32_e32 v26, v49, v52
	v_dual_fmac_f32 v26, v25, v12 :: v_dual_lshlrev_b32 v25, 16, v33
	v_and_b32_e32 v33, 0xffff0000, v14
	v_lshlrev_b32_e32 v14, 16, v14
	s_delay_alu instid0(VALU_DEP_3) | instskip(NEXT) | instid1(VALU_DEP_1)
	v_dual_add_f32 v24, v24, v26 :: v_dual_and_b32 v49, 0xffff0000, v13
	v_dual_mul_f32 v27, v32, v49 :: v_dual_and_b32 v32, 0xffff0000, v34
	s_delay_alu instid0(VALU_DEP_1) | instskip(SKIP_1) | instid1(VALU_DEP_1)
	v_mul_f32_e32 v26, v32, v33
	v_lshlrev_b32_e32 v13, 16, v13
	v_dual_fmac_f32 v27, v25, v13 :: v_dual_and_b32 v32, 0xffff0000, v35
	v_lshlrev_b32_e32 v25, 16, v34
	v_and_b32_e32 v34, 0xffff0000, v15
	s_delay_alu instid0(VALU_DEP_3) | instskip(NEXT) | instid1(VALU_DEP_3)
	v_add_f32_e32 v24, v24, v27
	v_dual_fmac_f32 v26, v25, v14 :: v_dual_lshlrev_b32 v25, 16, v35
	s_delay_alu instid0(VALU_DEP_3) | instskip(NEXT) | instid1(VALU_DEP_2)
	v_dual_mul_f32 v27, v32, v34 :: v_dual_and_b32 v32, 0xffff0000, v44
	v_dual_add_f32 v24, v24, v26 :: v_dual_and_b32 v35, 0xffff0000, v4
	v_lshlrev_b32_e32 v4, 16, v4
	s_delay_alu instid0(VALU_DEP_2) | instskip(SKIP_1) | instid1(VALU_DEP_1)
	v_mul_f32_e32 v26, v32, v35
	v_lshlrev_b32_e32 v15, 16, v15
	v_dual_fmac_f32 v27, v25, v15 :: v_dual_and_b32 v32, 0xffff0000, v45
	v_lshlrev_b32_e32 v25, 16, v44
	v_and_b32_e32 v44, 0xffff0000, v5
	s_delay_alu instid0(VALU_DEP_3) | instskip(NEXT) | instid1(VALU_DEP_3)
	v_add_f32_e32 v24, v24, v27
	v_dual_fmac_f32 v26, v25, v4 :: v_dual_lshlrev_b32 v25, 16, v45
	s_delay_alu instid0(VALU_DEP_3) | instskip(SKIP_1) | instid1(VALU_DEP_3)
	v_dual_mul_f32 v27, v32, v44 :: v_dual_and_b32 v32, 0xffff0000, v46
	v_and_b32_e32 v45, 0xffff0000, v6
	v_add_f32_e32 v24, v24, v26
	v_lshlrev_b32_e32 v6, 16, v6
	s_delay_alu instid0(VALU_DEP_3) | instskip(SKIP_1) | instid1(VALU_DEP_1)
	v_mul_f32_e32 v26, v32, v45
	v_lshlrev_b32_e32 v5, 16, v5
	v_fmac_f32_e32 v27, v25, v5
	v_lshlrev_b32_e32 v25, 16, v46
	v_lshlrev_b32_e32 v46, 16, v47
	s_delay_alu instid0(VALU_DEP_3) | instskip(NEXT) | instid1(VALU_DEP_3)
	v_dual_add_f32 v24, v24, v27 :: v_dual_and_b32 v27, 0xffff0000, v8
	v_dual_fmac_f32 v26, v25, v6 :: v_dual_and_b32 v25, 0xffff0000, v47
	v_lshlrev_b32_e32 v8, 16, v8
	v_and_b32_e32 v47, 0xffff0000, v9
	s_delay_alu instid0(VALU_DEP_4) | instskip(NEXT) | instid1(VALU_DEP_1)
	v_mul_f32_e32 v27, v27, v51
	v_dual_fmac_f32 v27, v8, v16 :: v_dual_lshlrev_b32 v8, 16, v9
	s_delay_alu instid0(VALU_DEP_3) | instskip(SKIP_1) | instid1(VALU_DEP_2)
	v_dual_mul_f32 v9, v47, v53 :: v_dual_add_f32 v16, v24, v26
	v_and_b32_e32 v24, 0xffff0000, v10
	v_dual_add_f32 v26, v65, v27 :: v_dual_fmac_f32 v9, v8, v17
	v_lshlrev_b32_e32 v8, 16, v10
	s_delay_alu instid0(VALU_DEP_3) | instskip(NEXT) | instid1(VALU_DEP_1)
	v_dual_mul_f32 v10, v24, v54 :: v_dual_and_b32 v17, 0xffff0000, v11
	v_dual_add_f32 v9, v26, v9 :: v_dual_fmac_f32 v10, v8, v18
	v_lshlrev_b32_e32 v8, 16, v11
	s_delay_alu instid0(VALU_DEP_3) | instskip(NEXT) | instid1(VALU_DEP_3)
	v_dual_mul_f32 v11, v17, v55 :: v_dual_and_b32 v18, 0xffff0000, v20
	v_add_f32_e32 v9, v9, v10
	s_delay_alu instid0(VALU_DEP_2) | instskip(NEXT) | instid1(VALU_DEP_3)
	v_dual_fmac_f32 v11, v8, v19 :: v_dual_lshlrev_b32 v8, 16, v20
	v_mul_f32_e32 v10, v18, v52
	s_delay_alu instid0(VALU_DEP_2) | instskip(NEXT) | instid1(VALU_DEP_2)
	v_dual_add_f32 v9, v9, v11 :: v_dual_and_b32 v18, 0xffff0000, v21
	v_fmac_f32_e32 v10, v8, v12
	v_and_b32_e32 v24, 0xffff0000, v36
	v_lshlrev_b32_e32 v8, 16, v21
	s_delay_alu instid0(VALU_DEP_4) | instskip(NEXT) | instid1(VALU_DEP_4)
	v_dual_mul_f32 v11, v18, v49 :: v_dual_and_b32 v12, 0xffff0000, v22
	v_dual_add_f32 v9, v9, v10 :: v_dual_and_b32 v32, 0xffff0000, v7
	v_lshlrev_b32_e32 v7, 16, v7
	s_delay_alu instid0(VALU_DEP_3) | instskip(NEXT) | instid1(VALU_DEP_3)
	v_dual_fmac_f32 v11, v8, v13 :: v_dual_lshlrev_b32 v8, 16, v22
	v_dual_mul_f32 v10, v12, v33 :: v_dual_mul_f32 v25, v25, v32
	v_and_b32_e32 v18, 0xffff0000, v1
	v_lshlrev_b32_e32 v17, 16, v36
	s_delay_alu instid0(VALU_DEP_3) | instskip(NEXT) | instid1(VALU_DEP_4)
	v_dual_add_f32 v9, v9, v11 :: v_dual_fmac_f32 v10, v8, v14
	v_fmac_f32_e32 v25, v46, v7
	v_lshlrev_b32_e32 v1, 16, v1
	v_and_b32_e32 v13, 0xffff0000, v23
	s_delay_alu instid0(VALU_DEP_4) | instskip(NEXT) | instid1(VALU_DEP_4)
	v_dual_add_f32 v9, v9, v10 :: v_dual_lshlrev_b32 v8, 16, v23
	v_dual_add_f32 v16, v16, v25 :: v_dual_and_b32 v25, 0xffff0000, v0
	s_delay_alu instid0(VALU_DEP_3) | instskip(SKIP_1) | instid1(VALU_DEP_3)
	v_dual_mul_f32 v11, v13, v34 :: v_dual_lshlrev_b32 v0, 16, v0
	v_and_b32_e32 v13, 0xffff0000, v28
	v_mul_f32_e32 v19, v24, v25
	s_delay_alu instid0(VALU_DEP_3) | instskip(NEXT) | instid1(VALU_DEP_3)
	v_dual_fmac_f32 v11, v8, v15 :: v_dual_lshlrev_b32 v8, 16, v28
	v_mul_f32_e32 v10, v13, v35
	s_delay_alu instid0(VALU_DEP_3) | instskip(SKIP_1) | instid1(VALU_DEP_3)
	v_fmac_f32_e32 v19, v17, v0
	v_and_b32_e32 v17, 0xffff0000, v37
	v_dual_add_f32 v9, v9, v11 :: v_dual_fmac_f32 v10, v8, v4
	s_delay_alu instid0(VALU_DEP_3) | instskip(NEXT) | instid1(VALU_DEP_2)
	v_dual_add_f32 v13, v16, v19 :: v_dual_lshlrev_b32 v4, 16, v29
	v_dual_add_f32 v9, v9, v10 :: v_dual_lshlrev_b32 v12, 16, v37
	s_delay_alu instid0(VALU_DEP_4) | instskip(NEXT) | instid1(VALU_DEP_1)
	v_dual_mul_f32 v14, v17, v18 :: v_dual_and_b32 v15, 0xffff0000, v29
	v_fmac_f32_e32 v14, v12, v1
	s_delay_alu instid0(VALU_DEP_2) | instskip(SKIP_1) | instid1(VALU_DEP_3)
	v_mul_f32_e32 v8, v15, v44
	v_and_b32_e32 v12, 0xffff0000, v30
	v_add_f32_e32 v11, v13, v14
	s_delay_alu instid0(VALU_DEP_3) | instskip(NEXT) | instid1(VALU_DEP_3)
	v_dual_fmac_f32 v8, v4, v5 :: v_dual_and_b32 v13, 0xffff0000, v38
	v_dual_mul_f32 v5, v12, v45 :: v_dual_lshlrev_b32 v4, 16, v30
	v_and_b32_e32 v14, 0xffff0000, v2
	v_and_b32_e32 v12, 0xffff0000, v31
	s_delay_alu instid0(VALU_DEP_4) | instskip(SKIP_2) | instid1(VALU_DEP_4)
	v_add_f32_e32 v8, v9, v8
	v_lshlrev_b32_e32 v2, 16, v2
	v_dual_fmac_f32 v5, v4, v6 :: v_dual_lshlrev_b32 v4, 16, v31
	v_mul_f32_e32 v6, v12, v32
	v_and_b32_e32 v9, 0xffff0000, v40
	s_delay_alu instid0(VALU_DEP_3) | instskip(SKIP_1) | instid1(VALU_DEP_4)
	v_dual_add_f32 v5, v8, v5 :: v_dual_lshlrev_b32 v10, 16, v38
	v_and_b32_e32 v8, 0xffff0000, v41
	v_fmac_f32_e32 v6, v4, v7
	s_delay_alu instid0(VALU_DEP_4) | instskip(SKIP_1) | instid1(VALU_DEP_3)
	v_dual_mul_f32 v7, v9, v25 :: v_dual_lshlrev_b32 v4, 16, v40
	v_and_b32_e32 v9, 0xffff0000, v39
	v_dual_add_f32 v5, v5, v6 :: v_dual_lshlrev_b32 v6, 16, v39
	s_delay_alu instid0(VALU_DEP_3) | instskip(SKIP_1) | instid1(VALU_DEP_2)
	v_dual_fmac_f32 v7, v4, v0 :: v_dual_lshlrev_b32 v0, 16, v41
	v_mul_f32_e32 v4, v8, v18
	v_dual_add_f32 v5, v5, v7 :: v_dual_and_b32 v8, 0xffff0000, v42
	s_delay_alu instid0(VALU_DEP_2) | instskip(SKIP_1) | instid1(VALU_DEP_2)
	v_dual_fmac_f32 v4, v0, v1 :: v_dual_and_b32 v7, 0xffff0000, v43
	v_lshlrev_b32_e32 v0, 16, v42
	v_dual_mul_f32 v1, v8, v14 :: v_dual_add_f32 v4, v5, v4
	s_delay_alu instid0(VALU_DEP_1) | instskip(NEXT) | instid1(VALU_DEP_1)
	v_dual_fmac_f32 v1, v0, v2 :: v_dual_lshlrev_b32 v0, 16, v43
	v_dual_add_f32 v1, v4, v1 :: v_dual_mul_f32 v12, v13, v14
	s_delay_alu instid0(VALU_DEP_1) | instskip(SKIP_2) | instid1(VALU_DEP_2)
	v_fmac_f32_e32 v12, v10, v2
	v_and_b32_e32 v10, 0xffff0000, v3
	v_lshlrev_b32_e32 v3, 16, v3
	v_dual_add_f32 v5, v11, v12 :: v_dual_mul_f32 v8, v9, v10
	v_mul_f32_e32 v2, v7, v10
	s_delay_alu instid0(VALU_DEP_2) | instskip(NEXT) | instid1(VALU_DEP_2)
	v_fmac_f32_e32 v8, v6, v3
	v_fmac_f32_e32 v2, v0, v3
	s_delay_alu instid0(VALU_DEP_2) | instskip(NEXT) | instid1(VALU_DEP_2)
	v_add_f32_e32 v66, v5, v8
	v_add_f32_e32 v65, v1, v2
	s_cbranch_scc1 .LBB189_58
.LBB189_22:                             ;   Parent Loop BB189_15 Depth=1
                                        ; =>  This Inner Loop Header: Depth=2
	v_dual_mov_b32 v43, 0 :: v_dual_add_nc_u32 v54, s1, v57
	v_dual_mov_b32 v39, 0 :: v_dual_mov_b32 v38, 0
	v_dual_mov_b32 v37, 0 :: v_dual_mov_b32 v36, 0
	s_delay_alu instid0(VALU_DEP_3) | instskip(SKIP_2) | instid1(VALU_DEP_3)
	v_min_u32_e32 v49, s21, v54
	v_dual_mov_b32 v42, 0 :: v_dual_add_nc_u32 v53, 0x100, v54
	v_dual_mov_b32 v41, 0 :: v_dual_add_nc_u32 v52, 0x200, v54
	v_lshlrev_b64 v[0:1], 1, v[49:50]
	s_delay_alu instid0(VALU_DEP_3) | instskip(SKIP_3) | instid1(VALU_DEP_3)
	v_min_u32_e32 v49, s21, v53
	v_dual_mov_b32 v40, 0 :: v_dual_add_nc_u32 v51, 0x300, v54
	v_dual_mov_b32 v31, 0 :: v_dual_mov_b32 v30, 0
	s_waitcnt vmcnt(0)
	v_lshlrev_b64 v[2:3], 1, v[49:50]
	v_min_u32_e32 v49, s21, v52
	v_add_co_u32 v0, vcc_lo, v63, v0
	v_add_co_ci_u32_e32 v1, vcc_lo, v64, v1, vcc_lo
	s_delay_alu instid0(VALU_DEP_3) | instskip(SKIP_3) | instid1(VALU_DEP_3)
	v_lshlrev_b64 v[4:5], 1, v[49:50]
	v_min_u32_e32 v49, s21, v51
	v_add_co_u32 v2, vcc_lo, v63, v2
	v_add_co_ci_u32_e32 v3, vcc_lo, v64, v3, vcc_lo
	v_lshlrev_b64 v[6:7], 1, v[49:50]
	v_add_co_u32 v4, vcc_lo, v63, v4
	v_add_co_ci_u32_e32 v5, vcc_lo, v64, v5, vcc_lo
	v_dual_mov_b32 v29, 0 :: v_dual_mov_b32 v28, 0
	s_delay_alu instid0(VALU_DEP_4)
	v_add_co_u32 v8, vcc_lo, v63, v6
	v_add_co_ci_u32_e32 v9, vcc_lo, v64, v7, vcc_lo
	s_clause 0x3
	global_load_b128 v[16:19], v[0:1], off slc dlc
	global_load_b128 v[12:15], v[2:3], off slc dlc
	;; [unrolled: 1-line block ×4, first 2 shown]
	v_cmp_gt_u32_e32 vcc_lo, s4, v54
	v_dual_mov_b32 v47, 0 :: v_dual_mov_b32 v46, 0
	v_dual_mov_b32 v45, 0 :: v_dual_mov_b32 v44, 0
	;; [unrolled: 1-line block ×10, first 2 shown]
	s_and_saveexec_b32 s2, vcc_lo
	s_cbranch_execz .LBB189_21
; %bb.23:                               ;   in Loop: Header=BB189_22 Depth=2
	s_mov_b32 s24, exec_lo
                                        ; implicit-def: $vgpr27
	v_cmpx_lt_u32_e32 0x7fff, v54
	s_xor_b32 s24, exec_lo, s24
	s_cbranch_execz .LBB189_25
; %bb.24:                               ;   in Loop: Header=BB189_22 Depth=2
	v_mov_b32_e32 v55, v50
	s_delay_alu instid0(VALU_DEP_1) | instskip(NEXT) | instid1(VALU_DEP_1)
	v_lshlrev_b64 v[8:9], 1, v[54:55]
	v_add_co_u32 v8, vcc_lo, s12, v8
	s_delay_alu instid0(VALU_DEP_2)
	v_add_co_ci_u32_e32 v9, vcc_lo, s13, v9, vcc_lo
	global_load_b128 v[24:27], v[8:9], off
.LBB189_25:                             ;   in Loop: Header=BB189_22 Depth=2
	s_and_not1_saveexec_b32 s24, s24
	s_cbranch_execz .LBB189_27
; %bb.26:                               ;   in Loop: Header=BB189_22 Depth=2
	s_waitcnt vmcnt(0)
	ds_load_b128 v[24:27], v62
.LBB189_27:                             ;   in Loop: Header=BB189_22 Depth=2
	s_or_b32 exec_lo, exec_lo, s24
	v_add_nc_u32_e32 v49, s1, v59
	s_mov_b32 s24, exec_lo
                                        ; implicit-def: $vgpr11
	s_delay_alu instid0(VALU_DEP_1)
	v_cmpx_lt_u32_e32 0x7fff, v49
	s_xor_b32 s24, exec_lo, s24
	s_cbranch_execz .LBB189_29
; %bb.28:                               ;   in Loop: Header=BB189_22 Depth=2
	v_lshlrev_b64 v[8:9], 1, v[49:50]
	s_delay_alu instid0(VALU_DEP_1) | instskip(NEXT) | instid1(VALU_DEP_2)
	v_add_co_u32 v8, vcc_lo, s12, v8
	v_add_co_ci_u32_e32 v9, vcc_lo, s13, v9, vcc_lo
	global_load_b128 v[8:11], v[8:9], off
.LBB189_29:                             ;   in Loop: Header=BB189_22 Depth=2
	s_and_not1_saveexec_b32 s24, s24
	s_cbranch_execz .LBB189_31
; %bb.30:                               ;   in Loop: Header=BB189_22 Depth=2
	s_waitcnt vmcnt(0)
	v_add_nc_u32_e32 v8, s3, v62
	ds_load_b128 v[8:11], v8
.LBB189_31:                             ;   in Loop: Header=BB189_22 Depth=2
	s_or_b32 exec_lo, exec_lo, s24
	v_cmp_gt_u32_e32 vcc_lo, s4, v53
	v_dual_mov_b32 v43, 0 :: v_dual_mov_b32 v42, 0
	v_dual_mov_b32 v41, 0 :: v_dual_mov_b32 v40, 0
	;; [unrolled: 1-line block ×12, first 2 shown]
	s_and_saveexec_b32 s24, vcc_lo
	s_cbranch_execz .LBB189_20
; %bb.32:                               ;   in Loop: Header=BB189_22 Depth=2
	s_mov_b32 s25, exec_lo
                                        ; implicit-def: $vgpr35
	v_cmpx_lt_u32_e32 0x7fff, v53
	s_xor_b32 s25, exec_lo, s25
	s_cbranch_execz .LBB189_34
; %bb.33:                               ;   in Loop: Header=BB189_22 Depth=2
	v_mov_b32_e32 v54, v50
	s_delay_alu instid0(VALU_DEP_1) | instskip(NEXT) | instid1(VALU_DEP_1)
	v_lshlrev_b64 v[20:21], 1, v[53:54]
	v_add_co_u32 v20, vcc_lo, s12, v20
	s_delay_alu instid0(VALU_DEP_2)
	v_add_co_ci_u32_e32 v21, vcc_lo, s13, v21, vcc_lo
	global_load_b128 v[32:35], v[20:21], off
.LBB189_34:                             ;   in Loop: Header=BB189_22 Depth=2
	s_and_not1_saveexec_b32 s25, s25
	s_cbranch_execz .LBB189_36
; %bb.35:                               ;   in Loop: Header=BB189_22 Depth=2
	s_waitcnt vmcnt(0)
	ds_load_b128 v[32:35], v62 offset:512
.LBB189_36:                             ;   in Loop: Header=BB189_22 Depth=2
	s_or_b32 exec_lo, exec_lo, s25
	v_add_nc_u32_e32 v20, 0x100, v49
	s_mov_b32 s25, exec_lo
                                        ; implicit-def: $vgpr23
	s_delay_alu instid0(VALU_DEP_1)
	v_cmpx_lt_u32_e32 0x7fff, v20
	s_xor_b32 s25, exec_lo, s25
	s_cbranch_execz .LBB189_38
; %bb.37:                               ;   in Loop: Header=BB189_22 Depth=2
	v_mov_b32_e32 v21, v50
	s_delay_alu instid0(VALU_DEP_1) | instskip(NEXT) | instid1(VALU_DEP_1)
	v_lshlrev_b64 v[20:21], 1, v[20:21]
	v_add_co_u32 v20, vcc_lo, s12, v20
	s_delay_alu instid0(VALU_DEP_2)
	v_add_co_ci_u32_e32 v21, vcc_lo, s13, v21, vcc_lo
	global_load_b128 v[20:23], v[20:21], off
.LBB189_38:                             ;   in Loop: Header=BB189_22 Depth=2
	s_and_not1_saveexec_b32 s25, s25
	s_cbranch_execz .LBB189_40
; %bb.39:                               ;   in Loop: Header=BB189_22 Depth=2
	s_waitcnt vmcnt(0)
	v_add_nc_u32_e32 v20, s3, v62
	ds_load_b128 v[20:23], v20 offset:512
.LBB189_40:                             ;   in Loop: Header=BB189_22 Depth=2
	s_or_b32 exec_lo, exec_lo, s25
	v_dual_mov_b32 v43, 0 :: v_dual_mov_b32 v42, 0
	v_dual_mov_b32 v41, 0 :: v_dual_mov_b32 v40, 0
	v_dual_mov_b32 v39, 0 :: v_dual_mov_b32 v38, 0
	v_dual_mov_b32 v37, 0 :: v_dual_mov_b32 v36, 0
	v_dual_mov_b32 v31, 0 :: v_dual_mov_b32 v30, 0
	v_dual_mov_b32 v29, 0 :: v_dual_mov_b32 v28, 0
	v_dual_mov_b32 v47, 0 :: v_dual_mov_b32 v46, 0
	v_dual_mov_b32 v45, 0 :: v_dual_mov_b32 v44, 0
	s_mov_b32 s25, exec_lo
	v_cmpx_gt_u32_e64 s4, v52
	s_cbranch_execz .LBB189_19
; %bb.41:                               ;   in Loop: Header=BB189_22 Depth=2
	s_mov_b32 s26, exec_lo
                                        ; implicit-def: $vgpr47
	v_cmpx_lt_u32_e32 0x7fff, v52
	s_xor_b32 s26, exec_lo, s26
	s_cbranch_execz .LBB189_43
; %bb.42:                               ;   in Loop: Header=BB189_22 Depth=2
	v_mov_b32_e32 v53, v50
	s_delay_alu instid0(VALU_DEP_1) | instskip(NEXT) | instid1(VALU_DEP_1)
	v_lshlrev_b64 v[28:29], 1, v[52:53]
	v_add_co_u32 v28, vcc_lo, s12, v28
	s_delay_alu instid0(VALU_DEP_2)
	v_add_co_ci_u32_e32 v29, vcc_lo, s13, v29, vcc_lo
	global_load_b128 v[44:47], v[28:29], off
.LBB189_43:                             ;   in Loop: Header=BB189_22 Depth=2
	s_and_not1_saveexec_b32 s26, s26
	s_cbranch_execz .LBB189_45
; %bb.44:                               ;   in Loop: Header=BB189_22 Depth=2
	s_waitcnt vmcnt(0)
	ds_load_b128 v[44:47], v62 offset:1024
.LBB189_45:                             ;   in Loop: Header=BB189_22 Depth=2
	s_or_b32 exec_lo, exec_lo, s26
	v_add_nc_u32_e32 v28, 0x200, v49
	s_mov_b32 s26, exec_lo
                                        ; implicit-def: $vgpr31
	s_delay_alu instid0(VALU_DEP_1)
	v_cmpx_lt_u32_e32 0x7fff, v28
	s_xor_b32 s26, exec_lo, s26
	s_cbranch_execz .LBB189_47
; %bb.46:                               ;   in Loop: Header=BB189_22 Depth=2
	v_mov_b32_e32 v29, v50
	s_delay_alu instid0(VALU_DEP_1) | instskip(NEXT) | instid1(VALU_DEP_1)
	v_lshlrev_b64 v[28:29], 1, v[28:29]
	v_add_co_u32 v28, vcc_lo, s12, v28
	s_delay_alu instid0(VALU_DEP_2)
	v_add_co_ci_u32_e32 v29, vcc_lo, s13, v29, vcc_lo
	global_load_b128 v[28:31], v[28:29], off
.LBB189_47:                             ;   in Loop: Header=BB189_22 Depth=2
	s_and_not1_saveexec_b32 s26, s26
	s_cbranch_execz .LBB189_49
; %bb.48:                               ;   in Loop: Header=BB189_22 Depth=2
	s_waitcnt vmcnt(0)
	v_add_nc_u32_e32 v28, s3, v62
	ds_load_b128 v[28:31], v28 offset:1024
.LBB189_49:                             ;   in Loop: Header=BB189_22 Depth=2
	s_or_b32 exec_lo, exec_lo, s26
	v_dual_mov_b32 v43, 0 :: v_dual_mov_b32 v42, 0
	v_dual_mov_b32 v41, 0 :: v_dual_mov_b32 v40, 0
	;; [unrolled: 1-line block ×4, first 2 shown]
	s_mov_b32 s26, exec_lo
	v_cmpx_gt_u32_e64 s4, v51
	s_cbranch_execz .LBB189_18
; %bb.50:                               ;   in Loop: Header=BB189_22 Depth=2
	s_mov_b32 s27, exec_lo
                                        ; implicit-def: $vgpr39
	v_cmpx_lt_u32_e32 0x7fff, v51
	s_xor_b32 s27, exec_lo, s27
	s_cbranch_execz .LBB189_52
; %bb.51:                               ;   in Loop: Header=BB189_22 Depth=2
	v_mov_b32_e32 v52, v50
	s_delay_alu instid0(VALU_DEP_1) | instskip(NEXT) | instid1(VALU_DEP_1)
	v_lshlrev_b64 v[36:37], 1, v[51:52]
	v_add_co_u32 v36, vcc_lo, s12, v36
	s_delay_alu instid0(VALU_DEP_2)
	v_add_co_ci_u32_e32 v37, vcc_lo, s13, v37, vcc_lo
	global_load_b128 v[36:39], v[36:37], off
.LBB189_52:                             ;   in Loop: Header=BB189_22 Depth=2
	s_and_not1_saveexec_b32 s27, s27
	s_cbranch_execz .LBB189_54
; %bb.53:                               ;   in Loop: Header=BB189_22 Depth=2
	s_waitcnt vmcnt(0)
	ds_load_b128 v[36:39], v62 offset:1536
.LBB189_54:                             ;   in Loop: Header=BB189_22 Depth=2
	s_or_b32 exec_lo, exec_lo, s27
	v_add_nc_u32_e32 v49, 0x300, v49
	s_mov_b32 s27, exec_lo
                                        ; implicit-def: $vgpr43
	s_delay_alu instid0(VALU_DEP_1)
	v_cmpx_lt_u32_e32 0x7fff, v49
	s_xor_b32 s27, exec_lo, s27
	s_cbranch_execz .LBB189_56
; %bb.55:                               ;   in Loop: Header=BB189_22 Depth=2
	v_lshlrev_b64 v[40:41], 1, v[49:50]
	s_delay_alu instid0(VALU_DEP_1) | instskip(NEXT) | instid1(VALU_DEP_2)
	v_add_co_u32 v40, vcc_lo, s12, v40
	v_add_co_ci_u32_e32 v41, vcc_lo, s13, v41, vcc_lo
	global_load_b128 v[40:43], v[40:41], off
.LBB189_56:                             ;   in Loop: Header=BB189_22 Depth=2
	s_and_not1_saveexec_b32 s27, s27
	s_cbranch_execz .LBB189_17
; %bb.57:                               ;   in Loop: Header=BB189_22 Depth=2
	s_waitcnt vmcnt(0)
	v_add_nc_u32_e32 v40, s3, v62
	ds_load_b128 v[40:43], v40 offset:1536
	s_branch .LBB189_17
.LBB189_58:                             ;   in Loop: Header=BB189_15 Depth=1
	s_delay_alu instid0(VALU_DEP_2) | instskip(NEXT) | instid1(VALU_DEP_2)
	v_cvt_i32_f32_e32 v0, v66
	v_cvt_i32_f32_e32 v1, v65
	s_delay_alu instid0(VALU_DEP_2) | instskip(NEXT) | instid1(VALU_DEP_2)
	v_cvt_f32_i32_dpp v0, v0 row_shr:8 row_mask:0xf bank_mask:0xf bound_ctrl:1
	v_cvt_f32_i32_dpp v1, v1 row_shr:8 row_mask:0xf bank_mask:0xf bound_ctrl:1
	s_delay_alu instid0(VALU_DEP_1) | instskip(SKIP_1) | instid1(VALU_DEP_1)
	v_dual_add_f32 v0, v66, v0 :: v_dual_add_f32 v1, v65, v1
	s_waitcnt vmcnt(0)
	v_cvt_i32_f32_e32 v2, v0
	s_delay_alu instid0(VALU_DEP_2) | instskip(NEXT) | instid1(VALU_DEP_2)
	v_cvt_i32_f32_e32 v3, v1
	v_cvt_f32_i32_dpp v2, v2 row_shr:4 row_mask:0xf bank_mask:0xf bound_ctrl:1
	s_delay_alu instid0(VALU_DEP_2) | instskip(NEXT) | instid1(VALU_DEP_1)
	v_cvt_f32_i32_dpp v3, v3 row_shr:4 row_mask:0xf bank_mask:0xf bound_ctrl:1
	v_dual_add_f32 v0, v0, v2 :: v_dual_add_f32 v1, v1, v3
	s_delay_alu instid0(VALU_DEP_1) | instskip(NEXT) | instid1(VALU_DEP_2)
	v_cvt_i32_f32_e32 v2, v0
	v_cvt_i32_f32_e32 v3, v1
	s_delay_alu instid0(VALU_DEP_2) | instskip(NEXT) | instid1(VALU_DEP_2)
	v_cvt_f32_i32_dpp v2, v2 row_shr:2 row_mask:0xf bank_mask:0xf bound_ctrl:1
	v_cvt_f32_i32_dpp v3, v3 row_shr:2 row_mask:0xf bank_mask:0xf bound_ctrl:1
	s_delay_alu instid0(VALU_DEP_1) | instskip(NEXT) | instid1(VALU_DEP_1)
	v_dual_add_f32 v0, v0, v2 :: v_dual_add_f32 v1, v1, v3
	v_cvt_i32_f32_e32 v2, v0
	s_delay_alu instid0(VALU_DEP_2) | instskip(NEXT) | instid1(VALU_DEP_2)
	v_cvt_i32_f32_e32 v3, v1
	v_cvt_f32_i32_dpp v2, v2 row_shr:1 row_mask:0xf bank_mask:0xf bound_ctrl:1
	s_delay_alu instid0(VALU_DEP_2) | instskip(NEXT) | instid1(VALU_DEP_1)
	v_cvt_f32_i32_dpp v4, v3 row_shr:1 row_mask:0xf bank_mask:0xf bound_ctrl:1
	v_dual_add_f32 v3, v0, v2 :: v_dual_add_f32 v0, v1, v4
	ds_bpermute_b32 v4, v60, v3
	ds_bpermute_b32 v1, v60, v0
	s_and_saveexec_b32 s1, s0
	s_cbranch_execz .LBB189_14
; %bb.59:                               ;   in Loop: Header=BB189_15 Depth=1
	v_dual_mov_b32 v2, 0 :: v_dual_mov_b32 v5, 0
	s_and_not1_b32 vcc_lo, exec_lo, s23
	s_cbranch_vccnz .LBB189_61
; %bb.60:                               ;   in Loop: Header=BB189_15 Depth=1
	v_mul_hi_u32 v2, v48, v61
	s_delay_alu instid0(VALU_DEP_1) | instskip(NEXT) | instid1(VALU_DEP_1)
	v_mul_lo_u32 v2, v2, s16
	v_sub_nc_u32_e32 v2, v48, v2
	s_delay_alu instid0(VALU_DEP_1) | instskip(SKIP_1) | instid1(VALU_DEP_2)
	v_subrev_nc_u32_e32 v5, s16, v2
	v_cmp_le_u32_e32 vcc_lo, s16, v2
	v_cndmask_b32_e32 v2, v2, v5, vcc_lo
	s_delay_alu instid0(VALU_DEP_1) | instskip(SKIP_1) | instid1(VALU_DEP_2)
	v_subrev_nc_u32_e32 v5, s16, v2
	v_cmp_le_u32_e32 vcc_lo, s16, v2
	v_cndmask_b32_e32 v49, v2, v5, vcc_lo
	s_delay_alu instid0(VALU_DEP_1) | instskip(SKIP_1) | instid1(VALU_DEP_1)
	v_lshlrev_b64 v[5:6], 1, v[49:50]
	v_add_nc_u32_e32 v49, s19, v49
	v_lshlrev_b64 v[7:8], 1, v[49:50]
	s_delay_alu instid0(VALU_DEP_3) | instskip(NEXT) | instid1(VALU_DEP_4)
	v_add_co_u32 v5, vcc_lo, s8, v5
	v_add_co_ci_u32_e32 v6, vcc_lo, s9, v6, vcc_lo
	s_delay_alu instid0(VALU_DEP_3) | instskip(NEXT) | instid1(VALU_DEP_4)
	v_add_co_u32 v7, vcc_lo, s8, v7
	v_add_co_ci_u32_e32 v8, vcc_lo, s9, v8, vcc_lo
	s_clause 0x1
	global_load_u16 v5, v[5:6], off
	global_load_u16 v2, v[7:8], off
.LBB189_61:                             ;   in Loop: Header=BB189_15 Depth=1
	v_cmp_ne_u32_e32 vcc_lo, 0, v56
	s_and_b32 exec_lo, exec_lo, vcc_lo
	s_cbranch_execz .LBB189_14
; %bb.62:                               ;   in Loop: Header=BB189_15 Depth=1
	s_waitcnt vmcnt(1) lgkmcnt(1)
	v_dual_add_f32 v3, v3, v4 :: v_dual_lshlrev_b32 v4, 16, v5
	s_delay_alu instid0(VALU_DEP_1) | instskip(NEXT) | instid1(VALU_DEP_1)
	v_add_f32_e32 v4, v3, v4
	v_and_b32_e32 v3, 0x7f800000, v4
	s_delay_alu instid0(VALU_DEP_1) | instskip(SKIP_1) | instid1(SALU_CYCLE_1)
	v_cmp_ne_u32_e32 vcc_lo, 0x7f800000, v3
                                        ; implicit-def: $vgpr3
	s_and_saveexec_b32 s2, vcc_lo
	s_xor_b32 s2, exec_lo, s2
; %bb.63:                               ;   in Loop: Header=BB189_15 Depth=1
	v_bfe_u32 v3, v4, 16, 1
	s_delay_alu instid0(VALU_DEP_1)
	v_add3_u32 v3, v4, v3, 0x7fff
                                        ; implicit-def: $vgpr4
; %bb.64:                               ;   in Loop: Header=BB189_15 Depth=1
	s_and_not1_saveexec_b32 s2, s2
; %bb.65:                               ;   in Loop: Header=BB189_15 Depth=1
	v_and_b32_e32 v3, 0xffff, v4
	v_or_b32_e32 v5, 0x10000, v4
	s_delay_alu instid0(VALU_DEP_2) | instskip(NEXT) | instid1(VALU_DEP_2)
	v_cmp_eq_u32_e32 vcc_lo, 0, v3
	v_cndmask_b32_e32 v3, v5, v4, vcc_lo
; %bb.66:                               ;   in Loop: Header=BB189_15 Depth=1
	s_or_b32 exec_lo, exec_lo, s2
	s_waitcnt vmcnt(0) lgkmcnt(0)
	v_dual_add_f32 v0, v0, v1 :: v_dual_lshlrev_b32 v1, 16, v2
	s_delay_alu instid0(VALU_DEP_1) | instskip(NEXT) | instid1(VALU_DEP_1)
	v_add_f32_e32 v1, v0, v1
	v_dual_mov_b32 v49, v50 :: v_dual_and_b32 v0, 0x7f800000, v1
	s_delay_alu instid0(VALU_DEP_1) | instskip(NEXT) | instid1(VALU_DEP_1)
	v_lshlrev_b64 v[4:5], 1, v[48:49]
	v_add_co_u32 v4, vcc_lo, s10, v4
	s_delay_alu instid0(VALU_DEP_2) | instskip(NEXT) | instid1(VALU_DEP_4)
	v_add_co_ci_u32_e32 v5, vcc_lo, s11, v5, vcc_lo
	v_cmp_ne_u32_e32 vcc_lo, 0x7f800000, v0
                                        ; implicit-def: $vgpr0
	global_store_d16_hi_b16 v[4:5], v3, off
	s_and_saveexec_b32 s2, vcc_lo
	s_delay_alu instid0(SALU_CYCLE_1)
	s_xor_b32 s2, exec_lo, s2
; %bb.67:                               ;   in Loop: Header=BB189_15 Depth=1
	v_bfe_u32 v0, v1, 16, 1
	s_delay_alu instid0(VALU_DEP_1)
	v_add3_u32 v0, v1, v0, 0x7fff
                                        ; implicit-def: $vgpr1
; %bb.68:                               ;   in Loop: Header=BB189_15 Depth=1
	s_and_not1_saveexec_b32 s2, s2
	s_cbranch_execz .LBB189_13
; %bb.69:                               ;   in Loop: Header=BB189_15 Depth=1
	v_and_b32_e32 v0, 0xffff, v1
	v_or_b32_e32 v2, 0x10000, v1
	s_delay_alu instid0(VALU_DEP_2) | instskip(NEXT) | instid1(VALU_DEP_2)
	v_cmp_eq_u32_e32 vcc_lo, 0, v0
	v_cndmask_b32_e32 v0, v2, v1, vcc_lo
	s_branch .LBB189_13
.LBB189_70:
	s_nop 0
	s_sendmsg sendmsg(MSG_DEALLOC_VGPRS)
	s_endpgm
	.section	.rodata,"a",@progbits
	.p2align	6, 0x0
	.amdhsa_kernel _Z12wvSplitK_hf_I14__hip_bfloat16Li32ELi1ELi16ELi8ELi4ELi2EEviiiiiiPKT_S3_S3_PS1_ii
		.amdhsa_group_segment_fixed_size 65536
		.amdhsa_private_segment_fixed_size 0
		.amdhsa_kernarg_size 64
		.amdhsa_user_sgpr_count 15
		.amdhsa_user_sgpr_dispatch_ptr 0
		.amdhsa_user_sgpr_queue_ptr 0
		.amdhsa_user_sgpr_kernarg_segment_ptr 1
		.amdhsa_user_sgpr_dispatch_id 0
		.amdhsa_user_sgpr_private_segment_size 0
		.amdhsa_wavefront_size32 1
		.amdhsa_uses_dynamic_stack 0
		.amdhsa_enable_private_segment 0
		.amdhsa_system_sgpr_workgroup_id_x 1
		.amdhsa_system_sgpr_workgroup_id_y 0
		.amdhsa_system_sgpr_workgroup_id_z 0
		.amdhsa_system_sgpr_workgroup_info 0
		.amdhsa_system_vgpr_workitem_id 1
		.amdhsa_next_free_vgpr 67
		.amdhsa_next_free_sgpr 28
		.amdhsa_reserve_vcc 1
		.amdhsa_float_round_mode_32 0
		.amdhsa_float_round_mode_16_64 0
		.amdhsa_float_denorm_mode_32 3
		.amdhsa_float_denorm_mode_16_64 3
		.amdhsa_dx10_clamp 1
		.amdhsa_ieee_mode 1
		.amdhsa_fp16_overflow 0
		.amdhsa_workgroup_processor_mode 1
		.amdhsa_memory_ordered 1
		.amdhsa_forward_progress 0
		.amdhsa_shared_vgpr_count 0
		.amdhsa_exception_fp_ieee_invalid_op 0
		.amdhsa_exception_fp_denorm_src 0
		.amdhsa_exception_fp_ieee_div_zero 0
		.amdhsa_exception_fp_ieee_overflow 0
		.amdhsa_exception_fp_ieee_underflow 0
		.amdhsa_exception_fp_ieee_inexact 0
		.amdhsa_exception_int_div_zero 0
	.end_amdhsa_kernel
	.section	.text._Z12wvSplitK_hf_I14__hip_bfloat16Li32ELi1ELi16ELi8ELi4ELi2EEviiiiiiPKT_S3_S3_PS1_ii,"axG",@progbits,_Z12wvSplitK_hf_I14__hip_bfloat16Li32ELi1ELi16ELi8ELi4ELi2EEviiiiiiPKT_S3_S3_PS1_ii,comdat
.Lfunc_end189:
	.size	_Z12wvSplitK_hf_I14__hip_bfloat16Li32ELi1ELi16ELi8ELi4ELi2EEviiiiiiPKT_S3_S3_PS1_ii, .Lfunc_end189-_Z12wvSplitK_hf_I14__hip_bfloat16Li32ELi1ELi16ELi8ELi4ELi2EEviiiiiiPKT_S3_S3_PS1_ii
                                        ; -- End function
	.section	.AMDGPU.csdata,"",@progbits
; Kernel info:
; codeLenInByte = 4228
; NumSgprs: 30
; NumVgprs: 67
; ScratchSize: 0
; MemoryBound: 0
; FloatMode: 240
; IeeeMode: 1
; LDSByteSize: 65536 bytes/workgroup (compile time only)
; SGPRBlocks: 3
; VGPRBlocks: 8
; NumSGPRsForWavesPerEU: 30
; NumVGPRsForWavesPerEU: 67
; Occupancy: 8
; WaveLimiterHint : 0
; COMPUTE_PGM_RSRC2:SCRATCH_EN: 0
; COMPUTE_PGM_RSRC2:USER_SGPR: 15
; COMPUTE_PGM_RSRC2:TRAP_HANDLER: 0
; COMPUTE_PGM_RSRC2:TGID_X_EN: 1
; COMPUTE_PGM_RSRC2:TGID_Y_EN: 0
; COMPUTE_PGM_RSRC2:TGID_Z_EN: 0
; COMPUTE_PGM_RSRC2:TIDIG_COMP_CNT: 1
	.section	.text._Z16wvSplitK_hf_big_I14__hip_bfloat16Li32ELi1ELi16ELi8ELi4ELi2EEviiiiiiPKT_S3_S3_PS1_ii,"axG",@progbits,_Z16wvSplitK_hf_big_I14__hip_bfloat16Li32ELi1ELi16ELi8ELi4ELi2EEviiiiiiPKT_S3_S3_PS1_ii,comdat
	.protected	_Z16wvSplitK_hf_big_I14__hip_bfloat16Li32ELi1ELi16ELi8ELi4ELi2EEviiiiiiPKT_S3_S3_PS1_ii ; -- Begin function _Z16wvSplitK_hf_big_I14__hip_bfloat16Li32ELi1ELi16ELi8ELi4ELi2EEviiiiiiPKT_S3_S3_PS1_ii
	.globl	_Z16wvSplitK_hf_big_I14__hip_bfloat16Li32ELi1ELi16ELi8ELi4ELi2EEviiiiiiPKT_S3_S3_PS1_ii
	.p2align	8
	.type	_Z16wvSplitK_hf_big_I14__hip_bfloat16Li32ELi1ELi16ELi8ELi4ELi2EEviiiiiiPKT_S3_S3_PS1_ii,@function
_Z16wvSplitK_hf_big_I14__hip_bfloat16Li32ELi1ELi16ELi8ELi4ELi2EEviiiiiiPKT_S3_S3_PS1_ii: ; @_Z16wvSplitK_hf_big_I14__hip_bfloat16Li32ELi1ELi16ELi8ELi4ELi2EEviiiiiiPKT_S3_S3_PS1_ii
; %bb.0:
	s_load_b64 s[20:21], s[0:1], 0x38
	v_bfe_u32 v1, v0, 10, 10
	s_mov_b32 s2, exec_lo
	s_waitcnt lgkmcnt(0)
	s_delay_alu instid0(VALU_DEP_1)
	v_cmpx_gt_u32_e64 s20, v1
	s_cbranch_execz .LBB190_46
; %bb.1:
	s_load_b128 s[16:19], s[0:1], 0x0
	v_mad_u64_u32 v[48:49], null, s15, s20, v[1:2]
	s_delay_alu instid0(VALU_DEP_1) | instskip(SKIP_2) | instid1(VALU_DEP_2)
	v_dual_mov_b32 v51, 1 :: v_dual_add_nc_u32 v2, 1, v48
	s_waitcnt lgkmcnt(0)
	v_cmp_gt_u32_e32 vcc_lo, s19, v48
	v_cmp_le_u32_e64 s2, s19, v2
	s_delay_alu instid0(VALU_DEP_1) | instskip(NEXT) | instid1(SALU_CYCLE_1)
	s_and_b32 s3, vcc_lo, s2
	s_and_saveexec_b32 s2, s3
; %bb.2:
	v_subrev_nc_u32_e32 v2, s19, v48
	s_add_i32 s3, s19, -1
	s_delay_alu instid0(SALU_CYCLE_1) | instskip(NEXT) | instid1(VALU_DEP_2)
	v_mov_b32_e32 v48, s3
	v_cmp_eq_u32_e32 vcc_lo, -1, v2
	v_cndmask_b32_e64 v51, 0, 1, vcc_lo
; %bb.3:
	s_or_b32 exec_lo, exec_lo, s2
	s_abs_i32 s2, s20
	s_abs_i32 s5, s19
	v_cvt_f32_u32_e32 v2, s2
	s_sub_i32 s4, 0, s2
	s_mov_b32 s14, 0
	s_delay_alu instid0(VALU_DEP_1) | instskip(SKIP_2) | instid1(VALU_DEP_1)
	v_rcp_iflag_f32_e32 v2, v2
	s_waitcnt_depctr 0xfff
	v_mul_f32_e32 v2, 0x4f7ffffe, v2
	v_cvt_u32_f32_e32 v2, v2
	s_delay_alu instid0(VALU_DEP_1) | instskip(NEXT) | instid1(VALU_DEP_1)
	v_readfirstlane_b32 s3, v2
	s_mul_i32 s4, s4, s3
	s_delay_alu instid0(SALU_CYCLE_1) | instskip(NEXT) | instid1(SALU_CYCLE_1)
	s_mul_hi_u32 s4, s3, s4
	s_add_i32 s3, s3, s4
	s_ashr_i32 s4, s19, 31
	s_mul_hi_u32 s3, s5, s3
	s_delay_alu instid0(SALU_CYCLE_1) | instskip(NEXT) | instid1(SALU_CYCLE_1)
	s_mul_i32 s3, s3, s2
	s_sub_i32 s3, s5, s3
	s_delay_alu instid0(SALU_CYCLE_1) | instskip(SKIP_2) | instid1(SALU_CYCLE_1)
	s_sub_i32 s5, s3, s2
	s_cmp_ge_u32 s3, s2
	s_cselect_b32 s3, s5, s3
	s_sub_i32 s5, s3, s2
	s_cmp_ge_u32 s3, s2
	s_cselect_b32 s2, s5, s3
	s_add_i32 s3, s20, s19
	s_xor_b32 s2, s2, s4
	s_delay_alu instid0(SALU_CYCLE_1) | instskip(NEXT) | instid1(SALU_CYCLE_1)
	s_sub_i32 s2, s2, s4
	s_sub_i32 s3, s3, s2
	s_cmp_eq_u32 s2, 0
	s_cselect_b32 s3, s19, s3
	s_delay_alu instid0(SALU_CYCLE_1)
	v_cmp_gt_u32_e32 vcc_lo, s3, v48
	s_and_b32 exec_lo, exec_lo, vcc_lo
	s_cbranch_execz .LBB190_46
; %bb.4:
	s_load_b256 s[4:11], s[0:1], 0x10
	s_min_u32 s15, s18, 0x4000
	s_cmp_lg_u32 s16, 0
	s_load_b64 s[12:13], s[0:1], 0x30
	s_cselect_b32 s22, -1, 0
	s_cmp_lg_u32 s18, 0
	v_and_b32_e32 v0, 0x3ff, v0
	s_cselect_b32 s23, -1, 0
	s_lshl_b32 s24, s20, 8
	s_add_i32 s25, s16, -8
	s_add_i32 s26, s19, -1
	s_mul_i32 s21, s21, s20
	v_lshlrev_b32_e32 v52, 3, v0
	v_cmp_eq_u32_e64 s0, 31, v0
	v_lshlrev_b32_e32 v0, 4, v0
	v_mbcnt_lo_u32_b32 v57, -1, 0
	s_delay_alu instid0(VALU_DEP_4) | instskip(SKIP_1) | instid1(VALU_DEP_4)
	v_lshl_add_u32 v53, v1, 8, v52
	v_mov_b32_e32 v50, 0
	v_lshl_add_u32 v54, v1, 9, v0
	s_waitcnt lgkmcnt(0)
	v_cvt_f32_u32_e32 v2, s4
	s_cmp_lg_u64 s[10:11], 0
	v_add_nc_u32_e32 v55, s18, v53
	s_cselect_b32 s27, -1, 0
	s_sub_i32 s1, 0, s4
	v_rcp_iflag_f32_e32 v2, v2
	s_abs_i32 s2, s5
	s_waitcnt_depctr 0xfff
	v_mul_f32_e32 v2, 0x4f7ffffe, v2
	s_delay_alu instid0(VALU_DEP_1) | instskip(NEXT) | instid1(VALU_DEP_1)
	v_cvt_u32_f32_e32 v2, v2
	v_mul_lo_u32 v3, s1, v2
	s_sub_i32 s1, s21, s19
	s_delay_alu instid0(SALU_CYCLE_1) | instskip(SKIP_3) | instid1(VALU_DEP_1)
	s_add_i32 s5, s1, 2
	s_sub_i32 s1, 1, s2
	s_cmp_lt_u32 s2, 2
	s_cselect_b32 s1, s1, 1
	v_mul_hi_u32 v3, v2, v3
	s_sub_i32 s28, s1, s2
	s_cmp_ge_u32 s1, s2
	s_cselect_b32 s28, s28, s1
	s_lshl_b32 s29, s15, 1
	s_mul_i32 s28, s28, s4
	s_lshl_b32 s20, s20, 9
	s_delay_alu instid0(VALU_DEP_1)
	v_add_nc_u32_e32 v56, v2, v3
	s_branch .LBB190_7
.LBB190_5:                              ;   in Loop: Header=BB190_7 Depth=1
	s_or_b32 exec_lo, exec_lo, s1
.LBB190_6:                              ;   in Loop: Header=BB190_7 Depth=1
	s_delay_alu instid0(SALU_CYCLE_1) | instskip(NEXT) | instid1(VALU_DEP_1)
	s_or_b32 exec_lo, exec_lo, s2
	v_cmp_le_u32_e32 vcc_lo, s3, v0
	v_mov_b32_e32 v48, v0
	s_or_b32 s14, vcc_lo, s14
	s_delay_alu instid0(SALU_CYCLE_1)
	s_and_not1_b32 exec_lo, exec_lo, s14
	s_cbranch_execz .LBB190_46
.LBB190_7:                              ; =>This Loop Header: Depth=1
                                        ;     Child Loop BB190_14 Depth 2
                                        ;       Child Loop BB190_19 Depth 3
	v_mov_b32_e32 v61, v50
	v_mov_b32_e32 v60, v50
	s_and_not1_b32 vcc_lo, exec_lo, s22
	s_mov_b32 s30, 0
	s_cbranch_vccnz .LBB190_28
; %bb.8:                                ;   in Loop: Header=BB190_7 Depth=1
	v_min_u32_e32 v0, s26, v48
	v_cmp_gt_u32_e64 s1, s19, v48
	v_dual_mov_b32 v60, 0 :: v_dual_mov_b32 v61, 0
	s_mov_b32 s31, 0
	s_delay_alu instid0(VALU_DEP_3) | instskip(NEXT) | instid1(VALU_DEP_1)
	v_mul_lo_u32 v49, v0, s17
	v_lshlrev_b64 v[0:1], 1, v[49:50]
	s_delay_alu instid0(VALU_DEP_1) | instskip(NEXT) | instid1(VALU_DEP_2)
	v_add_co_u32 v58, vcc_lo, s6, v0
	v_add_co_ci_u32_e32 v59, vcc_lo, s7, v1, vcc_lo
	s_branch .LBB190_14
.LBB190_9:                              ;   in Loop: Header=BB190_14 Depth=2
	s_or_b32 exec_lo, exec_lo, s36
.LBB190_10:                             ;   in Loop: Header=BB190_14 Depth=2
	s_delay_alu instid0(SALU_CYCLE_1)
	s_or_b32 exec_lo, exec_lo, s35
.LBB190_11:                             ;   in Loop: Header=BB190_14 Depth=2
	s_delay_alu instid0(SALU_CYCLE_1)
	s_or_b32 exec_lo, exec_lo, s34
.LBB190_12:                             ;   in Loop: Header=BB190_14 Depth=2
	s_delay_alu instid0(SALU_CYCLE_1)
	s_or_b32 exec_lo, exec_lo, s33
	s_waitcnt vmcnt(3)
	v_and_b32_e32 v62, 0xffff0000, v36
	v_and_b32_e32 v64, 0xffff0000, v37
	s_waitcnt lgkmcnt(1)
	v_and_b32_e32 v63, 0xffff0000, v45
	v_lshlrev_b32_e32 v37, 16, v37
	v_and_b32_e32 v49, 0xffff0000, v44
	v_lshlrev_b32_e32 v44, 16, v44
	v_lshlrev_b32_e32 v45, 16, v45
	v_and_b32_e32 v65, 0xffff0000, v46
	v_dual_mul_f32 v63, v63, v64 :: v_dual_lshlrev_b32 v46, 16, v46
	v_dual_mul_f32 v49, v49, v62 :: v_dual_lshlrev_b32 v36, 16, v36
	s_delay_alu instid0(VALU_DEP_2) | instskip(SKIP_2) | instid1(VALU_DEP_3)
	v_fmac_f32_e32 v63, v45, v37
	s_waitcnt lgkmcnt(0)
	v_and_b32_e32 v45, 0xffff0000, v40
	v_fmac_f32_e32 v49, v44, v36
	s_delay_alu instid0(VALU_DEP_1) | instskip(NEXT) | instid1(VALU_DEP_3)
	v_dual_add_f32 v49, v61, v49 :: v_dual_lshlrev_b32 v40, 16, v40
	v_mul_f32_e32 v45, v45, v62
	v_and_b32_e32 v44, 0xffff0000, v38
	s_delay_alu instid0(VALU_DEP_2) | instskip(NEXT) | instid1(VALU_DEP_2)
	v_dual_fmac_f32 v45, v40, v36 :: v_dual_and_b32 v62, 0xffff0000, v41
	v_dual_mul_f32 v61, v65, v44 :: v_dual_lshlrev_b32 v38, 16, v38
	s_delay_alu instid0(VALU_DEP_2) | instskip(NEXT) | instid1(VALU_DEP_2)
	v_dual_mul_f32 v40, v62, v64 :: v_dual_add_f32 v45, v60, v45
	v_dual_fmac_f32 v61, v46, v38 :: v_dual_add_f32 v46, v49, v63
	v_and_b32_e32 v63, 0xffff0000, v39
	v_lshlrev_b32_e32 v36, 16, v41
	v_and_b32_e32 v41, 0xffff0000, v42
	s_delay_alu instid0(VALU_DEP_2) | instskip(NEXT) | instid1(VALU_DEP_2)
	v_dual_fmac_f32 v40, v36, v37 :: v_dual_lshlrev_b32 v39, 16, v39
	v_dual_mul_f32 v37, v41, v44 :: v_dual_lshlrev_b32 v36, 16, v42
	v_dual_add_f32 v41, v46, v61 :: v_dual_lshlrev_b32 v42, 16, v43
	s_delay_alu instid0(VALU_DEP_2)
	v_dual_add_f32 v40, v45, v40 :: v_dual_fmac_f32 v37, v36, v38
	v_and_b32_e32 v38, 0xffff0000, v32
	v_lshlrev_b32_e32 v32, 16, v32
	v_and_b32_e32 v49, 0xffff0000, v47
	v_lshlrev_b32_e32 v47, 16, v47
	v_dual_add_f32 v37, v40, v37 :: v_dual_and_b32 v40, 0xffff0000, v43
	s_delay_alu instid0(VALU_DEP_3) | instskip(NEXT) | instid1(VALU_DEP_2)
	v_mul_f32_e32 v49, v49, v63
	v_mul_f32_e32 v40, v40, v63
	s_delay_alu instid0(VALU_DEP_2) | instskip(NEXT) | instid1(VALU_DEP_2)
	v_fmac_f32_e32 v49, v47, v39
	v_fmac_f32_e32 v40, v42, v39
	s_waitcnt vmcnt(2)
	v_and_b32_e32 v44, 0xffff0000, v25
	s_delay_alu instid0(VALU_DEP_3) | instskip(SKIP_3) | instid1(VALU_DEP_4)
	v_dual_add_f32 v36, v41, v49 :: v_dual_and_b32 v41, 0xffff0000, v24
	v_lshlrev_b32_e32 v24, 16, v24
	v_add_f32_e32 v37, v37, v40
	v_lshlrev_b32_e32 v25, 16, v25
	v_mul_f32_e32 v38, v38, v41
	s_delay_alu instid0(VALU_DEP_1) | instskip(NEXT) | instid1(VALU_DEP_1)
	v_fmac_f32_e32 v38, v32, v24
	v_add_f32_e32 v36, v36, v38
	v_and_b32_e32 v38, 0xffff0000, v28
	v_lshlrev_b32_e32 v28, 16, v28
	v_and_b32_e32 v43, 0xffff0000, v33
	v_lshlrev_b32_e32 v32, 16, v33
	v_and_b32_e32 v39, 0xffff0000, v34
	s_delay_alu instid0(VALU_DEP_3) | instskip(NEXT) | instid1(VALU_DEP_1)
	v_dual_mul_f32 v33, v43, v44 :: v_dual_and_b32 v42, 0xffff0000, v26
	v_dual_fmac_f32 v33, v32, v25 :: v_dual_lshlrev_b32 v26, 16, v26
	v_lshlrev_b32_e32 v32, 16, v34
	s_delay_alu instid0(VALU_DEP_2) | instskip(NEXT) | instid1(VALU_DEP_1)
	v_dual_mul_f32 v34, v39, v42 :: v_dual_add_f32 v33, v36, v33
	v_fmac_f32_e32 v34, v32, v26
	v_mul_f32_e32 v32, v38, v41
	v_and_b32_e32 v38, 0xffff0000, v29
	s_delay_alu instid0(VALU_DEP_2) | instskip(SKIP_1) | instid1(VALU_DEP_3)
	v_fmac_f32_e32 v32, v28, v24
	v_lshlrev_b32_e32 v24, 16, v29
	v_dual_mul_f32 v28, v38, v44 :: v_dual_and_b32 v39, 0xffff0000, v27
	s_delay_alu instid0(VALU_DEP_3) | instskip(NEXT) | instid1(VALU_DEP_2)
	v_add_f32_e32 v32, v37, v32
	v_dual_fmac_f32 v28, v24, v25 :: v_dual_and_b32 v29, 0xffff0000, v30
	v_lshlrev_b32_e32 v24, 16, v30
	v_lshlrev_b32_e32 v27, 16, v27
	;; [unrolled: 1-line block ×3, first 2 shown]
	s_delay_alu instid0(VALU_DEP_4) | instskip(SKIP_3) | instid1(VALU_DEP_4)
	v_dual_add_f32 v28, v32, v28 :: v_dual_mul_f32 v25, v29, v42
	v_and_b32_e32 v36, 0xffff0000, v35
	v_lshlrev_b32_e32 v35, 16, v35
	v_add_f32_e32 v29, v33, v34
	v_fmac_f32_e32 v25, v24, v26
	s_delay_alu instid0(VALU_DEP_4) | instskip(NEXT) | instid1(VALU_DEP_2)
	v_mul_f32_e32 v36, v36, v39
	v_dual_add_f32 v25, v28, v25 :: v_dual_and_b32 v26, 0xffff0000, v20
	s_delay_alu instid0(VALU_DEP_2) | instskip(SKIP_1) | instid1(VALU_DEP_2)
	v_fmac_f32_e32 v36, v35, v27
	v_and_b32_e32 v28, 0xffff0000, v31
	v_dual_add_f32 v24, v29, v36 :: v_dual_and_b32 v31, 0xffff0000, v21
	s_waitcnt vmcnt(1)
	s_delay_alu instid0(VALU_DEP_2) | instskip(SKIP_1) | instid1(VALU_DEP_2)
	v_dual_mul_f32 v28, v28, v39 :: v_dual_and_b32 v29, 0xffff0000, v12
	v_lshlrev_b32_e32 v12, 16, v12
	v_mul_f32_e32 v26, v26, v29
	s_delay_alu instid0(VALU_DEP_3)
	v_fmac_f32_e32 v28, v30, v27
	v_and_b32_e32 v30, 0xffff0000, v14
	v_lshlrev_b32_e32 v20, 16, v20
	v_lshlrev_b32_e32 v14, 16, v14
	v_and_b32_e32 v32, 0xffff0000, v13
	v_lshlrev_b32_e32 v13, 16, v13
	s_delay_alu instid0(VALU_DEP_4) | instskip(NEXT) | instid1(VALU_DEP_3)
	v_dual_fmac_f32 v26, v20, v12 :: v_dual_and_b32 v27, 0xffff0000, v22
	v_dual_mul_f32 v21, v31, v32 :: v_dual_lshlrev_b32 v20, 16, v21
	s_delay_alu instid0(VALU_DEP_1) | instskip(NEXT) | instid1(VALU_DEP_3)
	v_dual_fmac_f32 v21, v20, v13 :: v_dual_lshlrev_b32 v20, 16, v22
	v_dual_mul_f32 v22, v27, v30 :: v_dual_and_b32 v27, 0xffff0000, v17
	s_delay_alu instid0(VALU_DEP_1) | instskip(SKIP_4) | instid1(VALU_DEP_3)
	v_dual_add_f32 v25, v25, v28 :: v_dual_fmac_f32 v22, v20, v14
	v_and_b32_e32 v20, 0xffff0000, v23
	v_dual_add_f32 v24, v24, v26 :: v_dual_lshlrev_b32 v23, 16, v23
	v_and_b32_e32 v26, 0xffff0000, v15
	v_lshlrev_b32_e32 v15, 16, v15
	v_dual_add_f32 v21, v24, v21 :: v_dual_and_b32 v24, 0xffff0000, v16
	v_lshlrev_b32_e32 v16, 16, v16
	s_delay_alu instid0(VALU_DEP_4) | instskip(NEXT) | instid1(VALU_DEP_3)
	v_mul_f32_e32 v20, v20, v26
	v_mul_f32_e32 v24, v24, v29
	s_delay_alu instid0(VALU_DEP_2) | instskip(NEXT) | instid1(VALU_DEP_2)
	v_fmac_f32_e32 v20, v23, v15
	v_fmac_f32_e32 v24, v16, v12
	v_lshlrev_b32_e32 v12, 16, v17
	v_dual_mul_f32 v16, v27, v32 :: v_dual_add_f32 v17, v21, v22
	s_delay_alu instid0(VALU_DEP_1) | instskip(SKIP_3) | instid1(VALU_DEP_4)
	v_dual_fmac_f32 v16, v12, v13 :: v_dual_and_b32 v21, 0xffff0000, v18
	v_lshlrev_b32_e32 v12, 16, v18
	v_and_b32_e32 v18, 0xffff0000, v19
	v_lshlrev_b32_e32 v19, 16, v19
	v_mul_f32_e32 v13, v21, v30
	s_waitcnt vmcnt(0)
	v_dual_add_f32 v17, v17, v20 :: v_dual_and_b32 v20, 0xffff0000, v1
	v_dual_mul_f32 v18, v18, v26 :: v_dual_lshlrev_b32 v1, 16, v1
	s_delay_alu instid0(VALU_DEP_3) | instskip(SKIP_1) | instid1(VALU_DEP_3)
	v_dual_fmac_f32 v13, v12, v14 :: v_dual_and_b32 v12, 0xffff0000, v8
	v_and_b32_e32 v14, 0xffff0000, v0
	v_dual_fmac_f32 v18, v19, v15 :: v_dual_and_b32 v15, 0xffff0000, v10
	v_add_f32_e32 v22, v25, v24
	v_lshlrev_b32_e32 v8, 16, v8
	v_lshlrev_b32_e32 v0, 16, v0
	v_mul_f32_e32 v12, v12, v14
	v_lshlrev_b32_e32 v10, 16, v10
	v_add_f32_e32 v16, v22, v16
	s_delay_alu instid0(VALU_DEP_3) | instskip(SKIP_1) | instid1(VALU_DEP_3)
	v_fmac_f32_e32 v12, v8, v0
	v_lshlrev_b32_e32 v8, 16, v9
	v_add_f32_e32 v13, v16, v13
	v_and_b32_e32 v16, 0xffff0000, v9
	s_delay_alu instid0(VALU_DEP_4) | instskip(NEXT) | instid1(VALU_DEP_3)
	v_add_f32_e32 v12, v17, v12
	v_add_f32_e32 v13, v13, v18
	s_delay_alu instid0(VALU_DEP_3) | instskip(NEXT) | instid1(VALU_DEP_1)
	v_dual_mul_f32 v9, v16, v20 :: v_dual_and_b32 v16, 0xffff0000, v2
	v_dual_fmac_f32 v9, v8, v1 :: v_dual_lshlrev_b32 v2, 16, v2
	v_and_b32_e32 v8, 0xffff0000, v4
	s_delay_alu instid0(VALU_DEP_3) | instskip(NEXT) | instid1(VALU_DEP_3)
	v_mul_f32_e32 v15, v15, v16
	v_dual_add_f32 v9, v12, v9 :: v_dual_lshlrev_b32 v4, 16, v4
	s_delay_alu instid0(VALU_DEP_3) | instskip(NEXT) | instid1(VALU_DEP_3)
	v_mul_f32_e32 v8, v8, v14
	v_dual_fmac_f32 v15, v10, v2 :: v_dual_and_b32 v12, 0xffff0000, v5
	v_and_b32_e32 v10, 0xffff0000, v11
	s_delay_alu instid0(VALU_DEP_3) | instskip(SKIP_1) | instid1(VALU_DEP_4)
	v_fmac_f32_e32 v8, v4, v0
	v_lshlrev_b32_e32 v0, 16, v5
	v_dual_mul_f32 v4, v12, v20 :: v_dual_lshlrev_b32 v5, 16, v11
	v_and_b32_e32 v11, 0xffff0000, v6
	v_and_b32_e32 v12, 0xffff0000, v3
	v_dual_add_f32 v8, v13, v8 :: v_dual_lshlrev_b32 v3, 16, v3
	s_delay_alu instid0(VALU_DEP_4) | instskip(NEXT) | instid1(VALU_DEP_4)
	v_fmac_f32_e32 v4, v0, v1
	v_dual_mul_f32 v1, v11, v16 :: v_dual_lshlrev_b32 v0, 16, v6
	v_and_b32_e32 v6, 0xffff0000, v7
	v_mul_f32_e32 v10, v10, v12
	s_delay_alu instid0(VALU_DEP_4) | instskip(NEXT) | instid1(VALU_DEP_4)
	v_add_f32_e32 v4, v8, v4
	v_dual_fmac_f32 v1, v0, v2 :: v_dual_lshlrev_b32 v0, 16, v7
	s_delay_alu instid0(VALU_DEP_4) | instskip(SKIP_1) | instid1(VALU_DEP_3)
	v_mul_f32_e32 v2, v6, v12
	v_add_f32_e32 v6, v9, v15
	v_dual_fmac_f32 v10, v5, v3 :: v_dual_add_f32 v1, v4, v1
	s_delay_alu instid0(VALU_DEP_1) | instskip(NEXT) | instid1(VALU_DEP_1)
	v_dual_fmac_f32 v2, v0, v3 :: v_dual_add_f32 v61, v6, v10
	v_add_f32_e32 v60, v1, v2
.LBB190_13:                             ;   in Loop: Header=BB190_14 Depth=2
	s_or_b32 exec_lo, exec_lo, s2
	s_addk_i32 s31, 0x400
	s_delay_alu instid0(SALU_CYCLE_1)
	s_cmp_ge_u32 s31, s16
	s_cbranch_scc1 .LBB190_28
.LBB190_14:                             ;   Parent Loop BB190_7 Depth=1
                                        ; =>  This Loop Header: Depth=2
                                        ;       Child Loop BB190_19 Depth 3
	s_cmp_eq_u32 s31, 0
	s_cselect_b32 s33, -1, 0
	s_add_i32 s2, s30, s15
	s_delay_alu instid0(SALU_CYCLE_1) | instskip(SKIP_1) | instid1(SALU_CYCLE_1)
	s_cmp_eq_u32 s31, s2
	s_cselect_b32 s34, -1, 0
	s_or_b32 s34, s33, s34
	s_delay_alu instid0(SALU_CYCLE_1)
	s_and_not1_b32 vcc_lo, exec_lo, s34
	s_cbranch_vccz .LBB190_16
; %bb.15:                               ;   in Loop: Header=BB190_14 Depth=2
	s_and_saveexec_b32 s2, s1
	s_cbranch_execz .LBB190_13
	s_branch .LBB190_23
.LBB190_16:                             ;   in Loop: Header=BB190_14 Depth=2
	s_and_b32 s33, s33, exec_lo
	s_cselect_b32 s30, s30, s2
	s_and_not1_b32 vcc_lo, exec_lo, s23
	s_waitcnt vmcnt(0)
	s_waitcnt_vscnt null, 0x0
	s_barrier
	buffer_gl0_inv
	s_cbranch_vccnz .LBB190_22
; %bb.17:                               ;   in Loop: Header=BB190_14 Depth=2
	v_add_nc_u32_e32 v0, s30, v55
	v_dual_mov_b32 v2, v54 :: v_dual_add_nc_u32 v1, s30, v53
	s_mov_b32 s33, 0
	s_mov_b32 s34, 0
                                        ; implicit-def: $sgpr35
	s_set_inst_prefetch_distance 0x1
	s_branch .LBB190_19
	.p2align	6
.LBB190_18:                             ;   in Loop: Header=BB190_19 Depth=3
	s_or_b32 exec_lo, exec_lo, s2
	s_delay_alu instid0(SALU_CYCLE_1) | instskip(NEXT) | instid1(SALU_CYCLE_1)
	s_and_b32 s2, exec_lo, s35
	s_or_b32 s33, s2, s33
	s_delay_alu instid0(SALU_CYCLE_1)
	s_and_not1_b32 exec_lo, exec_lo, s33
	s_cbranch_execz .LBB190_21
.LBB190_19:                             ;   Parent Loop BB190_7 Depth=1
                                        ;     Parent Loop BB190_14 Depth=2
                                        ; =>    This Inner Loop Header: Depth=3
	v_add_nc_u32_e32 v49, s34, v1
	v_add_nc_u32_e32 v3, s34, v53
	s_or_b32 s35, s35, exec_lo
	s_delay_alu instid0(VALU_DEP_2) | instskip(NEXT) | instid1(VALU_DEP_2)
	v_cmp_gt_u32_e32 vcc_lo, s18, v49
	v_cmp_gt_u32_e64 s2, s15, v3
	s_delay_alu instid0(VALU_DEP_1) | instskip(NEXT) | instid1(SALU_CYCLE_1)
	s_and_b32 s36, s2, vcc_lo
	s_and_saveexec_b32 s2, s36
	s_cbranch_execz .LBB190_18
; %bb.20:                               ;   in Loop: Header=BB190_19 Depth=3
	v_lshlrev_b64 v[3:4], 1, v[49:50]
	v_add_nc_u32_e32 v49, s34, v0
	s_add_i32 s34, s34, s24
	v_add_nc_u32_e32 v11, s29, v2
	s_cmp_ge_u32 s34, s15
	s_delay_alu instid0(VALU_DEP_2) | instskip(SKIP_3) | instid1(VALU_DEP_3)
	v_lshlrev_b64 v[7:8], 1, v[49:50]
	v_add_co_u32 v3, vcc_lo, s8, v3
	v_add_co_ci_u32_e32 v4, vcc_lo, s9, v4, vcc_lo
	s_cselect_b32 s36, -1, 0
	v_add_co_u32 v7, vcc_lo, s8, v7
	global_load_b128 v[3:6], v[3:4], off
	v_add_co_ci_u32_e32 v8, vcc_lo, s9, v8, vcc_lo
	s_and_not1_b32 s35, s35, exec_lo
	s_and_b32 s36, s36, exec_lo
	global_load_b128 v[7:10], v[7:8], off
	s_or_b32 s35, s35, s36
	s_waitcnt vmcnt(1)
	ds_store_b128 v2, v[3:6]
	v_add_nc_u32_e32 v2, s20, v2
	s_waitcnt vmcnt(0)
	ds_store_2addr_b64 v11, v[7:8], v[9:10] offset1:1
	s_branch .LBB190_18
.LBB190_21:                             ;   in Loop: Header=BB190_14 Depth=2
	s_set_inst_prefetch_distance 0x2
	s_or_b32 exec_lo, exec_lo, s33
.LBB190_22:                             ;   in Loop: Header=BB190_14 Depth=2
	s_waitcnt lgkmcnt(0)
	s_barrier
	buffer_gl0_inv
	s_and_saveexec_b32 s2, s1
	s_cbranch_execz .LBB190_13
.LBB190_23:                             ;   in Loop: Header=BB190_14 Depth=2
	v_dual_mov_b32 v11, 0 :: v_dual_add_nc_u32 v64, s31, v52
	v_dual_mov_b32 v10, 0 :: v_dual_mov_b32 v9, 0
	v_mov_b32_e32 v8, 0
	s_delay_alu instid0(VALU_DEP_3)
	v_min_u32_e32 v49, s25, v64
	v_add_nc_u32_e32 v65, 0x100, v64
	v_add_nc_u32_e32 v63, 0x200, v64
	v_dual_mov_b32 v19, 0 :: v_dual_add_nc_u32 v62, 0x300, v64
	v_mov_b32_e32 v18, 0
	v_lshlrev_b64 v[0:1], 1, v[49:50]
	v_min_u32_e32 v49, s25, v65
	v_dual_mov_b32 v17, 0 :: v_dual_mov_b32 v16, 0
	v_dual_mov_b32 v23, 0 :: v_dual_mov_b32 v22, 0
	s_waitcnt vmcnt(0)
	s_delay_alu instid0(VALU_DEP_3) | instskip(SKIP_3) | instid1(VALU_DEP_3)
	v_lshlrev_b64 v[2:3], 1, v[49:50]
	v_min_u32_e32 v49, s25, v63
	v_add_co_u32 v0, vcc_lo, v58, v0
	v_add_co_ci_u32_e32 v1, vcc_lo, v59, v1, vcc_lo
	v_lshlrev_b64 v[4:5], 1, v[49:50]
	v_min_u32_e32 v49, s25, v62
	v_add_co_u32 v2, vcc_lo, v58, v2
	v_add_co_ci_u32_e32 v3, vcc_lo, v59, v3, vcc_lo
	s_delay_alu instid0(VALU_DEP_3) | instskip(SKIP_3) | instid1(VALU_DEP_4)
	v_lshlrev_b64 v[6:7], 1, v[49:50]
	v_add_co_u32 v4, vcc_lo, v58, v4
	v_add_co_ci_u32_e32 v5, vcc_lo, v59, v5, vcc_lo
	v_dual_mov_b32 v21, 0 :: v_dual_mov_b32 v20, 0
	v_add_co_u32 v6, vcc_lo, v58, v6
	v_add_co_ci_u32_e32 v7, vcc_lo, v59, v7, vcc_lo
	s_clause 0x3
	global_load_b128 v[36:39], v[0:1], off slc dlc
	global_load_b128 v[24:27], v[2:3], off slc dlc
	;; [unrolled: 1-line block ×4, first 2 shown]
	v_mov_b32_e32 v7, 0
	v_cmp_gt_u32_e32 vcc_lo, s16, v64
	v_dual_mov_b32 v6, 0 :: v_dual_mov_b32 v5, 0
	v_dual_mov_b32 v4, 0 :: v_dual_mov_b32 v31, 0
	;; [unrolled: 1-line block ×9, first 2 shown]
	v_mov_b32_e32 v44, 0
	s_and_saveexec_b32 s33, vcc_lo
	s_cbranch_execz .LBB190_12
; %bb.24:                               ;   in Loop: Header=BB190_14 Depth=2
	v_subrev_nc_u32_e32 v4, s30, v64
	v_mov_b32_e32 v32, 0
	v_cmp_gt_u32_e32 vcc_lo, s16, v65
	v_dual_mov_b32 v33, 0 :: v_dual_mov_b32 v34, 0
	s_delay_alu instid0(VALU_DEP_4) | instskip(SKIP_2) | instid1(VALU_DEP_3)
	v_lshlrev_b32_e32 v49, 1, v4
	v_dual_mov_b32 v35, 0 :: v_dual_mov_b32 v28, 0
	v_dual_mov_b32 v29, 0 :: v_dual_mov_b32 v30, 0
	v_lshl_add_u32 v64, s15, 1, v49
	v_dual_mov_b32 v31, 0 :: v_dual_mov_b32 v20, 0
	v_dual_mov_b32 v21, 0 :: v_dual_mov_b32 v22, 0
	ds_load_b128 v[44:47], v49
	ds_load_b128 v[40:43], v64
	v_dual_mov_b32 v23, 0 :: v_dual_mov_b32 v16, 0
	v_dual_mov_b32 v17, 0 :: v_dual_mov_b32 v18, 0
	;; [unrolled: 1-line block ×6, first 2 shown]
	v_mov_b32_e32 v7, 0
	s_and_saveexec_b32 s34, vcc_lo
	s_cbranch_execz .LBB190_11
; %bb.25:                               ;   in Loop: Header=BB190_14 Depth=2
	ds_load_b128 v[32:35], v49 offset:512
	ds_load_b128 v[28:31], v64 offset:512
	v_dual_mov_b32 v20, 0 :: v_dual_mov_b32 v21, 0
	v_dual_mov_b32 v22, 0 :: v_dual_mov_b32 v23, 0
	v_dual_mov_b32 v16, 0 :: v_dual_mov_b32 v17, 0
	v_dual_mov_b32 v18, 0 :: v_dual_mov_b32 v19, 0
	v_dual_mov_b32 v8, 0 :: v_dual_mov_b32 v9, 0
	v_dual_mov_b32 v10, 0 :: v_dual_mov_b32 v11, 0
	v_dual_mov_b32 v4, 0 :: v_dual_mov_b32 v5, 0
	v_dual_mov_b32 v6, 0 :: v_dual_mov_b32 v7, 0
	s_mov_b32 s35, exec_lo
	v_cmpx_gt_u32_e64 s16, v63
	s_cbranch_execz .LBB190_10
; %bb.26:                               ;   in Loop: Header=BB190_14 Depth=2
	ds_load_b128 v[20:23], v49 offset:1024
	ds_load_b128 v[16:19], v64 offset:1024
	v_dual_mov_b32 v8, 0 :: v_dual_mov_b32 v9, 0
	v_dual_mov_b32 v10, 0 :: v_dual_mov_b32 v11, 0
	;; [unrolled: 1-line block ×4, first 2 shown]
	s_mov_b32 s36, exec_lo
	v_cmpx_gt_u32_e64 s16, v62
	s_cbranch_execz .LBB190_9
; %bb.27:                               ;   in Loop: Header=BB190_14 Depth=2
	ds_load_b128 v[8:11], v49 offset:1536
	ds_load_b128 v[4:7], v64 offset:1536
	s_branch .LBB190_9
.LBB190_28:                             ;   in Loop: Header=BB190_7 Depth=1
	s_mov_b32 s1, exec_lo
                                        ; implicit-def: $vgpr0
	v_cmpx_le_u32_e64 s19, v48
	s_xor_b32 s1, exec_lo, s1
; %bb.29:                               ;   in Loop: Header=BB190_7 Depth=1
	v_add_nc_u32_e32 v0, s21, v48
                                        ; implicit-def: $vgpr48
                                        ; implicit-def: $vgpr61
                                        ; implicit-def: $vgpr60
; %bb.30:                               ;   in Loop: Header=BB190_7 Depth=1
	s_and_not1_saveexec_b32 s2, s1
	s_cbranch_execz .LBB190_6
; %bb.31:                               ;   in Loop: Header=BB190_7 Depth=1
	v_cvt_i32_f32_e32 v0, v61
	v_cvt_i32_f32_e32 v1, v60
	s_delay_alu instid0(VALU_DEP_2) | instskip(NEXT) | instid1(VALU_DEP_2)
	v_cvt_f32_i32_dpp v0, v0 row_shr:8 row_mask:0xf bank_mask:0xf bound_ctrl:1
	v_cvt_f32_i32_dpp v1, v1 row_shr:8 row_mask:0xf bank_mask:0xf bound_ctrl:1
	s_delay_alu instid0(VALU_DEP_1) | instskip(SKIP_1) | instid1(VALU_DEP_1)
	v_dual_add_f32 v0, v61, v0 :: v_dual_add_f32 v1, v60, v1
	s_waitcnt vmcnt(0)
	v_cvt_i32_f32_e32 v2, v0
	s_delay_alu instid0(VALU_DEP_2) | instskip(NEXT) | instid1(VALU_DEP_2)
	v_cvt_i32_f32_e32 v3, v1
	v_cvt_f32_i32_dpp v2, v2 row_shr:4 row_mask:0xf bank_mask:0xf bound_ctrl:1
	s_delay_alu instid0(VALU_DEP_2) | instskip(NEXT) | instid1(VALU_DEP_1)
	v_cvt_f32_i32_dpp v3, v3 row_shr:4 row_mask:0xf bank_mask:0xf bound_ctrl:1
	v_dual_add_f32 v0, v0, v2 :: v_dual_add_f32 v1, v1, v3
	s_delay_alu instid0(VALU_DEP_1) | instskip(NEXT) | instid1(VALU_DEP_2)
	v_cvt_i32_f32_e32 v2, v0
	v_cvt_i32_f32_e32 v3, v1
	s_delay_alu instid0(VALU_DEP_2) | instskip(NEXT) | instid1(VALU_DEP_2)
	v_cvt_f32_i32_dpp v2, v2 row_shr:2 row_mask:0xf bank_mask:0xf bound_ctrl:1
	v_cvt_f32_i32_dpp v3, v3 row_shr:2 row_mask:0xf bank_mask:0xf bound_ctrl:1
	s_delay_alu instid0(VALU_DEP_1) | instskip(SKIP_1) | instid1(VALU_DEP_2)
	v_dual_add_f32 v0, v0, v2 :: v_dual_add_f32 v1, v1, v3
	v_xor_b32_e32 v2, 16, v57
	v_cvt_i32_f32_e32 v3, v0
	s_delay_alu instid0(VALU_DEP_3) | instskip(NEXT) | instid1(VALU_DEP_3)
	v_cvt_i32_f32_e32 v4, v1
	v_cmp_gt_i32_e32 vcc_lo, 32, v2
	s_delay_alu instid0(VALU_DEP_3) | instskip(NEXT) | instid1(VALU_DEP_3)
	v_cvt_f32_i32_dpp v3, v3 row_shr:1 row_mask:0xf bank_mask:0xf bound_ctrl:1
	v_cvt_f32_i32_dpp v4, v4 row_shr:1 row_mask:0xf bank_mask:0xf bound_ctrl:1
	s_delay_alu instid0(VALU_DEP_2) | instskip(NEXT) | instid1(VALU_DEP_2)
	v_dual_cndmask_b32 v2, v57, v2 :: v_dual_add_f32 v3, v0, v3
	v_add_f32_e32 v0, v1, v4
	s_delay_alu instid0(VALU_DEP_2)
	v_lshlrev_b32_e32 v2, 2, v2
	ds_bpermute_b32 v4, v2, v3
	ds_bpermute_b32 v1, v2, v0
	s_and_saveexec_b32 s1, s0
	s_cbranch_execz .LBB190_44
; %bb.32:                               ;   in Loop: Header=BB190_7 Depth=1
	v_dual_mov_b32 v2, 0 :: v_dual_mov_b32 v5, 0
	s_and_not1_b32 vcc_lo, exec_lo, s27
	s_cbranch_vccnz .LBB190_34
; %bb.33:                               ;   in Loop: Header=BB190_7 Depth=1
	v_mul_hi_u32 v2, v48, v56
	s_delay_alu instid0(VALU_DEP_1) | instskip(NEXT) | instid1(VALU_DEP_1)
	v_mul_lo_u32 v2, v2, s4
	v_sub_nc_u32_e32 v2, v48, v2
	s_delay_alu instid0(VALU_DEP_1) | instskip(SKIP_1) | instid1(VALU_DEP_2)
	v_subrev_nc_u32_e32 v5, s4, v2
	v_cmp_le_u32_e32 vcc_lo, s4, v2
	v_cndmask_b32_e32 v2, v2, v5, vcc_lo
	s_delay_alu instid0(VALU_DEP_1) | instskip(SKIP_1) | instid1(VALU_DEP_2)
	v_subrev_nc_u32_e32 v5, s4, v2
	v_cmp_le_u32_e32 vcc_lo, s4, v2
	v_cndmask_b32_e32 v49, v2, v5, vcc_lo
	s_delay_alu instid0(VALU_DEP_1) | instskip(SKIP_1) | instid1(VALU_DEP_1)
	v_lshlrev_b64 v[5:6], 1, v[49:50]
	v_add_nc_u32_e32 v49, s28, v49
	v_lshlrev_b64 v[7:8], 1, v[49:50]
	s_delay_alu instid0(VALU_DEP_3) | instskip(NEXT) | instid1(VALU_DEP_4)
	v_add_co_u32 v5, vcc_lo, s10, v5
	v_add_co_ci_u32_e32 v6, vcc_lo, s11, v6, vcc_lo
	s_delay_alu instid0(VALU_DEP_3) | instskip(NEXT) | instid1(VALU_DEP_4)
	v_add_co_u32 v7, vcc_lo, s10, v7
	v_add_co_ci_u32_e32 v8, vcc_lo, s11, v8, vcc_lo
	s_clause 0x1
	global_load_u16 v5, v[5:6], off
	global_load_u16 v2, v[7:8], off
.LBB190_34:                             ;   in Loop: Header=BB190_7 Depth=1
	v_cmp_ne_u32_e32 vcc_lo, 0, v51
	s_and_b32 exec_lo, exec_lo, vcc_lo
	s_cbranch_execz .LBB190_44
; %bb.35:                               ;   in Loop: Header=BB190_7 Depth=1
	s_waitcnt vmcnt(1) lgkmcnt(1)
	v_dual_add_f32 v3, v3, v4 :: v_dual_lshlrev_b32 v4, 16, v5
	s_delay_alu instid0(VALU_DEP_1) | instskip(NEXT) | instid1(VALU_DEP_1)
	v_add_f32_e32 v4, v3, v4
	v_and_b32_e32 v3, 0x7f800000, v4
	s_delay_alu instid0(VALU_DEP_1) | instskip(SKIP_1) | instid1(SALU_CYCLE_1)
	v_cmp_ne_u32_e32 vcc_lo, 0x7f800000, v3
                                        ; implicit-def: $vgpr3
	s_and_saveexec_b32 s30, vcc_lo
	s_xor_b32 s30, exec_lo, s30
; %bb.36:                               ;   in Loop: Header=BB190_7 Depth=1
	v_bfe_u32 v3, v4, 16, 1
	s_delay_alu instid0(VALU_DEP_1)
	v_add3_u32 v3, v4, v3, 0x7fff
                                        ; implicit-def: $vgpr4
; %bb.37:                               ;   in Loop: Header=BB190_7 Depth=1
	s_and_not1_saveexec_b32 s30, s30
; %bb.38:                               ;   in Loop: Header=BB190_7 Depth=1
	v_and_b32_e32 v3, 0xffff, v4
	v_or_b32_e32 v5, 0x10000, v4
	s_delay_alu instid0(VALU_DEP_2) | instskip(NEXT) | instid1(VALU_DEP_2)
	v_cmp_eq_u32_e32 vcc_lo, 0, v3
	v_cndmask_b32_e32 v3, v5, v4, vcc_lo
; %bb.39:                               ;   in Loop: Header=BB190_7 Depth=1
	s_or_b32 exec_lo, exec_lo, s30
	s_waitcnt vmcnt(0) lgkmcnt(0)
	v_dual_add_f32 v0, v0, v1 :: v_dual_lshlrev_b32 v1, 16, v2
	s_delay_alu instid0(VALU_DEP_1) | instskip(NEXT) | instid1(VALU_DEP_1)
	v_add_f32_e32 v1, v0, v1
	v_dual_mov_b32 v49, v50 :: v_dual_and_b32 v0, 0x7f800000, v1
	s_delay_alu instid0(VALU_DEP_1) | instskip(NEXT) | instid1(VALU_DEP_1)
	v_lshlrev_b64 v[4:5], 1, v[48:49]
	v_add_co_u32 v4, vcc_lo, s12, v4
	s_delay_alu instid0(VALU_DEP_2) | instskip(NEXT) | instid1(VALU_DEP_4)
	v_add_co_ci_u32_e32 v5, vcc_lo, s13, v5, vcc_lo
	v_cmp_ne_u32_e32 vcc_lo, 0x7f800000, v0
                                        ; implicit-def: $vgpr0
	global_store_d16_hi_b16 v[4:5], v3, off
	s_and_saveexec_b32 s30, vcc_lo
	s_delay_alu instid0(SALU_CYCLE_1)
	s_xor_b32 s30, exec_lo, s30
; %bb.40:                               ;   in Loop: Header=BB190_7 Depth=1
	v_bfe_u32 v0, v1, 16, 1
	s_delay_alu instid0(VALU_DEP_1)
	v_add3_u32 v0, v1, v0, 0x7fff
                                        ; implicit-def: $vgpr1
; %bb.41:                               ;   in Loop: Header=BB190_7 Depth=1
	s_and_not1_saveexec_b32 s30, s30
; %bb.42:                               ;   in Loop: Header=BB190_7 Depth=1
	v_and_b32_e32 v0, 0xffff, v1
	v_or_b32_e32 v2, 0x10000, v1
	s_delay_alu instid0(VALU_DEP_2) | instskip(NEXT) | instid1(VALU_DEP_2)
	v_cmp_eq_u32_e32 vcc_lo, 0, v0
	v_cndmask_b32_e32 v0, v2, v1, vcc_lo
; %bb.43:                               ;   in Loop: Header=BB190_7 Depth=1
	s_or_b32 exec_lo, exec_lo, s30
	v_add_nc_u32_e32 v49, s19, v48
	s_delay_alu instid0(VALU_DEP_1) | instskip(NEXT) | instid1(VALU_DEP_1)
	v_lshlrev_b64 v[1:2], 1, v[49:50]
	v_add_co_u32 v1, vcc_lo, s12, v1
	s_delay_alu instid0(VALU_DEP_2)
	v_add_co_ci_u32_e32 v2, vcc_lo, s13, v2, vcc_lo
	global_store_d16_hi_b16 v[1:2], v0, off
.LBB190_44:                             ;   in Loop: Header=BB190_7 Depth=1
	s_or_b32 exec_lo, exec_lo, s1
	v_add_nc_u32_e32 v0, s21, v48
	s_waitcnt lgkmcnt(0)
	s_delay_alu instid0(VALU_DEP_1) | instskip(SKIP_1) | instid1(VALU_DEP_2)
	v_add_nc_u32_e32 v1, 1, v0
	v_cmp_gt_u32_e32 vcc_lo, s19, v0
	v_cmp_le_u32_e64 s1, s19, v1
	s_delay_alu instid0(VALU_DEP_1) | instskip(NEXT) | instid1(SALU_CYCLE_1)
	s_and_b32 s30, vcc_lo, s1
	s_and_saveexec_b32 s1, s30
	s_cbranch_execz .LBB190_5
; %bb.45:                               ;   in Loop: Header=BB190_7 Depth=1
	v_add_nc_u32_e32 v0, s5, v48
	s_delay_alu instid0(VALU_DEP_1)
	v_cmp_eq_u32_e32 vcc_lo, 1, v0
	v_dual_mov_b32 v0, s26 :: v_dual_cndmask_b32 v51, 0, v51
	s_branch .LBB190_5
.LBB190_46:
	s_nop 0
	s_sendmsg sendmsg(MSG_DEALLOC_VGPRS)
	s_endpgm
	.section	.rodata,"a",@progbits
	.p2align	6, 0x0
	.amdhsa_kernel _Z16wvSplitK_hf_big_I14__hip_bfloat16Li32ELi1ELi16ELi8ELi4ELi2EEviiiiiiPKT_S3_S3_PS1_ii
		.amdhsa_group_segment_fixed_size 65536
		.amdhsa_private_segment_fixed_size 0
		.amdhsa_kernarg_size 64
		.amdhsa_user_sgpr_count 15
		.amdhsa_user_sgpr_dispatch_ptr 0
		.amdhsa_user_sgpr_queue_ptr 0
		.amdhsa_user_sgpr_kernarg_segment_ptr 1
		.amdhsa_user_sgpr_dispatch_id 0
		.amdhsa_user_sgpr_private_segment_size 0
		.amdhsa_wavefront_size32 1
		.amdhsa_uses_dynamic_stack 0
		.amdhsa_enable_private_segment 0
		.amdhsa_system_sgpr_workgroup_id_x 1
		.amdhsa_system_sgpr_workgroup_id_y 0
		.amdhsa_system_sgpr_workgroup_id_z 0
		.amdhsa_system_sgpr_workgroup_info 0
		.amdhsa_system_vgpr_workitem_id 1
		.amdhsa_next_free_vgpr 66
		.amdhsa_next_free_sgpr 37
		.amdhsa_reserve_vcc 1
		.amdhsa_float_round_mode_32 0
		.amdhsa_float_round_mode_16_64 0
		.amdhsa_float_denorm_mode_32 3
		.amdhsa_float_denorm_mode_16_64 3
		.amdhsa_dx10_clamp 1
		.amdhsa_ieee_mode 1
		.amdhsa_fp16_overflow 0
		.amdhsa_workgroup_processor_mode 1
		.amdhsa_memory_ordered 1
		.amdhsa_forward_progress 0
		.amdhsa_shared_vgpr_count 0
		.amdhsa_exception_fp_ieee_invalid_op 0
		.amdhsa_exception_fp_denorm_src 0
		.amdhsa_exception_fp_ieee_div_zero 0
		.amdhsa_exception_fp_ieee_overflow 0
		.amdhsa_exception_fp_ieee_underflow 0
		.amdhsa_exception_fp_ieee_inexact 0
		.amdhsa_exception_int_div_zero 0
	.end_amdhsa_kernel
	.section	.text._Z16wvSplitK_hf_big_I14__hip_bfloat16Li32ELi1ELi16ELi8ELi4ELi2EEviiiiiiPKT_S3_S3_PS1_ii,"axG",@progbits,_Z16wvSplitK_hf_big_I14__hip_bfloat16Li32ELi1ELi16ELi8ELi4ELi2EEviiiiiiPKT_S3_S3_PS1_ii,comdat
.Lfunc_end190:
	.size	_Z16wvSplitK_hf_big_I14__hip_bfloat16Li32ELi1ELi16ELi8ELi4ELi2EEviiiiiiPKT_S3_S3_PS1_ii, .Lfunc_end190-_Z16wvSplitK_hf_big_I14__hip_bfloat16Li32ELi1ELi16ELi8ELi4ELi2EEviiiiiiPKT_S3_S3_PS1_ii
                                        ; -- End function
	.section	.AMDGPU.csdata,"",@progbits
; Kernel info:
; codeLenInByte = 3592
; NumSgprs: 39
; NumVgprs: 66
; ScratchSize: 0
; MemoryBound: 0
; FloatMode: 240
; IeeeMode: 1
; LDSByteSize: 65536 bytes/workgroup (compile time only)
; SGPRBlocks: 4
; VGPRBlocks: 8
; NumSGPRsForWavesPerEU: 39
; NumVGPRsForWavesPerEU: 66
; Occupancy: 8
; WaveLimiterHint : 0
; COMPUTE_PGM_RSRC2:SCRATCH_EN: 0
; COMPUTE_PGM_RSRC2:USER_SGPR: 15
; COMPUTE_PGM_RSRC2:TRAP_HANDLER: 0
; COMPUTE_PGM_RSRC2:TGID_X_EN: 1
; COMPUTE_PGM_RSRC2:TGID_Y_EN: 0
; COMPUTE_PGM_RSRC2:TGID_Z_EN: 0
; COMPUTE_PGM_RSRC2:TIDIG_COMP_CNT: 1
	.section	.text._Z16wvSplitK_hf_sml_I14__hip_bfloat16Li32ELi2ELi16ELi8ELi2ELi2EEviiiiiiPKT_S3_S3_PS1_ii,"axG",@progbits,_Z16wvSplitK_hf_sml_I14__hip_bfloat16Li32ELi2ELi16ELi8ELi2ELi2EEviiiiiiPKT_S3_S3_PS1_ii,comdat
	.protected	_Z16wvSplitK_hf_sml_I14__hip_bfloat16Li32ELi2ELi16ELi8ELi2ELi2EEviiiiiiPKT_S3_S3_PS1_ii ; -- Begin function _Z16wvSplitK_hf_sml_I14__hip_bfloat16Li32ELi2ELi16ELi8ELi2ELi2EEviiiiiiPKT_S3_S3_PS1_ii
	.globl	_Z16wvSplitK_hf_sml_I14__hip_bfloat16Li32ELi2ELi16ELi8ELi2ELi2EEviiiiiiPKT_S3_S3_PS1_ii
	.p2align	8
	.type	_Z16wvSplitK_hf_sml_I14__hip_bfloat16Li32ELi2ELi16ELi8ELi2ELi2EEviiiiiiPKT_S3_S3_PS1_ii,@function
_Z16wvSplitK_hf_sml_I14__hip_bfloat16Li32ELi2ELi16ELi8ELi2ELi2EEviiiiiiPKT_S3_S3_PS1_ii: ; @_Z16wvSplitK_hf_sml_I14__hip_bfloat16Li32ELi2ELi16ELi8ELi2ELi2EEviiiiiiPKT_S3_S3_PS1_ii
; %bb.0:
	s_load_b128 s[4:7], s[0:1], 0x0
	v_and_b32_e32 v1, 0x3ff, v0
	v_bfe_u32 v0, v0, 10, 10
	s_mov_b32 s8, exec_lo
	s_delay_alu instid0(VALU_DEP_2) | instskip(NEXT) | instid1(VALU_DEP_1)
	v_lshlrev_b32_e32 v39, 3, v1
	v_lshl_add_u32 v3, v0, 8, v39
	s_waitcnt lgkmcnt(0)
	s_lshl_b32 s6, s6, 1
	s_delay_alu instid0(SALU_CYCLE_1)
	s_min_u32 s9, s6, 0x8000
	s_delay_alu instid0(VALU_DEP_1) | instid1(SALU_CYCLE_1)
	v_cmpx_gt_u32_e64 s9, v3
	s_cbranch_execz .LBB191_9
; %bb.1:
	s_load_b64 s[2:3], s[0:1], 0x20
	v_lshlrev_b32_e32 v2, 1, v3
	v_add_nc_u32_e32 v8, 0x1000, v3
	s_mov_b32 s10, exec_lo
	s_waitcnt lgkmcnt(0)
	global_load_b128 v[4:7], v2, s[2:3]
	s_waitcnt vmcnt(0)
	ds_store_b128 v2, v[4:7]
	v_cmpx_gt_u32_e64 s9, v8
	s_xor_b32 s10, exec_lo, s10
	s_cbranch_execz .LBB191_9
; %bb.2:
	v_add_co_u32 v4, s2, s2, v2
	s_delay_alu instid0(VALU_DEP_1) | instskip(SKIP_1) | instid1(VALU_DEP_3)
	v_add_co_ci_u32_e64 v5, null, s3, 0, s2
	v_add_nc_u32_e32 v10, 0x2000, v3
	v_add_co_u32 v6, vcc_lo, 0x2000, v4
	s_delay_alu instid0(VALU_DEP_3)
	v_add_co_ci_u32_e32 v7, vcc_lo, 0, v5, vcc_lo
	s_mov_b32 s2, exec_lo
	global_load_b128 v[6:9], v[6:7], off
	s_waitcnt vmcnt(0)
	ds_store_b128 v2, v[6:9] offset:8192
	v_cmpx_gt_u32_e64 s9, v10
	s_xor_b32 s2, exec_lo, s2
	s_cbranch_execz .LBB191_9
; %bb.3:
	v_add_co_u32 v6, vcc_lo, 0x4000, v4
	v_add_co_ci_u32_e32 v7, vcc_lo, 0, v5, vcc_lo
	v_add_nc_u32_e32 v10, 0x3000, v3
	s_mov_b32 s2, exec_lo
	global_load_b128 v[6:9], v[6:7], off
	s_waitcnt vmcnt(0)
	ds_store_b128 v2, v[6:9] offset:16384
	v_cmpx_gt_u32_e64 s9, v10
	s_xor_b32 s2, exec_lo, s2
	s_cbranch_execz .LBB191_9
; %bb.4:
	v_add_co_u32 v6, vcc_lo, 0x6000, v4
	v_add_co_ci_u32_e32 v7, vcc_lo, 0, v5, vcc_lo
	v_add_nc_u32_e32 v10, 0x4000, v3
	;; [unrolled: 11-line block ×5, first 2 shown]
	s_mov_b32 s2, exec_lo
	global_load_b128 v[6:9], v[6:7], off
	s_waitcnt vmcnt(0)
	ds_store_b128 v2, v[6:9] offset:49152
	v_cmpx_gt_u32_e64 s9, v3
	s_xor_b32 s2, exec_lo, s2
	s_cbranch_execz .LBB191_9
; %bb.8:
	v_add_co_u32 v3, vcc_lo, 0xe000, v4
	v_add_co_ci_u32_e32 v4, vcc_lo, 0, v5, vcc_lo
	global_load_b128 v[3:6], v[3:4], off
	s_waitcnt vmcnt(0)
	ds_store_b128 v2, v[3:6] offset:57344
.LBB191_9:
	s_or_b32 exec_lo, exec_lo, s8
	s_load_b64 s[16:17], s[0:1], 0x38
	s_waitcnt lgkmcnt(0)
	s_barrier
	buffer_gl0_inv
	s_mov_b32 s2, exec_lo
	v_cmpx_gt_u32_e64 s16, v0
	s_cbranch_execz .LBB191_40
; %bb.10:
	s_load_b64 s[2:3], s[0:1], 0x10
	s_mul_i32 s15, s15, s16
	s_delay_alu instid0(SALU_CYCLE_1) | instskip(NEXT) | instid1(VALU_DEP_1)
	v_add_lshl_u32 v32, s15, v0, 1
	v_cmp_gt_u32_e32 vcc_lo, s7, v32
	s_and_b32 exec_lo, exec_lo, vcc_lo
	s_cbranch_execz .LBB191_40
; %bb.11:
	s_waitcnt lgkmcnt(0)
	v_cvt_f32_u32_e32 v0, s2
	v_mbcnt_lo_u32_b32 v2, -1, 0
	s_clause 0x1
	s_load_b128 s[8:11], s[0:1], 0x28
	s_load_b64 s[12:13], s[0:1], 0x18
	s_cmp_lg_u32 s4, 0
	v_rcp_iflag_f32_e32 v0, v0
	v_xor_b32_e32 v3, 16, v2
	s_cselect_b32 s1, -1, 0
	s_add_i32 s14, s4, -8
	s_add_i32 s15, s7, -1
	s_mul_i32 s16, s16, s17
	v_cmp_gt_i32_e32 vcc_lo, 32, v3
	v_mov_b32_e32 v34, 0
	v_lshlrev_b32_e32 v40, 4, v1
	v_cndmask_b32_e32 v2, v2, v3, vcc_lo
	s_waitcnt_depctr 0xfff
	v_dual_mul_f32 v0, 0x4f7ffffe, v0 :: v_dual_lshlrev_b32 v41, 2, v2
	s_delay_alu instid0(VALU_DEP_1)
	v_cvt_u32_f32_e32 v0, v0
	s_waitcnt lgkmcnt(0)
	s_cmp_lg_u64 s[8:9], 0
	s_cselect_b32 s18, -1, 0
	s_sub_i32 s0, 0, s2
	s_abs_i32 s3, s3
	v_mul_lo_u32 v4, s0, v0
	s_lshl_b32 s16, s16, 1
	s_sub_i32 s17, 1, s3
	s_cmp_lt_u32 s3, 2
	v_cmp_eq_u32_e64 s0, 31, v1
	s_cselect_b32 s17, s17, 1
	s_delay_alu instid0(SALU_CYCLE_1) | instskip(NEXT) | instid1(VALU_DEP_2)
	s_sub_i32 s19, s17, s3
	v_mul_hi_u32 v3, v0, v4
	s_cmp_ge_u32 s17, s3
	s_mov_b32 s3, 0
	s_cselect_b32 s17, s19, s17
	s_delay_alu instid0(SALU_CYCLE_1) | instskip(NEXT) | instid1(VALU_DEP_1)
	s_mul_i32 s17, s17, s2
	v_add_nc_u32_e32 v42, v0, v3
	s_branch .LBB191_14
.LBB191_12:                             ;   in Loop: Header=BB191_14 Depth=1
	s_or_b32 exec_lo, exec_lo, s20
	v_add_nc_u32_e32 v33, 1, v33
	s_delay_alu instid0(VALU_DEP_1) | instskip(NEXT) | instid1(VALU_DEP_1)
	v_lshlrev_b64 v[1:2], 1, v[33:34]
	v_add_co_u32 v1, vcc_lo, s10, v1
	s_delay_alu instid0(VALU_DEP_2)
	v_add_co_ci_u32_e32 v2, vcc_lo, s11, v2, vcc_lo
	global_store_d16_hi_b16 v[1:2], v0, off
.LBB191_13:                             ;   in Loop: Header=BB191_14 Depth=1
	s_or_b32 exec_lo, exec_lo, s19
	v_add_nc_u32_e32 v32, s16, v32
	s_delay_alu instid0(VALU_DEP_1) | instskip(SKIP_1) | instid1(SALU_CYCLE_1)
	v_cmp_le_u32_e32 vcc_lo, s7, v32
	s_or_b32 s3, vcc_lo, s3
	s_and_not1_b32 exec_lo, exec_lo, s3
	s_cbranch_execz .LBB191_40
.LBB191_14:                             ; =>This Loop Header: Depth=1
                                        ;     Child Loop BB191_18 Depth 2
	v_mov_b32_e32 v44, v34
	v_mov_b32_e32 v45, v34
	;; [unrolled: 1-line block ×4, first 2 shown]
	s_and_not1_b32 vcc_lo, exec_lo, s1
	s_cbranch_vccnz .LBB191_21
; %bb.15:                               ;   in Loop: Header=BB191_14 Depth=1
	v_or_b32_e32 v0, 1, v32
	s_waitcnt lgkmcnt(2)
	v_min_u32_e32 v1, s15, v32
	v_dual_mov_b32 v47, 0 :: v_dual_mov_b32 v44, 0
	v_mov_b32_e32 v43, v40
	v_min_u32_e32 v0, s15, v0
	s_delay_alu instid0(VALU_DEP_4) | instskip(SKIP_2) | instid1(VALU_DEP_4)
	v_mul_lo_u32 v33, v1, s5
	v_dual_mov_b32 v1, v34 :: v_dual_mov_b32 v46, 0
	v_mov_b32_e32 v45, 0
	v_mul_lo_u32 v0, v0, s5
	s_mov_b32 s19, 0
	s_delay_alu instid0(VALU_DEP_4) | instskip(NEXT) | instid1(VALU_DEP_2)
	v_lshlrev_b64 v[35:36], 1, v[33:34]
	v_lshlrev_b64 v[37:38], 1, v[0:1]
	s_branch .LBB191_18
.LBB191_16:                             ;   in Loop: Header=BB191_18 Depth=2
	s_or_b32 exec_lo, exec_lo, s21
.LBB191_17:                             ;   in Loop: Header=BB191_18 Depth=2
	s_delay_alu instid0(SALU_CYCLE_1)
	s_or_b32 exec_lo, exec_lo, s20
	s_waitcnt vmcnt(3)
	v_and_b32_e32 v48, 0xffff0000, v24
	s_waitcnt lgkmcnt(1)
	v_and_b32_e32 v49, 0xffff0000, v29
	v_and_b32_e32 v50, 0xffff0000, v25
	;; [unrolled: 1-line block ×5, first 2 shown]
	s_waitcnt vmcnt(2)
	v_and_b32_e32 v58, 0xffff0000, v21
	v_lshlrev_b32_e32 v29, 16, v29
	v_lshlrev_b32_e32 v21, 16, v21
	v_and_b32_e32 v53, 0xffff0000, v30
	v_lshlrev_b32_e32 v28, 16, v28
	v_and_b32_e32 v56, 0xffff0000, v27
	v_mul_f32_e32 v52, v49, v50
	v_dual_mul_f32 v51, v33, v48 :: v_dual_lshlrev_b32 v30, 16, v30
	s_delay_alu instid0(VALU_DEP_3) | instskip(SKIP_4) | instid1(VALU_DEP_2)
	v_dual_mul_f32 v57, v55, v56 :: v_dual_lshlrev_b32 v26, 16, v26
	v_lshlrev_b32_e32 v24, 16, v24
	s_addk_i32 s19, 0x200
	v_add_nc_u32_e32 v43, 0x400, v43
	s_cmp_ge_u32 s19, s4
	v_fmac_f32_e32 v51, v28, v24
	s_delay_alu instid0(VALU_DEP_1) | instskip(SKIP_1) | instid1(VALU_DEP_1)
	v_add_f32_e32 v47, v47, v51
	v_lshlrev_b32_e32 v25, 16, v25
	v_fmac_f32_e32 v52, v29, v25
	s_delay_alu instid0(VALU_DEP_1) | instskip(SKIP_2) | instid1(VALU_DEP_2)
	v_add_f32_e32 v47, v47, v52
	v_and_b32_e32 v52, 0xffff0000, v20
	v_dual_mul_f32 v51, v53, v54 :: v_dual_lshlrev_b32 v20, 16, v20
	v_mul_f32_e32 v33, v33, v52
	s_delay_alu instid0(VALU_DEP_2) | instskip(NEXT) | instid1(VALU_DEP_2)
	v_fmac_f32_e32 v51, v30, v26
	v_dual_fmac_f32 v33, v28, v20 :: v_dual_mul_f32 v28, v49, v58
	s_waitcnt lgkmcnt(0)
	v_and_b32_e32 v49, 0xffff0000, v16
	s_delay_alu instid0(VALU_DEP_3) | instskip(NEXT) | instid1(VALU_DEP_2)
	v_dual_add_f32 v47, v47, v51 :: v_dual_lshlrev_b32 v16, 16, v16
	v_dual_add_f32 v33, v46, v33 :: v_dual_mul_f32 v46, v49, v48
	s_delay_alu instid0(VALU_DEP_1) | instskip(NEXT) | instid1(VALU_DEP_1)
	v_fmac_f32_e32 v46, v16, v24
	v_dual_add_f32 v45, v45, v46 :: v_dual_and_b32 v48, 0xffff0000, v17
	s_delay_alu instid0(VALU_DEP_1) | instskip(SKIP_1) | instid1(VALU_DEP_1)
	v_dual_mul_f32 v24, v48, v50 :: v_dual_lshlrev_b32 v31, 16, v31
	v_lshlrev_b32_e32 v17, 16, v17
	v_dual_fmac_f32 v24, v17, v25 :: v_dual_lshlrev_b32 v27, 16, v27
	s_delay_alu instid0(VALU_DEP_1) | instskip(SKIP_1) | instid1(VALU_DEP_1)
	v_dual_fmac_f32 v57, v31, v27 :: v_dual_add_f32 v24, v45, v24
	v_fmac_f32_e32 v28, v29, v21
	v_dual_add_f32 v47, v47, v57 :: v_dual_add_f32 v28, v33, v28
	v_and_b32_e32 v29, 0xffff0000, v22
	s_delay_alu instid0(VALU_DEP_1) | instskip(NEXT) | instid1(VALU_DEP_1)
	v_dual_mul_f32 v51, v53, v29 :: v_dual_lshlrev_b32 v22, 16, v22
	v_fmac_f32_e32 v51, v30, v22
	v_and_b32_e32 v30, 0xffff0000, v18
	v_lshlrev_b32_e32 v18, 16, v18
	s_delay_alu instid0(VALU_DEP_2) | instskip(NEXT) | instid1(VALU_DEP_1)
	v_mul_f32_e32 v25, v30, v54
	v_fmac_f32_e32 v25, v18, v26
	v_and_b32_e32 v33, 0xffff0000, v23
	v_lshlrev_b32_e32 v23, 16, v23
	v_add_f32_e32 v26, v28, v51
	v_and_b32_e32 v28, 0xffff0000, v19
	s_delay_alu instid0(VALU_DEP_4) | instskip(NEXT) | instid1(VALU_DEP_1)
	v_dual_mul_f32 v46, v55, v33 :: v_dual_mul_f32 v45, v49, v52
	v_fmac_f32_e32 v45, v16, v20
	v_mul_f32_e32 v20, v48, v58
	s_delay_alu instid0(VALU_DEP_3) | instskip(SKIP_2) | instid1(VALU_DEP_4)
	v_fmac_f32_e32 v46, v31, v23
	v_add_f32_e32 v16, v24, v25
	v_mul_f32_e32 v24, v28, v56
	v_fmac_f32_e32 v20, v17, v21
	s_waitcnt vmcnt(1)
	v_dual_add_f32 v25, v44, v45 :: v_dual_and_b32 v44, 0xffff0000, v8
	v_lshlrev_b32_e32 v19, 16, v19
	s_delay_alu instid0(VALU_DEP_2) | instskip(NEXT) | instid1(VALU_DEP_2)
	v_dual_mul_f32 v17, v30, v29 :: v_dual_add_f32 v20, v25, v20
	v_dual_fmac_f32 v24, v19, v27 :: v_dual_and_b32 v25, 0xffff0000, v13
	v_and_b32_e32 v29, 0xffff0000, v9
	v_and_b32_e32 v31, 0xffff0000, v12
	v_lshlrev_b32_e32 v12, 16, v12
	v_dual_fmac_f32 v17, v18, v22 :: v_dual_lshlrev_b32 v8, 16, v8
	s_delay_alu instid0(VALU_DEP_3) | instskip(SKIP_2) | instid1(VALU_DEP_3)
	v_dual_mul_f32 v18, v25, v29 :: v_dual_mul_f32 v21, v31, v44
	v_mul_f32_e32 v22, v28, v33
	v_dual_add_f32 v16, v16, v24 :: v_dual_lshlrev_b32 v9, 16, v9
	v_dual_fmac_f32 v21, v12, v8 :: v_dual_and_b32 v28, 0xffff0000, v14
	v_and_b32_e32 v30, 0xffff0000, v10
	v_dual_add_f32 v17, v20, v17 :: v_dual_lshlrev_b32 v14, 16, v14
	v_fmac_f32_e32 v22, v19, v23
	s_delay_alu instid0(VALU_DEP_4)
	v_add_f32_e32 v21, v47, v21
	v_lshlrev_b32_e32 v13, 16, v13
	v_mul_f32_e32 v33, v28, v30
	s_waitcnt vmcnt(0)
	v_dual_add_f32 v19, v26, v46 :: v_dual_and_b32 v20, 0xffff0000, v0
	v_lshlrev_b32_e32 v10, 16, v10
	v_fmac_f32_e32 v18, v13, v9
	v_lshlrev_b32_e32 v0, 16, v0
	s_delay_alu instid0(VALU_DEP_2) | instskip(NEXT) | instid1(VALU_DEP_4)
	v_dual_add_f32 v18, v21, v18 :: v_dual_mul_f32 v21, v31, v20
	v_fmac_f32_e32 v33, v14, v10
	v_dual_add_f32 v17, v17, v22 :: v_dual_and_b32 v22, 0xffff0000, v15
	s_delay_alu instid0(VALU_DEP_3) | instskip(NEXT) | instid1(VALU_DEP_3)
	v_dual_fmac_f32 v21, v12, v0 :: v_dual_and_b32 v24, 0xffff0000, v11
	v_add_f32_e32 v18, v18, v33
	s_delay_alu instid0(VALU_DEP_2) | instskip(SKIP_4) | instid1(VALU_DEP_4)
	v_add_f32_e32 v19, v19, v21
	v_and_b32_e32 v21, 0xffff0000, v4
	v_and_b32_e32 v23, 0xffff0000, v1
	v_lshlrev_b32_e32 v4, 16, v4
	v_mul_f32_e32 v27, v22, v24
	v_dual_mul_f32 v26, v21, v44 :: v_dual_lshlrev_b32 v1, 16, v1
	s_delay_alu instid0(VALU_DEP_4) | instskip(NEXT) | instid1(VALU_DEP_2)
	v_dual_mul_f32 v12, v25, v23 :: v_dual_and_b32 v25, 0xffff0000, v2
	v_dual_fmac_f32 v26, v4, v8 :: v_dual_lshlrev_b32 v15, 16, v15
	v_lshlrev_b32_e32 v2, 16, v2
	s_delay_alu instid0(VALU_DEP_3) | instskip(NEXT) | instid1(VALU_DEP_4)
	v_fmac_f32_e32 v12, v13, v1
	v_mul_f32_e32 v13, v28, v25
	v_and_b32_e32 v28, 0xffff0000, v5
	v_lshlrev_b32_e32 v11, 16, v11
	s_delay_alu instid0(VALU_DEP_4) | instskip(NEXT) | instid1(VALU_DEP_4)
	v_dual_add_f32 v12, v19, v12 :: v_dual_lshlrev_b32 v5, 16, v5
	v_fmac_f32_e32 v13, v14, v2
	v_add_f32_e32 v14, v16, v26
	s_delay_alu instid0(VALU_DEP_4) | instskip(NEXT) | instid1(VALU_DEP_3)
	v_dual_mul_f32 v8, v28, v29 :: v_dual_fmac_f32 v27, v15, v11
	v_dual_add_f32 v12, v12, v13 :: v_dual_and_b32 v19, 0xffff0000, v6
	s_delay_alu instid0(VALU_DEP_2) | instskip(SKIP_3) | instid1(VALU_DEP_4)
	v_dual_fmac_f32 v8, v5, v9 :: v_dual_and_b32 v13, 0xffff0000, v3
	v_mul_f32_e32 v9, v21, v20
	v_lshlrev_b32_e32 v3, 16, v3
	v_add_f32_e32 v47, v18, v27
	v_mul_f32_e32 v16, v22, v13
	v_add_f32_e32 v8, v14, v8
	v_dual_fmac_f32 v9, v4, v0 :: v_dual_lshlrev_b32 v4, 16, v6
	v_mul_f32_e32 v0, v28, v23
	v_mul_f32_e32 v6, v19, v30
	s_delay_alu instid0(VALU_DEP_3) | instskip(SKIP_1) | instid1(VALU_DEP_4)
	v_dual_add_f32 v9, v17, v9 :: v_dual_and_b32 v14, 0xffff0000, v7
	v_fmac_f32_e32 v16, v15, v3
	v_dual_fmac_f32 v0, v5, v1 :: v_dual_lshlrev_b32 v5, 16, v7
	s_delay_alu instid0(VALU_DEP_4) | instskip(NEXT) | instid1(VALU_DEP_4)
	v_dual_mul_f32 v1, v19, v25 :: v_dual_fmac_f32 v6, v4, v10
	v_mul_f32_e32 v7, v14, v24
	s_delay_alu instid0(VALU_DEP_3) | instskip(SKIP_1) | instid1(VALU_DEP_4)
	v_add_f32_e32 v0, v9, v0
	v_add_f32_e32 v46, v12, v16
	v_dual_fmac_f32 v1, v4, v2 :: v_dual_mul_f32 v2, v14, v13
	s_delay_alu instid0(VALU_DEP_4) | instskip(NEXT) | instid1(VALU_DEP_2)
	v_dual_fmac_f32 v7, v5, v11 :: v_dual_add_f32 v4, v8, v6
	v_add_f32_e32 v0, v0, v1
	s_delay_alu instid0(VALU_DEP_3) | instskip(NEXT) | instid1(VALU_DEP_3)
	v_fmac_f32_e32 v2, v5, v3
	v_add_f32_e32 v45, v4, v7
	s_delay_alu instid0(VALU_DEP_2)
	v_add_f32_e32 v44, v0, v2
	s_cbranch_scc1 .LBB191_21
.LBB191_18:                             ;   Parent Loop BB191_14 Depth=1
                                        ; =>  This Inner Loop Header: Depth=2
	v_add_nc_u32_e32 v12, s19, v39
	v_dual_mov_b32 v14, 0 :: v_dual_mov_b32 v19, 0
	v_dual_mov_b32 v18, 0 :: v_dual_mov_b32 v31, 0
	s_delay_alu instid0(VALU_DEP_3) | instskip(SKIP_3) | instid1(VALU_DEP_4)
	v_min_u32_e32 v33, s14, v12
	v_add_nc_u32_e32 v48, 0x100, v12
	v_dual_mov_b32 v16, 0 :: v_dual_mov_b32 v29, 0
	v_mov_b32_e32 v30, 0
	v_lshlrev_b64 v[0:1], 1, v[33:34]
	s_delay_alu instid0(VALU_DEP_4)
	v_min_u32_e32 v33, s14, v48
	v_dual_mov_b32 v28, 0 :: v_dual_mov_b32 v15, 0
	v_mov_b32_e32 v13, 0
	v_mov_b32_e32 v17, 0
	v_add_co_u32 v4, vcc_lo, s12, v0
	s_waitcnt lgkmcnt(1)
	v_add_co_ci_u32_e32 v5, vcc_lo, s13, v1, vcc_lo
	v_lshlrev_b64 v[0:1], 1, v[33:34]
	s_delay_alu instid0(VALU_DEP_3) | instskip(SKIP_1) | instid1(VALU_DEP_3)
	v_add_co_u32 v2, vcc_lo, v4, v35
	s_waitcnt lgkmcnt(0)
	v_add_co_ci_u32_e32 v3, vcc_lo, v5, v36, vcc_lo
	s_delay_alu instid0(VALU_DEP_3) | instskip(NEXT) | instid1(VALU_DEP_4)
	v_add_co_u32 v6, vcc_lo, s12, v0
	v_add_co_ci_u32_e32 v7, vcc_lo, s13, v1, vcc_lo
	v_add_co_u32 v0, vcc_lo, v4, v37
	v_add_co_ci_u32_e32 v1, vcc_lo, v5, v38, vcc_lo
	s_delay_alu instid0(VALU_DEP_4) | instskip(NEXT) | instid1(VALU_DEP_4)
	v_add_co_u32 v4, vcc_lo, v6, v35
	v_add_co_ci_u32_e32 v5, vcc_lo, v7, v36, vcc_lo
	v_add_co_u32 v6, vcc_lo, v6, v37
	v_add_co_ci_u32_e32 v7, vcc_lo, v7, v38, vcc_lo
	s_clause 0x3
	global_load_b128 v[24:27], v[2:3], off slc dlc
	global_load_b128 v[20:23], v[0:1], off slc dlc
	;; [unrolled: 1-line block ×4, first 2 shown]
	v_mov_b32_e32 v7, 0
	v_cmp_gt_u32_e32 vcc_lo, s4, v12
	v_dual_mov_b32 v6, 0 :: v_dual_mov_b32 v5, 0
	v_mov_b32_e32 v4, 0
	v_mov_b32_e32 v12, 0
	s_and_saveexec_b32 s20, vcc_lo
	s_cbranch_execz .LBB191_17
; %bb.19:                               ;   in Loop: Header=BB191_18 Depth=2
	v_dual_mov_b32 v12, 0 :: v_dual_add_nc_u32 v33, s6, v43
	v_dual_mov_b32 v13, 0 :: v_dual_mov_b32 v14, 0
	ds_load_b128 v[28:31], v43
	ds_load_b128 v[16:19], v33
	v_dual_mov_b32 v15, 0 :: v_dual_mov_b32 v4, 0
	v_dual_mov_b32 v5, 0 :: v_dual_mov_b32 v6, 0
	v_mov_b32_e32 v7, 0
	s_mov_b32 s21, exec_lo
	v_cmpx_gt_u32_e64 s4, v48
	s_cbranch_execz .LBB191_16
; %bb.20:                               ;   in Loop: Header=BB191_18 Depth=2
	ds_load_b128 v[12:15], v43 offset:512
	ds_load_b128 v[4:7], v33 offset:512
	s_branch .LBB191_16
.LBB191_21:                             ;   in Loop: Header=BB191_14 Depth=1
	; sched_barrier mask(0x00000000)
	s_delay_alu instid0(VALU_DEP_1)
	v_cvt_i32_f32_e32 v0, v47
	s_waitcnt lgkmcnt(2)
	v_cvt_i32_f32_e32 v1, v46
	v_cvt_i32_f32_e32 v2, v45
	s_waitcnt lgkmcnt(0)
	v_cvt_i32_f32_e32 v3, v44
	v_cvt_f32_i32_dpp v0, v0 row_shr:8 row_mask:0xf bank_mask:0xf bound_ctrl:1
	v_cvt_f32_i32_dpp v1, v1 row_shr:8 row_mask:0xf bank_mask:0xf bound_ctrl:1
	;; [unrolled: 1-line block ×3, first 2 shown]
	s_delay_alu instid0(VALU_DEP_4) | instskip(NEXT) | instid1(VALU_DEP_3)
	v_cvt_f32_i32_dpp v3, v3 row_shr:8 row_mask:0xf bank_mask:0xf bound_ctrl:1
	v_dual_add_f32 v0, v47, v0 :: v_dual_add_f32 v1, v46, v1
	s_delay_alu instid0(VALU_DEP_2) | instskip(NEXT) | instid1(VALU_DEP_2)
	v_dual_add_f32 v2, v45, v2 :: v_dual_add_f32 v3, v44, v3
	v_cvt_i32_f32_e32 v4, v0
	s_delay_alu instid0(VALU_DEP_3) | instskip(NEXT) | instid1(VALU_DEP_3)
	v_cvt_i32_f32_e32 v5, v1
	v_cvt_i32_f32_e32 v6, v2
	s_delay_alu instid0(VALU_DEP_4) | instskip(NEXT) | instid1(VALU_DEP_4)
	v_cvt_i32_f32_e32 v7, v3
	v_cvt_f32_i32_dpp v4, v4 row_shr:4 row_mask:0xf bank_mask:0xf bound_ctrl:1
	s_delay_alu instid0(VALU_DEP_4) | instskip(NEXT) | instid1(VALU_DEP_4)
	v_cvt_f32_i32_dpp v5, v5 row_shr:4 row_mask:0xf bank_mask:0xf bound_ctrl:1
	v_cvt_f32_i32_dpp v6, v6 row_shr:4 row_mask:0xf bank_mask:0xf bound_ctrl:1
	s_delay_alu instid0(VALU_DEP_4) | instskip(NEXT) | instid1(VALU_DEP_3)
	v_cvt_f32_i32_dpp v7, v7 row_shr:4 row_mask:0xf bank_mask:0xf bound_ctrl:1
	v_dual_add_f32 v0, v0, v4 :: v_dual_add_f32 v1, v1, v5
	s_delay_alu instid0(VALU_DEP_2) | instskip(NEXT) | instid1(VALU_DEP_2)
	v_dual_add_f32 v2, v2, v6 :: v_dual_add_f32 v3, v3, v7
	v_cvt_i32_f32_e32 v4, v0
	s_delay_alu instid0(VALU_DEP_3) | instskip(NEXT) | instid1(VALU_DEP_3)
	v_cvt_i32_f32_e32 v5, v1
	v_cvt_i32_f32_e32 v6, v2
	s_delay_alu instid0(VALU_DEP_4) | instskip(NEXT) | instid1(VALU_DEP_4)
	v_cvt_i32_f32_e32 v7, v3
	v_cvt_f32_i32_dpp v4, v4 row_shr:2 row_mask:0xf bank_mask:0xf bound_ctrl:1
	s_delay_alu instid0(VALU_DEP_4) | instskip(NEXT) | instid1(VALU_DEP_4)
	v_cvt_f32_i32_dpp v5, v5 row_shr:2 row_mask:0xf bank_mask:0xf bound_ctrl:1
	v_cvt_f32_i32_dpp v6, v6 row_shr:2 row_mask:0xf bank_mask:0xf bound_ctrl:1
	s_delay_alu instid0(VALU_DEP_4) | instskip(NEXT) | instid1(VALU_DEP_3)
	v_cvt_f32_i32_dpp v7, v7 row_shr:2 row_mask:0xf bank_mask:0xf bound_ctrl:1
	v_dual_add_f32 v0, v0, v4 :: v_dual_add_f32 v1, v1, v5
	s_delay_alu instid0(VALU_DEP_2) | instskip(NEXT) | instid1(VALU_DEP_2)
	v_dual_add_f32 v2, v2, v6 :: v_dual_add_f32 v3, v3, v7
	v_cvt_i32_f32_e32 v4, v0
	s_delay_alu instid0(VALU_DEP_3) | instskip(NEXT) | instid1(VALU_DEP_3)
	v_cvt_i32_f32_e32 v5, v1
	v_cvt_i32_f32_e32 v6, v2
	s_delay_alu instid0(VALU_DEP_4) | instskip(NEXT) | instid1(VALU_DEP_4)
	v_cvt_i32_f32_e32 v7, v3
	v_cvt_f32_i32_dpp v4, v4 row_shr:1 row_mask:0xf bank_mask:0xf bound_ctrl:1
	s_delay_alu instid0(VALU_DEP_4) | instskip(NEXT) | instid1(VALU_DEP_4)
	v_cvt_f32_i32_dpp v5, v5 row_shr:1 row_mask:0xf bank_mask:0xf bound_ctrl:1
	v_cvt_f32_i32_dpp v6, v6 row_shr:1 row_mask:0xf bank_mask:0xf bound_ctrl:1
	s_delay_alu instid0(VALU_DEP_4) | instskip(NEXT) | instid1(VALU_DEP_3)
	v_cvt_f32_i32_dpp v8, v7 row_shr:1 row_mask:0xf bank_mask:0xf bound_ctrl:1
	v_dual_add_f32 v7, v0, v4 :: v_dual_add_f32 v0, v1, v5
	s_delay_alu instid0(VALU_DEP_3) | instskip(NEXT) | instid1(VALU_DEP_3)
	v_add_f32_e32 v4, v2, v6
	v_add_f32_e32 v2, v3, v8
	ds_bpermute_b32 v9, v41, v7
	ds_bpermute_b32 v1, v41, v0
	;; [unrolled: 1-line block ×4, first 2 shown]
	s_and_saveexec_b32 s19, s0
	s_cbranch_execz .LBB191_13
; %bb.22:                               ;   in Loop: Header=BB191_14 Depth=1
	v_dual_mov_b32 v6, 0 :: v_dual_mov_b32 v11, 0
	v_mov_b32_e32 v8, 0
	v_mov_b32_e32 v10, 0
	s_and_not1_b32 vcc_lo, exec_lo, s18
	s_cbranch_vccnz .LBB191_24
; %bb.23:                               ;   in Loop: Header=BB191_14 Depth=1
	v_mul_hi_u32 v6, v32, v42
	v_or_b32_e32 v8, 1, v32
	s_delay_alu instid0(VALU_DEP_1) | instskip(NEXT) | instid1(VALU_DEP_3)
	v_mul_hi_u32 v10, v8, v42
	v_mul_lo_u32 v6, v6, s2
	s_delay_alu instid0(VALU_DEP_2) | instskip(NEXT) | instid1(VALU_DEP_2)
	v_mul_lo_u32 v10, v10, s2
	v_sub_nc_u32_e32 v6, v32, v6
	s_delay_alu instid0(VALU_DEP_1) | instskip(NEXT) | instid1(VALU_DEP_3)
	v_subrev_nc_u32_e32 v11, s2, v6
	v_sub_nc_u32_e32 v8, v8, v10
	v_cmp_le_u32_e32 vcc_lo, s2, v6
	s_delay_alu instid0(VALU_DEP_2) | instskip(NEXT) | instid1(VALU_DEP_4)
	v_subrev_nc_u32_e32 v10, s2, v8
	v_cndmask_b32_e32 v6, v6, v11, vcc_lo
	v_cmp_le_u32_e32 vcc_lo, s2, v8
	s_delay_alu instid0(VALU_DEP_2) | instskip(NEXT) | instid1(VALU_DEP_4)
	v_subrev_nc_u32_e32 v11, s2, v6
	v_cndmask_b32_e32 v8, v8, v10, vcc_lo
	v_cmp_le_u32_e32 vcc_lo, s2, v6
	s_delay_alu instid0(VALU_DEP_3) | instskip(NEXT) | instid1(VALU_DEP_3)
	v_cndmask_b32_e32 v33, v6, v11, vcc_lo
	v_subrev_nc_u32_e32 v6, s2, v8
	v_cmp_le_u32_e32 vcc_lo, s2, v8
	v_mov_b32_e32 v11, v34
	s_delay_alu instid0(VALU_DEP_4) | instskip(NEXT) | instid1(VALU_DEP_4)
	v_lshlrev_b64 v[12:13], 1, v[33:34]
	v_dual_cndmask_b32 v10, v8, v6 :: v_dual_add_nc_u32 v33, s17, v33
	s_delay_alu instid0(VALU_DEP_1) | instskip(NEXT) | instid1(VALU_DEP_2)
	v_lshlrev_b64 v[16:17], 1, v[33:34]
	v_lshlrev_b64 v[14:15], 1, v[10:11]
	v_add_nc_u32_e32 v33, s17, v10
	v_add_co_u32 v10, vcc_lo, s8, v12
	v_add_co_ci_u32_e32 v11, vcc_lo, s9, v13, vcc_lo
	s_delay_alu instid0(VALU_DEP_3)
	v_lshlrev_b64 v[12:13], 1, v[33:34]
	v_add_co_u32 v14, vcc_lo, s8, v14
	v_add_co_ci_u32_e32 v15, vcc_lo, s9, v15, vcc_lo
	v_add_co_u32 v16, vcc_lo, s8, v16
	v_add_co_ci_u32_e32 v17, vcc_lo, s9, v17, vcc_lo
	;; [unrolled: 2-line block ×3, first 2 shown]
	s_clause 0x3
	global_load_u16 v11, v[10:11], off
	global_load_u16 v10, v[14:15], off
	;; [unrolled: 1-line block ×4, first 2 shown]
.LBB191_24:                             ;   in Loop: Header=BB191_14 Depth=1
	s_waitcnt lgkmcnt(3)
	v_add_f32_e32 v7, v7, v9
	s_waitcnt vmcnt(3)
	v_lshlrev_b32_e32 v9, 16, v11
	s_delay_alu instid0(VALU_DEP_1) | instskip(NEXT) | instid1(VALU_DEP_1)
	v_add_f32_e32 v9, v7, v9
	v_and_b32_e32 v7, 0x7f800000, v9
	s_delay_alu instid0(VALU_DEP_1) | instskip(SKIP_1) | instid1(SALU_CYCLE_1)
	v_cmp_ne_u32_e32 vcc_lo, 0x7f800000, v7
                                        ; implicit-def: $vgpr7
	s_and_saveexec_b32 s20, vcc_lo
	s_xor_b32 s20, exec_lo, s20
; %bb.25:                               ;   in Loop: Header=BB191_14 Depth=1
	v_bfe_u32 v7, v9, 16, 1
	s_delay_alu instid0(VALU_DEP_1)
	v_add3_u32 v7, v9, v7, 0x7fff
                                        ; implicit-def: $vgpr9
; %bb.26:                               ;   in Loop: Header=BB191_14 Depth=1
	s_and_not1_saveexec_b32 s20, s20
; %bb.27:                               ;   in Loop: Header=BB191_14 Depth=1
	v_and_b32_e32 v7, 0xffff, v9
	v_or_b32_e32 v11, 0x10000, v9
	s_delay_alu instid0(VALU_DEP_2) | instskip(NEXT) | instid1(VALU_DEP_2)
	v_cmp_eq_u32_e32 vcc_lo, 0, v7
	v_cndmask_b32_e32 v7, v11, v9, vcc_lo
; %bb.28:                               ;   in Loop: Header=BB191_14 Depth=1
	s_or_b32 exec_lo, exec_lo, s20
	s_waitcnt vmcnt(2) lgkmcnt(2)
	v_dual_add_f32 v0, v0, v1 :: v_dual_lshlrev_b32 v1, 16, v10
	s_mov_b32 s20, exec_lo
	s_delay_alu instid0(VALU_DEP_1) | instskip(NEXT) | instid1(VALU_DEP_1)
	v_add_f32_e32 v9, v0, v1
	v_dual_mov_b32 v33, v34 :: v_dual_and_b32 v10, 0x7f800000, v9
	s_delay_alu instid0(VALU_DEP_1) | instskip(NEXT) | instid1(VALU_DEP_1)
	v_lshlrev_b64 v[0:1], 1, v[32:33]
	v_add_co_u32 v0, vcc_lo, s10, v0
	s_delay_alu instid0(VALU_DEP_2)
	v_add_co_ci_u32_e32 v1, vcc_lo, s11, v1, vcc_lo
	global_store_d16_hi_b16 v[0:1], v7, off
                                        ; implicit-def: $vgpr7
	v_cmpx_ne_u32_e32 0x7f800000, v10
	s_xor_b32 s20, exec_lo, s20
; %bb.29:                               ;   in Loop: Header=BB191_14 Depth=1
	v_bfe_u32 v7, v9, 16, 1
	s_delay_alu instid0(VALU_DEP_1)
	v_add3_u32 v7, v9, v7, 0x7fff
                                        ; implicit-def: $vgpr9
; %bb.30:                               ;   in Loop: Header=BB191_14 Depth=1
	s_and_not1_saveexec_b32 s20, s20
; %bb.31:                               ;   in Loop: Header=BB191_14 Depth=1
	v_and_b32_e32 v7, 0xffff, v9
	v_or_b32_e32 v10, 0x10000, v9
	s_delay_alu instid0(VALU_DEP_2) | instskip(NEXT) | instid1(VALU_DEP_2)
	v_cmp_eq_u32_e32 vcc_lo, 0, v7
	v_cndmask_b32_e32 v7, v10, v9, vcc_lo
; %bb.32:                               ;   in Loop: Header=BB191_14 Depth=1
	s_or_b32 exec_lo, exec_lo, s20
	s_waitcnt vmcnt(1) lgkmcnt(1)
	v_dual_add_f32 v4, v4, v5 :: v_dual_lshlrev_b32 v5, 16, v8
	s_mov_b32 s20, exec_lo
	global_store_d16_hi_b16 v[0:1], v7, off offset:2
                                        ; implicit-def: $vgpr0
	v_add_f32_e32 v4, v4, v5
	s_delay_alu instid0(VALU_DEP_1) | instskip(NEXT) | instid1(VALU_DEP_1)
	v_and_b32_e32 v5, 0x7f800000, v4
	v_cmpx_ne_u32_e32 0x7f800000, v5
	s_xor_b32 s20, exec_lo, s20
; %bb.33:                               ;   in Loop: Header=BB191_14 Depth=1
	v_bfe_u32 v0, v4, 16, 1
	s_delay_alu instid0(VALU_DEP_1)
	v_add3_u32 v0, v4, v0, 0x7fff
                                        ; implicit-def: $vgpr4
; %bb.34:                               ;   in Loop: Header=BB191_14 Depth=1
	s_and_not1_saveexec_b32 s20, s20
; %bb.35:                               ;   in Loop: Header=BB191_14 Depth=1
	v_and_b32_e32 v0, 0xffff, v4
	v_or_b32_e32 v1, 0x10000, v4
	s_delay_alu instid0(VALU_DEP_2) | instskip(NEXT) | instid1(VALU_DEP_2)
	v_cmp_eq_u32_e32 vcc_lo, 0, v0
	v_cndmask_b32_e32 v0, v1, v4, vcc_lo
; %bb.36:                               ;   in Loop: Header=BB191_14 Depth=1
	s_or_b32 exec_lo, exec_lo, s20
	s_waitcnt vmcnt(0) lgkmcnt(0)
	v_dual_add_f32 v1, v2, v3 :: v_dual_lshlrev_b32 v2, 16, v6
	v_add_nc_u32_e32 v33, s7, v32
	s_mov_b32 s20, exec_lo
	s_delay_alu instid0(VALU_DEP_2) | instskip(NEXT) | instid1(VALU_DEP_2)
	v_add_f32_e32 v1, v1, v2
	v_lshlrev_b64 v[2:3], 1, v[33:34]
	s_delay_alu instid0(VALU_DEP_2) | instskip(NEXT) | instid1(VALU_DEP_2)
	v_and_b32_e32 v4, 0x7f800000, v1
	v_add_co_u32 v2, vcc_lo, s10, v2
	s_delay_alu instid0(VALU_DEP_3)
	v_add_co_ci_u32_e32 v3, vcc_lo, s11, v3, vcc_lo
	global_store_d16_hi_b16 v[2:3], v0, off
                                        ; implicit-def: $vgpr0
	v_cmpx_ne_u32_e32 0x7f800000, v4
	s_xor_b32 s20, exec_lo, s20
; %bb.37:                               ;   in Loop: Header=BB191_14 Depth=1
	v_bfe_u32 v0, v1, 16, 1
	s_delay_alu instid0(VALU_DEP_1)
	v_add3_u32 v0, v1, v0, 0x7fff
                                        ; implicit-def: $vgpr1
; %bb.38:                               ;   in Loop: Header=BB191_14 Depth=1
	s_and_not1_saveexec_b32 s20, s20
	s_cbranch_execz .LBB191_12
; %bb.39:                               ;   in Loop: Header=BB191_14 Depth=1
	v_and_b32_e32 v0, 0xffff, v1
	v_or_b32_e32 v2, 0x10000, v1
	s_delay_alu instid0(VALU_DEP_2) | instskip(NEXT) | instid1(VALU_DEP_2)
	v_cmp_eq_u32_e32 vcc_lo, 0, v0
	v_cndmask_b32_e32 v0, v2, v1, vcc_lo
	s_branch .LBB191_12
.LBB191_40:
	s_nop 0
	s_sendmsg sendmsg(MSG_DEALLOC_VGPRS)
	s_endpgm
	.section	.rodata,"a",@progbits
	.p2align	6, 0x0
	.amdhsa_kernel _Z16wvSplitK_hf_sml_I14__hip_bfloat16Li32ELi2ELi16ELi8ELi2ELi2EEviiiiiiPKT_S3_S3_PS1_ii
		.amdhsa_group_segment_fixed_size 65536
		.amdhsa_private_segment_fixed_size 0
		.amdhsa_kernarg_size 64
		.amdhsa_user_sgpr_count 15
		.amdhsa_user_sgpr_dispatch_ptr 0
		.amdhsa_user_sgpr_queue_ptr 0
		.amdhsa_user_sgpr_kernarg_segment_ptr 1
		.amdhsa_user_sgpr_dispatch_id 0
		.amdhsa_user_sgpr_private_segment_size 0
		.amdhsa_wavefront_size32 1
		.amdhsa_uses_dynamic_stack 0
		.amdhsa_enable_private_segment 0
		.amdhsa_system_sgpr_workgroup_id_x 1
		.amdhsa_system_sgpr_workgroup_id_y 0
		.amdhsa_system_sgpr_workgroup_id_z 0
		.amdhsa_system_sgpr_workgroup_info 0
		.amdhsa_system_vgpr_workitem_id 1
		.amdhsa_next_free_vgpr 59
		.amdhsa_next_free_sgpr 22
		.amdhsa_reserve_vcc 1
		.amdhsa_float_round_mode_32 0
		.amdhsa_float_round_mode_16_64 0
		.amdhsa_float_denorm_mode_32 3
		.amdhsa_float_denorm_mode_16_64 3
		.amdhsa_dx10_clamp 1
		.amdhsa_ieee_mode 1
		.amdhsa_fp16_overflow 0
		.amdhsa_workgroup_processor_mode 1
		.amdhsa_memory_ordered 1
		.amdhsa_forward_progress 0
		.amdhsa_shared_vgpr_count 0
		.amdhsa_exception_fp_ieee_invalid_op 0
		.amdhsa_exception_fp_denorm_src 0
		.amdhsa_exception_fp_ieee_div_zero 0
		.amdhsa_exception_fp_ieee_overflow 0
		.amdhsa_exception_fp_ieee_underflow 0
		.amdhsa_exception_fp_ieee_inexact 0
		.amdhsa_exception_int_div_zero 0
	.end_amdhsa_kernel
	.section	.text._Z16wvSplitK_hf_sml_I14__hip_bfloat16Li32ELi2ELi16ELi8ELi2ELi2EEviiiiiiPKT_S3_S3_PS1_ii,"axG",@progbits,_Z16wvSplitK_hf_sml_I14__hip_bfloat16Li32ELi2ELi16ELi8ELi2ELi2EEviiiiiiPKT_S3_S3_PS1_ii,comdat
.Lfunc_end191:
	.size	_Z16wvSplitK_hf_sml_I14__hip_bfloat16Li32ELi2ELi16ELi8ELi2ELi2EEviiiiiiPKT_S3_S3_PS1_ii, .Lfunc_end191-_Z16wvSplitK_hf_sml_I14__hip_bfloat16Li32ELi2ELi16ELi8ELi2ELi2EEviiiiiiPKT_S3_S3_PS1_ii
                                        ; -- End function
	.section	.AMDGPU.csdata,"",@progbits
; Kernel info:
; codeLenInByte = 3512
; NumSgprs: 24
; NumVgprs: 59
; ScratchSize: 0
; MemoryBound: 0
; FloatMode: 240
; IeeeMode: 1
; LDSByteSize: 65536 bytes/workgroup (compile time only)
; SGPRBlocks: 2
; VGPRBlocks: 7
; NumSGPRsForWavesPerEU: 24
; NumVGPRsForWavesPerEU: 59
; Occupancy: 8
; WaveLimiterHint : 0
; COMPUTE_PGM_RSRC2:SCRATCH_EN: 0
; COMPUTE_PGM_RSRC2:USER_SGPR: 15
; COMPUTE_PGM_RSRC2:TRAP_HANDLER: 0
; COMPUTE_PGM_RSRC2:TGID_X_EN: 1
; COMPUTE_PGM_RSRC2:TGID_Y_EN: 0
; COMPUTE_PGM_RSRC2:TGID_Z_EN: 0
; COMPUTE_PGM_RSRC2:TIDIG_COMP_CNT: 1
	.section	.text._Z12wvSplitK_hf_I14__hip_bfloat16Li32ELi2ELi16ELi8ELi2ELi2EEviiiiiiPKT_S3_S3_PS1_ii,"axG",@progbits,_Z12wvSplitK_hf_I14__hip_bfloat16Li32ELi2ELi16ELi8ELi2ELi2EEviiiiiiPKT_S3_S3_PS1_ii,comdat
	.protected	_Z12wvSplitK_hf_I14__hip_bfloat16Li32ELi2ELi16ELi8ELi2ELi2EEviiiiiiPKT_S3_S3_PS1_ii ; -- Begin function _Z12wvSplitK_hf_I14__hip_bfloat16Li32ELi2ELi16ELi8ELi2ELi2EEviiiiiiPKT_S3_S3_PS1_ii
	.globl	_Z12wvSplitK_hf_I14__hip_bfloat16Li32ELi2ELi16ELi8ELi2ELi2EEviiiiiiPKT_S3_S3_PS1_ii
	.p2align	8
	.type	_Z12wvSplitK_hf_I14__hip_bfloat16Li32ELi2ELi16ELi8ELi2ELi2EEviiiiiiPKT_S3_S3_PS1_ii,@function
_Z12wvSplitK_hf_I14__hip_bfloat16Li32ELi2ELi16ELi8ELi2ELi2EEviiiiiiPKT_S3_S3_PS1_ii: ; @_Z12wvSplitK_hf_I14__hip_bfloat16Li32ELi2ELi16ELi8ELi2ELi2EEviiiiiiPKT_S3_S3_PS1_ii
; %bb.0:
	s_clause 0x1
	s_load_b64 s[18:19], s[0:1], 0x38
	s_load_b128 s[4:7], s[0:1], 0x0
	v_bfe_u32 v1, v0, 10, 10
	s_clause 0x1
	s_load_b64 s[12:13], s[0:1], 0x20
	s_load_b64 s[16:17], s[0:1], 0x10
	s_mov_b32 s8, 1
	s_delay_alu instid0(SALU_CYCLE_1) | instskip(NEXT) | instid1(SALU_CYCLE_1)
	s_mov_b32 s9, s8
	v_dual_mov_b32 v33, s9 :: v_dual_mov_b32 v32, s8
	s_waitcnt lgkmcnt(0)
	s_mul_i32 s15, s15, s18
	s_delay_alu instid0(SALU_CYCLE_1) | instskip(NEXT) | instid1(VALU_DEP_1)
	v_add_lshl_u32 v34, s15, v1, 1
	v_add_nc_u32_e32 v2, 2, v34
	v_cmp_gt_u32_e32 vcc_lo, s7, v34
	s_delay_alu instid0(VALU_DEP_2) | instskip(NEXT) | instid1(VALU_DEP_1)
	v_cmp_le_u32_e64 s2, s7, v2
	s_and_b32 s2, vcc_lo, s2
	s_delay_alu instid0(SALU_CYCLE_1)
	s_and_saveexec_b32 s10, s2
	s_cbranch_execz .LBB192_6
; %bb.1:
	v_dual_mov_b32 v33, s9 :: v_dual_mov_b32 v32, s8
	s_add_i32 s11, s7, -2
	s_mov_b32 s14, exec_lo
	v_cmpx_ne_u32_e64 s11, v34
	s_cbranch_execz .LBB192_5
; %bb.2:
	v_subrev_nc_u32_e32 v2, s11, v34
	s_mov_b32 s2, 1
	s_mov_b32 s15, 0
	s_mov_b64 s[8:9], 0
	s_mov_b32 s3, s2
	v_cmp_lt_u32_e32 vcc_lo, 1, v2
	v_cndmask_b32_e32 v2, 1, v2, vcc_lo
.LBB192_3:                              ; =>This Inner Loop Header: Depth=1
	s_cmp_lg_u32 s8, 1
	s_cselect_b32 s3, s3, 0
	s_cmp_lg_u32 s8, 0
	s_cselect_b32 s2, s2, 0
	s_add_u32 s8, s8, 1
	v_dual_mov_b32 v33, s3 :: v_dual_mov_b32 v32, s2
	v_cmp_eq_u32_e32 vcc_lo, s8, v2
	s_addc_u32 s9, s9, 0
	s_or_b32 s15, vcc_lo, s15
	s_delay_alu instid0(SALU_CYCLE_1)
	s_and_not1_b32 exec_lo, exec_lo, s15
	s_cbranch_execnz .LBB192_3
; %bb.4:
	s_or_b32 exec_lo, exec_lo, s15
	v_mov_b32_e32 v34, s11
.LBB192_5:
	s_or_b32 exec_lo, exec_lo, s14
.LBB192_6:
	s_delay_alu instid0(SALU_CYCLE_1) | instskip(SKIP_2) | instid1(SALU_CYCLE_1)
	s_or_b32 exec_lo, exec_lo, s10
	v_and_b32_e32 v0, 0x3ff, v0
	s_lshl_b32 s2, s6, 1
	s_min_u32 s3, s2, 0x8000
	s_mov_b32 s2, exec_lo
	s_delay_alu instid0(VALU_DEP_1) | instskip(NEXT) | instid1(VALU_DEP_1)
	v_lshlrev_b32_e32 v45, 3, v0
	v_lshl_add_u32 v3, v1, 8, v45
	s_delay_alu instid0(VALU_DEP_1)
	v_cmpx_gt_u32_e64 s3, v3
	s_cbranch_execz .LBB192_15
; %bb.7:
	v_lshlrev_b32_e32 v2, 1, v3
	v_add_nc_u32_e32 v8, 0x1000, v3
	s_mov_b32 s8, exec_lo
	global_load_b128 v[4:7], v2, s[12:13]
	s_waitcnt vmcnt(0)
	ds_store_b128 v2, v[4:7]
	v_cmpx_gt_u32_e64 s3, v8
	s_xor_b32 s8, exec_lo, s8
	s_cbranch_execz .LBB192_15
; %bb.8:
	v_add_co_u32 v4, s8, s12, v2
	s_delay_alu instid0(VALU_DEP_1) | instskip(SKIP_1) | instid1(VALU_DEP_3)
	v_add_co_ci_u32_e64 v5, null, s13, 0, s8
	v_add_nc_u32_e32 v10, 0x2000, v3
	v_add_co_u32 v6, vcc_lo, 0x2000, v4
	s_delay_alu instid0(VALU_DEP_3)
	v_add_co_ci_u32_e32 v7, vcc_lo, 0, v5, vcc_lo
	s_mov_b32 s8, exec_lo
	global_load_b128 v[6:9], v[6:7], off
	s_waitcnt vmcnt(0)
	ds_store_b128 v2, v[6:9] offset:8192
	v_cmpx_gt_u32_e64 s3, v10
	s_xor_b32 s8, exec_lo, s8
	s_cbranch_execz .LBB192_15
; %bb.9:
	v_add_co_u32 v6, vcc_lo, 0x4000, v4
	v_add_co_ci_u32_e32 v7, vcc_lo, 0, v5, vcc_lo
	v_add_nc_u32_e32 v10, 0x3000, v3
	s_mov_b32 s8, exec_lo
	global_load_b128 v[6:9], v[6:7], off
	s_waitcnt vmcnt(0)
	ds_store_b128 v2, v[6:9] offset:16384
	v_cmpx_gt_u32_e64 s3, v10
	s_xor_b32 s8, exec_lo, s8
	s_cbranch_execz .LBB192_15
; %bb.10:
	v_add_co_u32 v6, vcc_lo, 0x6000, v4
	v_add_co_ci_u32_e32 v7, vcc_lo, 0, v5, vcc_lo
	v_add_nc_u32_e32 v10, 0x4000, v3
	;; [unrolled: 11-line block ×5, first 2 shown]
	global_load_b128 v[6:9], v[6:7], off
	v_cmp_gt_u32_e32 vcc_lo, s3, v3
	s_waitcnt vmcnt(0)
	ds_store_b128 v2, v[6:9] offset:49152
	s_and_saveexec_b32 s3, vcc_lo
	s_delay_alu instid0(SALU_CYCLE_1)
	s_xor_b32 s3, exec_lo, s3
	s_cbranch_execz .LBB192_15
; %bb.14:
	v_add_co_u32 v3, vcc_lo, 0xe000, v4
	v_add_co_ci_u32_e32 v4, vcc_lo, 0, v5, vcc_lo
	global_load_b128 v[3:6], v[3:4], off
	s_waitcnt vmcnt(0)
	ds_store_b128 v2, v[3:6] offset:57344
.LBB192_15:
	s_or_b32 exec_lo, exec_lo, s2
	v_cmp_gt_u32_e32 vcc_lo, s18, v1
	v_cmp_gt_u32_e64 s2, s7, v34
	s_waitcnt lgkmcnt(0)
	s_barrier
	buffer_gl0_inv
	s_and_b32 s2, vcc_lo, s2
	s_delay_alu instid0(SALU_CYCLE_1)
	s_and_saveexec_b32 s3, s2
	s_cbranch_execz .LBB192_74
; %bb.16:
	v_cvt_f32_u32_e32 v1, s16
	s_clause 0x1
	s_load_b128 s[8:11], s[0:1], 0x28
	s_load_b64 s[14:15], s[0:1], 0x18
	v_mbcnt_lo_u32_b32 v2, -1, 0
	s_cmp_lg_u32 s4, 0
	v_rcp_iflag_f32_e32 v1, v1
	s_cselect_b32 s3, -1, 0
	s_add_i32 s20, s4, -8
	v_xor_b32_e32 v3, 16, v2
	s_add_i32 s21, s7, -1
	s_mul_i32 s1, s18, s19
	s_delay_alu instid0(VALU_DEP_1) | instskip(SKIP_2) | instid1(VALU_DEP_1)
	v_cmp_gt_i32_e32 vcc_lo, 32, v3
	s_waitcnt_depctr 0xfff
	v_mul_f32_e32 v1, 0x4f7ffffe, v1
	v_cvt_u32_f32_e32 v1, v1
	s_waitcnt lgkmcnt(0)
	s_cmp_lg_u64 s[8:9], 0
	s_cselect_b32 s22, -1, 0
	s_sub_i32 s0, 0, s16
	s_lshl_b32 s23, s1, 1
	v_mul_lo_u32 v4, s0, v1
	s_abs_i32 s1, s17
	v_cmp_eq_u32_e64 s0, 31, v0
	v_cndmask_b32_e32 v0, v2, v3, vcc_lo
	s_add_i32 s24, s7, -2
	s_sub_i32 s2, 1, s1
	s_cmp_lt_u32 s1, 2
	s_delay_alu instid0(VALU_DEP_3)
	v_mul_hi_u32 v2, v1, v4
	s_cselect_b32 s2, s2, 1
	v_mov_b32_e32 v36, 0
	s_sub_i32 s17, s2, s1
	s_cmp_ge_u32 s2, s1
	v_lshlrev_b32_e32 v46, 2, v0
	s_cselect_b32 s25, s17, s2
	s_mov_b32 s17, 0
	v_add_nc_u32_e32 v47, v1, v2
	s_mul_i32 s25, s25, s16
	s_branch .LBB192_19
.LBB192_17:                             ;   in Loop: Header=BB192_19 Depth=1
	s_or_b32 exec_lo, exec_lo, s27
	v_mov_b32_e32 v34, s24
.LBB192_18:                             ;   in Loop: Header=BB192_19 Depth=1
	s_or_b32 exec_lo, exec_lo, s26
	s_delay_alu instid0(VALU_DEP_1) | instskip(SKIP_1) | instid1(SALU_CYCLE_1)
	v_cmp_le_u32_e32 vcc_lo, s7, v34
	s_or_b32 s17, vcc_lo, s17
	s_and_not1_b32 exec_lo, exec_lo, s17
	s_cbranch_execz .LBB192_74
.LBB192_19:                             ; =>This Loop Header: Depth=1
                                        ;     Child Loop BB192_24 Depth 2
                                        ;     Child Loop BB192_72 Depth 2
	v_dual_mov_b32 v48, v36 :: v_dual_add_nc_u32 v37, 1, v34
	v_mov_b32_e32 v49, v36
	v_mov_b32_e32 v50, v36
	;; [unrolled: 1-line block ×3, first 2 shown]
	s_and_not1_b32 vcc_lo, exec_lo, s3
	s_cbranch_vccnz .LBB192_42
; %bb.20:                               ;   in Loop: Header=BB192_19 Depth=1
	v_min_u32_e32 v0, s21, v34
	s_waitcnt lgkmcnt(0)
	v_min_u32_e32 v1, s21, v37
	v_dual_mov_b32 v51, 0 :: v_dual_mov_b32 v48, 0
	v_mov_b32_e32 v49, 0
	v_mul_lo_u32 v35, v0, s5
	s_delay_alu instid0(VALU_DEP_4) | instskip(SKIP_2) | instid1(VALU_DEP_3)
	v_mul_lo_u32 v0, v1, s5
	v_dual_mov_b32 v1, v36 :: v_dual_mov_b32 v50, 0
	s_mov_b32 s1, 0
	v_lshlrev_b64 v[38:39], 1, v[35:36]
	s_delay_alu instid0(VALU_DEP_2)
	v_lshlrev_b64 v[40:41], 1, v[0:1]
	s_branch .LBB192_24
.LBB192_21:                             ;   in Loop: Header=BB192_24 Depth=2
	s_or_b32 exec_lo, exec_lo, s19
.LBB192_22:                             ;   in Loop: Header=BB192_24 Depth=2
	s_delay_alu instid0(SALU_CYCLE_1)
	s_or_b32 exec_lo, exec_lo, s18
.LBB192_23:                             ;   in Loop: Header=BB192_24 Depth=2
	s_delay_alu instid0(SALU_CYCLE_1)
	s_or_b32 exec_lo, exec_lo, s2
	s_waitcnt vmcnt(0) lgkmcnt(0)
	v_and_b32_e32 v54, 0xffff0000, v26
	v_and_b32_e32 v58, 0xffff0000, v13
	v_lshlrev_b32_e32 v13, 16, v13
	v_and_b32_e32 v55, 0xffff0000, v22
	v_and_b32_e32 v35, 0xffff0000, v24
	;; [unrolled: 1-line block ×3, first 2 shown]
	v_lshlrev_b32_e32 v22, 16, v22
	v_and_b32_e32 v57, 0xffff0000, v23
	v_dual_mul_f32 v56, v54, v55 :: v_dual_and_b32 v43, 0xffff0000, v25
	v_lshlrev_b32_e32 v26, 16, v26
	v_lshlrev_b32_e32 v25, 16, v25
	;; [unrolled: 1-line block ×4, first 2 shown]
	s_delay_alu instid0(VALU_DEP_4) | instskip(SKIP_3) | instid1(VALU_DEP_3)
	v_dual_mul_f32 v53, v43, v44 :: v_dual_fmac_f32 v56, v26, v22
	v_and_b32_e32 v42, 0xffff0000, v20
	v_lshlrev_b32_e32 v20, 16, v20
	s_addk_i32 s1, 0x200
	v_dual_fmac_f32 v53, v25, v21 :: v_dual_lshlrev_b32 v24, 16, v24
	s_delay_alu instid0(VALU_DEP_3) | instskip(SKIP_1) | instid1(VALU_DEP_1)
	v_mul_f32_e32 v52, v35, v42
	s_cmp_ge_u32 s1, s4
	v_fmac_f32_e32 v52, v24, v20
	s_delay_alu instid0(VALU_DEP_1) | instskip(NEXT) | instid1(VALU_DEP_1)
	v_add_f32_e32 v51, v51, v52
	v_add_f32_e32 v51, v51, v53
	v_and_b32_e32 v53, 0xffff0000, v27
	v_lshlrev_b32_e32 v27, 16, v27
	s_delay_alu instid0(VALU_DEP_2) | instskip(NEXT) | instid1(VALU_DEP_1)
	v_dual_mul_f32 v59, v53, v57 :: v_dual_and_b32 v52, 0xffff0000, v12
	v_dual_fmac_f32 v59, v27, v23 :: v_dual_lshlrev_b32 v12, 16, v12
	s_delay_alu instid0(VALU_DEP_2) | instskip(NEXT) | instid1(VALU_DEP_1)
	v_mul_f32_e32 v35, v35, v52
	v_dual_fmac_f32 v35, v24, v12 :: v_dual_mul_f32 v24, v43, v58
	v_dual_add_f32 v43, v51, v56 :: v_dual_and_b32 v56, 0xffff0000, v29
	v_lshlrev_b32_e32 v29, 16, v29
	s_delay_alu instid0(VALU_DEP_3) | instskip(NEXT) | instid1(VALU_DEP_3)
	v_dual_add_f32 v35, v50, v35 :: v_dual_and_b32 v50, 0xffff0000, v28
	v_add_f32_e32 v43, v43, v59
	v_and_b32_e32 v59, 0xffff0000, v5
	v_and_b32_e32 v51, 0xffff0000, v14
	v_lshlrev_b32_e32 v14, 16, v14
	s_delay_alu instid0(VALU_DEP_3) | instskip(NEXT) | instid1(VALU_DEP_3)
	v_dual_mul_f32 v60, v56, v59 :: v_dual_lshlrev_b32 v5, 16, v5
	v_dual_fmac_f32 v24, v25, v13 :: v_dual_mul_f32 v25, v54, v51
	v_and_b32_e32 v54, 0xffff0000, v4
	s_delay_alu instid0(VALU_DEP_3) | instskip(NEXT) | instid1(VALU_DEP_3)
	v_fmac_f32_e32 v60, v29, v5
	v_dual_add_f32 v24, v35, v24 :: v_dual_fmac_f32 v25, v26, v14
	v_and_b32_e32 v35, 0xffff0000, v15
	v_lshlrev_b32_e32 v26, 16, v28
	v_dual_mul_f32 v28, v50, v54 :: v_dual_lshlrev_b32 v15, 16, v15
	s_delay_alu instid0(VALU_DEP_3) | instskip(NEXT) | instid1(VALU_DEP_1)
	v_dual_add_f32 v24, v24, v25 :: v_dual_mul_f32 v53, v53, v35
	v_dual_fmac_f32 v53, v27, v15 :: v_dual_and_b32 v62, 0xffff0000, v6
	s_delay_alu instid0(VALU_DEP_1) | instskip(SKIP_4) | instid1(VALU_DEP_4)
	v_dual_add_f32 v24, v24, v53 :: v_dual_and_b32 v61, 0xffff0000, v30
	v_lshlrev_b32_e32 v4, 16, v4
	v_and_b32_e32 v53, 0xffff0000, v7
	v_and_b32_e32 v27, 0xffff0000, v0
	v_lshlrev_b32_e32 v0, 16, v0
	v_fmac_f32_e32 v28, v26, v4
	s_delay_alu instid0(VALU_DEP_1) | instskip(NEXT) | instid1(VALU_DEP_1)
	v_add_f32_e32 v28, v43, v28
	v_dual_add_f32 v25, v28, v60 :: v_dual_mul_f32 v28, v50, v27
	v_and_b32_e32 v50, 0xffff0000, v1
	v_lshlrev_b32_e32 v30, 16, v30
	s_delay_alu instid0(VALU_DEP_3) | instskip(NEXT) | instid1(VALU_DEP_3)
	v_dual_mul_f32 v43, v61, v62 :: v_dual_fmac_f32 v28, v26, v0
	v_mul_f32_e32 v26, v56, v50
	v_and_b32_e32 v56, 0xffff0000, v8
	s_delay_alu instid0(VALU_DEP_3) | instskip(NEXT) | instid1(VALU_DEP_2)
	v_dual_add_f32 v24, v24, v28 :: v_dual_lshlrev_b32 v1, 16, v1
	v_dual_mul_f32 v28, v56, v42 :: v_dual_lshlrev_b32 v7, 16, v7
	s_delay_alu instid0(VALU_DEP_2)
	v_fmac_f32_e32 v26, v29, v1
	v_and_b32_e32 v42, 0xffff0000, v10
	v_lshlrev_b32_e32 v10, 16, v10
	v_lshlrev_b32_e32 v8, 16, v8
	v_and_b32_e32 v29, 0xffff0000, v9
	v_lshlrev_b32_e32 v9, 16, v9
	v_lshlrev_b32_e32 v6, 16, v6
	v_add_f32_e32 v24, v24, v26
	v_fmac_f32_e32 v28, v8, v20
	v_mul_f32_e32 v20, v29, v44
	s_delay_alu instid0(VALU_DEP_2) | instskip(NEXT) | instid1(VALU_DEP_2)
	v_add_f32_e32 v28, v49, v28
	v_dual_fmac_f32 v20, v9, v21 :: v_dual_mul_f32 v21, v42, v55
	s_delay_alu instid0(VALU_DEP_1) | instskip(NEXT) | instid1(VALU_DEP_2)
	v_dual_fmac_f32 v43, v30, v6 :: v_dual_add_f32 v20, v28, v20
	v_dual_mul_f32 v28, v56, v52 :: v_dual_fmac_f32 v21, v10, v22
	s_delay_alu instid0(VALU_DEP_2) | instskip(NEXT) | instid1(VALU_DEP_2)
	v_add_f32_e32 v25, v25, v43
	v_dual_fmac_f32 v28, v8, v12 :: v_dual_and_b32 v43, 0xffff0000, v31
	s_delay_alu instid0(VALU_DEP_3) | instskip(SKIP_2) | instid1(VALU_DEP_4)
	v_add_f32_e32 v8, v20, v21
	v_and_b32_e32 v20, 0xffff0000, v3
	v_dual_mul_f32 v12, v29, v58 :: v_dual_lshlrev_b32 v3, 16, v3
	v_dual_add_f32 v21, v48, v28 :: v_dual_mul_f32 v60, v43, v53
	s_delay_alu instid0(VALU_DEP_2) | instskip(SKIP_1) | instid1(VALU_DEP_2)
	v_dual_fmac_f32 v12, v9, v13 :: v_dual_mul_f32 v9, v42, v51
	v_lshlrev_b32_e32 v13, 16, v16
	v_dual_add_f32 v12, v21, v12 :: v_dual_fmac_f32 v9, v10, v14
	v_and_b32_e32 v26, 0xffff0000, v2
	v_lshlrev_b32_e32 v2, 16, v2
	v_and_b32_e32 v21, 0xffff0000, v17
	s_delay_alu instid0(VALU_DEP_4) | instskip(NEXT) | instid1(VALU_DEP_4)
	v_add_f32_e32 v9, v12, v9
	v_dual_mul_f32 v44, v61, v26 :: v_dual_lshlrev_b32 v31, 16, v31
	v_lshlrev_b32_e32 v12, 16, v18
	s_delay_alu instid0(VALU_DEP_4) | instskip(NEXT) | instid1(VALU_DEP_3)
	v_mul_f32_e32 v14, v21, v59
	v_fmac_f32_e32 v60, v31, v7
	s_delay_alu instid0(VALU_DEP_4) | instskip(SKIP_2) | instid1(VALU_DEP_2)
	v_fmac_f32_e32 v44, v30, v2
	v_and_b32_e32 v30, 0xffff0000, v11
	v_lshlrev_b32_e32 v11, 16, v11
	v_dual_add_f32 v51, v25, v60 :: v_dual_mul_f32 v10, v30, v35
	s_delay_alu instid0(VALU_DEP_1) | instskip(NEXT) | instid1(VALU_DEP_1)
	v_fmac_f32_e32 v10, v11, v15
	v_dual_add_f32 v9, v9, v10 :: v_dual_mul_f32 v22, v30, v57
	v_and_b32_e32 v10, 0xffff0000, v18
	v_add_f32_e32 v24, v24, v44
	s_delay_alu instid0(VALU_DEP_3) | instskip(NEXT) | instid1(VALU_DEP_1)
	v_dual_fmac_f32 v22, v11, v23 :: v_dual_and_b32 v23, 0xffff0000, v16
	v_mul_f32_e32 v16, v23, v54
	s_delay_alu instid0(VALU_DEP_1) | instskip(SKIP_1) | instid1(VALU_DEP_1)
	v_fmac_f32_e32 v16, v13, v4
	v_lshlrev_b32_e32 v4, 16, v17
	v_dual_fmac_f32 v14, v4, v5 :: v_dual_mul_f32 v5, v23, v27
	s_delay_alu instid0(VALU_DEP_1) | instskip(SKIP_2) | instid1(VALU_DEP_3)
	v_fmac_f32_e32 v5, v13, v0
	v_mul_f32_e32 v0, v21, v50
	v_mul_f32_e32 v13, v10, v62
	v_add_f32_e32 v5, v9, v5
	s_delay_alu instid0(VALU_DEP_3) | instskip(NEXT) | instid1(VALU_DEP_3)
	v_dual_fmac_f32 v0, v4, v1 :: v_dual_mul_f32 v1, v10, v26
	v_dual_fmac_f32 v13, v12, v6 :: v_dual_lshlrev_b32 v4, 16, v19
	s_delay_alu instid0(VALU_DEP_2) | instskip(SKIP_1) | instid1(VALU_DEP_2)
	v_dual_add_f32 v0, v5, v0 :: v_dual_fmac_f32 v1, v12, v2
	v_add_f32_e32 v8, v8, v22
	v_add_f32_e32 v0, v0, v1
	s_delay_alu instid0(VALU_DEP_2) | instskip(NEXT) | instid1(VALU_DEP_1)
	v_add_f32_e32 v8, v8, v16
	v_add_f32_e32 v8, v8, v14
	s_delay_alu instid0(VALU_DEP_1) | instskip(NEXT) | instid1(VALU_DEP_1)
	v_dual_add_f32 v5, v8, v13 :: v_dual_and_b32 v14, 0xffff0000, v19
	v_dual_mul_f32 v11, v43, v20 :: v_dual_mul_f32 v6, v14, v53
	s_delay_alu instid0(VALU_DEP_1) | instskip(NEXT) | instid1(VALU_DEP_2)
	v_dual_mul_f32 v2, v14, v20 :: v_dual_fmac_f32 v11, v31, v3
	v_fmac_f32_e32 v6, v4, v7
	s_delay_alu instid0(VALU_DEP_2) | instskip(NEXT) | instid1(VALU_DEP_2)
	v_fmac_f32_e32 v2, v4, v3
	v_dual_add_f32 v50, v24, v11 :: v_dual_add_f32 v49, v5, v6
	s_delay_alu instid0(VALU_DEP_2)
	v_add_f32_e32 v48, v0, v2
	s_cbranch_scc1 .LBB192_42
.LBB192_24:                             ;   Parent Loop BB192_19 Depth=1
                                        ; =>  This Inner Loop Header: Depth=2
	v_dual_mov_b32 v18, 0 :: v_dual_add_nc_u32 v43, s1, v45
	v_dual_mov_b32 v17, 0 :: v_dual_mov_b32 v16, 0
	v_dual_mov_b32 v31, 0 :: v_dual_mov_b32 v30, 0
	s_delay_alu instid0(VALU_DEP_3) | instskip(SKIP_2) | instid1(VALU_DEP_3)
	v_min_u32_e32 v35, s20, v43
	v_dual_mov_b32 v19, 0 :: v_dual_add_nc_u32 v42, 0x100, v43
	v_dual_mov_b32 v29, 0 :: v_dual_mov_b32 v28, 0
	v_lshlrev_b64 v[0:1], 1, v[35:36]
	s_delay_alu instid0(VALU_DEP_3)
	v_min_u32_e32 v35, s20, v42
	s_waitcnt vmcnt(2)
	v_dual_mov_b32 v11, 0 :: v_dual_mov_b32 v10, 0
	v_dual_mov_b32 v27, 0 :: v_dual_mov_b32 v26, 0
	s_waitcnt vmcnt(0)
	v_add_co_u32 v4, vcc_lo, s14, v0
	v_add_co_ci_u32_e32 v5, vcc_lo, s15, v1, vcc_lo
	v_lshlrev_b64 v[0:1], 1, v[35:36]
	s_delay_alu instid0(VALU_DEP_3) | instskip(NEXT) | instid1(VALU_DEP_3)
	v_add_co_u32 v2, vcc_lo, v4, v38
	v_add_co_ci_u32_e32 v3, vcc_lo, v5, v39, vcc_lo
	v_dual_mov_b32 v25, 0 :: v_dual_mov_b32 v24, 0
	s_delay_alu instid0(VALU_DEP_4) | instskip(SKIP_3) | instid1(VALU_DEP_4)
	v_add_co_u32 v6, vcc_lo, s14, v0
	v_add_co_ci_u32_e32 v7, vcc_lo, s15, v1, vcc_lo
	v_add_co_u32 v0, vcc_lo, v4, v40
	v_add_co_ci_u32_e32 v1, vcc_lo, v5, v41, vcc_lo
	v_add_co_u32 v4, vcc_lo, v6, v38
	s_delay_alu instid0(VALU_DEP_4)
	v_add_co_ci_u32_e32 v5, vcc_lo, v7, v39, vcc_lo
	v_add_co_u32 v8, vcc_lo, v6, v40
	v_add_co_ci_u32_e32 v9, vcc_lo, v7, v41, vcc_lo
	s_clause 0x3
	global_load_b128 v[20:23], v[2:3], off slc dlc
	global_load_b128 v[12:15], v[0:1], off slc dlc
	;; [unrolled: 1-line block ×4, first 2 shown]
	v_dual_mov_b32 v9, 0 :: v_dual_mov_b32 v8, 0
	s_mov_b32 s2, exec_lo
	v_cmpx_gt_u32_e64 s4, v43
	s_cbranch_execz .LBB192_23
; %bb.25:                               ;   in Loop: Header=BB192_24 Depth=2
	s_mov_b32 s18, exec_lo
                                        ; implicit-def: $vgpr27
	v_cmpx_lt_u32_e32 0x7fff, v43
	s_xor_b32 s18, exec_lo, s18
	s_cbranch_execz .LBB192_27
; %bb.26:                               ;   in Loop: Header=BB192_24 Depth=2
	v_mov_b32_e32 v44, v36
	s_delay_alu instid0(VALU_DEP_1) | instskip(NEXT) | instid1(VALU_DEP_1)
	v_lshlrev_b64 v[8:9], 1, v[43:44]
	v_add_co_u32 v8, vcc_lo, s12, v8
	s_delay_alu instid0(VALU_DEP_2)
	v_add_co_ci_u32_e32 v9, vcc_lo, s13, v9, vcc_lo
	global_load_b128 v[24:27], v[8:9], off
.LBB192_27:                             ;   in Loop: Header=BB192_24 Depth=2
	s_and_not1_saveexec_b32 s18, s18
	s_cbranch_execz .LBB192_29
; %bb.28:                               ;   in Loop: Header=BB192_24 Depth=2
	v_lshlrev_b32_e32 v8, 1, v43
	s_waitcnt vmcnt(0)
	ds_load_b128 v[24:27], v8
.LBB192_29:                             ;   in Loop: Header=BB192_24 Depth=2
	s_or_b32 exec_lo, exec_lo, s18
	v_add_nc_u32_e32 v35, s6, v43
	s_mov_b32 s18, exec_lo
                                        ; implicit-def: $vgpr11
	s_delay_alu instid0(VALU_DEP_1)
	v_cmpx_lt_u32_e32 0x7fff, v35
	s_xor_b32 s18, exec_lo, s18
	s_cbranch_execz .LBB192_31
; %bb.30:                               ;   in Loop: Header=BB192_24 Depth=2
	v_lshlrev_b64 v[8:9], 1, v[35:36]
	s_delay_alu instid0(VALU_DEP_1) | instskip(NEXT) | instid1(VALU_DEP_2)
	v_add_co_u32 v8, vcc_lo, s12, v8
	v_add_co_ci_u32_e32 v9, vcc_lo, s13, v9, vcc_lo
	global_load_b128 v[8:11], v[8:9], off
.LBB192_31:                             ;   in Loop: Header=BB192_24 Depth=2
	s_and_not1_saveexec_b32 s18, s18
	s_cbranch_execz .LBB192_33
; %bb.32:                               ;   in Loop: Header=BB192_24 Depth=2
	s_waitcnt vmcnt(0)
	v_lshlrev_b32_e32 v8, 1, v35
	ds_load_b128 v[8:11], v8
.LBB192_33:                             ;   in Loop: Header=BB192_24 Depth=2
	s_or_b32 exec_lo, exec_lo, s18
	v_dual_mov_b32 v19, 0 :: v_dual_mov_b32 v18, 0
	v_dual_mov_b32 v17, 0 :: v_dual_mov_b32 v16, 0
	;; [unrolled: 1-line block ×4, first 2 shown]
	s_mov_b32 s18, exec_lo
	v_cmpx_gt_u32_e64 s4, v42
	s_cbranch_execz .LBB192_22
; %bb.34:                               ;   in Loop: Header=BB192_24 Depth=2
	s_mov_b32 s19, exec_lo
                                        ; implicit-def: $vgpr31
	v_cmpx_lt_u32_e32 0x7fff, v42
	s_xor_b32 s19, exec_lo, s19
	s_cbranch_execz .LBB192_36
; %bb.35:                               ;   in Loop: Header=BB192_24 Depth=2
	v_mov_b32_e32 v43, v36
	s_delay_alu instid0(VALU_DEP_1) | instskip(NEXT) | instid1(VALU_DEP_1)
	v_lshlrev_b64 v[16:17], 1, v[42:43]
                                        ; implicit-def: $vgpr43
	v_add_co_u32 v16, vcc_lo, s12, v16
	s_delay_alu instid0(VALU_DEP_2)
	v_add_co_ci_u32_e32 v17, vcc_lo, s13, v17, vcc_lo
	global_load_b128 v[28:31], v[16:17], off
.LBB192_36:                             ;   in Loop: Header=BB192_24 Depth=2
	s_and_not1_saveexec_b32 s19, s19
	s_cbranch_execz .LBB192_38
; %bb.37:                               ;   in Loop: Header=BB192_24 Depth=2
	v_lshlrev_b32_e32 v16, 1, v43
	s_waitcnt vmcnt(0)
	ds_load_b128 v[28:31], v16 offset:512
.LBB192_38:                             ;   in Loop: Header=BB192_24 Depth=2
	s_or_b32 exec_lo, exec_lo, s19
	v_add_nc_u32_e32 v16, s6, v42
	s_mov_b32 s19, exec_lo
                                        ; implicit-def: $vgpr19
	s_delay_alu instid0(VALU_DEP_1)
	v_cmpx_lt_u32_e32 0x7fff, v16
	s_xor_b32 s19, exec_lo, s19
	s_cbranch_execz .LBB192_40
; %bb.39:                               ;   in Loop: Header=BB192_24 Depth=2
	v_mov_b32_e32 v17, v36
	s_delay_alu instid0(VALU_DEP_1) | instskip(NEXT) | instid1(VALU_DEP_1)
	v_lshlrev_b64 v[16:17], 1, v[16:17]
	v_add_co_u32 v16, vcc_lo, s12, v16
	s_delay_alu instid0(VALU_DEP_2)
	v_add_co_ci_u32_e32 v17, vcc_lo, s13, v17, vcc_lo
	global_load_b128 v[16:19], v[16:17], off
.LBB192_40:                             ;   in Loop: Header=BB192_24 Depth=2
	s_and_not1_saveexec_b32 s19, s19
	s_cbranch_execz .LBB192_21
; %bb.41:                               ;   in Loop: Header=BB192_24 Depth=2
	s_waitcnt vmcnt(0)
	v_lshlrev_b32_e32 v16, 1, v35
	ds_load_b128 v[16:19], v16 offset:512
	s_branch .LBB192_21
.LBB192_42:                             ;   in Loop: Header=BB192_19 Depth=1
	s_delay_alu instid0(VALU_DEP_1)
	v_cvt_i32_f32_e32 v0, v51
	s_waitcnt lgkmcnt(0)
	v_cvt_i32_f32_e32 v1, v50
	v_cvt_i32_f32_e32 v2, v49
	v_cvt_i32_f32_e32 v3, v48
	v_cvt_f32_i32_dpp v0, v0 row_shr:8 row_mask:0xf bank_mask:0xf bound_ctrl:1
	s_delay_alu instid0(VALU_DEP_4) | instskip(NEXT) | instid1(VALU_DEP_4)
	v_cvt_f32_i32_dpp v1, v1 row_shr:8 row_mask:0xf bank_mask:0xf bound_ctrl:1
	v_cvt_f32_i32_dpp v2, v2 row_shr:8 row_mask:0xf bank_mask:0xf bound_ctrl:1
	s_delay_alu instid0(VALU_DEP_4) | instskip(NEXT) | instid1(VALU_DEP_3)
	v_cvt_f32_i32_dpp v3, v3 row_shr:8 row_mask:0xf bank_mask:0xf bound_ctrl:1
	v_dual_add_f32 v0, v51, v0 :: v_dual_add_f32 v1, v50, v1
	s_delay_alu instid0(VALU_DEP_2) | instskip(SKIP_1) | instid1(VALU_DEP_2)
	v_dual_add_f32 v2, v49, v2 :: v_dual_add_f32 v3, v48, v3
	s_waitcnt vmcnt(0)
	v_cvt_i32_f32_e32 v4, v0
	s_delay_alu instid0(VALU_DEP_3) | instskip(NEXT) | instid1(VALU_DEP_3)
	v_cvt_i32_f32_e32 v5, v1
	v_cvt_i32_f32_e32 v6, v2
	;; [unrolled: 1-line block ×3, first 2 shown]
	s_delay_alu instid0(VALU_DEP_4) | instskip(NEXT) | instid1(VALU_DEP_4)
	v_cvt_f32_i32_dpp v4, v4 row_shr:4 row_mask:0xf bank_mask:0xf bound_ctrl:1
	v_cvt_f32_i32_dpp v5, v5 row_shr:4 row_mask:0xf bank_mask:0xf bound_ctrl:1
	s_delay_alu instid0(VALU_DEP_4) | instskip(NEXT) | instid1(VALU_DEP_4)
	v_cvt_f32_i32_dpp v6, v6 row_shr:4 row_mask:0xf bank_mask:0xf bound_ctrl:1
	v_cvt_f32_i32_dpp v7, v7 row_shr:4 row_mask:0xf bank_mask:0xf bound_ctrl:1
	s_delay_alu instid0(VALU_DEP_3) | instskip(NEXT) | instid1(VALU_DEP_2)
	v_dual_add_f32 v0, v0, v4 :: v_dual_add_f32 v1, v1, v5
	v_dual_add_f32 v2, v2, v6 :: v_dual_add_f32 v3, v3, v7
	s_delay_alu instid0(VALU_DEP_2) | instskip(NEXT) | instid1(VALU_DEP_3)
	v_cvt_i32_f32_e32 v4, v0
	v_cvt_i32_f32_e32 v5, v1
	s_delay_alu instid0(VALU_DEP_3) | instskip(NEXT) | instid1(VALU_DEP_4)
	v_cvt_i32_f32_e32 v6, v2
	v_cvt_i32_f32_e32 v7, v3
	s_delay_alu instid0(VALU_DEP_4) | instskip(NEXT) | instid1(VALU_DEP_4)
	v_cvt_f32_i32_dpp v4, v4 row_shr:2 row_mask:0xf bank_mask:0xf bound_ctrl:1
	v_cvt_f32_i32_dpp v5, v5 row_shr:2 row_mask:0xf bank_mask:0xf bound_ctrl:1
	s_delay_alu instid0(VALU_DEP_4) | instskip(NEXT) | instid1(VALU_DEP_4)
	v_cvt_f32_i32_dpp v6, v6 row_shr:2 row_mask:0xf bank_mask:0xf bound_ctrl:1
	v_cvt_f32_i32_dpp v7, v7 row_shr:2 row_mask:0xf bank_mask:0xf bound_ctrl:1
	s_delay_alu instid0(VALU_DEP_3) | instskip(NEXT) | instid1(VALU_DEP_2)
	v_dual_add_f32 v0, v0, v4 :: v_dual_add_f32 v1, v1, v5
	v_dual_add_f32 v2, v2, v6 :: v_dual_add_f32 v3, v3, v7
	s_delay_alu instid0(VALU_DEP_2) | instskip(NEXT) | instid1(VALU_DEP_3)
	v_cvt_i32_f32_e32 v4, v0
	v_cvt_i32_f32_e32 v5, v1
	s_delay_alu instid0(VALU_DEP_3) | instskip(NEXT) | instid1(VALU_DEP_4)
	v_cvt_i32_f32_e32 v6, v2
	v_cvt_i32_f32_e32 v7, v3
	s_delay_alu instid0(VALU_DEP_4) | instskip(NEXT) | instid1(VALU_DEP_4)
	v_cvt_f32_i32_dpp v4, v4 row_shr:1 row_mask:0xf bank_mask:0xf bound_ctrl:1
	v_cvt_f32_i32_dpp v5, v5 row_shr:1 row_mask:0xf bank_mask:0xf bound_ctrl:1
	s_delay_alu instid0(VALU_DEP_4) | instskip(NEXT) | instid1(VALU_DEP_4)
	v_cvt_f32_i32_dpp v6, v6 row_shr:1 row_mask:0xf bank_mask:0xf bound_ctrl:1
	v_cvt_f32_i32_dpp v7, v7 row_shr:1 row_mask:0xf bank_mask:0xf bound_ctrl:1
	s_delay_alu instid0(VALU_DEP_3) | instskip(NEXT) | instid1(VALU_DEP_3)
	v_dual_add_f32 v8, v0, v4 :: v_dual_add_f32 v5, v1, v5
	v_add_f32_e32 v2, v2, v6
	s_delay_alu instid0(VALU_DEP_3)
	v_add_f32_e32 v0, v3, v7
	ds_bpermute_b32 v9, v46, v8
	ds_bpermute_b32 v6, v46, v5
	;; [unrolled: 1-line block ×4, first 2 shown]
	s_and_saveexec_b32 s18, s0
	s_cbranch_execz .LBB192_69
; %bb.43:                               ;   in Loop: Header=BB192_19 Depth=1
	v_dual_mov_b32 v4, 0 :: v_dual_mov_b32 v7, 0
	v_dual_mov_b32 v10, 0 :: v_dual_mov_b32 v11, 0
	s_and_not1_b32 vcc_lo, exec_lo, s22
	s_cbranch_vccnz .LBB192_45
; %bb.44:                               ;   in Loop: Header=BB192_19 Depth=1
	v_mul_hi_u32 v4, v34, v47
	v_mul_hi_u32 v7, v37, v47
	s_delay_alu instid0(VALU_DEP_2) | instskip(NEXT) | instid1(VALU_DEP_2)
	v_mul_lo_u32 v4, v4, s16
	v_mul_lo_u32 v7, v7, s16
	s_delay_alu instid0(VALU_DEP_2) | instskip(NEXT) | instid1(VALU_DEP_2)
	v_sub_nc_u32_e32 v4, v34, v4
	v_sub_nc_u32_e32 v7, v37, v7
	s_delay_alu instid0(VALU_DEP_2) | instskip(SKIP_1) | instid1(VALU_DEP_3)
	v_subrev_nc_u32_e32 v10, s16, v4
	v_cmp_le_u32_e32 vcc_lo, s16, v4
	v_subrev_nc_u32_e32 v11, s16, v7
	s_delay_alu instid0(VALU_DEP_3) | instskip(SKIP_1) | instid1(VALU_DEP_3)
	v_cndmask_b32_e32 v4, v4, v10, vcc_lo
	v_cmp_le_u32_e32 vcc_lo, s16, v7
	v_cndmask_b32_e32 v7, v7, v11, vcc_lo
	s_delay_alu instid0(VALU_DEP_3) | instskip(SKIP_2) | instid1(VALU_DEP_4)
	v_subrev_nc_u32_e32 v10, s16, v4
	v_cmp_le_u32_e32 vcc_lo, s16, v4
	v_mov_b32_e32 v11, v36
	v_subrev_nc_u32_e32 v12, s16, v7
	s_delay_alu instid0(VALU_DEP_4) | instskip(SKIP_1) | instid1(VALU_DEP_3)
	v_cndmask_b32_e32 v35, v4, v10, vcc_lo
	v_cmp_le_u32_e32 vcc_lo, s16, v7
	v_cndmask_b32_e32 v10, v7, v12, vcc_lo
	s_delay_alu instid0(VALU_DEP_3) | instskip(SKIP_1) | instid1(VALU_DEP_3)
	v_lshlrev_b64 v[12:13], 1, v[35:36]
	v_add_nc_u32_e32 v35, s25, v35
	v_lshlrev_b64 v[14:15], 1, v[10:11]
	s_delay_alu instid0(VALU_DEP_2)
	v_lshlrev_b64 v[16:17], 1, v[35:36]
	v_add_nc_u32_e32 v35, s25, v10
	v_add_co_u32 v10, vcc_lo, s8, v12
	v_add_co_ci_u32_e32 v11, vcc_lo, s9, v13, vcc_lo
	v_add_co_u32 v12, vcc_lo, s8, v14
	v_add_co_ci_u32_e32 v13, vcc_lo, s9, v15, vcc_lo
	v_lshlrev_b64 v[14:15], 1, v[35:36]
	v_add_co_u32 v16, vcc_lo, s8, v16
	v_add_co_ci_u32_e32 v17, vcc_lo, s9, v17, vcc_lo
	s_delay_alu instid0(VALU_DEP_3) | instskip(NEXT) | instid1(VALU_DEP_4)
	v_add_co_u32 v14, vcc_lo, s8, v14
	v_add_co_ci_u32_e32 v15, vcc_lo, s9, v15, vcc_lo
	s_clause 0x3
	global_load_u16 v11, v[10:11], off
	global_load_u16 v10, v[12:13], off
	;; [unrolled: 1-line block ×4, first 2 shown]
.LBB192_45:                             ;   in Loop: Header=BB192_19 Depth=1
	v_cmp_ne_u32_e32 vcc_lo, 0, v32
	s_and_saveexec_b32 s2, vcc_lo
	s_cbranch_execnz .LBB192_49
; %bb.46:                               ;   in Loop: Header=BB192_19 Depth=1
	s_or_b32 exec_lo, exec_lo, s2
	v_cmp_ne_u32_e64 s1, 0, v33
	s_delay_alu instid0(VALU_DEP_1)
	s_and_saveexec_b32 s19, s1
	s_cbranch_execnz .LBB192_54
.LBB192_47:                             ;   in Loop: Header=BB192_19 Depth=1
	s_or_b32 exec_lo, exec_lo, s19
	v_add_nc_u32_e32 v35, s7, v34
	s_and_saveexec_b32 s2, vcc_lo
	s_cbranch_execnz .LBB192_59
.LBB192_48:                             ;   in Loop: Header=BB192_19 Depth=1
	s_or_b32 exec_lo, exec_lo, s2
	s_delay_alu instid0(SALU_CYCLE_1)
	s_and_b32 exec_lo, exec_lo, s1
	s_cbranch_execnz .LBB192_64
	s_branch .LBB192_69
.LBB192_49:                             ;   in Loop: Header=BB192_19 Depth=1
	s_waitcnt vmcnt(3) lgkmcnt(3)
	v_dual_add_f32 v8, v8, v9 :: v_dual_lshlrev_b32 v9, 16, v11
	s_delay_alu instid0(VALU_DEP_1) | instskip(NEXT) | instid1(VALU_DEP_1)
	v_add_f32_e32 v9, v8, v9
	v_and_b32_e32 v8, 0x7f800000, v9
	s_delay_alu instid0(VALU_DEP_1) | instskip(NEXT) | instid1(VALU_DEP_1)
	v_cmp_ne_u32_e64 s1, 0x7f800000, v8
                                        ; implicit-def: $vgpr8
	s_and_saveexec_b32 s19, s1
	s_delay_alu instid0(SALU_CYCLE_1)
	s_xor_b32 s1, exec_lo, s19
; %bb.50:                               ;   in Loop: Header=BB192_19 Depth=1
	v_bfe_u32 v8, v9, 16, 1
	s_delay_alu instid0(VALU_DEP_1)
	v_add3_u32 v8, v9, v8, 0x7fff
                                        ; implicit-def: $vgpr9
; %bb.51:                               ;   in Loop: Header=BB192_19 Depth=1
	s_and_not1_saveexec_b32 s19, s1
; %bb.52:                               ;   in Loop: Header=BB192_19 Depth=1
	v_and_b32_e32 v8, 0xffff, v9
	v_or_b32_e32 v11, 0x10000, v9
	s_delay_alu instid0(VALU_DEP_2) | instskip(NEXT) | instid1(VALU_DEP_1)
	v_cmp_eq_u32_e64 s1, 0, v8
	v_cndmask_b32_e64 v8, v11, v9, s1
; %bb.53:                               ;   in Loop: Header=BB192_19 Depth=1
	s_or_b32 exec_lo, exec_lo, s19
	v_mov_b32_e32 v35, v36
	s_delay_alu instid0(VALU_DEP_1) | instskip(NEXT) | instid1(VALU_DEP_1)
	v_lshlrev_b64 v[11:12], 1, v[34:35]
	v_add_co_u32 v11, s1, s10, v11
	s_delay_alu instid0(VALU_DEP_1) | instskip(SKIP_3) | instid1(VALU_DEP_1)
	v_add_co_ci_u32_e64 v12, s1, s11, v12, s1
	global_store_d16_hi_b16 v[11:12], v8, off
	s_or_b32 exec_lo, exec_lo, s2
	v_cmp_ne_u32_e64 s1, 0, v33
	s_and_saveexec_b32 s19, s1
	s_cbranch_execz .LBB192_47
.LBB192_54:                             ;   in Loop: Header=BB192_19 Depth=1
	s_waitcnt lgkmcnt(2)
	v_add_f32_e32 v5, v5, v6
	s_waitcnt vmcnt(2)
	v_lshlrev_b32_e32 v6, 16, v10
	s_delay_alu instid0(VALU_DEP_1) | instskip(NEXT) | instid1(VALU_DEP_1)
	v_add_f32_e32 v6, v5, v6
	v_and_b32_e32 v5, 0x7f800000, v6
	s_delay_alu instid0(VALU_DEP_1) | instskip(NEXT) | instid1(VALU_DEP_1)
	v_cmp_ne_u32_e64 s2, 0x7f800000, v5
                                        ; implicit-def: $vgpr5
	s_and_saveexec_b32 s26, s2
	s_delay_alu instid0(SALU_CYCLE_1)
	s_xor_b32 s2, exec_lo, s26
; %bb.55:                               ;   in Loop: Header=BB192_19 Depth=1
	v_bfe_u32 v5, v6, 16, 1
	s_delay_alu instid0(VALU_DEP_1)
	v_add3_u32 v5, v6, v5, 0x7fff
                                        ; implicit-def: $vgpr6
; %bb.56:                               ;   in Loop: Header=BB192_19 Depth=1
	s_and_not1_saveexec_b32 s26, s2
; %bb.57:                               ;   in Loop: Header=BB192_19 Depth=1
	v_and_b32_e32 v5, 0xffff, v6
	v_or_b32_e32 v8, 0x10000, v6
	s_delay_alu instid0(VALU_DEP_2) | instskip(NEXT) | instid1(VALU_DEP_1)
	v_cmp_eq_u32_e64 s2, 0, v5
	v_cndmask_b32_e64 v5, v8, v6, s2
; %bb.58:                               ;   in Loop: Header=BB192_19 Depth=1
	s_or_b32 exec_lo, exec_lo, s26
	v_mov_b32_e32 v38, v36
	s_delay_alu instid0(VALU_DEP_1) | instskip(NEXT) | instid1(VALU_DEP_1)
	v_lshlrev_b64 v[8:9], 1, v[37:38]
	v_add_co_u32 v8, s2, s10, v8
	s_delay_alu instid0(VALU_DEP_1)
	v_add_co_ci_u32_e64 v9, s2, s11, v9, s2
	global_store_d16_hi_b16 v[8:9], v5, off
	s_or_b32 exec_lo, exec_lo, s19
	v_add_nc_u32_e32 v35, s7, v34
	s_and_saveexec_b32 s2, vcc_lo
	s_cbranch_execz .LBB192_48
.LBB192_59:                             ;   in Loop: Header=BB192_19 Depth=1
	s_waitcnt lgkmcnt(1)
	v_add_f32_e32 v2, v2, v3
	s_waitcnt vmcnt(1)
	v_lshlrev_b32_e32 v3, 16, v7
	s_delay_alu instid0(VALU_DEP_1) | instskip(NEXT) | instid1(VALU_DEP_1)
	v_add_f32_e32 v3, v2, v3
	v_and_b32_e32 v2, 0x7f800000, v3
	s_delay_alu instid0(VALU_DEP_1) | instskip(SKIP_1) | instid1(SALU_CYCLE_1)
	v_cmp_ne_u32_e32 vcc_lo, 0x7f800000, v2
                                        ; implicit-def: $vgpr2
	s_and_saveexec_b32 s19, vcc_lo
	s_xor_b32 s19, exec_lo, s19
; %bb.60:                               ;   in Loop: Header=BB192_19 Depth=1
	v_bfe_u32 v2, v3, 16, 1
	s_delay_alu instid0(VALU_DEP_1)
	v_add3_u32 v2, v3, v2, 0x7fff
                                        ; implicit-def: $vgpr3
; %bb.61:                               ;   in Loop: Header=BB192_19 Depth=1
	s_and_not1_saveexec_b32 s19, s19
; %bb.62:                               ;   in Loop: Header=BB192_19 Depth=1
	v_and_b32_e32 v2, 0xffff, v3
	v_or_b32_e32 v5, 0x10000, v3
	s_delay_alu instid0(VALU_DEP_2) | instskip(NEXT) | instid1(VALU_DEP_2)
	v_cmp_eq_u32_e32 vcc_lo, 0, v2
	v_cndmask_b32_e32 v2, v5, v3, vcc_lo
; %bb.63:                               ;   in Loop: Header=BB192_19 Depth=1
	s_or_b32 exec_lo, exec_lo, s19
	v_lshlrev_b64 v[5:6], 1, v[35:36]
	s_delay_alu instid0(VALU_DEP_1) | instskip(NEXT) | instid1(VALU_DEP_2)
	v_add_co_u32 v5, vcc_lo, s10, v5
	v_add_co_ci_u32_e32 v6, vcc_lo, s11, v6, vcc_lo
	global_store_d16_hi_b16 v[5:6], v2, off
	s_or_b32 exec_lo, exec_lo, s2
	s_delay_alu instid0(SALU_CYCLE_1)
	s_and_b32 exec_lo, exec_lo, s1
	s_cbranch_execz .LBB192_69
.LBB192_64:                             ;   in Loop: Header=BB192_19 Depth=1
	s_waitcnt vmcnt(0) lgkmcnt(0)
	v_dual_add_f32 v0, v0, v1 :: v_dual_lshlrev_b32 v1, 16, v4
	s_delay_alu instid0(VALU_DEP_1) | instskip(NEXT) | instid1(VALU_DEP_1)
	v_add_f32_e32 v1, v0, v1
	v_and_b32_e32 v0, 0x7f800000, v1
	s_delay_alu instid0(VALU_DEP_1) | instskip(SKIP_1) | instid1(SALU_CYCLE_1)
	v_cmp_ne_u32_e32 vcc_lo, 0x7f800000, v0
                                        ; implicit-def: $vgpr0
	s_and_saveexec_b32 s1, vcc_lo
	s_xor_b32 s1, exec_lo, s1
; %bb.65:                               ;   in Loop: Header=BB192_19 Depth=1
	v_bfe_u32 v0, v1, 16, 1
	s_delay_alu instid0(VALU_DEP_1)
	v_add3_u32 v0, v1, v0, 0x7fff
                                        ; implicit-def: $vgpr1
; %bb.66:                               ;   in Loop: Header=BB192_19 Depth=1
	s_and_not1_saveexec_b32 s1, s1
; %bb.67:                               ;   in Loop: Header=BB192_19 Depth=1
	v_and_b32_e32 v0, 0xffff, v1
	v_or_b32_e32 v2, 0x10000, v1
	s_delay_alu instid0(VALU_DEP_2) | instskip(NEXT) | instid1(VALU_DEP_2)
	v_cmp_eq_u32_e32 vcc_lo, 0, v0
	v_cndmask_b32_e32 v0, v2, v1, vcc_lo
; %bb.68:                               ;   in Loop: Header=BB192_19 Depth=1
	s_or_b32 exec_lo, exec_lo, s1
	v_add_nc_u32_e32 v35, 1, v35
	s_delay_alu instid0(VALU_DEP_1) | instskip(NEXT) | instid1(VALU_DEP_1)
	v_lshlrev_b64 v[1:2], 1, v[35:36]
	v_add_co_u32 v1, vcc_lo, s10, v1
	s_delay_alu instid0(VALU_DEP_2)
	v_add_co_ci_u32_e32 v2, vcc_lo, s11, v2, vcc_lo
	global_store_d16_hi_b16 v[1:2], v0, off
.LBB192_69:                             ;   in Loop: Header=BB192_19 Depth=1
	s_or_b32 exec_lo, exec_lo, s18
	v_add_nc_u32_e32 v34, s23, v34
	s_delay_alu instid0(VALU_DEP_1) | instskip(SKIP_1) | instid1(VALU_DEP_2)
	v_add_nc_u32_e32 v0, 2, v34
	v_cmp_gt_u32_e32 vcc_lo, s7, v34
	v_cmp_le_u32_e64 s1, s7, v0
	s_delay_alu instid0(VALU_DEP_1) | instskip(NEXT) | instid1(SALU_CYCLE_1)
	s_and_b32 s1, vcc_lo, s1
	s_and_saveexec_b32 s26, s1
	s_cbranch_execz .LBB192_18
; %bb.70:                               ;   in Loop: Header=BB192_19 Depth=1
	s_mov_b32 s27, exec_lo
	v_cmpx_ne_u32_e64 s24, v34
	s_cbranch_execz .LBB192_17
; %bb.71:                               ;   in Loop: Header=BB192_19 Depth=1
	v_subrev_nc_u32_e32 v0, s24, v34
	s_mov_b32 s28, 0
	s_mov_b64 s[18:19], 0
	s_delay_alu instid0(VALU_DEP_1)
	v_cmp_lt_u32_e32 vcc_lo, 1, v0
	v_cndmask_b32_e32 v0, 1, v0, vcc_lo
.LBB192_72:                             ;   Parent Loop BB192_19 Depth=1
                                        ; =>  This Inner Loop Header: Depth=2
	s_cmp_lg_u32 s18, 1
	s_cselect_b32 vcc_lo, -1, 0
	s_cmp_lg_u32 s18, 0
	v_cndmask_b32_e32 v33, 0, v33, vcc_lo
	s_cselect_b32 s1, -1, 0
	s_add_u32 s18, s18, 1
	v_cndmask_b32_e64 v32, 0, v32, s1
	v_cmp_eq_u32_e64 s2, s18, v0
	s_addc_u32 s19, s19, 0
	s_delay_alu instid0(VALU_DEP_1) | instskip(NEXT) | instid1(SALU_CYCLE_1)
	s_or_b32 s28, s2, s28
	s_and_not1_b32 exec_lo, exec_lo, s28
	s_cbranch_execnz .LBB192_72
; %bb.73:                               ;   in Loop: Header=BB192_19 Depth=1
	s_or_b32 exec_lo, exec_lo, s28
	s_branch .LBB192_17
.LBB192_74:
	s_nop 0
	s_sendmsg sendmsg(MSG_DEALLOC_VGPRS)
	s_endpgm
	.section	.rodata,"a",@progbits
	.p2align	6, 0x0
	.amdhsa_kernel _Z12wvSplitK_hf_I14__hip_bfloat16Li32ELi2ELi16ELi8ELi2ELi2EEviiiiiiPKT_S3_S3_PS1_ii
		.amdhsa_group_segment_fixed_size 65536
		.amdhsa_private_segment_fixed_size 0
		.amdhsa_kernarg_size 64
		.amdhsa_user_sgpr_count 15
		.amdhsa_user_sgpr_dispatch_ptr 0
		.amdhsa_user_sgpr_queue_ptr 0
		.amdhsa_user_sgpr_kernarg_segment_ptr 1
		.amdhsa_user_sgpr_dispatch_id 0
		.amdhsa_user_sgpr_private_segment_size 0
		.amdhsa_wavefront_size32 1
		.amdhsa_uses_dynamic_stack 0
		.amdhsa_enable_private_segment 0
		.amdhsa_system_sgpr_workgroup_id_x 1
		.amdhsa_system_sgpr_workgroup_id_y 0
		.amdhsa_system_sgpr_workgroup_id_z 0
		.amdhsa_system_sgpr_workgroup_info 0
		.amdhsa_system_vgpr_workitem_id 1
		.amdhsa_next_free_vgpr 63
		.amdhsa_next_free_sgpr 29
		.amdhsa_reserve_vcc 1
		.amdhsa_float_round_mode_32 0
		.amdhsa_float_round_mode_16_64 0
		.amdhsa_float_denorm_mode_32 3
		.amdhsa_float_denorm_mode_16_64 3
		.amdhsa_dx10_clamp 1
		.amdhsa_ieee_mode 1
		.amdhsa_fp16_overflow 0
		.amdhsa_workgroup_processor_mode 1
		.amdhsa_memory_ordered 1
		.amdhsa_forward_progress 0
		.amdhsa_shared_vgpr_count 0
		.amdhsa_exception_fp_ieee_invalid_op 0
		.amdhsa_exception_fp_denorm_src 0
		.amdhsa_exception_fp_ieee_div_zero 0
		.amdhsa_exception_fp_ieee_overflow 0
		.amdhsa_exception_fp_ieee_underflow 0
		.amdhsa_exception_fp_ieee_inexact 0
		.amdhsa_exception_int_div_zero 0
	.end_amdhsa_kernel
	.section	.text._Z12wvSplitK_hf_I14__hip_bfloat16Li32ELi2ELi16ELi8ELi2ELi2EEviiiiiiPKT_S3_S3_PS1_ii,"axG",@progbits,_Z12wvSplitK_hf_I14__hip_bfloat16Li32ELi2ELi16ELi8ELi2ELi2EEviiiiiiPKT_S3_S3_PS1_ii,comdat
.Lfunc_end192:
	.size	_Z12wvSplitK_hf_I14__hip_bfloat16Li32ELi2ELi16ELi8ELi2ELi2EEviiiiiiPKT_S3_S3_PS1_ii, .Lfunc_end192-_Z12wvSplitK_hf_I14__hip_bfloat16Li32ELi2ELi16ELi8ELi2ELi2EEviiiiiiPKT_S3_S3_PS1_ii
                                        ; -- End function
	.section	.AMDGPU.csdata,"",@progbits
; Kernel info:
; codeLenInByte = 4356
; NumSgprs: 31
; NumVgprs: 63
; ScratchSize: 0
; MemoryBound: 0
; FloatMode: 240
; IeeeMode: 1
; LDSByteSize: 65536 bytes/workgroup (compile time only)
; SGPRBlocks: 3
; VGPRBlocks: 7
; NumSGPRsForWavesPerEU: 31
; NumVGPRsForWavesPerEU: 63
; Occupancy: 8
; WaveLimiterHint : 0
; COMPUTE_PGM_RSRC2:SCRATCH_EN: 0
; COMPUTE_PGM_RSRC2:USER_SGPR: 15
; COMPUTE_PGM_RSRC2:TRAP_HANDLER: 0
; COMPUTE_PGM_RSRC2:TGID_X_EN: 1
; COMPUTE_PGM_RSRC2:TGID_Y_EN: 0
; COMPUTE_PGM_RSRC2:TGID_Z_EN: 0
; COMPUTE_PGM_RSRC2:TIDIG_COMP_CNT: 1
	.section	.text._Z16wvSplitK_hf_big_I14__hip_bfloat16Li32ELi2ELi16ELi8ELi2ELi2EEviiiiiiPKT_S3_S3_PS1_ii,"axG",@progbits,_Z16wvSplitK_hf_big_I14__hip_bfloat16Li32ELi2ELi16ELi8ELi2ELi2EEviiiiiiPKT_S3_S3_PS1_ii,comdat
	.protected	_Z16wvSplitK_hf_big_I14__hip_bfloat16Li32ELi2ELi16ELi8ELi2ELi2EEviiiiiiPKT_S3_S3_PS1_ii ; -- Begin function _Z16wvSplitK_hf_big_I14__hip_bfloat16Li32ELi2ELi16ELi8ELi2ELi2EEviiiiiiPKT_S3_S3_PS1_ii
	.globl	_Z16wvSplitK_hf_big_I14__hip_bfloat16Li32ELi2ELi16ELi8ELi2ELi2EEviiiiiiPKT_S3_S3_PS1_ii
	.p2align	8
	.type	_Z16wvSplitK_hf_big_I14__hip_bfloat16Li32ELi2ELi16ELi8ELi2ELi2EEviiiiiiPKT_S3_S3_PS1_ii,@function
_Z16wvSplitK_hf_big_I14__hip_bfloat16Li32ELi2ELi16ELi8ELi2ELi2EEviiiiiiPKT_S3_S3_PS1_ii: ; @_Z16wvSplitK_hf_big_I14__hip_bfloat16Li32ELi2ELi16ELi8ELi2ELi2EEviiiiiiPKT_S3_S3_PS1_ii
; %bb.0:
	s_load_b64 s[20:21], s[0:1], 0x38
	v_bfe_u32 v1, v0, 10, 10
	s_mov_b32 s2, exec_lo
	s_waitcnt lgkmcnt(0)
	s_delay_alu instid0(VALU_DEP_1)
	v_cmpx_gt_u32_e64 s20, v1
	s_cbranch_execz .LBB193_64
; %bb.1:
	s_load_b128 s[16:19], s[0:1], 0x0
	s_mul_i32 s15, s15, s20
	s_mov_b32 s4, 1
	v_add_lshl_u32 v34, s15, v1, 1
	s_mov_b32 s5, s4
	s_delay_alu instid0(SALU_CYCLE_1) | instskip(NEXT) | instid1(VALU_DEP_2)
	v_dual_mov_b32 v33, s5 :: v_dual_mov_b32 v32, s4
	v_add_nc_u32_e32 v2, 2, v34
	s_waitcnt lgkmcnt(0)
	v_cmp_gt_u32_e32 vcc_lo, s19, v34
	s_delay_alu instid0(VALU_DEP_2) | instskip(NEXT) | instid1(VALU_DEP_1)
	v_cmp_le_u32_e64 s2, s19, v2
	s_and_b32 s2, vcc_lo, s2
	s_delay_alu instid0(SALU_CYCLE_1)
	s_and_saveexec_b32 s6, s2
	s_cbranch_execz .LBB193_7
; %bb.2:
	v_dual_mov_b32 v33, s5 :: v_dual_mov_b32 v32, s4
	s_add_i32 s7, s19, -2
	s_mov_b32 s8, exec_lo
	v_cmpx_ne_u32_e64 s7, v34
	s_cbranch_execz .LBB193_6
; %bb.3:
	v_subrev_nc_u32_e32 v2, s7, v34
	s_mov_b32 s2, 1
	s_mov_b32 s9, 0
	s_mov_b64 s[4:5], 0
	s_mov_b32 s3, s2
	v_cmp_lt_u32_e32 vcc_lo, 1, v2
	v_cndmask_b32_e32 v2, 1, v2, vcc_lo
.LBB193_4:                              ; =>This Inner Loop Header: Depth=1
	s_cmp_lg_u32 s4, 1
	s_cselect_b32 s3, s3, 0
	s_cmp_lg_u32 s4, 0
	s_cselect_b32 s2, s2, 0
	s_add_u32 s4, s4, 1
	v_dual_mov_b32 v33, s3 :: v_dual_mov_b32 v32, s2
	v_cmp_eq_u32_e32 vcc_lo, s4, v2
	s_addc_u32 s5, s5, 0
	s_or_b32 s9, vcc_lo, s9
	s_delay_alu instid0(SALU_CYCLE_1)
	s_and_not1_b32 exec_lo, exec_lo, s9
	s_cbranch_execnz .LBB193_4
; %bb.5:
	s_or_b32 exec_lo, exec_lo, s9
	v_mov_b32_e32 v34, s7
.LBB193_6:
	s_or_b32 exec_lo, exec_lo, s8
.LBB193_7:
	s_delay_alu instid0(SALU_CYCLE_1)
	s_or_b32 exec_lo, exec_lo, s6
	s_lshl_b32 s2, s20, 1
	s_abs_i32 s6, s19
	s_abs_i32 s3, s2
	s_mov_b32 s22, 0
	v_cvt_f32_u32_e32 v2, s3
	s_sub_i32 s5, 0, s3
	s_delay_alu instid0(VALU_DEP_1) | instskip(SKIP_2) | instid1(VALU_DEP_1)
	v_rcp_iflag_f32_e32 v2, v2
	s_waitcnt_depctr 0xfff
	v_mul_f32_e32 v2, 0x4f7ffffe, v2
	v_cvt_u32_f32_e32 v2, v2
	s_delay_alu instid0(VALU_DEP_1) | instskip(NEXT) | instid1(VALU_DEP_1)
	v_readfirstlane_b32 s4, v2
	s_mul_i32 s5, s5, s4
	s_delay_alu instid0(SALU_CYCLE_1) | instskip(NEXT) | instid1(SALU_CYCLE_1)
	s_mul_hi_u32 s5, s4, s5
	s_add_i32 s4, s4, s5
	s_ashr_i32 s5, s19, 31
	s_mul_hi_u32 s4, s6, s4
	s_delay_alu instid0(SALU_CYCLE_1) | instskip(NEXT) | instid1(SALU_CYCLE_1)
	s_mul_i32 s4, s4, s3
	s_sub_i32 s4, s6, s4
	s_delay_alu instid0(SALU_CYCLE_1) | instskip(SKIP_2) | instid1(SALU_CYCLE_1)
	s_sub_i32 s6, s4, s3
	s_cmp_ge_u32 s4, s3
	s_cselect_b32 s4, s6, s4
	s_sub_i32 s6, s4, s3
	s_cmp_ge_u32 s4, s3
	s_cselect_b32 s3, s6, s4
	s_add_i32 s2, s2, s19
	s_xor_b32 s3, s3, s5
	s_delay_alu instid0(SALU_CYCLE_1) | instskip(NEXT) | instid1(SALU_CYCLE_1)
	s_sub_i32 s3, s3, s5
	s_sub_i32 s2, s2, s3
	s_cmp_eq_u32 s3, 0
	s_cselect_b32 s3, s19, s2
	s_delay_alu instid0(SALU_CYCLE_1)
	v_cmp_gt_u32_e32 vcc_lo, s3, v34
	s_and_b32 exec_lo, exec_lo, vcc_lo
	s_cbranch_execz .LBB193_64
; %bb.8:
	s_load_b256 s[4:11], s[0:1], 0x10
	s_min_u32 s23, s18, 0x4000
	s_cmp_lg_u32 s16, 0
	s_load_b64 s[12:13], s[0:1], 0x30
	s_mul_i32 s0, s21, s20
	s_cselect_b32 s21, -1, 0
	s_cmp_lg_u32 s18, 0
	v_and_b32_e32 v0, 0x3ff, v0
	s_cselect_b32 s24, -1, 0
	s_lshl_b32 s25, s20, 8
	s_add_i32 s26, s16, -8
	s_add_i32 s27, s19, -1
	s_lshl_b32 s28, s0, 1
	v_dual_mov_b32 v36, 0 :: v_dual_lshlrev_b32 v41, 3, v0
	v_cmp_eq_u32_e64 s0, 31, v0
	v_lshlrev_b32_e32 v0, 4, v0
	v_mbcnt_lo_u32_b32 v46, -1, 0
	s_delay_alu instid0(VALU_DEP_4)
	v_lshl_add_u32 v42, v1, 8, v41
	s_waitcnt lgkmcnt(0)
	v_cvt_f32_u32_e32 v2, s4
	s_cmp_lg_u64 s[10:11], 0
	v_lshl_add_u32 v43, v1, 9, v0
	s_cselect_b32 s29, -1, 0
	s_sub_i32 s1, 0, s4
	v_rcp_iflag_f32_e32 v2, v2
	v_add_nc_u32_e32 v44, s18, v42
	s_waitcnt_depctr 0xfff
	v_mul_f32_e32 v2, 0x4f7ffffe, v2
	s_delay_alu instid0(VALU_DEP_1) | instskip(NEXT) | instid1(VALU_DEP_1)
	v_cvt_u32_f32_e32 v2, v2
	v_mul_lo_u32 v3, s1, v2
	s_abs_i32 s1, s5
	s_add_i32 s5, s19, -2
	s_sub_i32 s2, 1, s1
	s_cmp_lt_u32 s1, 2
	s_cselect_b32 s2, s2, 1
	s_delay_alu instid0(SALU_CYCLE_1) | instskip(NEXT) | instid1(VALU_DEP_1)
	s_sub_i32 s14, s2, s1
	v_mul_hi_u32 v3, v2, v3
	s_cmp_ge_u32 s2, s1
	s_cselect_b32 s31, s14, s2
	s_add_u32 s30, s12, 2
	s_mul_i32 s31, s31, s4
	s_addc_u32 s33, s13, 0
	s_lshl_b32 s34, s23, 1
	s_delay_alu instid0(VALU_DEP_1)
	v_add_nc_u32_e32 v45, v2, v3
	s_lshl_b32 s20, s20, 9
	s_branch .LBB193_12
.LBB193_9:                              ;   in Loop: Header=BB193_12 Depth=1
	s_or_b32 exec_lo, exec_lo, s37
	v_mov_b32_e32 v34, s5
.LBB193_10:                             ;   in Loop: Header=BB193_12 Depth=1
	s_or_b32 exec_lo, exec_lo, s36
.LBB193_11:                             ;   in Loop: Header=BB193_12 Depth=1
	s_delay_alu instid0(SALU_CYCLE_1) | instskip(NEXT) | instid1(VALU_DEP_1)
	s_or_b32 exec_lo, exec_lo, s35
	v_cmp_le_u32_e32 vcc_lo, s3, v34
	s_or_b32 s22, vcc_lo, s22
	s_delay_alu instid0(SALU_CYCLE_1)
	s_and_not1_b32 exec_lo, exec_lo, s22
	s_cbranch_execz .LBB193_64
.LBB193_12:                             ; =>This Loop Header: Depth=1
                                        ;     Child Loop BB193_17 Depth 2
                                        ;       Child Loop BB193_22 Depth 3
                                        ;     Child Loop BB193_62 Depth 2
	v_mov_b32_e32 v47, v36
	v_mov_b32_e32 v48, v36
	;; [unrolled: 1-line block ×4, first 2 shown]
	s_and_not1_b32 vcc_lo, exec_lo, s21
	s_mov_b32 s14, 0
	s_cbranch_vccnz .LBB193_29
; %bb.13:                               ;   in Loop: Header=BB193_12 Depth=1
	v_add_nc_u32_e32 v0, 1, v34
	s_waitcnt lgkmcnt(0)
	v_min_u32_e32 v1, s27, v34
	v_cmp_gt_u32_e64 s1, s19, v34
	v_dual_mov_b32 v50, 0 :: v_dual_mov_b32 v49, 0
	v_dual_mov_b32 v48, 0 :: v_dual_mov_b32 v47, 0
	s_delay_alu instid0(VALU_DEP_4) | instskip(SKIP_3) | instid1(VALU_DEP_1)
	v_mul_lo_u32 v35, v1, s17
	v_mov_b32_e32 v1, v36
	v_min_u32_e32 v0, s27, v0
	s_mov_b32 s15, 0
	v_mul_lo_u32 v0, v0, s17
	s_delay_alu instid0(VALU_DEP_4) | instskip(NEXT) | instid1(VALU_DEP_2)
	v_lshlrev_b64 v[37:38], 1, v[35:36]
	v_lshlrev_b64 v[39:40], 1, v[0:1]
	s_branch .LBB193_17
.LBB193_14:                             ;   in Loop: Header=BB193_17 Depth=2
	s_or_b32 exec_lo, exec_lo, s36
.LBB193_15:                             ;   in Loop: Header=BB193_17 Depth=2
	s_delay_alu instid0(SALU_CYCLE_1)
	s_or_b32 exec_lo, exec_lo, s35
	s_waitcnt lgkmcnt(1)
	v_and_b32_e32 v58, 0xffff0000, v31
	s_waitcnt vmcnt(3)
	v_and_b32_e32 v59, 0xffff0000, v27
	v_and_b32_e32 v35, 0xffff0000, v28
	;; [unrolled: 1-line block ×4, first 2 shown]
	s_delay_alu instid0(VALU_DEP_4) | instskip(SKIP_4) | instid1(VALU_DEP_3)
	v_dual_mul_f32 v60, v58, v59 :: v_dual_and_b32 v57, 0xffff0000, v26
	v_and_b32_e32 v51, 0xffff0000, v24
	v_and_b32_e32 v53, 0xffff0000, v25
	v_lshlrev_b32_e32 v25, 16, v25
	s_waitcnt vmcnt(2)
	v_dual_mul_f32 v54, v35, v51 :: v_dual_and_b32 v61, 0xffff0000, v17
	s_delay_alu instid0(VALU_DEP_3) | instskip(SKIP_1) | instid1(VALU_DEP_1)
	v_dual_mul_f32 v55, v52, v53 :: v_dual_lshlrev_b32 v28, 16, v28
	v_lshlrev_b32_e32 v29, 16, v29
	v_dual_fmac_f32 v55, v29, v25 :: v_dual_lshlrev_b32 v24, 16, v24
	s_delay_alu instid0(VALU_DEP_1) | instskip(NEXT) | instid1(VALU_DEP_1)
	v_fmac_f32_e32 v54, v28, v24
	v_add_f32_e32 v50, v50, v54
	s_delay_alu instid0(VALU_DEP_1) | instskip(NEXT) | instid1(VALU_DEP_1)
	v_dual_add_f32 v50, v50, v55 :: v_dual_and_b32 v55, 0xffff0000, v16
	v_dual_mul_f32 v35, v35, v55 :: v_dual_lshlrev_b32 v16, 16, v16
	v_lshlrev_b32_e32 v31, 16, v31
	s_delay_alu instid0(VALU_DEP_2) | instskip(SKIP_2) | instid1(VALU_DEP_3)
	v_fmac_f32_e32 v35, v28, v16
	v_mul_f32_e32 v28, v52, v61
	v_lshlrev_b32_e32 v30, 16, v30
	v_dual_mul_f32 v54, v56, v57 :: v_dual_add_f32 v35, v49, v35
	v_lshlrev_b32_e32 v17, 16, v17
	s_delay_alu instid0(VALU_DEP_1) | instskip(NEXT) | instid1(VALU_DEP_1)
	v_dual_fmac_f32 v28, v29, v17 :: v_dual_and_b32 v29, 0xffff0000, v18
	v_dual_add_f32 v28, v35, v28 :: v_dual_and_b32 v35, 0xffff0000, v19
	s_waitcnt lgkmcnt(0)
	v_and_b32_e32 v52, 0xffff0000, v20
	v_lshlrev_b32_e32 v26, 16, v26
	v_lshlrev_b32_e32 v19, 16, v19
	s_delay_alu instid0(VALU_DEP_3) | instskip(NEXT) | instid1(VALU_DEP_3)
	v_dual_mul_f32 v49, v52, v51 :: v_dual_lshlrev_b32 v18, 16, v18
	v_fmac_f32_e32 v54, v30, v26
	s_delay_alu instid0(VALU_DEP_1) | instskip(SKIP_1) | instid1(VALU_DEP_2)
	v_dual_add_f32 v50, v50, v54 :: v_dual_lshlrev_b32 v27, 16, v27
	v_mul_f32_e32 v54, v56, v29
	v_dual_fmac_f32 v60, v31, v27 :: v_dual_and_b32 v51, 0xffff0000, v21
	s_delay_alu instid0(VALU_DEP_2) | instskip(SKIP_4) | instid1(VALU_DEP_2)
	v_fmac_f32_e32 v54, v30, v18
	v_and_b32_e32 v30, 0xffff0000, v22
	v_lshlrev_b32_e32 v22, 16, v22
	v_lshlrev_b32_e32 v20, 16, v20
	v_add_f32_e32 v50, v50, v60
	v_dual_fmac_f32 v49, v20, v24 :: v_dual_mul_f32 v24, v51, v53
	s_delay_alu instid0(VALU_DEP_1) | instskip(SKIP_2) | instid1(VALU_DEP_1)
	v_add_f32_e32 v48, v48, v49
	v_lshlrev_b32_e32 v21, 16, v21
	v_mul_f32_e32 v49, v58, v35
	v_fmac_f32_e32 v49, v31, v19
	s_delay_alu instid0(VALU_DEP_3) | instskip(SKIP_1) | instid1(VALU_DEP_2)
	v_dual_fmac_f32 v24, v21, v25 :: v_dual_and_b32 v31, 0xffff0000, v12
	v_dual_mul_f32 v25, v30, v57 :: v_dual_lshlrev_b32 v12, 16, v12
	v_add_f32_e32 v24, v48, v24
	s_delay_alu instid0(VALU_DEP_2) | instskip(SKIP_2) | instid1(VALU_DEP_3)
	v_dual_mul_f32 v48, v52, v55 :: v_dual_fmac_f32 v25, v22, v26
	v_add_f32_e32 v26, v28, v54
	v_and_b32_e32 v28, 0xffff0000, v23
	v_fmac_f32_e32 v48, v20, v16
	v_dual_mul_f32 v23, v51, v61 :: v_dual_lshlrev_b32 v20, 16, v23
	s_delay_alu instid0(VALU_DEP_1) | instskip(NEXT) | instid1(VALU_DEP_3)
	v_fmac_f32_e32 v23, v21, v17
	v_dual_add_f32 v16, v24, v25 :: v_dual_add_f32 v25, v47, v48
	v_mul_f32_e32 v17, v30, v29
	s_waitcnt vmcnt(1)
	v_and_b32_e32 v47, 0xffff0000, v8
	v_and_b32_e32 v29, 0xffff0000, v9
	v_dual_add_f32 v23, v25, v23 :: v_dual_and_b32 v30, 0xffff0000, v10
	v_dual_fmac_f32 v17, v22, v18 :: v_dual_mul_f32 v24, v28, v59
	v_and_b32_e32 v25, 0xffff0000, v13
	v_mul_f32_e32 v21, v31, v47
	v_mul_f32_e32 v22, v28, v35
	s_delay_alu instid0(VALU_DEP_4)
	v_dual_add_f32 v17, v23, v17 :: v_dual_and_b32 v28, 0xffff0000, v14
	v_lshlrev_b32_e32 v8, 16, v8
	s_waitcnt vmcnt(0)
	v_and_b32_e32 v23, 0xffff0000, v1
	v_lshlrev_b32_e32 v1, 16, v1
	v_mul_f32_e32 v35, v28, v30
	v_fmac_f32_e32 v21, v12, v8
	v_dual_fmac_f32 v24, v20, v27 :: v_dual_lshlrev_b32 v13, 16, v13
	v_dual_fmac_f32 v22, v20, v19 :: v_dual_lshlrev_b32 v9, 16, v9
	s_delay_alu instid0(VALU_DEP_3) | instskip(SKIP_1) | instid1(VALU_DEP_3)
	v_add_f32_e32 v21, v50, v21
	v_dual_add_f32 v19, v26, v49 :: v_dual_lshlrev_b32 v10, 16, v10
	v_dual_add_f32 v17, v17, v22 :: v_dual_and_b32 v20, 0xffff0000, v0
	v_lshlrev_b32_e32 v0, 16, v0
	v_lshlrev_b32_e32 v14, 16, v14
	v_mul_f32_e32 v18, v25, v29
	s_delay_alu instid0(VALU_DEP_2) | instskip(NEXT) | instid1(VALU_DEP_2)
	v_dual_add_f32 v16, v16, v24 :: v_dual_fmac_f32 v35, v14, v10
	v_fmac_f32_e32 v18, v13, v9
	s_delay_alu instid0(VALU_DEP_1) | instskip(NEXT) | instid1(VALU_DEP_1)
	v_dual_add_f32 v18, v21, v18 :: v_dual_mul_f32 v21, v31, v20
	v_dual_add_f32 v18, v18, v35 :: v_dual_fmac_f32 v21, v12, v0
	v_dual_mul_f32 v12, v25, v23 :: v_dual_and_b32 v25, 0xffff0000, v2
	s_delay_alu instid0(VALU_DEP_2) | instskip(SKIP_2) | instid1(VALU_DEP_4)
	v_add_f32_e32 v19, v19, v21
	v_and_b32_e32 v21, 0xffff0000, v4
	v_and_b32_e32 v24, 0xffff0000, v11
	v_dual_fmac_f32 v12, v13, v1 :: v_dual_lshlrev_b32 v11, 16, v11
	v_dual_mul_f32 v13, v28, v25 :: v_dual_lshlrev_b32 v4, 16, v4
	s_delay_alu instid0(VALU_DEP_4) | instskip(SKIP_1) | instid1(VALU_DEP_4)
	v_mul_f32_e32 v26, v21, v47
	v_and_b32_e32 v28, 0xffff0000, v5
	v_dual_add_f32 v12, v19, v12 :: v_dual_lshlrev_b32 v5, 16, v5
	s_delay_alu instid0(VALU_DEP_3) | instskip(NEXT) | instid1(VALU_DEP_3)
	v_dual_fmac_f32 v26, v4, v8 :: v_dual_and_b32 v19, 0xffff0000, v6
	v_mul_f32_e32 v8, v28, v29
	s_delay_alu instid0(VALU_DEP_1) | instskip(SKIP_3) | instid1(VALU_DEP_3)
	v_fmac_f32_e32 v8, v5, v9
	v_dual_mul_f32 v9, v21, v20 :: v_dual_lshlrev_b32 v2, 16, v2
	v_and_b32_e32 v22, 0xffff0000, v15
	v_lshlrev_b32_e32 v15, 16, v15
	v_fmac_f32_e32 v13, v14, v2
	s_delay_alu instid0(VALU_DEP_1) | instskip(NEXT) | instid1(VALU_DEP_1)
	v_dual_mul_f32 v27, v22, v24 :: v_dual_add_f32 v12, v12, v13
	v_fmac_f32_e32 v27, v15, v11
	v_and_b32_e32 v13, 0xffff0000, v3
	v_lshlrev_b32_e32 v3, 16, v3
	v_fmac_f32_e32 v9, v4, v0
	v_add_f32_e32 v14, v16, v26
	v_mul_f32_e32 v0, v28, v23
	s_delay_alu instid0(VALU_DEP_3) | instskip(NEXT) | instid1(VALU_DEP_2)
	v_dual_add_f32 v50, v18, v27 :: v_dual_add_f32 v9, v17, v9
	v_dual_fmac_f32 v0, v5, v1 :: v_dual_lshlrev_b32 v5, 16, v7
	s_delay_alu instid0(VALU_DEP_4) | instskip(SKIP_1) | instid1(VALU_DEP_3)
	v_dual_add_f32 v8, v14, v8 :: v_dual_mul_f32 v1, v19, v25
	v_and_b32_e32 v14, 0xffff0000, v7
	v_add_f32_e32 v0, v9, v0
	s_delay_alu instid0(VALU_DEP_2) | instskip(NEXT) | instid1(VALU_DEP_1)
	v_dual_mul_f32 v7, v14, v24 :: v_dual_lshlrev_b32 v4, 16, v6
	v_dual_fmac_f32 v7, v5, v11 :: v_dual_mul_f32 v16, v22, v13
	s_delay_alu instid0(VALU_DEP_2) | instskip(NEXT) | instid1(VALU_DEP_2)
	v_dual_fmac_f32 v1, v4, v2 :: v_dual_mul_f32 v2, v14, v13
	v_fmac_f32_e32 v16, v15, v3
	v_mul_f32_e32 v6, v19, v30
	s_delay_alu instid0(VALU_DEP_3) | instskip(NEXT) | instid1(VALU_DEP_3)
	v_add_f32_e32 v0, v0, v1
	v_dual_fmac_f32 v2, v5, v3 :: v_dual_add_f32 v49, v12, v16
	s_delay_alu instid0(VALU_DEP_3) | instskip(NEXT) | instid1(VALU_DEP_2)
	v_fmac_f32_e32 v6, v4, v10
	v_add_f32_e32 v47, v0, v2
	s_delay_alu instid0(VALU_DEP_2) | instskip(NEXT) | instid1(VALU_DEP_1)
	v_add_f32_e32 v4, v8, v6
	v_add_f32_e32 v48, v4, v7
.LBB193_16:                             ;   in Loop: Header=BB193_17 Depth=2
	s_or_b32 exec_lo, exec_lo, s2
	s_addk_i32 s15, 0x200
	s_delay_alu instid0(SALU_CYCLE_1)
	s_cmp_ge_u32 s15, s16
	s_cbranch_scc1 .LBB193_29
.LBB193_17:                             ;   Parent Loop BB193_12 Depth=1
                                        ; =>  This Loop Header: Depth=2
                                        ;       Child Loop BB193_22 Depth 3
	s_cmp_eq_u32 s15, 0
	s_cselect_b32 s35, -1, 0
	s_add_i32 s2, s14, s23
	s_delay_alu instid0(SALU_CYCLE_1) | instskip(SKIP_1) | instid1(SALU_CYCLE_1)
	s_cmp_eq_u32 s15, s2
	s_cselect_b32 s36, -1, 0
	s_or_b32 s36, s35, s36
	s_delay_alu instid0(SALU_CYCLE_1)
	s_and_not1_b32 vcc_lo, exec_lo, s36
	s_cbranch_vccz .LBB193_19
; %bb.18:                               ;   in Loop: Header=BB193_17 Depth=2
	s_and_saveexec_b32 s2, s1
	s_cbranch_execz .LBB193_16
	s_branch .LBB193_26
.LBB193_19:                             ;   in Loop: Header=BB193_17 Depth=2
	s_and_b32 s35, s35, exec_lo
	s_cselect_b32 s14, s14, s2
	s_and_not1_b32 vcc_lo, exec_lo, s24
	s_waitcnt vmcnt(0)
	s_waitcnt_vscnt null, 0x0
	s_barrier
	buffer_gl0_inv
	s_cbranch_vccnz .LBB193_25
; %bb.20:                               ;   in Loop: Header=BB193_17 Depth=2
	v_add_nc_u32_e32 v0, s14, v44
	v_dual_mov_b32 v2, v43 :: v_dual_add_nc_u32 v1, s14, v42
	s_mov_b32 s35, 0
	s_mov_b32 s36, 0
                                        ; implicit-def: $sgpr37
	s_set_inst_prefetch_distance 0x1
	s_branch .LBB193_22
	.p2align	6
.LBB193_21:                             ;   in Loop: Header=BB193_22 Depth=3
	s_or_b32 exec_lo, exec_lo, s2
	s_delay_alu instid0(SALU_CYCLE_1) | instskip(NEXT) | instid1(SALU_CYCLE_1)
	s_and_b32 s2, exec_lo, s37
	s_or_b32 s35, s2, s35
	s_delay_alu instid0(SALU_CYCLE_1)
	s_and_not1_b32 exec_lo, exec_lo, s35
	s_cbranch_execz .LBB193_24
.LBB193_22:                             ;   Parent Loop BB193_12 Depth=1
                                        ;     Parent Loop BB193_17 Depth=2
                                        ; =>    This Inner Loop Header: Depth=3
	v_add_nc_u32_e32 v35, s36, v1
	v_add_nc_u32_e32 v3, s36, v42
	s_or_b32 s37, s37, exec_lo
	s_delay_alu instid0(VALU_DEP_2) | instskip(NEXT) | instid1(VALU_DEP_2)
	v_cmp_gt_u32_e32 vcc_lo, s18, v35
	v_cmp_gt_u32_e64 s2, s23, v3
	s_delay_alu instid0(VALU_DEP_1) | instskip(NEXT) | instid1(SALU_CYCLE_1)
	s_and_b32 s38, s2, vcc_lo
	s_and_saveexec_b32 s2, s38
	s_cbranch_execz .LBB193_21
; %bb.23:                               ;   in Loop: Header=BB193_22 Depth=3
	v_lshlrev_b64 v[3:4], 1, v[35:36]
	v_add_nc_u32_e32 v35, s36, v0
	s_add_i32 s36, s36, s25
	v_add_nc_u32_e32 v11, s34, v2
	s_cmp_ge_u32 s36, s23
	s_delay_alu instid0(VALU_DEP_2) | instskip(SKIP_3) | instid1(VALU_DEP_3)
	v_lshlrev_b64 v[7:8], 1, v[35:36]
	v_add_co_u32 v3, vcc_lo, s8, v3
	v_add_co_ci_u32_e32 v4, vcc_lo, s9, v4, vcc_lo
	s_cselect_b32 s38, -1, 0
	v_add_co_u32 v7, vcc_lo, s8, v7
	global_load_b128 v[3:6], v[3:4], off
	v_add_co_ci_u32_e32 v8, vcc_lo, s9, v8, vcc_lo
	s_and_not1_b32 s37, s37, exec_lo
	s_and_b32 s38, s38, exec_lo
	global_load_b128 v[7:10], v[7:8], off
	s_or_b32 s37, s37, s38
	s_waitcnt vmcnt(1)
	ds_store_b128 v2, v[3:6]
	v_add_nc_u32_e32 v2, s20, v2
	s_waitcnt vmcnt(0)
	ds_store_2addr_b64 v11, v[7:8], v[9:10] offset1:1
	s_branch .LBB193_21
.LBB193_24:                             ;   in Loop: Header=BB193_17 Depth=2
	s_set_inst_prefetch_distance 0x2
	s_or_b32 exec_lo, exec_lo, s35
.LBB193_25:                             ;   in Loop: Header=BB193_17 Depth=2
	s_waitcnt lgkmcnt(0)
	s_barrier
	buffer_gl0_inv
	s_and_saveexec_b32 s2, s1
	s_cbranch_execz .LBB193_16
.LBB193_26:                             ;   in Loop: Header=BB193_17 Depth=2
	v_add_nc_u32_e32 v51, s15, v41
	v_dual_mov_b32 v15, 0 :: v_dual_mov_b32 v14, 0
	v_dual_mov_b32 v13, 0 :: v_dual_mov_b32 v12, 0
	s_delay_alu instid0(VALU_DEP_3) | instskip(SKIP_3) | instid1(VALU_DEP_4)
	v_min_u32_e32 v35, s26, v51
	v_dual_mov_b32 v23, 0 :: v_dual_add_nc_u32 v52, 0x100, v51
	v_dual_mov_b32 v22, 0 :: v_dual_mov_b32 v21, 0
	v_mov_b32_e32 v20, 0
	v_lshlrev_b64 v[0:1], 1, v[35:36]
	s_delay_alu instid0(VALU_DEP_4) | instskip(SKIP_3) | instid1(VALU_DEP_4)
	v_min_u32_e32 v35, s26, v52
	v_dual_mov_b32 v31, 0 :: v_dual_mov_b32 v30, 0
	v_dual_mov_b32 v29, 0 :: v_dual_mov_b32 v28, 0
	s_waitcnt vmcnt(0)
	v_add_co_u32 v4, vcc_lo, s6, v0
	v_add_co_ci_u32_e32 v5, vcc_lo, s7, v1, vcc_lo
	v_lshlrev_b64 v[0:1], 1, v[35:36]
	s_delay_alu instid0(VALU_DEP_3) | instskip(NEXT) | instid1(VALU_DEP_3)
	v_add_co_u32 v2, vcc_lo, v4, v37
	v_add_co_ci_u32_e32 v3, vcc_lo, v5, v38, vcc_lo
	s_mov_b32 s35, exec_lo
	s_delay_alu instid0(VALU_DEP_3) | instskip(NEXT) | instid1(VALU_DEP_4)
	v_add_co_u32 v6, vcc_lo, s6, v0
	v_add_co_ci_u32_e32 v7, vcc_lo, s7, v1, vcc_lo
	v_add_co_u32 v0, vcc_lo, v4, v39
	v_add_co_ci_u32_e32 v1, vcc_lo, v5, v40, vcc_lo
	s_delay_alu instid0(VALU_DEP_4) | instskip(NEXT) | instid1(VALU_DEP_4)
	v_add_co_u32 v4, vcc_lo, v6, v37
	v_add_co_ci_u32_e32 v5, vcc_lo, v7, v38, vcc_lo
	v_add_co_u32 v6, vcc_lo, v6, v39
	v_add_co_ci_u32_e32 v7, vcc_lo, v7, v40, vcc_lo
	s_clause 0x3
	global_load_b128 v[24:27], v[2:3], off slc dlc
	global_load_b128 v[16:19], v[0:1], off slc dlc
	;; [unrolled: 1-line block ×4, first 2 shown]
	v_dual_mov_b32 v7, 0 :: v_dual_mov_b32 v6, 0
	v_dual_mov_b32 v5, 0 :: v_dual_mov_b32 v4, 0
	v_cmpx_gt_u32_e64 s16, v51
	s_cbranch_execz .LBB193_15
; %bb.27:                               ;   in Loop: Header=BB193_17 Depth=2
	v_subrev_nc_u32_e32 v4, s14, v51
	v_dual_mov_b32 v13, 0 :: v_dual_mov_b32 v14, 0
	v_mov_b32_e32 v15, 0
	v_dual_mov_b32 v5, 0 :: v_dual_mov_b32 v6, 0
	s_delay_alu instid0(VALU_DEP_4) | instskip(SKIP_2) | instid1(VALU_DEP_2)
	v_dual_mov_b32 v12, 0 :: v_dual_lshlrev_b32 v51, 1, v4
	v_dual_mov_b32 v4, 0 :: v_dual_mov_b32 v7, 0
	s_mov_b32 s36, exec_lo
	v_lshl_add_u32 v35, s23, 1, v51
	ds_load_b128 v[28:31], v51
	ds_load_b128 v[20:23], v35
	v_cmpx_gt_u32_e64 s16, v52
	s_cbranch_execz .LBB193_14
; %bb.28:                               ;   in Loop: Header=BB193_17 Depth=2
	ds_load_b128 v[12:15], v51 offset:512
	ds_load_b128 v[4:7], v35 offset:512
	s_branch .LBB193_14
.LBB193_29:                             ;   in Loop: Header=BB193_12 Depth=1
	s_mov_b32 s1, exec_lo
	v_cmpx_le_u32_e64 s19, v34
	s_xor_b32 s1, exec_lo, s1
; %bb.30:                               ;   in Loop: Header=BB193_12 Depth=1
	v_add_nc_u32_e32 v34, s28, v34
                                        ; implicit-def: $vgpr50
                                        ; implicit-def: $vgpr49
                                        ; implicit-def: $vgpr48
                                        ; implicit-def: $vgpr47
; %bb.31:                               ;   in Loop: Header=BB193_12 Depth=1
	s_and_not1_saveexec_b32 s35, s1
	s_cbranch_execz .LBB193_11
; %bb.32:                               ;   in Loop: Header=BB193_12 Depth=1
	v_cvt_i32_f32_e32 v0, v50
	s_waitcnt lgkmcnt(0)
	v_cvt_i32_f32_e32 v1, v49
	v_cvt_i32_f32_e32 v2, v48
	;; [unrolled: 1-line block ×3, first 2 shown]
	v_cvt_f32_i32_dpp v0, v0 row_shr:8 row_mask:0xf bank_mask:0xf bound_ctrl:1
	s_delay_alu instid0(VALU_DEP_4) | instskip(NEXT) | instid1(VALU_DEP_4)
	v_cvt_f32_i32_dpp v1, v1 row_shr:8 row_mask:0xf bank_mask:0xf bound_ctrl:1
	v_cvt_f32_i32_dpp v2, v2 row_shr:8 row_mask:0xf bank_mask:0xf bound_ctrl:1
	s_delay_alu instid0(VALU_DEP_4) | instskip(NEXT) | instid1(VALU_DEP_3)
	v_cvt_f32_i32_dpp v3, v3 row_shr:8 row_mask:0xf bank_mask:0xf bound_ctrl:1
	v_dual_add_f32 v0, v50, v0 :: v_dual_add_f32 v1, v49, v1
	s_delay_alu instid0(VALU_DEP_2) | instskip(SKIP_1) | instid1(VALU_DEP_2)
	v_dual_add_f32 v2, v48, v2 :: v_dual_add_f32 v3, v47, v3
	s_waitcnt vmcnt(0)
	v_cvt_i32_f32_e32 v4, v0
	s_delay_alu instid0(VALU_DEP_3) | instskip(NEXT) | instid1(VALU_DEP_3)
	v_cvt_i32_f32_e32 v5, v1
	v_cvt_i32_f32_e32 v6, v2
	;; [unrolled: 1-line block ×3, first 2 shown]
	s_delay_alu instid0(VALU_DEP_4) | instskip(NEXT) | instid1(VALU_DEP_4)
	v_cvt_f32_i32_dpp v4, v4 row_shr:4 row_mask:0xf bank_mask:0xf bound_ctrl:1
	v_cvt_f32_i32_dpp v5, v5 row_shr:4 row_mask:0xf bank_mask:0xf bound_ctrl:1
	s_delay_alu instid0(VALU_DEP_4) | instskip(NEXT) | instid1(VALU_DEP_4)
	v_cvt_f32_i32_dpp v6, v6 row_shr:4 row_mask:0xf bank_mask:0xf bound_ctrl:1
	v_cvt_f32_i32_dpp v7, v7 row_shr:4 row_mask:0xf bank_mask:0xf bound_ctrl:1
	s_delay_alu instid0(VALU_DEP_3) | instskip(NEXT) | instid1(VALU_DEP_2)
	v_dual_add_f32 v0, v0, v4 :: v_dual_add_f32 v1, v1, v5
	v_dual_add_f32 v2, v2, v6 :: v_dual_add_f32 v3, v3, v7
	s_delay_alu instid0(VALU_DEP_2) | instskip(NEXT) | instid1(VALU_DEP_3)
	v_cvt_i32_f32_e32 v4, v0
	v_cvt_i32_f32_e32 v5, v1
	s_delay_alu instid0(VALU_DEP_3) | instskip(NEXT) | instid1(VALU_DEP_4)
	v_cvt_i32_f32_e32 v6, v2
	v_cvt_i32_f32_e32 v7, v3
	s_delay_alu instid0(VALU_DEP_4) | instskip(NEXT) | instid1(VALU_DEP_4)
	v_cvt_f32_i32_dpp v4, v4 row_shr:2 row_mask:0xf bank_mask:0xf bound_ctrl:1
	v_cvt_f32_i32_dpp v5, v5 row_shr:2 row_mask:0xf bank_mask:0xf bound_ctrl:1
	s_delay_alu instid0(VALU_DEP_4) | instskip(NEXT) | instid1(VALU_DEP_4)
	v_cvt_f32_i32_dpp v6, v6 row_shr:2 row_mask:0xf bank_mask:0xf bound_ctrl:1
	v_cvt_f32_i32_dpp v7, v7 row_shr:2 row_mask:0xf bank_mask:0xf bound_ctrl:1
	s_delay_alu instid0(VALU_DEP_3) | instskip(NEXT) | instid1(VALU_DEP_2)
	v_dual_add_f32 v0, v0, v4 :: v_dual_add_f32 v1, v1, v5
	v_dual_add_f32 v2, v2, v6 :: v_dual_add_f32 v3, v3, v7
	v_xor_b32_e32 v4, 16, v46
	s_delay_alu instid0(VALU_DEP_3) | instskip(NEXT) | instid1(VALU_DEP_4)
	v_cvt_i32_f32_e32 v5, v0
	v_cvt_i32_f32_e32 v6, v1
	s_delay_alu instid0(VALU_DEP_4)
	v_cvt_i32_f32_e32 v7, v2
	v_cvt_i32_f32_e32 v8, v3
	v_cmp_gt_i32_e32 vcc_lo, 32, v4
	v_cvt_f32_i32_dpp v5, v5 row_shr:1 row_mask:0xf bank_mask:0xf bound_ctrl:1
	v_cvt_f32_i32_dpp v6, v6 row_shr:1 row_mask:0xf bank_mask:0xf bound_ctrl:1
	;; [unrolled: 1-line block ×4, first 2 shown]
	v_cndmask_b32_e32 v4, v46, v4, vcc_lo
	s_delay_alu instid0(VALU_DEP_4) | instskip(NEXT) | instid1(VALU_DEP_4)
	v_dual_add_f32 v8, v0, v5 :: v_dual_add_f32 v5, v1, v6
	v_add_f32_e32 v2, v2, v7
	s_delay_alu instid0(VALU_DEP_4) | instskip(NEXT) | instid1(VALU_DEP_4)
	v_add_f32_e32 v0, v3, v9
	v_lshlrev_b32_e32 v4, 2, v4
	ds_bpermute_b32 v9, v4, v8
	ds_bpermute_b32 v6, v4, v5
	;; [unrolled: 1-line block ×4, first 2 shown]
	s_and_saveexec_b32 s14, s0
	s_cbranch_execz .LBB193_59
; %bb.33:                               ;   in Loop: Header=BB193_12 Depth=1
	v_dual_mov_b32 v4, 0 :: v_dual_mov_b32 v7, 0
	v_dual_mov_b32 v10, 0 :: v_dual_mov_b32 v11, 0
	s_and_not1_b32 vcc_lo, exec_lo, s29
	s_cbranch_vccnz .LBB193_35
; %bb.34:                               ;   in Loop: Header=BB193_12 Depth=1
	v_mul_hi_u32 v4, v34, v45
	s_delay_alu instid0(VALU_DEP_1) | instskip(NEXT) | instid1(VALU_DEP_1)
	v_mul_lo_u32 v4, v4, s4
	v_sub_nc_u32_e32 v4, v34, v4
	s_delay_alu instid0(VALU_DEP_1) | instskip(SKIP_1) | instid1(VALU_DEP_2)
	v_subrev_nc_u32_e32 v11, s4, v4
	v_cmp_le_u32_e32 vcc_lo, s4, v4
	v_dual_cndmask_b32 v4, v4, v11 :: v_dual_add_nc_u32 v7, 1, v34
	s_delay_alu instid0(VALU_DEP_1) | instskip(NEXT) | instid1(VALU_DEP_2)
	v_mul_hi_u32 v10, v7, v45
	v_subrev_nc_u32_e32 v11, s4, v4
	s_delay_alu instid0(VALU_DEP_2) | instskip(NEXT) | instid1(VALU_DEP_1)
	v_mul_lo_u32 v10, v10, s4
	v_sub_nc_u32_e32 v7, v7, v10
	s_delay_alu instid0(VALU_DEP_1) | instskip(SKIP_1) | instid1(VALU_DEP_2)
	v_subrev_nc_u32_e32 v10, s4, v7
	v_cmp_le_u32_e32 vcc_lo, s4, v7
	v_cndmask_b32_e32 v7, v7, v10, vcc_lo
	v_cmp_le_u32_e32 vcc_lo, s4, v4
	v_cndmask_b32_e32 v35, v4, v11, vcc_lo
	s_delay_alu instid0(VALU_DEP_3) | instskip(SKIP_1) | instid1(VALU_DEP_2)
	v_subrev_nc_u32_e32 v4, s4, v7
	v_cmp_le_u32_e32 vcc_lo, s4, v7
	v_dual_mov_b32 v11, v36 :: v_dual_cndmask_b32 v10, v7, v4
	s_delay_alu instid0(VALU_DEP_4) | instskip(SKIP_1) | instid1(VALU_DEP_3)
	v_lshlrev_b64 v[12:13], 1, v[35:36]
	v_add_nc_u32_e32 v35, s31, v35
	v_lshlrev_b64 v[14:15], 1, v[10:11]
	s_delay_alu instid0(VALU_DEP_2) | instskip(SKIP_3) | instid1(VALU_DEP_3)
	v_lshlrev_b64 v[16:17], 1, v[35:36]
	v_add_nc_u32_e32 v35, s31, v10
	v_add_co_u32 v10, vcc_lo, s10, v12
	v_add_co_ci_u32_e32 v11, vcc_lo, s11, v13, vcc_lo
	v_lshlrev_b64 v[12:13], 1, v[35:36]
	v_add_co_u32 v14, vcc_lo, s10, v14
	v_add_co_ci_u32_e32 v15, vcc_lo, s11, v15, vcc_lo
	v_add_co_u32 v16, vcc_lo, s10, v16
	v_add_co_ci_u32_e32 v17, vcc_lo, s11, v17, vcc_lo
	;; [unrolled: 2-line block ×3, first 2 shown]
	s_clause 0x3
	global_load_u16 v11, v[10:11], off
	global_load_u16 v10, v[14:15], off
	;; [unrolled: 1-line block ×4, first 2 shown]
.LBB193_35:                             ;   in Loop: Header=BB193_12 Depth=1
	v_cmp_ne_u32_e32 vcc_lo, 0, v32
	s_and_saveexec_b32 s2, vcc_lo
	s_cbranch_execnz .LBB193_39
; %bb.36:                               ;   in Loop: Header=BB193_12 Depth=1
	s_or_b32 exec_lo, exec_lo, s2
	v_cmp_ne_u32_e64 s1, 0, v33
	s_delay_alu instid0(VALU_DEP_1)
	s_and_saveexec_b32 s15, s1
	s_cbranch_execnz .LBB193_44
.LBB193_37:                             ;   in Loop: Header=BB193_12 Depth=1
	s_or_b32 exec_lo, exec_lo, s15
	v_add_nc_u32_e32 v35, s19, v34
	s_and_saveexec_b32 s2, vcc_lo
	s_cbranch_execnz .LBB193_49
.LBB193_38:                             ;   in Loop: Header=BB193_12 Depth=1
	s_or_b32 exec_lo, exec_lo, s2
	s_delay_alu instid0(SALU_CYCLE_1)
	s_and_b32 exec_lo, exec_lo, s1
	s_cbranch_execnz .LBB193_54
	s_branch .LBB193_59
.LBB193_39:                             ;   in Loop: Header=BB193_12 Depth=1
	s_waitcnt vmcnt(3) lgkmcnt(3)
	v_dual_add_f32 v8, v8, v9 :: v_dual_lshlrev_b32 v9, 16, v11
	s_delay_alu instid0(VALU_DEP_1) | instskip(NEXT) | instid1(VALU_DEP_1)
	v_add_f32_e32 v9, v8, v9
	v_and_b32_e32 v8, 0x7f800000, v9
	s_delay_alu instid0(VALU_DEP_1) | instskip(NEXT) | instid1(VALU_DEP_1)
	v_cmp_ne_u32_e64 s1, 0x7f800000, v8
                                        ; implicit-def: $vgpr8
	s_and_saveexec_b32 s15, s1
	s_delay_alu instid0(SALU_CYCLE_1)
	s_xor_b32 s1, exec_lo, s15
; %bb.40:                               ;   in Loop: Header=BB193_12 Depth=1
	v_bfe_u32 v8, v9, 16, 1
	s_delay_alu instid0(VALU_DEP_1)
	v_add3_u32 v8, v9, v8, 0x7fff
                                        ; implicit-def: $vgpr9
; %bb.41:                               ;   in Loop: Header=BB193_12 Depth=1
	s_and_not1_saveexec_b32 s15, s1
; %bb.42:                               ;   in Loop: Header=BB193_12 Depth=1
	v_and_b32_e32 v8, 0xffff, v9
	v_or_b32_e32 v11, 0x10000, v9
	s_delay_alu instid0(VALU_DEP_2) | instskip(NEXT) | instid1(VALU_DEP_1)
	v_cmp_eq_u32_e64 s1, 0, v8
	v_cndmask_b32_e64 v8, v11, v9, s1
; %bb.43:                               ;   in Loop: Header=BB193_12 Depth=1
	s_or_b32 exec_lo, exec_lo, s15
	v_mov_b32_e32 v35, v36
	s_delay_alu instid0(VALU_DEP_1) | instskip(NEXT) | instid1(VALU_DEP_1)
	v_lshlrev_b64 v[11:12], 1, v[34:35]
	v_add_co_u32 v11, s1, s12, v11
	s_delay_alu instid0(VALU_DEP_1) | instskip(SKIP_3) | instid1(VALU_DEP_1)
	v_add_co_ci_u32_e64 v12, s1, s13, v12, s1
	global_store_d16_hi_b16 v[11:12], v8, off
	s_or_b32 exec_lo, exec_lo, s2
	v_cmp_ne_u32_e64 s1, 0, v33
	s_and_saveexec_b32 s15, s1
	s_cbranch_execz .LBB193_37
.LBB193_44:                             ;   in Loop: Header=BB193_12 Depth=1
	s_waitcnt lgkmcnt(2)
	v_add_f32_e32 v5, v5, v6
	s_waitcnt vmcnt(2)
	v_lshlrev_b32_e32 v6, 16, v10
	s_delay_alu instid0(VALU_DEP_1) | instskip(NEXT) | instid1(VALU_DEP_1)
	v_add_f32_e32 v6, v5, v6
	v_and_b32_e32 v5, 0x7f800000, v6
	s_delay_alu instid0(VALU_DEP_1) | instskip(NEXT) | instid1(VALU_DEP_1)
	v_cmp_ne_u32_e64 s2, 0x7f800000, v5
                                        ; implicit-def: $vgpr5
	s_and_saveexec_b32 s36, s2
	s_delay_alu instid0(SALU_CYCLE_1)
	s_xor_b32 s2, exec_lo, s36
; %bb.45:                               ;   in Loop: Header=BB193_12 Depth=1
	v_bfe_u32 v5, v6, 16, 1
	s_delay_alu instid0(VALU_DEP_1)
	v_add3_u32 v5, v6, v5, 0x7fff
                                        ; implicit-def: $vgpr6
; %bb.46:                               ;   in Loop: Header=BB193_12 Depth=1
	s_and_not1_saveexec_b32 s36, s2
; %bb.47:                               ;   in Loop: Header=BB193_12 Depth=1
	v_and_b32_e32 v5, 0xffff, v6
	v_or_b32_e32 v8, 0x10000, v6
	s_delay_alu instid0(VALU_DEP_2) | instskip(NEXT) | instid1(VALU_DEP_1)
	v_cmp_eq_u32_e64 s2, 0, v5
	v_cndmask_b32_e64 v5, v8, v6, s2
; %bb.48:                               ;   in Loop: Header=BB193_12 Depth=1
	s_or_b32 exec_lo, exec_lo, s36
	v_mov_b32_e32 v35, v36
	s_delay_alu instid0(VALU_DEP_1) | instskip(NEXT) | instid1(VALU_DEP_1)
	v_lshlrev_b64 v[8:9], 1, v[34:35]
	v_add_co_u32 v8, s2, s30, v8
	s_delay_alu instid0(VALU_DEP_1)
	v_add_co_ci_u32_e64 v9, s2, s33, v9, s2
	global_store_d16_hi_b16 v[8:9], v5, off
	s_or_b32 exec_lo, exec_lo, s15
	v_add_nc_u32_e32 v35, s19, v34
	s_and_saveexec_b32 s2, vcc_lo
	s_cbranch_execz .LBB193_38
.LBB193_49:                             ;   in Loop: Header=BB193_12 Depth=1
	s_waitcnt lgkmcnt(1)
	v_add_f32_e32 v2, v2, v3
	s_waitcnt vmcnt(1)
	v_lshlrev_b32_e32 v3, 16, v7
	s_delay_alu instid0(VALU_DEP_1) | instskip(NEXT) | instid1(VALU_DEP_1)
	v_add_f32_e32 v3, v2, v3
	v_and_b32_e32 v2, 0x7f800000, v3
	s_delay_alu instid0(VALU_DEP_1) | instskip(SKIP_1) | instid1(SALU_CYCLE_1)
	v_cmp_ne_u32_e32 vcc_lo, 0x7f800000, v2
                                        ; implicit-def: $vgpr2
	s_and_saveexec_b32 s15, vcc_lo
	s_xor_b32 s15, exec_lo, s15
; %bb.50:                               ;   in Loop: Header=BB193_12 Depth=1
	v_bfe_u32 v2, v3, 16, 1
	s_delay_alu instid0(VALU_DEP_1)
	v_add3_u32 v2, v3, v2, 0x7fff
                                        ; implicit-def: $vgpr3
; %bb.51:                               ;   in Loop: Header=BB193_12 Depth=1
	s_and_not1_saveexec_b32 s15, s15
; %bb.52:                               ;   in Loop: Header=BB193_12 Depth=1
	v_and_b32_e32 v2, 0xffff, v3
	v_or_b32_e32 v5, 0x10000, v3
	s_delay_alu instid0(VALU_DEP_2) | instskip(NEXT) | instid1(VALU_DEP_2)
	v_cmp_eq_u32_e32 vcc_lo, 0, v2
	v_cndmask_b32_e32 v2, v5, v3, vcc_lo
; %bb.53:                               ;   in Loop: Header=BB193_12 Depth=1
	s_or_b32 exec_lo, exec_lo, s15
	v_lshlrev_b64 v[5:6], 1, v[35:36]
	s_delay_alu instid0(VALU_DEP_1) | instskip(NEXT) | instid1(VALU_DEP_2)
	v_add_co_u32 v5, vcc_lo, s12, v5
	v_add_co_ci_u32_e32 v6, vcc_lo, s13, v6, vcc_lo
	global_store_d16_hi_b16 v[5:6], v2, off
	s_or_b32 exec_lo, exec_lo, s2
	s_delay_alu instid0(SALU_CYCLE_1)
	s_and_b32 exec_lo, exec_lo, s1
	s_cbranch_execz .LBB193_59
.LBB193_54:                             ;   in Loop: Header=BB193_12 Depth=1
	s_waitcnt vmcnt(0) lgkmcnt(0)
	v_dual_add_f32 v0, v0, v1 :: v_dual_lshlrev_b32 v1, 16, v4
	s_delay_alu instid0(VALU_DEP_1) | instskip(NEXT) | instid1(VALU_DEP_1)
	v_add_f32_e32 v1, v0, v1
	v_and_b32_e32 v0, 0x7f800000, v1
	s_delay_alu instid0(VALU_DEP_1) | instskip(SKIP_1) | instid1(SALU_CYCLE_1)
	v_cmp_ne_u32_e32 vcc_lo, 0x7f800000, v0
                                        ; implicit-def: $vgpr0
	s_and_saveexec_b32 s1, vcc_lo
	s_xor_b32 s1, exec_lo, s1
; %bb.55:                               ;   in Loop: Header=BB193_12 Depth=1
	v_bfe_u32 v0, v1, 16, 1
	s_delay_alu instid0(VALU_DEP_1)
	v_add3_u32 v0, v1, v0, 0x7fff
                                        ; implicit-def: $vgpr1
; %bb.56:                               ;   in Loop: Header=BB193_12 Depth=1
	s_and_not1_saveexec_b32 s1, s1
; %bb.57:                               ;   in Loop: Header=BB193_12 Depth=1
	v_and_b32_e32 v0, 0xffff, v1
	v_or_b32_e32 v2, 0x10000, v1
	s_delay_alu instid0(VALU_DEP_2) | instskip(NEXT) | instid1(VALU_DEP_2)
	v_cmp_eq_u32_e32 vcc_lo, 0, v0
	v_cndmask_b32_e32 v0, v2, v1, vcc_lo
; %bb.58:                               ;   in Loop: Header=BB193_12 Depth=1
	s_or_b32 exec_lo, exec_lo, s1
	v_add_nc_u32_e32 v35, 1, v35
	s_delay_alu instid0(VALU_DEP_1) | instskip(NEXT) | instid1(VALU_DEP_1)
	v_lshlrev_b64 v[1:2], 1, v[35:36]
	v_add_co_u32 v1, vcc_lo, s12, v1
	s_delay_alu instid0(VALU_DEP_2)
	v_add_co_ci_u32_e32 v2, vcc_lo, s13, v2, vcc_lo
	global_store_d16_hi_b16 v[1:2], v0, off
.LBB193_59:                             ;   in Loop: Header=BB193_12 Depth=1
	s_or_b32 exec_lo, exec_lo, s14
	v_add_nc_u32_e32 v34, s28, v34
	s_delay_alu instid0(VALU_DEP_1) | instskip(SKIP_1) | instid1(VALU_DEP_2)
	v_add_nc_u32_e32 v0, 2, v34
	v_cmp_gt_u32_e32 vcc_lo, s19, v34
	v_cmp_le_u32_e64 s1, s19, v0
	s_delay_alu instid0(VALU_DEP_1) | instskip(NEXT) | instid1(SALU_CYCLE_1)
	s_and_b32 s1, vcc_lo, s1
	s_and_saveexec_b32 s36, s1
	s_cbranch_execz .LBB193_10
; %bb.60:                               ;   in Loop: Header=BB193_12 Depth=1
	s_mov_b32 s37, exec_lo
	v_cmpx_ne_u32_e64 s5, v34
	s_cbranch_execz .LBB193_9
; %bb.61:                               ;   in Loop: Header=BB193_12 Depth=1
	v_subrev_nc_u32_e32 v0, s5, v34
	s_mov_b32 s38, 0
	s_mov_b64 s[14:15], 0
	s_delay_alu instid0(VALU_DEP_1)
	v_cmp_lt_u32_e32 vcc_lo, 1, v0
	v_cndmask_b32_e32 v0, 1, v0, vcc_lo
.LBB193_62:                             ;   Parent Loop BB193_12 Depth=1
                                        ; =>  This Inner Loop Header: Depth=2
	s_cmp_lg_u32 s14, 1
	s_cselect_b32 vcc_lo, -1, 0
	s_cmp_lg_u32 s14, 0
	v_cndmask_b32_e32 v33, 0, v33, vcc_lo
	s_cselect_b32 s1, -1, 0
	s_add_u32 s14, s14, 1
	v_cndmask_b32_e64 v32, 0, v32, s1
	v_cmp_eq_u32_e64 s2, s14, v0
	s_addc_u32 s15, s15, 0
	s_delay_alu instid0(VALU_DEP_1) | instskip(NEXT) | instid1(SALU_CYCLE_1)
	s_or_b32 s38, s2, s38
	s_and_not1_b32 exec_lo, exec_lo, s38
	s_cbranch_execnz .LBB193_62
; %bb.63:                               ;   in Loop: Header=BB193_12 Depth=1
	s_or_b32 exec_lo, exec_lo, s38
	s_branch .LBB193_9
.LBB193_64:
	s_nop 0
	s_sendmsg sendmsg(MSG_DEALLOC_VGPRS)
	s_endpgm
	.section	.rodata,"a",@progbits
	.p2align	6, 0x0
	.amdhsa_kernel _Z16wvSplitK_hf_big_I14__hip_bfloat16Li32ELi2ELi16ELi8ELi2ELi2EEviiiiiiPKT_S3_S3_PS1_ii
		.amdhsa_group_segment_fixed_size 65536
		.amdhsa_private_segment_fixed_size 0
		.amdhsa_kernarg_size 64
		.amdhsa_user_sgpr_count 15
		.amdhsa_user_sgpr_dispatch_ptr 0
		.amdhsa_user_sgpr_queue_ptr 0
		.amdhsa_user_sgpr_kernarg_segment_ptr 1
		.amdhsa_user_sgpr_dispatch_id 0
		.amdhsa_user_sgpr_private_segment_size 0
		.amdhsa_wavefront_size32 1
		.amdhsa_uses_dynamic_stack 0
		.amdhsa_enable_private_segment 0
		.amdhsa_system_sgpr_workgroup_id_x 1
		.amdhsa_system_sgpr_workgroup_id_y 0
		.amdhsa_system_sgpr_workgroup_id_z 0
		.amdhsa_system_sgpr_workgroup_info 0
		.amdhsa_system_vgpr_workitem_id 1
		.amdhsa_next_free_vgpr 62
		.amdhsa_next_free_sgpr 39
		.amdhsa_reserve_vcc 1
		.amdhsa_float_round_mode_32 0
		.amdhsa_float_round_mode_16_64 0
		.amdhsa_float_denorm_mode_32 3
		.amdhsa_float_denorm_mode_16_64 3
		.amdhsa_dx10_clamp 1
		.amdhsa_ieee_mode 1
		.amdhsa_fp16_overflow 0
		.amdhsa_workgroup_processor_mode 1
		.amdhsa_memory_ordered 1
		.amdhsa_forward_progress 0
		.amdhsa_shared_vgpr_count 0
		.amdhsa_exception_fp_ieee_invalid_op 0
		.amdhsa_exception_fp_denorm_src 0
		.amdhsa_exception_fp_ieee_div_zero 0
		.amdhsa_exception_fp_ieee_overflow 0
		.amdhsa_exception_fp_ieee_underflow 0
		.amdhsa_exception_fp_ieee_inexact 0
		.amdhsa_exception_int_div_zero 0
	.end_amdhsa_kernel
	.section	.text._Z16wvSplitK_hf_big_I14__hip_bfloat16Li32ELi2ELi16ELi8ELi2ELi2EEviiiiiiPKT_S3_S3_PS1_ii,"axG",@progbits,_Z16wvSplitK_hf_big_I14__hip_bfloat16Li32ELi2ELi16ELi8ELi2ELi2EEviiiiiiPKT_S3_S3_PS1_ii,comdat
.Lfunc_end193:
	.size	_Z16wvSplitK_hf_big_I14__hip_bfloat16Li32ELi2ELi16ELi8ELi2ELi2EEviiiiiiPKT_S3_S3_PS1_ii, .Lfunc_end193-_Z16wvSplitK_hf_big_I14__hip_bfloat16Li32ELi2ELi16ELi8ELi2ELi2EEviiiiiiPKT_S3_S3_PS1_ii
                                        ; -- End function
	.section	.AMDGPU.csdata,"",@progbits
; Kernel info:
; codeLenInByte = 4064
; NumSgprs: 41
; NumVgprs: 62
; ScratchSize: 0
; MemoryBound: 0
; FloatMode: 240
; IeeeMode: 1
; LDSByteSize: 65536 bytes/workgroup (compile time only)
; SGPRBlocks: 5
; VGPRBlocks: 7
; NumSGPRsForWavesPerEU: 41
; NumVGPRsForWavesPerEU: 62
; Occupancy: 8
; WaveLimiterHint : 0
; COMPUTE_PGM_RSRC2:SCRATCH_EN: 0
; COMPUTE_PGM_RSRC2:USER_SGPR: 15
; COMPUTE_PGM_RSRC2:TRAP_HANDLER: 0
; COMPUTE_PGM_RSRC2:TGID_X_EN: 1
; COMPUTE_PGM_RSRC2:TGID_Y_EN: 0
; COMPUTE_PGM_RSRC2:TGID_Z_EN: 0
; COMPUTE_PGM_RSRC2:TIDIG_COMP_CNT: 1
	.section	.text._Z16wvSplitK_hf_sml_I14__hip_bfloat16Li32ELi3ELi16ELi8ELi2ELi2EEviiiiiiPKT_S3_S3_PS1_ii,"axG",@progbits,_Z16wvSplitK_hf_sml_I14__hip_bfloat16Li32ELi3ELi16ELi8ELi2ELi2EEviiiiiiPKT_S3_S3_PS1_ii,comdat
	.protected	_Z16wvSplitK_hf_sml_I14__hip_bfloat16Li32ELi3ELi16ELi8ELi2ELi2EEviiiiiiPKT_S3_S3_PS1_ii ; -- Begin function _Z16wvSplitK_hf_sml_I14__hip_bfloat16Li32ELi3ELi16ELi8ELi2ELi2EEviiiiiiPKT_S3_S3_PS1_ii
	.globl	_Z16wvSplitK_hf_sml_I14__hip_bfloat16Li32ELi3ELi16ELi8ELi2ELi2EEviiiiiiPKT_S3_S3_PS1_ii
	.p2align	8
	.type	_Z16wvSplitK_hf_sml_I14__hip_bfloat16Li32ELi3ELi16ELi8ELi2ELi2EEviiiiiiPKT_S3_S3_PS1_ii,@function
_Z16wvSplitK_hf_sml_I14__hip_bfloat16Li32ELi3ELi16ELi8ELi2ELi2EEviiiiiiPKT_S3_S3_PS1_ii: ; @_Z16wvSplitK_hf_sml_I14__hip_bfloat16Li32ELi3ELi16ELi8ELi2ELi2EEviiiiiiPKT_S3_S3_PS1_ii
; %bb.0:
	s_load_b128 s[4:7], s[0:1], 0x0
	v_and_b32_e32 v1, 0x3ff, v0
	v_bfe_u32 v0, v0, 10, 10
	s_mov_b32 s8, exec_lo
	s_delay_alu instid0(VALU_DEP_2) | instskip(NEXT) | instid1(VALU_DEP_1)
	v_lshlrev_b32_e32 v50, 3, v1
	v_lshl_add_u32 v3, v0, 8, v50
	s_waitcnt lgkmcnt(0)
	s_lshl_b32 s6, s6, 1
	s_delay_alu instid0(SALU_CYCLE_1)
	s_min_u32 s9, s6, 0x8000
	s_delay_alu instid0(VALU_DEP_1) | instid1(SALU_CYCLE_1)
	v_cmpx_gt_u32_e64 s9, v3
	s_cbranch_execz .LBB194_9
; %bb.1:
	s_load_b64 s[2:3], s[0:1], 0x20
	v_lshlrev_b32_e32 v2, 1, v3
	v_add_nc_u32_e32 v8, 0x1000, v3
	s_mov_b32 s10, exec_lo
	s_waitcnt lgkmcnt(0)
	global_load_b128 v[4:7], v2, s[2:3]
	s_waitcnt vmcnt(0)
	ds_store_b128 v2, v[4:7]
	v_cmpx_gt_u32_e64 s9, v8
	s_xor_b32 s10, exec_lo, s10
	s_cbranch_execz .LBB194_9
; %bb.2:
	v_add_co_u32 v4, s2, s2, v2
	s_delay_alu instid0(VALU_DEP_1) | instskip(SKIP_1) | instid1(VALU_DEP_3)
	v_add_co_ci_u32_e64 v5, null, s3, 0, s2
	v_add_nc_u32_e32 v10, 0x2000, v3
	v_add_co_u32 v6, vcc_lo, 0x2000, v4
	s_delay_alu instid0(VALU_DEP_3)
	v_add_co_ci_u32_e32 v7, vcc_lo, 0, v5, vcc_lo
	s_mov_b32 s2, exec_lo
	global_load_b128 v[6:9], v[6:7], off
	s_waitcnt vmcnt(0)
	ds_store_b128 v2, v[6:9] offset:8192
	v_cmpx_gt_u32_e64 s9, v10
	s_xor_b32 s2, exec_lo, s2
	s_cbranch_execz .LBB194_9
; %bb.3:
	v_add_co_u32 v6, vcc_lo, 0x4000, v4
	v_add_co_ci_u32_e32 v7, vcc_lo, 0, v5, vcc_lo
	v_add_nc_u32_e32 v10, 0x3000, v3
	s_mov_b32 s2, exec_lo
	global_load_b128 v[6:9], v[6:7], off
	s_waitcnt vmcnt(0)
	ds_store_b128 v2, v[6:9] offset:16384
	v_cmpx_gt_u32_e64 s9, v10
	s_xor_b32 s2, exec_lo, s2
	s_cbranch_execz .LBB194_9
; %bb.4:
	v_add_co_u32 v6, vcc_lo, 0x6000, v4
	v_add_co_ci_u32_e32 v7, vcc_lo, 0, v5, vcc_lo
	v_add_nc_u32_e32 v10, 0x4000, v3
	;; [unrolled: 11-line block ×5, first 2 shown]
	s_mov_b32 s2, exec_lo
	global_load_b128 v[6:9], v[6:7], off
	s_waitcnt vmcnt(0)
	ds_store_b128 v2, v[6:9] offset:49152
	v_cmpx_gt_u32_e64 s9, v3
	s_xor_b32 s2, exec_lo, s2
	s_cbranch_execz .LBB194_9
; %bb.8:
	v_add_co_u32 v3, vcc_lo, 0xe000, v4
	v_add_co_ci_u32_e32 v4, vcc_lo, 0, v5, vcc_lo
	global_load_b128 v[3:6], v[3:4], off
	s_waitcnt vmcnt(0)
	ds_store_b128 v2, v[3:6] offset:57344
.LBB194_9:
	s_or_b32 exec_lo, exec_lo, s8
	s_load_b64 s[16:17], s[0:1], 0x38
	s_waitcnt lgkmcnt(0)
	s_barrier
	buffer_gl0_inv
	s_mov_b32 s2, exec_lo
	v_cmpx_gt_u32_e64 s16, v0
	s_cbranch_execz .LBB194_48
; %bb.10:
	s_load_b64 s[2:3], s[0:1], 0x10
	v_mad_u64_u32 v[2:3], null, s15, s16, v[0:1]
	s_delay_alu instid0(VALU_DEP_1) | instskip(NEXT) | instid1(VALU_DEP_1)
	v_lshl_add_u32 v40, v2, 1, v2
	v_cmp_gt_u32_e32 vcc_lo, s7, v40
	s_and_b32 exec_lo, exec_lo, vcc_lo
	s_cbranch_execz .LBB194_48
; %bb.11:
	s_waitcnt lgkmcnt(0)
	v_cvt_f32_u32_e32 v0, s2
	s_clause 0x1
	s_load_b128 s[8:11], s[0:1], 0x28
	s_load_b64 s[12:13], s[0:1], 0x18
	s_cmp_lg_u32 s4, 0
	v_mbcnt_lo_u32_b32 v2, -1, 0
	v_rcp_iflag_f32_e32 v0, v0
	s_cselect_b32 s1, -1, 0
	s_add_i32 s14, s4, -8
	s_add_i32 s15, s7, -1
	v_xor_b32_e32 v3, 16, v2
	s_mul_i32 s17, s16, s17
	s_mov_b32 s16, 0
	v_lshlrev_b32_e32 v51, 4, v1
	s_delay_alu instid0(VALU_DEP_2) | instskip(SKIP_3) | instid1(VALU_DEP_2)
	v_cmp_gt_i32_e32 vcc_lo, 32, v3
	s_waitcnt_depctr 0xfff
	v_mul_f32_e32 v0, 0x4f7ffffe, v0
	v_cndmask_b32_e32 v2, v2, v3, vcc_lo
	v_cvt_u32_f32_e32 v0, v0
	s_waitcnt lgkmcnt(0)
	s_cmp_lg_u64 s[8:9], 0
	s_cselect_b32 s18, -1, 0
	s_sub_i32 s0, 0, s2
	s_abs_i32 s3, s3
	v_mul_lo_u32 v4, s0, v0
	s_sub_i32 s19, 1, s3
	s_cmp_lt_u32 s3, 2
	v_cmp_eq_u32_e64 s0, 31, v1
	s_cselect_b32 s19, s19, 1
	v_lshlrev_b32_e32 v52, 2, v2
	s_sub_i32 s20, s19, s3
	s_cmp_ge_u32 s19, s3
	v_mul_hi_u32 v3, v0, v4
	v_mov_b32_e32 v42, 0
	s_cselect_b32 s19, s20, s19
	s_mul_i32 s3, s17, 3
	s_mul_i32 s17, s19, s2
	s_delay_alu instid0(VALU_DEP_2)
	v_add_nc_u32_e32 v53, v0, v3
	s_branch .LBB194_14
.LBB194_12:                             ;   in Loop: Header=BB194_14 Depth=1
	s_or_b32 exec_lo, exec_lo, s20
	v_add_nc_u32_e32 v41, 2, v41
	s_delay_alu instid0(VALU_DEP_1) | instskip(NEXT) | instid1(VALU_DEP_1)
	v_lshlrev_b64 v[1:2], 1, v[41:42]
	v_add_co_u32 v1, vcc_lo, s10, v1
	s_delay_alu instid0(VALU_DEP_2)
	v_add_co_ci_u32_e32 v2, vcc_lo, s11, v2, vcc_lo
	global_store_d16_hi_b16 v[1:2], v0, off
.LBB194_13:                             ;   in Loop: Header=BB194_14 Depth=1
	s_or_b32 exec_lo, exec_lo, s19
	v_add_nc_u32_e32 v40, s3, v40
	s_delay_alu instid0(VALU_DEP_1) | instskip(SKIP_1) | instid1(SALU_CYCLE_1)
	v_cmp_le_u32_e32 vcc_lo, s7, v40
	s_or_b32 s16, vcc_lo, s16
	s_and_not1_b32 exec_lo, exec_lo, s16
	s_cbranch_execz .LBB194_48
.LBB194_14:                             ; =>This Loop Header: Depth=1
                                        ;     Child Loop BB194_18 Depth 2
	v_dual_mov_b32 v56, v42 :: v_dual_add_nc_u32 v43, 2, v40
	v_mov_b32_e32 v55, v42
	v_mov_b32_e32 v58, v42
	;; [unrolled: 1-line block ×5, first 2 shown]
	s_and_not1_b32 vcc_lo, exec_lo, s1
	s_cbranch_vccnz .LBB194_21
; %bb.15:                               ;   in Loop: Header=BB194_14 Depth=1
	s_waitcnt lgkmcnt(0)
	v_dual_mov_b32 v1, v42 :: v_dual_add_nc_u32 v0, 1, v40
	v_min_u32_e32 v2, s15, v40
	v_min_u32_e32 v4, s15, v43
	v_dual_mov_b32 v3, v42 :: v_dual_mov_b32 v54, v51
	s_delay_alu instid0(VALU_DEP_4) | instskip(NEXT) | instid1(VALU_DEP_4)
	v_min_u32_e32 v0, s15, v0
	v_mul_lo_u32 v41, v2, s5
	s_delay_alu instid0(VALU_DEP_4) | instskip(SKIP_1) | instid1(VALU_DEP_4)
	v_mul_lo_u32 v2, v4, s5
	v_dual_mov_b32 v57, 0 :: v_dual_mov_b32 v60, 0
	v_mul_lo_u32 v0, v0, s5
	v_dual_mov_b32 v59, 0 :: v_dual_mov_b32 v58, 0
	v_dual_mov_b32 v56, 0 :: v_dual_mov_b32 v55, 0
	v_lshlrev_b64 v[44:45], 1, v[41:42]
	v_lshlrev_b64 v[46:47], 1, v[2:3]
	s_mov_b32 s19, 0
	v_lshlrev_b64 v[48:49], 1, v[0:1]
	s_branch .LBB194_18
.LBB194_16:                             ;   in Loop: Header=BB194_18 Depth=2
	s_or_b32 exec_lo, exec_lo, s21
.LBB194_17:                             ;   in Loop: Header=BB194_18 Depth=2
	s_delay_alu instid0(SALU_CYCLE_1)
	s_or_b32 exec_lo, exec_lo, s20
	s_waitcnt lgkmcnt(1)
	v_and_b32_e32 v66, 0xffff0000, v38
	s_waitcnt vmcnt(5)
	v_and_b32_e32 v69, 0xffff0000, v35
	v_and_b32_e32 v67, 0xffff0000, v34
	;; [unrolled: 1-line block ×4, first 2 shown]
	v_lshlrev_b32_e32 v34, 16, v34
	v_lshlrev_b32_e32 v35, 16, v35
	s_waitcnt vmcnt(4)
	v_dual_mul_f32 v68, v66, v67 :: v_dual_and_b32 v71, 0xffff0000, v29
	v_lshlrev_b32_e32 v38, 16, v38
	v_and_b32_e32 v61, 0xffff0000, v32
	v_lshlrev_b32_e32 v37, 16, v37
	v_lshlrev_b32_e32 v32, 16, v32
	v_add_nc_u32_e32 v54, 0x400, v54
	v_fmac_f32_e32 v68, v38, v34
	v_mul_f32_e32 v64, v41, v61
	v_and_b32_e32 v63, 0xffff0000, v33
	v_lshlrev_b32_e32 v36, 16, v36
	s_addk_i32 s19, 0x200
	s_delay_alu instid0(SALU_CYCLE_1) | instskip(NEXT) | instid1(VALU_DEP_2)
	s_cmp_ge_u32 s19, s4
	v_mul_f32_e32 v65, v62, v63
	v_lshlrev_b32_e32 v33, 16, v33
	s_delay_alu instid0(VALU_DEP_1) | instskip(NEXT) | instid1(VALU_DEP_1)
	v_dual_fmac_f32 v65, v37, v33 :: v_dual_fmac_f32 v64, v36, v32
	v_add_f32_e32 v57, v57, v64
	v_mul_f32_e32 v73, v62, v71
	s_delay_alu instid0(VALU_DEP_2) | instskip(SKIP_1) | instid1(VALU_DEP_2)
	v_add_f32_e32 v57, v57, v65
	v_and_b32_e32 v65, 0xffff0000, v39
	v_dual_add_f32 v57, v57, v68 :: v_dual_and_b32 v68, 0xffff0000, v30
	v_lshlrev_b32_e32 v39, 16, v39
	v_lshlrev_b32_e32 v30, 16, v30
	s_delay_alu instid0(VALU_DEP_3) | instskip(NEXT) | instid1(VALU_DEP_1)
	v_dual_mul_f32 v74, v66, v68 :: v_dual_lshlrev_b32 v29, 16, v29
	v_fmac_f32_e32 v74, v38, v30
	v_and_b32_e32 v64, 0xffff0000, v28
	v_lshlrev_b32_e32 v28, 16, v28
	s_delay_alu instid0(VALU_DEP_2) | instskip(NEXT) | instid1(VALU_DEP_1)
	v_mul_f32_e32 v70, v41, v64
	v_dual_fmac_f32 v73, v37, v29 :: v_dual_fmac_f32 v70, v36, v28
	s_delay_alu instid0(VALU_DEP_1)
	v_add_f32_e32 v60, v60, v70
	v_mul_f32_e32 v72, v65, v69
	s_waitcnt vmcnt(3)
	v_and_b32_e32 v70, 0xffff0000, v24
	v_lshlrev_b32_e32 v24, 16, v24
	v_add_f32_e32 v60, v60, v73
	s_delay_alu instid0(VALU_DEP_3) | instskip(NEXT) | instid1(VALU_DEP_1)
	v_dual_fmac_f32 v72, v39, v35 :: v_dual_mul_f32 v41, v41, v70
	v_dual_add_f32 v60, v60, v74 :: v_dual_add_f32 v57, v57, v72
	v_and_b32_e32 v72, 0xffff0000, v25
	v_and_b32_e32 v73, 0xffff0000, v31
	s_delay_alu instid0(VALU_DEP_4) | instskip(SKIP_1) | instid1(VALU_DEP_4)
	v_fmac_f32_e32 v41, v36, v24
	v_lshlrev_b32_e32 v25, 16, v25
	v_dual_mul_f32 v36, v62, v72 :: v_dual_lshlrev_b32 v31, 16, v31
	s_delay_alu instid0(VALU_DEP_4) | instskip(NEXT) | instid1(VALU_DEP_4)
	v_mul_f32_e32 v62, v65, v73
	v_add_f32_e32 v41, v59, v41
	s_delay_alu instid0(VALU_DEP_3) | instskip(SKIP_1) | instid1(VALU_DEP_3)
	v_dual_fmac_f32 v36, v37, v25 :: v_dual_and_b32 v59, 0xffff0000, v26
	s_waitcnt lgkmcnt(0)
	v_dual_fmac_f32 v62, v39, v31 :: v_dual_and_b32 v37, 0xffff0000, v20
	s_delay_alu instid0(VALU_DEP_2) | instskip(NEXT) | instid1(VALU_DEP_3)
	v_mul_f32_e32 v66, v66, v59
	v_dual_add_f32 v36, v41, v36 :: v_dual_and_b32 v41, 0xffff0000, v27
	s_delay_alu instid0(VALU_DEP_3) | instskip(SKIP_1) | instid1(VALU_DEP_3)
	v_dual_mul_f32 v61, v37, v61 :: v_dual_lshlrev_b32 v26, 16, v26
	v_lshlrev_b32_e32 v27, 16, v27
	v_dual_mul_f32 v65, v65, v41 :: v_dual_lshlrev_b32 v20, 16, v20
	s_delay_alu instid0(VALU_DEP_3) | instskip(SKIP_2) | instid1(VALU_DEP_4)
	v_fmac_f32_e32 v66, v38, v26
	v_and_b32_e32 v38, 0xffff0000, v21
	v_lshlrev_b32_e32 v21, 16, v21
	v_fmac_f32_e32 v65, v39, v27
	v_fmac_f32_e32 v61, v20, v32
	v_add_f32_e32 v36, v36, v66
	v_dual_mul_f32 v32, v38, v63 :: v_dual_and_b32 v63, 0xffff0000, v22
	s_delay_alu instid0(VALU_DEP_3) | instskip(SKIP_1) | instid1(VALU_DEP_3)
	v_dual_add_f32 v39, v58, v61 :: v_dual_lshlrev_b32 v22, 16, v22
	v_mul_f32_e32 v58, v37, v64
	v_dual_fmac_f32 v32, v21, v33 :: v_dual_mul_f32 v33, v63, v67
	v_dual_add_f32 v36, v36, v65 :: v_dual_mul_f32 v37, v37, v70
	s_delay_alu instid0(VALU_DEP_3) | instskip(NEXT) | instid1(VALU_DEP_2)
	v_fmac_f32_e32 v58, v20, v28
	v_dual_mul_f32 v28, v38, v71 :: v_dual_fmac_f32 v37, v20, v24
	v_mul_f32_e32 v20, v38, v72
	s_delay_alu instid0(VALU_DEP_2) | instskip(SKIP_3) | instid1(VALU_DEP_3)
	v_dual_fmac_f32 v28, v21, v29 :: v_dual_mul_f32 v29, v63, v68
	v_fmac_f32_e32 v33, v22, v34
	s_waitcnt vmcnt(1)
	v_and_b32_e32 v38, 0xffff0000, v10
	v_dual_fmac_f32 v20, v21, v25 :: v_dual_fmac_f32 v29, v22, v30
	v_dual_add_f32 v32, v39, v32 :: v_dual_add_f32 v39, v56, v58
	v_add_f32_e32 v30, v55, v37
	s_delay_alu instid0(VALU_DEP_2)
	v_add_f32_e32 v24, v39, v28
	v_and_b32_e32 v34, 0xffff0000, v23
	v_lshlrev_b32_e32 v23, 16, v23
	s_waitcnt vmcnt(0)
	v_and_b32_e32 v39, 0xffff0000, v4
	v_add_f32_e32 v21, v24, v29
	v_dual_add_f32 v60, v60, v62 :: v_dual_mul_f32 v25, v34, v73
	v_dual_mul_f32 v56, v34, v69 :: v_dual_and_b32 v29, 0xffff0000, v16
	s_delay_alu instid0(VALU_DEP_2) | instskip(SKIP_2) | instid1(VALU_DEP_3)
	v_fmac_f32_e32 v25, v23, v31
	v_dual_mul_f32 v24, v63, v59 :: v_dual_mul_f32 v31, v34, v41
	v_add_f32_e32 v28, v32, v33
	v_dual_fmac_f32 v56, v23, v35 :: v_dual_add_f32 v21, v21, v25
	s_delay_alu instid0(VALU_DEP_3) | instskip(NEXT) | instid1(VALU_DEP_4)
	v_dual_fmac_f32 v24, v22, v26 :: v_dual_and_b32 v25, 0xffff0000, v8
	v_fmac_f32_e32 v31, v23, v27
	v_and_b32_e32 v23, 0xffff0000, v18
	v_dual_add_f32 v20, v30, v20 :: v_dual_and_b32 v27, 0xffff0000, v14
	v_lshlrev_b32_e32 v18, 16, v18
	v_lshlrev_b32_e32 v14, 16, v14
	s_delay_alu instid0(VALU_DEP_4) | instskip(NEXT) | instid1(VALU_DEP_4)
	v_dual_mul_f32 v41, v23, v38 :: v_dual_and_b32 v26, 0xffff0000, v13
	v_dual_mul_f32 v33, v23, v27 :: v_dual_and_b32 v30, 0xffff0000, v12
	v_add_f32_e32 v20, v20, v24
	v_lshlrev_b32_e32 v10, 16, v10
	v_and_b32_e32 v35, 0xffff0000, v9
	s_delay_alu instid0(VALU_DEP_4)
	v_fmac_f32_e32 v33, v18, v14
	v_mul_f32_e32 v22, v29, v30
	v_add_f32_e32 v20, v20, v31
	v_and_b32_e32 v31, 0xffff0000, v19
	v_and_b32_e32 v24, 0xffff0000, v17
	v_lshlrev_b32_e32 v16, 16, v16
	v_lshlrev_b32_e32 v19, 16, v19
	;; [unrolled: 1-line block ×3, first 2 shown]
	s_delay_alu instid0(VALU_DEP_4) | instskip(SKIP_1) | instid1(VALU_DEP_3)
	v_dual_mul_f32 v32, v24, v26 :: v_dual_lshlrev_b32 v17, 16, v17
	v_lshlrev_b32_e32 v13, 16, v13
	v_dual_fmac_f32 v22, v16, v12 :: v_dual_lshlrev_b32 v9, 16, v9
	v_lshlrev_b32_e32 v4, 16, v4
	s_delay_alu instid0(VALU_DEP_3) | instskip(NEXT) | instid1(VALU_DEP_3)
	v_fmac_f32_e32 v32, v17, v13
	v_add_f32_e32 v22, v57, v22
	s_delay_alu instid0(VALU_DEP_1) | instskip(NEXT) | instid1(VALU_DEP_1)
	v_add_f32_e32 v22, v22, v32
	v_add_f32_e32 v22, v22, v33
	v_and_b32_e32 v32, 0xffff0000, v15
	v_lshlrev_b32_e32 v15, 16, v15
	s_delay_alu instid0(VALU_DEP_2) | instskip(SKIP_2) | instid1(VALU_DEP_3)
	v_mul_f32_e32 v37, v31, v32
	v_dual_mul_f32 v33, v24, v35 :: v_dual_mul_f32 v34, v29, v25
	v_mul_f32_e32 v29, v29, v39
	v_fmac_f32_e32 v37, v19, v15
	s_delay_alu instid0(VALU_DEP_3) | instskip(NEXT) | instid1(VALU_DEP_3)
	v_fmac_f32_e32 v33, v17, v9
	v_fmac_f32_e32 v29, v16, v4
	s_delay_alu instid0(VALU_DEP_3) | instskip(SKIP_2) | instid1(VALU_DEP_4)
	v_dual_add_f32 v57, v22, v37 :: v_dual_lshlrev_b32 v8, 16, v8
	v_and_b32_e32 v37, 0xffff0000, v7
	v_lshlrev_b32_e32 v7, 16, v7
	v_add_f32_e32 v29, v36, v29
	s_delay_alu instid0(VALU_DEP_4) | instskip(SKIP_2) | instid1(VALU_DEP_3)
	v_fmac_f32_e32 v34, v16, v8
	v_and_b32_e32 v36, 0xffff0000, v6
	v_lshlrev_b32_e32 v6, 16, v6
	v_add_f32_e32 v34, v60, v34
	v_add_f32_e32 v28, v28, v56
	s_delay_alu instid0(VALU_DEP_4) | instskip(SKIP_1) | instid1(VALU_DEP_4)
	v_mul_f32_e32 v23, v23, v36
	v_fmac_f32_e32 v41, v18, v10
	v_add_f32_e32 v33, v34, v33
	s_delay_alu instid0(VALU_DEP_3) | instskip(SKIP_1) | instid1(VALU_DEP_3)
	v_dual_fmac_f32 v23, v18, v6 :: v_dual_and_b32 v34, 0xffff0000, v5
	v_lshlrev_b32_e32 v5, 16, v5
	v_add_f32_e32 v22, v33, v41
	s_delay_alu instid0(VALU_DEP_3) | instskip(SKIP_1) | instid1(VALU_DEP_2)
	v_dual_mul_f32 v16, v24, v34 :: v_dual_and_b32 v33, 0xffff0000, v0
	v_lshlrev_b32_e32 v0, 16, v0
	v_fmac_f32_e32 v16, v17, v5
	s_delay_alu instid0(VALU_DEP_3) | instskip(NEXT) | instid1(VALU_DEP_2)
	v_mul_f32_e32 v30, v33, v30
	v_dual_add_f32 v16, v29, v16 :: v_dual_and_b32 v29, 0xffff0000, v1
	s_delay_alu instid0(VALU_DEP_2) | instskip(NEXT) | instid1(VALU_DEP_2)
	v_dual_fmac_f32 v30, v0, v12 :: v_dual_lshlrev_b32 v1, 16, v1
	v_mul_f32_e32 v12, v29, v26
	v_and_b32_e32 v26, 0xffff0000, v2
	v_lshlrev_b32_e32 v2, 16, v2
	v_mul_f32_e32 v18, v31, v37
	s_delay_alu instid0(VALU_DEP_3) | instskip(SKIP_2) | instid1(VALU_DEP_3)
	v_dual_fmac_f32 v12, v1, v13 :: v_dual_mul_f32 v13, v26, v27
	v_and_b32_e32 v24, 0xffff0000, v11
	v_lshlrev_b32_e32 v11, 16, v11
	v_dual_fmac_f32 v18, v19, v7 :: v_dual_fmac_f32 v13, v2, v14
	s_delay_alu instid0(VALU_DEP_3) | instskip(NEXT) | instid1(VALU_DEP_1)
	v_mul_f32_e32 v17, v31, v24
	v_fmac_f32_e32 v17, v19, v11
	v_dual_mul_f32 v19, v33, v39 :: v_dual_add_f32 v28, v28, v30
	s_delay_alu instid0(VALU_DEP_1) | instskip(NEXT) | instid1(VALU_DEP_2)
	v_dual_add_f32 v60, v22, v17 :: v_dual_fmac_f32 v19, v0, v4
	v_add_f32_e32 v12, v28, v12
	s_delay_alu instid0(VALU_DEP_1) | instskip(SKIP_3) | instid1(VALU_DEP_4)
	v_dual_add_f32 v12, v12, v13 :: v_dual_and_b32 v13, 0xffff0000, v3
	v_lshlrev_b32_e32 v3, 16, v3
	v_add_f32_e32 v14, v16, v23
	v_mul_f32_e32 v16, v33, v25
	v_mul_f32_e32 v23, v13, v32
	s_delay_alu instid0(VALU_DEP_2) | instskip(SKIP_1) | instid1(VALU_DEP_3)
	v_fmac_f32_e32 v16, v0, v8
	v_mul_f32_e32 v8, v29, v35
	v_dual_mul_f32 v0, v29, v34 :: v_dual_fmac_f32 v23, v3, v15
	s_delay_alu instid0(VALU_DEP_3) | instskip(NEXT) | instid1(VALU_DEP_3)
	v_add_f32_e32 v4, v21, v16
	v_fmac_f32_e32 v8, v1, v9
	v_add_f32_e32 v16, v20, v19
	s_delay_alu instid0(VALU_DEP_4) | instskip(SKIP_4) | instid1(VALU_DEP_4)
	v_fmac_f32_e32 v0, v1, v5
	v_mul_f32_e32 v5, v13, v24
	v_mul_f32_e32 v9, v26, v38
	;; [unrolled: 1-line block ×3, first 2 shown]
	v_add_f32_e32 v4, v4, v8
	v_dual_add_f32 v0, v16, v0 :: v_dual_fmac_f32 v5, v3, v11
	s_delay_alu instid0(VALU_DEP_4) | instskip(NEXT) | instid1(VALU_DEP_4)
	v_fmac_f32_e32 v9, v2, v10
	v_dual_fmac_f32 v1, v2, v6 :: v_dual_mul_f32 v2, v13, v37
	v_add_f32_e32 v58, v12, v23
	s_delay_alu instid0(VALU_DEP_3) | instskip(NEXT) | instid1(VALU_DEP_3)
	v_add_f32_e32 v4, v4, v9
	v_add_f32_e32 v0, v0, v1
	s_delay_alu instid0(VALU_DEP_4) | instskip(NEXT) | instid1(VALU_DEP_3)
	v_fmac_f32_e32 v2, v3, v7
	v_add_f32_e32 v56, v4, v5
	s_delay_alu instid0(VALU_DEP_2)
	v_add_f32_e32 v55, v0, v2
	v_add_f32_e32 v59, v14, v18
	s_cbranch_scc1 .LBB194_21
.LBB194_18:                             ;   Parent Loop BB194_14 Depth=1
                                        ; =>  This Inner Loop Header: Depth=2
	v_dual_mov_b32 v19, 0 :: v_dual_add_nc_u32 v18, s19, v50
	v_dual_mov_b32 v23, 0 :: v_dual_mov_b32 v22, 0
	v_dual_mov_b32 v21, 0 :: v_dual_mov_b32 v20, 0
	s_delay_alu instid0(VALU_DEP_3) | instskip(SKIP_3) | instid1(VALU_DEP_4)
	v_min_u32_e32 v41, s14, v18
	v_add_nc_u32_e32 v61, 0x100, v18
	v_dual_mov_b32 v39, 0 :: v_dual_mov_b32 v38, 0
	v_dual_mov_b32 v37, 0 :: v_dual_mov_b32 v36, 0
	v_lshlrev_b64 v[0:1], 1, v[41:42]
	s_delay_alu instid0(VALU_DEP_4) | instskip(NEXT) | instid1(VALU_DEP_2)
	v_min_u32_e32 v41, s14, v61
	v_add_co_u32 v6, vcc_lo, s12, v0
	s_delay_alu instid0(VALU_DEP_3) | instskip(NEXT) | instid1(VALU_DEP_3)
	v_add_co_ci_u32_e32 v7, vcc_lo, s13, v1, vcc_lo
	v_lshlrev_b64 v[0:1], 1, v[41:42]
	s_delay_alu instid0(VALU_DEP_3) | instskip(NEXT) | instid1(VALU_DEP_3)
	v_add_co_u32 v2, vcc_lo, v6, v44
	v_add_co_ci_u32_e32 v3, vcc_lo, v7, v45, vcc_lo
	v_add_co_u32 v4, vcc_lo, v6, v48
	v_add_co_ci_u32_e32 v5, vcc_lo, v7, v49, vcc_lo
	;; [unrolled: 2-line block ×4, first 2 shown]
	s_delay_alu instid0(VALU_DEP_4) | instskip(NEXT) | instid1(VALU_DEP_4)
	v_add_co_u32 v6, vcc_lo, v10, v44
	v_add_co_ci_u32_e32 v7, vcc_lo, v11, v45, vcc_lo
	v_add_co_u32 v8, vcc_lo, v10, v48
	v_add_co_ci_u32_e32 v9, vcc_lo, v11, v49, vcc_lo
	;; [unrolled: 2-line block ×3, first 2 shown]
	s_clause 0x5
	global_load_b128 v[32:35], v[2:3], off slc dlc
	global_load_b128 v[28:31], v[4:5], off slc dlc
	global_load_b128 v[24:27], v[0:1], off slc dlc
	global_load_b128 v[12:15], v[6:7], off slc dlc
	global_load_b128 v[8:11], v[8:9], off slc dlc
	global_load_b128 v[4:7], v[16:17], off slc dlc
	v_mov_b32_e32 v3, 0
	v_cmp_gt_u32_e32 vcc_lo, s4, v18
	v_dual_mov_b32 v2, 0 :: v_dual_mov_b32 v1, 0
	v_mov_b32_e32 v0, 0
	v_dual_mov_b32 v18, 0 :: v_dual_mov_b32 v17, 0
	v_mov_b32_e32 v16, 0
	s_and_saveexec_b32 s20, vcc_lo
	s_cbranch_execz .LBB194_17
; %bb.19:                               ;   in Loop: Header=BB194_18 Depth=2
	v_dual_mov_b32 v16, 0 :: v_dual_add_nc_u32 v41, s6, v54
	v_dual_mov_b32 v17, 0 :: v_dual_mov_b32 v18, 0
	ds_load_b128 v[36:39], v54
	ds_load_b128 v[20:23], v41
	v_dual_mov_b32 v19, 0 :: v_dual_mov_b32 v0, 0
	v_dual_mov_b32 v1, 0 :: v_dual_mov_b32 v2, 0
	v_mov_b32_e32 v3, 0
	s_mov_b32 s21, exec_lo
	v_cmpx_gt_u32_e64 s4, v61
	s_cbranch_execz .LBB194_16
; %bb.20:                               ;   in Loop: Header=BB194_18 Depth=2
	ds_load_b128 v[16:19], v54 offset:512
	ds_load_b128 v[0:3], v41 offset:512
	s_branch .LBB194_16
.LBB194_21:                             ;   in Loop: Header=BB194_14 Depth=1
	; sched_barrier mask(0x00000000)
	s_delay_alu instid0(VALU_DEP_1)
	v_cvt_i32_f32_e32 v0, v57
	s_waitcnt lgkmcnt(0)
	v_cvt_i32_f32_e32 v1, v60
	v_cvt_i32_f32_e32 v2, v59
	;; [unrolled: 1-line block ×4, first 2 shown]
	v_cvt_f32_i32_dpp v0, v0 row_shr:8 row_mask:0xf bank_mask:0xf bound_ctrl:1
	v_cvt_i32_f32_e32 v5, v55
	v_cvt_f32_i32_dpp v1, v1 row_shr:8 row_mask:0xf bank_mask:0xf bound_ctrl:1
	v_cvt_f32_i32_dpp v2, v2 row_shr:8 row_mask:0xf bank_mask:0xf bound_ctrl:1
	;; [unrolled: 1-line block ×3, first 2 shown]
	v_add_f32_e32 v0, v57, v0
	v_cvt_f32_i32_dpp v4, v4 row_shr:8 row_mask:0xf bank_mask:0xf bound_ctrl:1
	v_add_f32_e32 v1, v60, v1
	v_cvt_f32_i32_dpp v5, v5 row_shr:8 row_mask:0xf bank_mask:0xf bound_ctrl:1
	v_dual_add_f32 v2, v59, v2 :: v_dual_add_f32 v3, v58, v3
	v_cvt_i32_f32_e32 v6, v0
	s_delay_alu instid0(VALU_DEP_3) | instskip(SKIP_1) | instid1(VALU_DEP_4)
	v_dual_add_f32 v4, v56, v4 :: v_dual_add_f32 v5, v55, v5
	v_cvt_i32_f32_e32 v7, v1
	v_cvt_i32_f32_e32 v8, v2
	s_delay_alu instid0(VALU_DEP_4) | instskip(SKIP_3) | instid1(VALU_DEP_4)
	v_cvt_f32_i32_dpp v6, v6 row_shr:4 row_mask:0xf bank_mask:0xf bound_ctrl:1
	v_cvt_i32_f32_e32 v9, v3
	v_cvt_i32_f32_e32 v10, v4
	;; [unrolled: 1-line block ×3, first 2 shown]
	v_add_f32_e32 v0, v0, v6
	v_cvt_f32_i32_dpp v6, v7 row_shr:4 row_mask:0xf bank_mask:0xf bound_ctrl:1
	v_cvt_f32_i32_dpp v7, v8 row_shr:4 row_mask:0xf bank_mask:0xf bound_ctrl:1
	;; [unrolled: 1-line block ×5, first 2 shown]
	s_delay_alu instid0(VALU_DEP_4) | instskip(NEXT) | instid1(VALU_DEP_4)
	v_dual_add_f32 v1, v1, v6 :: v_dual_add_f32 v2, v2, v7
	v_add_f32_e32 v3, v3, v8
	v_cvt_i32_f32_e32 v10, v0
	s_delay_alu instid0(VALU_DEP_4) | instskip(NEXT) | instid1(VALU_DEP_4)
	v_dual_add_f32 v4, v4, v9 :: v_dual_add_f32 v5, v5, v11
	v_cvt_i32_f32_e32 v7, v1
	v_cvt_i32_f32_e32 v8, v2
	s_delay_alu instid0(VALU_DEP_4) | instskip(NEXT) | instid1(VALU_DEP_4)
	v_cvt_f32_i32_dpp v6, v10 row_shr:2 row_mask:0xf bank_mask:0xf bound_ctrl:1
	v_cvt_i32_f32_e32 v9, v4
	v_cvt_i32_f32_e32 v10, v5
	v_cvt_f32_i32_dpp v7, v7 row_shr:2 row_mask:0xf bank_mask:0xf bound_ctrl:1
	v_cvt_f32_i32_dpp v8, v8 row_shr:2 row_mask:0xf bank_mask:0xf bound_ctrl:1
	v_add_f32_e32 v0, v0, v6
	v_cvt_i32_f32_e32 v6, v3
	v_cvt_f32_i32_dpp v9, v9 row_shr:2 row_mask:0xf bank_mask:0xf bound_ctrl:1
	v_add_f32_e32 v1, v1, v7
	v_cvt_f32_i32_dpp v10, v10 row_shr:2 row_mask:0xf bank_mask:0xf bound_ctrl:1
	v_cvt_i32_f32_e32 v11, v0
	v_cvt_f32_i32_dpp v6, v6 row_shr:2 row_mask:0xf bank_mask:0xf bound_ctrl:1
	v_add_f32_e32 v2, v2, v8
	s_delay_alu instid0(VALU_DEP_4) | instskip(NEXT) | instid1(VALU_DEP_4)
	v_dual_add_f32 v4, v4, v9 :: v_dual_add_f32 v5, v5, v10
	v_cvt_f32_i32_dpp v11, v11 row_shr:1 row_mask:0xf bank_mask:0xf bound_ctrl:1
	s_delay_alu instid0(VALU_DEP_4) | instskip(NEXT) | instid1(VALU_DEP_4)
	v_add_f32_e32 v3, v3, v6
	v_cvt_i32_f32_e32 v6, v2
	s_delay_alu instid0(VALU_DEP_4) | instskip(SKIP_1) | instid1(VALU_DEP_4)
	v_cvt_i32_f32_e32 v8, v4
	v_cvt_i32_f32_e32 v9, v5
	;; [unrolled: 1-line block ×3, first 2 shown]
	s_delay_alu instid0(VALU_DEP_4)
	v_cvt_f32_i32_dpp v6, v6 row_shr:1 row_mask:0xf bank_mask:0xf bound_ctrl:1
	v_add_f32_e32 v12, v0, v11
	v_cvt_i32_f32_e32 v0, v1
	v_cvt_f32_i32_dpp v8, v8 row_shr:1 row_mask:0xf bank_mask:0xf bound_ctrl:1
	v_cvt_f32_i32_dpp v7, v7 row_shr:1 row_mask:0xf bank_mask:0xf bound_ctrl:1
	;; [unrolled: 1-line block ×3, first 2 shown]
	v_add_f32_e32 v9, v2, v6
	v_cvt_f32_i32_dpp v0, v0 row_shr:1 row_mask:0xf bank_mask:0xf bound_ctrl:1
	v_add_f32_e32 v4, v4, v8
	v_add_f32_e32 v6, v3, v7
	;; [unrolled: 1-line block ×3, first 2 shown]
	ds_bpermute_b32 v13, v52, v12
	v_add_f32_e32 v0, v1, v0
	ds_bpermute_b32 v10, v52, v9
	ds_bpermute_b32 v7, v52, v6
	;; [unrolled: 1-line block ×5, first 2 shown]
	s_and_saveexec_b32 s19, s0
	s_cbranch_execz .LBB194_13
; %bb.22:                               ;   in Loop: Header=BB194_14 Depth=1
	v_dual_mov_b32 v17, 0 :: v_dual_mov_b32 v16, 0
	v_dual_mov_b32 v15, 0 :: v_dual_mov_b32 v14, 0
	;; [unrolled: 1-line block ×3, first 2 shown]
	s_and_not1_b32 vcc_lo, exec_lo, s18
	s_cbranch_vccnz .LBB194_24
; %bb.23:                               ;   in Loop: Header=BB194_14 Depth=1
	v_mul_hi_u32 v8, v40, v53
	v_mul_hi_u32 v14, v43, v53
	s_delay_alu instid0(VALU_DEP_2) | instskip(NEXT) | instid1(VALU_DEP_2)
	v_mul_lo_u32 v8, v8, s2
	v_mul_lo_u32 v14, v14, s2
	s_delay_alu instid0(VALU_DEP_2) | instskip(NEXT) | instid1(VALU_DEP_2)
	v_sub_nc_u32_e32 v8, v40, v8
	v_sub_nc_u32_e32 v14, v43, v14
	s_delay_alu instid0(VALU_DEP_2) | instskip(SKIP_1) | instid1(VALU_DEP_2)
	v_subrev_nc_u32_e32 v16, s2, v8
	v_cmp_le_u32_e32 vcc_lo, s2, v8
	v_cndmask_b32_e32 v8, v8, v16, vcc_lo
	s_delay_alu instid0(VALU_DEP_4) | instskip(SKIP_1) | instid1(VALU_DEP_1)
	v_cmp_le_u32_e32 vcc_lo, s2, v14
	v_add_nc_u32_e32 v11, 1, v40
	v_mul_hi_u32 v15, v11, v53
	s_delay_alu instid0(VALU_DEP_1) | instskip(NEXT) | instid1(VALU_DEP_1)
	v_mul_lo_u32 v15, v15, s2
	v_sub_nc_u32_e32 v11, v11, v15
	v_subrev_nc_u32_e32 v15, s2, v14
	s_delay_alu instid0(VALU_DEP_2) | instskip(NEXT) | instid1(VALU_DEP_2)
	v_subrev_nc_u32_e32 v16, s2, v11
	v_cndmask_b32_e32 v14, v14, v15, vcc_lo
	v_cmp_le_u32_e32 vcc_lo, s2, v11
	v_mov_b32_e32 v15, v42
	v_subrev_nc_u32_e32 v17, s2, v8
	v_cndmask_b32_e32 v11, v11, v16, vcc_lo
	v_cmp_le_u32_e32 vcc_lo, s2, v8
	v_subrev_nc_u32_e32 v16, s2, v14
	s_delay_alu instid0(VALU_DEP_4) | instskip(SKIP_2) | instid1(VALU_DEP_4)
	v_cndmask_b32_e32 v41, v8, v17, vcc_lo
	v_cmp_le_u32_e32 vcc_lo, s2, v14
	v_subrev_nc_u32_e32 v8, s2, v11
	v_cndmask_b32_e32 v16, v14, v16, vcc_lo
	v_cmp_le_u32_e32 vcc_lo, s2, v11
	v_mov_b32_e32 v17, v42
	v_lshlrev_b64 v[18:19], 1, v[41:42]
	v_dual_cndmask_b32 v14, v11, v8 :: v_dual_add_nc_u32 v41, s17, v41
	s_delay_alu instid0(VALU_DEP_3) | instskip(NEXT) | instid1(VALU_DEP_2)
	v_lshlrev_b64 v[20:21], 1, v[16:17]
	v_lshlrev_b64 v[24:25], 1, v[41:42]
	s_delay_alu instid0(VALU_DEP_3)
	v_lshlrev_b64 v[22:23], 1, v[14:15]
	v_add_nc_u32_e32 v41, s17, v14
	v_add_co_u32 v14, vcc_lo, s8, v18
	v_add_co_ci_u32_e32 v15, vcc_lo, s9, v19, vcc_lo
	v_add_co_u32 v18, vcc_lo, s8, v20
	v_add_co_ci_u32_e32 v19, vcc_lo, s9, v21, vcc_lo
	v_lshlrev_b64 v[20:21], 1, v[41:42]
	v_add_nc_u32_e32 v41, s17, v16
	v_add_co_u32 v22, vcc_lo, s8, v22
	v_add_co_ci_u32_e32 v23, vcc_lo, s9, v23, vcc_lo
	v_add_co_u32 v24, vcc_lo, s8, v24
	s_delay_alu instid0(VALU_DEP_4) | instskip(SKIP_3) | instid1(VALU_DEP_4)
	v_lshlrev_b64 v[16:17], 1, v[41:42]
	v_add_co_ci_u32_e32 v25, vcc_lo, s9, v25, vcc_lo
	v_add_co_u32 v20, vcc_lo, s8, v20
	v_add_co_ci_u32_e32 v21, vcc_lo, s9, v21, vcc_lo
	v_add_co_u32 v26, vcc_lo, s8, v16
	v_add_co_ci_u32_e32 v27, vcc_lo, s9, v17, vcc_lo
	s_clause 0x5
	global_load_u16 v17, v[14:15], off
	global_load_u16 v16, v[22:23], off
	;; [unrolled: 1-line block ×6, first 2 shown]
.LBB194_24:                             ;   in Loop: Header=BB194_14 Depth=1
	s_waitcnt lgkmcnt(5)
	v_add_f32_e32 v12, v12, v13
	s_waitcnt vmcnt(5)
	v_lshlrev_b32_e32 v13, 16, v17
	s_delay_alu instid0(VALU_DEP_1) | instskip(NEXT) | instid1(VALU_DEP_1)
	v_add_f32_e32 v13, v12, v13
	v_and_b32_e32 v12, 0x7f800000, v13
	s_delay_alu instid0(VALU_DEP_1) | instskip(SKIP_1) | instid1(SALU_CYCLE_1)
	v_cmp_ne_u32_e32 vcc_lo, 0x7f800000, v12
                                        ; implicit-def: $vgpr12
	s_and_saveexec_b32 s20, vcc_lo
	s_xor_b32 s20, exec_lo, s20
; %bb.25:                               ;   in Loop: Header=BB194_14 Depth=1
	v_bfe_u32 v12, v13, 16, 1
	s_delay_alu instid0(VALU_DEP_1)
	v_add3_u32 v12, v13, v12, 0x7fff
                                        ; implicit-def: $vgpr13
; %bb.26:                               ;   in Loop: Header=BB194_14 Depth=1
	s_and_not1_saveexec_b32 s20, s20
; %bb.27:                               ;   in Loop: Header=BB194_14 Depth=1
	v_and_b32_e32 v12, 0xffff, v13
	v_or_b32_e32 v17, 0x10000, v13
	s_delay_alu instid0(VALU_DEP_2) | instskip(NEXT) | instid1(VALU_DEP_2)
	v_cmp_eq_u32_e32 vcc_lo, 0, v12
	v_cndmask_b32_e32 v12, v17, v13, vcc_lo
; %bb.28:                               ;   in Loop: Header=BB194_14 Depth=1
	s_or_b32 exec_lo, exec_lo, s20
	s_waitcnt vmcnt(4) lgkmcnt(0)
	v_dual_add_f32 v0, v0, v1 :: v_dual_lshlrev_b32 v1, 16, v16
	s_mov_b32 s20, exec_lo
	s_delay_alu instid0(VALU_DEP_1) | instskip(NEXT) | instid1(VALU_DEP_1)
	v_add_f32_e32 v13, v0, v1
	v_dual_mov_b32 v41, v42 :: v_dual_and_b32 v16, 0x7f800000, v13
	s_delay_alu instid0(VALU_DEP_1) | instskip(NEXT) | instid1(VALU_DEP_1)
	v_lshlrev_b64 v[0:1], 1, v[40:41]
	v_add_co_u32 v0, vcc_lo, s10, v0
	s_delay_alu instid0(VALU_DEP_2)
	v_add_co_ci_u32_e32 v1, vcc_lo, s11, v1, vcc_lo
	global_store_d16_hi_b16 v[0:1], v12, off
                                        ; implicit-def: $vgpr12
	v_cmpx_ne_u32_e32 0x7f800000, v16
	s_xor_b32 s20, exec_lo, s20
; %bb.29:                               ;   in Loop: Header=BB194_14 Depth=1
	v_bfe_u32 v12, v13, 16, 1
	s_delay_alu instid0(VALU_DEP_1)
	v_add3_u32 v12, v13, v12, 0x7fff
                                        ; implicit-def: $vgpr13
; %bb.30:                               ;   in Loop: Header=BB194_14 Depth=1
	s_and_not1_saveexec_b32 s20, s20
; %bb.31:                               ;   in Loop: Header=BB194_14 Depth=1
	v_and_b32_e32 v12, 0xffff, v13
	v_or_b32_e32 v16, 0x10000, v13
	s_delay_alu instid0(VALU_DEP_2) | instskip(NEXT) | instid1(VALU_DEP_2)
	v_cmp_eq_u32_e32 vcc_lo, 0, v12
	v_cndmask_b32_e32 v12, v16, v13, vcc_lo
; %bb.32:                               ;   in Loop: Header=BB194_14 Depth=1
	s_or_b32 exec_lo, exec_lo, s20
	s_waitcnt vmcnt(3)
	v_dual_add_f32 v9, v9, v10 :: v_dual_lshlrev_b32 v10, 16, v15
	s_mov_b32 s20, exec_lo
	global_store_d16_hi_b16 v[0:1], v12, off offset:2
                                        ; implicit-def: $vgpr0
	v_add_f32_e32 v9, v9, v10
	s_delay_alu instid0(VALU_DEP_1) | instskip(NEXT) | instid1(VALU_DEP_1)
	v_and_b32_e32 v10, 0x7f800000, v9
	v_cmpx_ne_u32_e32 0x7f800000, v10
	s_xor_b32 s20, exec_lo, s20
; %bb.33:                               ;   in Loop: Header=BB194_14 Depth=1
	v_bfe_u32 v0, v9, 16, 1
	s_delay_alu instid0(VALU_DEP_1)
	v_add3_u32 v0, v9, v0, 0x7fff
                                        ; implicit-def: $vgpr9
; %bb.34:                               ;   in Loop: Header=BB194_14 Depth=1
	s_and_not1_saveexec_b32 s20, s20
; %bb.35:                               ;   in Loop: Header=BB194_14 Depth=1
	v_and_b32_e32 v0, 0xffff, v9
	v_or_b32_e32 v1, 0x10000, v9
	s_delay_alu instid0(VALU_DEP_2) | instskip(NEXT) | instid1(VALU_DEP_2)
	v_cmp_eq_u32_e32 vcc_lo, 0, v0
	v_cndmask_b32_e32 v0, v1, v9, vcc_lo
; %bb.36:                               ;   in Loop: Header=BB194_14 Depth=1
	s_or_b32 exec_lo, exec_lo, s20
	s_waitcnt vmcnt(2)
	v_dual_add_f32 v1, v6, v7 :: v_dual_lshlrev_b32 v6, 16, v14
	v_mov_b32_e32 v44, v42
	s_mov_b32 s20, exec_lo
	s_delay_alu instid0(VALU_DEP_2) | instskip(NEXT) | instid1(VALU_DEP_2)
	v_add_f32_e32 v1, v1, v6
	v_lshlrev_b64 v[6:7], 1, v[43:44]
	s_delay_alu instid0(VALU_DEP_2) | instskip(NEXT) | instid1(VALU_DEP_2)
	v_and_b32_e32 v9, 0x7f800000, v1
	v_add_co_u32 v6, vcc_lo, s10, v6
	s_delay_alu instid0(VALU_DEP_3)
	v_add_co_ci_u32_e32 v7, vcc_lo, s11, v7, vcc_lo
	global_store_d16_hi_b16 v[6:7], v0, off
                                        ; implicit-def: $vgpr0
	v_cmpx_ne_u32_e32 0x7f800000, v9
	s_xor_b32 s20, exec_lo, s20
; %bb.37:                               ;   in Loop: Header=BB194_14 Depth=1
	v_bfe_u32 v0, v1, 16, 1
	s_delay_alu instid0(VALU_DEP_1)
	v_add3_u32 v0, v1, v0, 0x7fff
                                        ; implicit-def: $vgpr1
; %bb.38:                               ;   in Loop: Header=BB194_14 Depth=1
	s_and_not1_saveexec_b32 s20, s20
; %bb.39:                               ;   in Loop: Header=BB194_14 Depth=1
	v_and_b32_e32 v0, 0xffff, v1
	v_or_b32_e32 v6, 0x10000, v1
	s_delay_alu instid0(VALU_DEP_2) | instskip(NEXT) | instid1(VALU_DEP_2)
	v_cmp_eq_u32_e32 vcc_lo, 0, v0
	v_cndmask_b32_e32 v0, v6, v1, vcc_lo
; %bb.40:                               ;   in Loop: Header=BB194_14 Depth=1
	s_or_b32 exec_lo, exec_lo, s20
	s_waitcnt vmcnt(1)
	v_dual_add_f32 v1, v4, v5 :: v_dual_lshlrev_b32 v4, 16, v11
	v_add_nc_u32_e32 v41, s7, v40
	s_mov_b32 s20, exec_lo
	s_delay_alu instid0(VALU_DEP_2) | instskip(NEXT) | instid1(VALU_DEP_2)
	v_add_f32_e32 v1, v1, v4
	v_lshlrev_b64 v[4:5], 1, v[41:42]
	s_delay_alu instid0(VALU_DEP_2) | instskip(NEXT) | instid1(VALU_DEP_2)
	v_and_b32_e32 v6, 0x7f800000, v1
	v_add_co_u32 v4, vcc_lo, s10, v4
	s_delay_alu instid0(VALU_DEP_3)
	v_add_co_ci_u32_e32 v5, vcc_lo, s11, v5, vcc_lo
	global_store_d16_hi_b16 v[4:5], v0, off
                                        ; implicit-def: $vgpr0
	v_cmpx_ne_u32_e32 0x7f800000, v6
	s_xor_b32 s20, exec_lo, s20
; %bb.41:                               ;   in Loop: Header=BB194_14 Depth=1
	v_bfe_u32 v0, v1, 16, 1
	s_delay_alu instid0(VALU_DEP_1)
	v_add3_u32 v0, v1, v0, 0x7fff
                                        ; implicit-def: $vgpr1
; %bb.42:                               ;   in Loop: Header=BB194_14 Depth=1
	s_and_not1_saveexec_b32 s20, s20
; %bb.43:                               ;   in Loop: Header=BB194_14 Depth=1
	v_and_b32_e32 v0, 0xffff, v1
	v_or_b32_e32 v4, 0x10000, v1
	s_delay_alu instid0(VALU_DEP_2) | instskip(NEXT) | instid1(VALU_DEP_2)
	v_cmp_eq_u32_e32 vcc_lo, 0, v0
	v_cndmask_b32_e32 v0, v4, v1, vcc_lo
; %bb.44:                               ;   in Loop: Header=BB194_14 Depth=1
	s_or_b32 exec_lo, exec_lo, s20
	v_dual_add_f32 v1, v2, v3 :: v_dual_add_nc_u32 v2, 1, v41
	s_waitcnt vmcnt(0)
	v_dual_mov_b32 v3, v42 :: v_dual_lshlrev_b32 v4, 16, v8
	s_mov_b32 s20, exec_lo
	s_delay_alu instid0(VALU_DEP_1) | instskip(NEXT) | instid1(VALU_DEP_2)
	v_add_f32_e32 v1, v1, v4
	v_lshlrev_b64 v[2:3], 1, v[2:3]
	s_delay_alu instid0(VALU_DEP_2) | instskip(NEXT) | instid1(VALU_DEP_2)
	v_and_b32_e32 v4, 0x7f800000, v1
	v_add_co_u32 v2, vcc_lo, s10, v2
	s_delay_alu instid0(VALU_DEP_3)
	v_add_co_ci_u32_e32 v3, vcc_lo, s11, v3, vcc_lo
	global_store_d16_hi_b16 v[2:3], v0, off
                                        ; implicit-def: $vgpr0
	v_cmpx_ne_u32_e32 0x7f800000, v4
	s_xor_b32 s20, exec_lo, s20
; %bb.45:                               ;   in Loop: Header=BB194_14 Depth=1
	v_bfe_u32 v0, v1, 16, 1
	s_delay_alu instid0(VALU_DEP_1)
	v_add3_u32 v0, v1, v0, 0x7fff
                                        ; implicit-def: $vgpr1
; %bb.46:                               ;   in Loop: Header=BB194_14 Depth=1
	s_and_not1_saveexec_b32 s20, s20
	s_cbranch_execz .LBB194_12
; %bb.47:                               ;   in Loop: Header=BB194_14 Depth=1
	v_and_b32_e32 v0, 0xffff, v1
	v_or_b32_e32 v2, 0x10000, v1
	s_delay_alu instid0(VALU_DEP_2) | instskip(NEXT) | instid1(VALU_DEP_2)
	v_cmp_eq_u32_e32 vcc_lo, 0, v0
	v_cndmask_b32_e32 v0, v2, v1, vcc_lo
	s_branch .LBB194_12
.LBB194_48:
	s_nop 0
	s_sendmsg sendmsg(MSG_DEALLOC_VGPRS)
	s_endpgm
	.section	.rodata,"a",@progbits
	.p2align	6, 0x0
	.amdhsa_kernel _Z16wvSplitK_hf_sml_I14__hip_bfloat16Li32ELi3ELi16ELi8ELi2ELi2EEviiiiiiPKT_S3_S3_PS1_ii
		.amdhsa_group_segment_fixed_size 65536
		.amdhsa_private_segment_fixed_size 0
		.amdhsa_kernarg_size 64
		.amdhsa_user_sgpr_count 15
		.amdhsa_user_sgpr_dispatch_ptr 0
		.amdhsa_user_sgpr_queue_ptr 0
		.amdhsa_user_sgpr_kernarg_segment_ptr 1
		.amdhsa_user_sgpr_dispatch_id 0
		.amdhsa_user_sgpr_private_segment_size 0
		.amdhsa_wavefront_size32 1
		.amdhsa_uses_dynamic_stack 0
		.amdhsa_enable_private_segment 0
		.amdhsa_system_sgpr_workgroup_id_x 1
		.amdhsa_system_sgpr_workgroup_id_y 0
		.amdhsa_system_sgpr_workgroup_id_z 0
		.amdhsa_system_sgpr_workgroup_info 0
		.amdhsa_system_vgpr_workitem_id 1
		.amdhsa_next_free_vgpr 75
		.amdhsa_next_free_sgpr 22
		.amdhsa_reserve_vcc 1
		.amdhsa_float_round_mode_32 0
		.amdhsa_float_round_mode_16_64 0
		.amdhsa_float_denorm_mode_32 3
		.amdhsa_float_denorm_mode_16_64 3
		.amdhsa_dx10_clamp 1
		.amdhsa_ieee_mode 1
		.amdhsa_fp16_overflow 0
		.amdhsa_workgroup_processor_mode 1
		.amdhsa_memory_ordered 1
		.amdhsa_forward_progress 0
		.amdhsa_shared_vgpr_count 0
		.amdhsa_exception_fp_ieee_invalid_op 0
		.amdhsa_exception_fp_denorm_src 0
		.amdhsa_exception_fp_ieee_div_zero 0
		.amdhsa_exception_fp_ieee_overflow 0
		.amdhsa_exception_fp_ieee_underflow 0
		.amdhsa_exception_fp_ieee_inexact 0
		.amdhsa_exception_int_div_zero 0
	.end_amdhsa_kernel
	.section	.text._Z16wvSplitK_hf_sml_I14__hip_bfloat16Li32ELi3ELi16ELi8ELi2ELi2EEviiiiiiPKT_S3_S3_PS1_ii,"axG",@progbits,_Z16wvSplitK_hf_sml_I14__hip_bfloat16Li32ELi3ELi16ELi8ELi2ELi2EEviiiiiiPKT_S3_S3_PS1_ii,comdat
.Lfunc_end194:
	.size	_Z16wvSplitK_hf_sml_I14__hip_bfloat16Li32ELi3ELi16ELi8ELi2ELi2EEviiiiiiPKT_S3_S3_PS1_ii, .Lfunc_end194-_Z16wvSplitK_hf_sml_I14__hip_bfloat16Li32ELi3ELi16ELi8ELi2ELi2EEviiiiiiPKT_S3_S3_PS1_ii
                                        ; -- End function
	.section	.AMDGPU.csdata,"",@progbits
; Kernel info:
; codeLenInByte = 4460
; NumSgprs: 24
; NumVgprs: 75
; ScratchSize: 0
; MemoryBound: 0
; FloatMode: 240
; IeeeMode: 1
; LDSByteSize: 65536 bytes/workgroup (compile time only)
; SGPRBlocks: 2
; VGPRBlocks: 9
; NumSGPRsForWavesPerEU: 24
; NumVGPRsForWavesPerEU: 75
; Occupancy: 8
; WaveLimiterHint : 0
; COMPUTE_PGM_RSRC2:SCRATCH_EN: 0
; COMPUTE_PGM_RSRC2:USER_SGPR: 15
; COMPUTE_PGM_RSRC2:TRAP_HANDLER: 0
; COMPUTE_PGM_RSRC2:TGID_X_EN: 1
; COMPUTE_PGM_RSRC2:TGID_Y_EN: 0
; COMPUTE_PGM_RSRC2:TGID_Z_EN: 0
; COMPUTE_PGM_RSRC2:TIDIG_COMP_CNT: 1
	.section	.text._Z12wvSplitK_hf_I14__hip_bfloat16Li32ELi3ELi16ELi8ELi2ELi2EEviiiiiiPKT_S3_S3_PS1_ii,"axG",@progbits,_Z12wvSplitK_hf_I14__hip_bfloat16Li32ELi3ELi16ELi8ELi2ELi2EEviiiiiiPKT_S3_S3_PS1_ii,comdat
	.protected	_Z12wvSplitK_hf_I14__hip_bfloat16Li32ELi3ELi16ELi8ELi2ELi2EEviiiiiiPKT_S3_S3_PS1_ii ; -- Begin function _Z12wvSplitK_hf_I14__hip_bfloat16Li32ELi3ELi16ELi8ELi2ELi2EEviiiiiiPKT_S3_S3_PS1_ii
	.globl	_Z12wvSplitK_hf_I14__hip_bfloat16Li32ELi3ELi16ELi8ELi2ELi2EEviiiiiiPKT_S3_S3_PS1_ii
	.p2align	8
	.type	_Z12wvSplitK_hf_I14__hip_bfloat16Li32ELi3ELi16ELi8ELi2ELi2EEviiiiiiPKT_S3_S3_PS1_ii,@function
_Z12wvSplitK_hf_I14__hip_bfloat16Li32ELi3ELi16ELi8ELi2ELi2EEviiiiiiPKT_S3_S3_PS1_ii: ; @_Z12wvSplitK_hf_I14__hip_bfloat16Li32ELi3ELi16ELi8ELi2ELi2EEviiiiiiPKT_S3_S3_PS1_ii
; %bb.0:
	s_clause 0x1
	s_load_b64 s[18:19], s[0:1], 0x38
	s_load_b128 s[4:7], s[0:1], 0x0
	v_bfe_u32 v1, v0, 10, 10
	s_mov_b32 s8, 1
	s_delay_alu instid0(SALU_CYCLE_1) | instskip(SKIP_1) | instid1(SALU_CYCLE_1)
	s_mov_b32 s9, s8
	s_mov_b32 s10, s8
	v_mov_b32_e32 v42, s10
	v_dual_mov_b32 v40, s8 :: v_dual_mov_b32 v41, s9
	s_waitcnt lgkmcnt(0)
	v_mad_u64_u32 v[2:3], null, s15, s18, v[1:2]
	s_clause 0x1
	s_load_b64 s[12:13], s[0:1], 0x20
	s_load_b64 s[14:15], s[0:1], 0x10
	s_delay_alu instid0(VALU_DEP_1) | instskip(NEXT) | instid1(VALU_DEP_1)
	v_lshl_add_u32 v43, v2, 1, v2
	v_add_nc_u32_e32 v2, 3, v43
	v_cmp_gt_u32_e32 vcc_lo, s7, v43
	s_delay_alu instid0(VALU_DEP_2) | instskip(NEXT) | instid1(VALU_DEP_1)
	v_cmp_le_u32_e64 s2, s7, v2
	s_and_b32 s2, vcc_lo, s2
	s_delay_alu instid0(SALU_CYCLE_1)
	s_and_saveexec_b32 s11, s2
	s_cbranch_execz .LBB195_6
; %bb.1:
	v_dual_mov_b32 v42, s10 :: v_dual_mov_b32 v41, s9
	v_mov_b32_e32 v40, s8
	s_add_i32 s16, s7, -3
	s_mov_b32 s17, exec_lo
	v_cmpx_ne_u32_e64 s16, v43
	s_cbranch_execz .LBB195_5
; %bb.2:
	v_subrev_nc_u32_e32 v2, s16, v43
	s_mov_b32 s20, 0
	s_mov_b64 s[2:3], 0
	s_mov_b32 s9, s8
	s_mov_b32 s10, s8
	v_cmp_lt_u32_e32 vcc_lo, 1, v2
	v_cndmask_b32_e32 v2, 1, v2, vcc_lo
.LBB195_3:                              ; =>This Inner Loop Header: Depth=1
	s_cmp_lg_u32 s2, 2
	s_cselect_b32 s10, s10, 0
	s_cmp_lg_u32 s2, 1
	s_cselect_b32 s9, s9, 0
	;; [unrolled: 2-line block ×3, first 2 shown]
	s_add_u32 s2, s2, 1
	v_dual_mov_b32 v42, s10 :: v_dual_mov_b32 v41, s9
	v_cmp_eq_u32_e32 vcc_lo, s2, v2
	v_mov_b32_e32 v40, s8
	s_addc_u32 s3, s3, 0
	s_or_b32 s20, vcc_lo, s20
	s_delay_alu instid0(SALU_CYCLE_1)
	s_and_not1_b32 exec_lo, exec_lo, s20
	s_cbranch_execnz .LBB195_3
; %bb.4:
	s_or_b32 exec_lo, exec_lo, s20
	v_mov_b32_e32 v43, s16
.LBB195_5:
	s_or_b32 exec_lo, exec_lo, s17
.LBB195_6:
	s_delay_alu instid0(SALU_CYCLE_1) | instskip(SKIP_2) | instid1(SALU_CYCLE_1)
	s_or_b32 exec_lo, exec_lo, s11
	v_and_b32_e32 v0, 0x3ff, v0
	s_lshl_b32 s2, s6, 1
	s_min_u32 s3, s2, 0x8000
	s_mov_b32 s2, exec_lo
	s_delay_alu instid0(VALU_DEP_1) | instskip(NEXT) | instid1(VALU_DEP_1)
	v_lshlrev_b32_e32 v57, 3, v0
	v_lshl_add_u32 v3, v1, 8, v57
	s_delay_alu instid0(VALU_DEP_1)
	v_cmpx_gt_u32_e64 s3, v3
	s_cbranch_execz .LBB195_15
; %bb.7:
	v_lshlrev_b32_e32 v2, 1, v3
	v_add_nc_u32_e32 v8, 0x1000, v3
	s_mov_b32 s8, exec_lo
	s_waitcnt lgkmcnt(0)
	global_load_b128 v[4:7], v2, s[12:13]
	s_waitcnt vmcnt(0)
	ds_store_b128 v2, v[4:7]
	v_cmpx_gt_u32_e64 s3, v8
	s_xor_b32 s8, exec_lo, s8
	s_cbranch_execz .LBB195_15
; %bb.8:
	v_add_co_u32 v4, s8, s12, v2
	s_delay_alu instid0(VALU_DEP_1) | instskip(SKIP_1) | instid1(VALU_DEP_3)
	v_add_co_ci_u32_e64 v5, null, s13, 0, s8
	v_add_nc_u32_e32 v10, 0x2000, v3
	v_add_co_u32 v6, vcc_lo, 0x2000, v4
	s_delay_alu instid0(VALU_DEP_3)
	v_add_co_ci_u32_e32 v7, vcc_lo, 0, v5, vcc_lo
	s_mov_b32 s8, exec_lo
	global_load_b128 v[6:9], v[6:7], off
	s_waitcnt vmcnt(0)
	ds_store_b128 v2, v[6:9] offset:8192
	v_cmpx_gt_u32_e64 s3, v10
	s_xor_b32 s8, exec_lo, s8
	s_cbranch_execz .LBB195_15
; %bb.9:
	v_add_co_u32 v6, vcc_lo, 0x4000, v4
	v_add_co_ci_u32_e32 v7, vcc_lo, 0, v5, vcc_lo
	v_add_nc_u32_e32 v10, 0x3000, v3
	s_mov_b32 s8, exec_lo
	global_load_b128 v[6:9], v[6:7], off
	s_waitcnt vmcnt(0)
	ds_store_b128 v2, v[6:9] offset:16384
	v_cmpx_gt_u32_e64 s3, v10
	s_xor_b32 s8, exec_lo, s8
	s_cbranch_execz .LBB195_15
; %bb.10:
	v_add_co_u32 v6, vcc_lo, 0x6000, v4
	v_add_co_ci_u32_e32 v7, vcc_lo, 0, v5, vcc_lo
	v_add_nc_u32_e32 v10, 0x4000, v3
	;; [unrolled: 11-line block ×5, first 2 shown]
	global_load_b128 v[6:9], v[6:7], off
	v_cmp_gt_u32_e32 vcc_lo, s3, v3
	s_waitcnt vmcnt(0)
	ds_store_b128 v2, v[6:9] offset:49152
	s_and_saveexec_b32 s3, vcc_lo
	s_delay_alu instid0(SALU_CYCLE_1)
	s_xor_b32 s3, exec_lo, s3
	s_cbranch_execz .LBB195_15
; %bb.14:
	v_add_co_u32 v3, vcc_lo, 0xe000, v4
	v_add_co_ci_u32_e32 v4, vcc_lo, 0, v5, vcc_lo
	global_load_b128 v[3:6], v[3:4], off
	s_waitcnt vmcnt(0)
	ds_store_b128 v2, v[3:6] offset:57344
.LBB195_15:
	s_or_b32 exec_lo, exec_lo, s2
	v_cmp_gt_u32_e32 vcc_lo, s18, v1
	v_cmp_gt_u32_e64 s2, s7, v43
	s_waitcnt lgkmcnt(0)
	s_barrier
	buffer_gl0_inv
	s_and_b32 s2, vcc_lo, s2
	s_delay_alu instid0(SALU_CYCLE_1)
	s_and_saveexec_b32 s3, s2
	s_cbranch_execz .LBB195_86
; %bb.16:
	v_cvt_f32_u32_e32 v1, s14
	s_clause 0x1
	s_load_b128 s[8:11], s[0:1], 0x28
	s_load_b64 s[16:17], s[0:1], 0x18
	v_mbcnt_lo_u32_b32 v2, -1, 0
	s_cmp_lg_u32 s4, 0
	v_rcp_iflag_f32_e32 v1, v1
	s_cselect_b32 s20, -1, 0
	s_add_i32 s21, s4, -8
	v_xor_b32_e32 v3, 16, v2
	s_add_i32 s22, s7, -1
	s_mul_i32 s1, s18, s19
	s_mov_b32 s24, 0
	s_delay_alu instid0(VALU_DEP_1) | instskip(SKIP_2) | instid1(VALU_DEP_1)
	v_cmp_gt_i32_e32 vcc_lo, 32, v3
	s_waitcnt_depctr 0xfff
	v_mul_f32_e32 v1, 0x4f7ffffe, v1
	v_cvt_u32_f32_e32 v1, v1
	s_waitcnt lgkmcnt(0)
	s_cmp_lg_u64 s[8:9], 0
	s_cselect_b32 s23, -1, 0
	s_sub_i32 s0, 0, s14
	s_abs_i32 s2, s15
	v_mul_lo_u32 v4, s0, v1
	v_cmp_eq_u32_e64 s0, 31, v0
	v_cndmask_b32_e32 v0, v2, v3, vcc_lo
	s_add_i32 s25, s7, -3
	s_sub_i32 s3, 1, s2
	s_cmp_lt_u32 s2, 2
	s_delay_alu instid0(VALU_DEP_1) | instskip(NEXT) | instid1(VALU_DEP_4)
	v_dual_mov_b32 v45, 0 :: v_dual_lshlrev_b32 v58, 2, v0
	v_mul_hi_u32 v2, v1, v4
	s_cselect_b32 s3, s3, 1
	s_delay_alu instid0(SALU_CYCLE_1) | instskip(SKIP_3) | instid1(VALU_DEP_1)
	s_sub_i32 s15, s3, s2
	s_cmp_ge_u32 s3, s2
	s_cselect_b32 s26, s15, s3
	s_mul_i32 s15, s1, 3
	v_add_nc_u32_e32 v59, v1, v2
	s_mul_i32 s26, s26, s14
	s_branch .LBB195_19
.LBB195_17:                             ;   in Loop: Header=BB195_19 Depth=1
	s_or_b32 exec_lo, exec_lo, s28
	v_mov_b32_e32 v43, s25
.LBB195_18:                             ;   in Loop: Header=BB195_19 Depth=1
	s_or_b32 exec_lo, exec_lo, s27
	s_delay_alu instid0(VALU_DEP_1) | instskip(SKIP_1) | instid1(SALU_CYCLE_1)
	v_cmp_le_u32_e32 vcc_lo, s7, v43
	s_or_b32 s24, vcc_lo, s24
	s_and_not1_b32 exec_lo, exec_lo, s24
	s_cbranch_execz .LBB195_86
.LBB195_19:                             ; =>This Loop Header: Depth=1
                                        ;     Child Loop BB195_24 Depth 2
                                        ;     Child Loop BB195_84 Depth 2
	v_dual_mov_b32 v60, v45 :: v_dual_add_nc_u32 v47, 1, v43
	v_dual_mov_b32 v61, v45 :: v_dual_add_nc_u32 v46, 2, v43
	v_mov_b32_e32 v63, v45
	v_mov_b32_e32 v64, v45
	;; [unrolled: 1-line block ×4, first 2 shown]
	s_and_not1_b32 vcc_lo, exec_lo, s20
	s_cbranch_vccnz .LBB195_42
; %bb.20:                               ;   in Loop: Header=BB195_19 Depth=1
	v_min_u32_e32 v0, s22, v43
	s_waitcnt lgkmcnt(0)
	v_min_u32_e32 v1, s22, v47
	v_min_u32_e32 v2, s22, v46
	v_dual_mov_b32 v3, v45 :: v_dual_mov_b32 v64, 0
	v_mul_lo_u32 v44, v0, s5
	s_delay_alu instid0(VALU_DEP_4) | instskip(NEXT) | instid1(VALU_DEP_4)
	v_mul_lo_u32 v0, v1, s5
	v_mul_lo_u32 v2, v2, s5
	v_dual_mov_b32 v1, v45 :: v_dual_mov_b32 v62, 0
	v_dual_mov_b32 v65, 0 :: v_dual_mov_b32 v60, 0
	v_mov_b32_e32 v63, 0
	v_lshlrev_b64 v[48:49], 1, v[44:45]
	s_delay_alu instid0(VALU_DEP_4)
	v_lshlrev_b64 v[50:51], 1, v[0:1]
	v_lshlrev_b64 v[52:53], 1, v[2:3]
	v_mov_b32_e32 v61, 0
	s_mov_b32 s1, 0
	s_branch .LBB195_24
.LBB195_21:                             ;   in Loop: Header=BB195_24 Depth=2
	s_or_b32 exec_lo, exec_lo, s18
.LBB195_22:                             ;   in Loop: Header=BB195_24 Depth=2
	s_delay_alu instid0(SALU_CYCLE_1)
	s_or_b32 exec_lo, exec_lo, s3
.LBB195_23:                             ;   in Loop: Header=BB195_24 Depth=2
	s_delay_alu instid0(SALU_CYCLE_1)
	s_or_b32 exec_lo, exec_lo, s2
	s_waitcnt vmcnt(0) lgkmcnt(0)
	v_and_b32_e32 v55, 0xffff0000, v33
	v_and_b32_e32 v56, 0xffff0000, v29
	v_lshlrev_b32_e32 v33, 16, v33
	v_lshlrev_b32_e32 v29, 16, v29
	v_and_b32_e32 v81, 0xffff0000, v4
	s_delay_alu instid0(VALU_DEP_4) | instskip(SKIP_3) | instid1(VALU_DEP_4)
	v_dual_mul_f32 v67, v55, v56 :: v_dual_and_b32 v68, 0xffff0000, v34
	v_and_b32_e32 v44, 0xffff0000, v32
	v_lshlrev_b32_e32 v32, 16, v32
	v_lshlrev_b32_e32 v34, 16, v34
	v_dual_fmac_f32 v67, v33, v29 :: v_dual_and_b32 v70, 0xffff0000, v35
	v_and_b32_e32 v54, 0xffff0000, v28
	v_lshlrev_b32_e32 v28, 16, v28
	v_and_b32_e32 v76, 0xffff0000, v27
	v_lshlrev_b32_e32 v27, 16, v27
	v_and_b32_e32 v78, 0xffff0000, v38
	v_mul_f32_e32 v66, v44, v54
	v_lshlrev_b32_e32 v38, 16, v38
	s_addk_i32 s1, 0x200
	v_and_b32_e32 v71, 0xffff0000, v31
	s_cmp_ge_u32 s1, s4
	v_dual_fmac_f32 v66, v32, v28 :: v_dual_and_b32 v77, 0xffff0000, v22
	v_lshlrev_b32_e32 v22, 16, v22
	s_delay_alu instid0(VALU_DEP_3) | instskip(NEXT) | instid1(VALU_DEP_3)
	v_dual_mul_f32 v72, v70, v71 :: v_dual_and_b32 v79, 0xffff0000, v18
	v_add_f32_e32 v62, v62, v66
	v_and_b32_e32 v69, 0xffff0000, v30
	v_lshlrev_b32_e32 v30, 16, v30
	s_delay_alu instid0(VALU_DEP_3) | instskip(NEXT) | instid1(VALU_DEP_3)
	v_add_f32_e32 v62, v62, v67
	v_dual_mul_f32 v66, v68, v69 :: v_dual_and_b32 v67, 0xffff0000, v24
	v_lshlrev_b32_e32 v18, 16, v18
	s_delay_alu instid0(VALU_DEP_2) | instskip(NEXT) | instid1(VALU_DEP_1)
	v_dual_fmac_f32 v66, v34, v30 :: v_dual_lshlrev_b32 v35, 16, v35
	v_dual_mul_f32 v73, v44, v67 :: v_dual_add_f32 v62, v62, v66
	v_and_b32_e32 v66, 0xffff0000, v25
	v_lshlrev_b32_e32 v31, 16, v31
	s_delay_alu instid0(VALU_DEP_2) | instskip(NEXT) | instid1(VALU_DEP_2)
	v_dual_mul_f32 v74, v55, v66 :: v_dual_lshlrev_b32 v25, 16, v25
	v_fmac_f32_e32 v72, v35, v31
	s_delay_alu instid0(VALU_DEP_2) | instskip(NEXT) | instid1(VALU_DEP_2)
	v_fmac_f32_e32 v74, v33, v25
	v_add_f32_e32 v62, v62, v72
	v_and_b32_e32 v72, 0xffff0000, v26
	v_lshlrev_b32_e32 v26, 16, v26
	v_lshlrev_b32_e32 v4, 16, v4
	s_delay_alu instid0(VALU_DEP_3) | instskip(NEXT) | instid1(VALU_DEP_1)
	v_mul_f32_e32 v75, v68, v72
	v_dual_fmac_f32 v75, v34, v26 :: v_dual_lshlrev_b32 v24, 16, v24
	s_delay_alu instid0(VALU_DEP_1) | instskip(NEXT) | instid1(VALU_DEP_1)
	v_fmac_f32_e32 v73, v32, v24
	v_add_f32_e32 v65, v65, v73
	v_and_b32_e32 v73, 0xffff0000, v20
	s_delay_alu instid0(VALU_DEP_2) | instskip(NEXT) | instid1(VALU_DEP_2)
	v_dual_add_f32 v65, v65, v74 :: v_dual_lshlrev_b32 v20, 16, v20
	v_mul_f32_e32 v44, v44, v73
	s_delay_alu instid0(VALU_DEP_1) | instskip(NEXT) | instid1(VALU_DEP_1)
	v_fmac_f32_e32 v44, v32, v20
	v_add_f32_e32 v44, v64, v44
	v_mul_f32_e32 v64, v68, v77
	v_and_b32_e32 v68, 0xffff0000, v23
	s_delay_alu instid0(VALU_DEP_2) | instskip(SKIP_2) | instid1(VALU_DEP_1)
	v_dual_fmac_f32 v64, v34, v22 :: v_dual_lshlrev_b32 v23, 16, v23
	v_lshlrev_b32_e32 v34, 16, v36
	v_and_b32_e32 v74, 0xffff0000, v21
	v_dual_mul_f32 v32, v55, v74 :: v_dual_lshlrev_b32 v21, 16, v21
	s_delay_alu instid0(VALU_DEP_1) | instskip(SKIP_3) | instid1(VALU_DEP_4)
	v_fmac_f32_e32 v32, v33, v21
	v_add_f32_e32 v33, v65, v75
	v_and_b32_e32 v65, 0xffff0000, v16
	v_lshlrev_b32_e32 v16, 16, v16
	v_add_f32_e32 v32, v44, v32
	v_and_b32_e32 v44, 0xffff0000, v36
	s_delay_alu instid0(VALU_DEP_2) | instskip(NEXT) | instid1(VALU_DEP_2)
	v_add_f32_e32 v32, v32, v64
	v_mul_f32_e32 v83, v44, v81
	v_mul_f32_e32 v55, v70, v76
	;; [unrolled: 1-line block ×3, first 2 shown]
	v_and_b32_e32 v80, 0xffff0000, v19
	v_lshlrev_b32_e32 v19, 16, v19
	v_fmac_f32_e32 v83, v34, v4
	v_fmac_f32_e32 v55, v35, v27
	v_dual_fmac_f32 v70, v35, v23 :: v_dual_and_b32 v35, 0xffff0000, v5
	v_lshlrev_b32_e32 v5, 16, v5
	s_delay_alu instid0(VALU_DEP_2) | instskip(SKIP_3) | instid1(VALU_DEP_4)
	v_dual_add_f32 v33, v33, v55 :: v_dual_add_f32 v32, v32, v70
	v_and_b32_e32 v70, 0xffff0000, v6
	v_lshlrev_b32_e32 v6, 16, v6
	v_and_b32_e32 v55, 0xffff0000, v37
	v_add_f32_e32 v33, v33, v83
	v_lshlrev_b32_e32 v37, 16, v37
	v_dual_mul_f32 v83, v78, v70 :: v_dual_mul_f32 v36, v44, v65
	s_delay_alu instid0(VALU_DEP_1) | instskip(NEXT) | instid1(VALU_DEP_2)
	v_dual_mul_f32 v84, v55, v35 :: v_dual_fmac_f32 v83, v38, v6
	v_fmac_f32_e32 v36, v34, v16
	s_delay_alu instid0(VALU_DEP_2) | instskip(SKIP_1) | instid1(VALU_DEP_3)
	v_fmac_f32_e32 v84, v37, v5
	v_and_b32_e32 v64, 0xffff0000, v17
	v_dual_add_f32 v36, v62, v36 :: v_dual_lshlrev_b32 v17, 16, v17
	s_delay_alu instid0(VALU_DEP_3) | instskip(NEXT) | instid1(VALU_DEP_3)
	v_add_f32_e32 v33, v33, v84
	v_dual_mul_f32 v75, v55, v64 :: v_dual_and_b32 v84, 0xffff0000, v7
	v_lshlrev_b32_e32 v7, 16, v7
	s_delay_alu instid0(VALU_DEP_3) | instskip(NEXT) | instid1(VALU_DEP_3)
	v_add_f32_e32 v33, v33, v83
	v_dual_fmac_f32 v75, v37, v17 :: v_dual_mul_f32 v62, v78, v79
	s_delay_alu instid0(VALU_DEP_1) | instskip(NEXT) | instid1(VALU_DEP_2)
	v_add_f32_e32 v36, v36, v75
	v_dual_fmac_f32 v62, v38, v18 :: v_dual_and_b32 v75, 0xffff0000, v39
	s_delay_alu instid0(VALU_DEP_1) | instskip(NEXT) | instid1(VALU_DEP_2)
	v_dual_mul_f32 v82, v75, v80 :: v_dual_lshlrev_b32 v39, 16, v39
	v_add_f32_e32 v36, v36, v62
	s_delay_alu instid0(VALU_DEP_2) | instskip(NEXT) | instid1(VALU_DEP_1)
	v_fmac_f32_e32 v82, v39, v19
	v_add_f32_e32 v62, v36, v82
	v_and_b32_e32 v36, 0xffff0000, v0
	v_lshlrev_b32_e32 v0, 16, v0
	v_and_b32_e32 v82, 0xffff0000, v1
	s_delay_alu instid0(VALU_DEP_3) | instskip(NEXT) | instid1(VALU_DEP_1)
	v_dual_mul_f32 v44, v44, v36 :: v_dual_lshlrev_b32 v1, 16, v1
	v_fmac_f32_e32 v44, v34, v0
	s_delay_alu instid0(VALU_DEP_3) | instskip(SKIP_2) | instid1(VALU_DEP_4)
	v_mul_f32_e32 v34, v55, v82
	v_and_b32_e32 v55, 0xffff0000, v2
	v_lshlrev_b32_e32 v2, 16, v2
	v_add_f32_e32 v32, v32, v44
	s_delay_alu instid0(VALU_DEP_3) | instskip(SKIP_2) | instid1(VALU_DEP_3)
	v_dual_fmac_f32 v34, v37, v1 :: v_dual_mul_f32 v37, v78, v55
	v_and_b32_e32 v44, 0xffff0000, v8
	v_lshlrev_b32_e32 v8, 16, v8
	v_add_f32_e32 v32, v32, v34
	s_delay_alu instid0(VALU_DEP_4) | instskip(NEXT) | instid1(VALU_DEP_4)
	v_fmac_f32_e32 v37, v38, v2
	v_mul_f32_e32 v34, v44, v54
	v_and_b32_e32 v38, 0xffff0000, v9
	v_lshlrev_b32_e32 v9, 16, v9
	v_and_b32_e32 v54, 0xffff0000, v10
	v_lshlrev_b32_e32 v10, 16, v10
	v_fmac_f32_e32 v34, v8, v28
	v_mul_f32_e32 v28, v38, v56
	v_mul_f32_e32 v56, v44, v67
	;; [unrolled: 1-line block ×3, first 2 shown]
	s_delay_alu instid0(VALU_DEP_4) | instskip(NEXT) | instid1(VALU_DEP_4)
	v_add_f32_e32 v34, v63, v34
	v_fmac_f32_e32 v28, v9, v29
	s_delay_alu instid0(VALU_DEP_4) | instskip(SKIP_2) | instid1(VALU_DEP_4)
	v_dual_mul_f32 v63, v54, v69 :: v_dual_fmac_f32 v56, v8, v24
	v_mul_f32_e32 v24, v38, v66
	v_fmac_f32_e32 v44, v8, v20
	v_add_f32_e32 v28, v34, v28
	s_delay_alu instid0(VALU_DEP_4) | instskip(NEXT) | instid1(VALU_DEP_4)
	v_dual_fmac_f32 v63, v10, v30 :: v_dual_and_b32 v34, 0xffff0000, v11
	v_dual_fmac_f32 v24, v9, v25 :: v_dual_lshlrev_b32 v11, 16, v11
	v_mul_f32_e32 v25, v54, v72
	s_delay_alu instid0(VALU_DEP_3) | instskip(NEXT) | instid1(VALU_DEP_4)
	v_mul_f32_e32 v30, v34, v71
	v_add_f32_e32 v28, v28, v63
	v_mul_f32_e32 v8, v38, v74
	s_delay_alu instid0(VALU_DEP_4) | instskip(NEXT) | instid1(VALU_DEP_4)
	v_dual_add_f32 v56, v61, v56 :: v_dual_fmac_f32 v25, v10, v26
	v_fmac_f32_e32 v30, v11, v31
	v_and_b32_e32 v26, 0xffff0000, v12
	s_delay_alu instid0(VALU_DEP_4) | instskip(NEXT) | instid1(VALU_DEP_3)
	v_dual_fmac_f32 v8, v9, v21 :: v_dual_lshlrev_b32 v9, 16, v12
	v_dual_mul_f32 v21, v34, v76 :: v_dual_add_f32 v20, v28, v30
	s_delay_alu instid0(VALU_DEP_3) | instskip(SKIP_3) | instid1(VALU_DEP_4)
	v_mul_f32_e32 v12, v26, v65
	v_and_b32_e32 v28, 0xffff0000, v13
	v_mul_f32_e32 v30, v54, v77
	v_lshlrev_b32_e32 v13, 16, v13
	v_dual_fmac_f32 v21, v11, v27 :: v_dual_fmac_f32 v12, v9, v16
	s_delay_alu instid0(VALU_DEP_4) | instskip(NEXT) | instid1(VALU_DEP_4)
	v_mul_f32_e32 v16, v28, v64
	v_fmac_f32_e32 v30, v10, v22
	v_and_b32_e32 v10, 0xffff0000, v14
	v_mul_f32_e32 v22, v34, v68
	v_add_f32_e32 v12, v20, v12
	v_fmac_f32_e32 v16, v13, v17
	s_delay_alu instid0(VALU_DEP_4) | instskip(NEXT) | instid1(VALU_DEP_4)
	v_dual_mul_f32 v17, v10, v79 :: v_dual_lshlrev_b32 v14, 16, v14
	v_fmac_f32_e32 v22, v11, v23
	v_add_f32_e32 v24, v56, v24
	s_delay_alu instid0(VALU_DEP_4) | instskip(NEXT) | instid1(VALU_DEP_4)
	v_dual_add_f32 v11, v12, v16 :: v_dual_mul_f32 v16, v26, v81
	v_fmac_f32_e32 v17, v14, v18
	v_mul_f32_e32 v18, v26, v36
	s_delay_alu instid0(VALU_DEP_4) | instskip(SKIP_1) | instid1(VALU_DEP_4)
	v_add_f32_e32 v24, v24, v25
	v_add_f32_e32 v25, v60, v44
	v_dual_fmac_f32 v16, v9, v4 :: v_dual_add_f32 v11, v11, v17
	v_and_b32_e32 v17, 0xffff0000, v15
	s_delay_alu instid0(VALU_DEP_3) | instskip(SKIP_2) | instid1(VALU_DEP_4)
	v_dual_add_f32 v8, v25, v8 :: v_dual_lshlrev_b32 v15, 16, v15
	v_add_f32_e32 v12, v24, v21
	v_mul_f32_e32 v4, v28, v35
	v_mul_f32_e32 v20, v17, v80
	v_fmac_f32_e32 v18, v9, v0
	v_add_f32_e32 v8, v8, v30
	s_delay_alu instid0(VALU_DEP_4) | instskip(NEXT) | instid1(VALU_DEP_4)
	v_dual_add_f32 v9, v12, v16 :: v_dual_fmac_f32 v4, v13, v5
	v_dual_fmac_f32 v20, v15, v19 :: v_dual_mul_f32 v5, v10, v70
	s_delay_alu instid0(VALU_DEP_3) | instskip(NEXT) | instid1(VALU_DEP_3)
	v_add_f32_e32 v8, v8, v22
	v_add_f32_e32 v4, v9, v4
	s_delay_alu instid0(VALU_DEP_3) | instskip(SKIP_1) | instid1(VALU_DEP_4)
	v_dual_add_f32 v63, v11, v20 :: v_dual_add_f32 v32, v32, v37
	v_and_b32_e32 v37, 0xffff0000, v3
	v_dual_add_f32 v8, v8, v18 :: v_dual_lshlrev_b32 v3, 16, v3
	v_dual_fmac_f32 v5, v14, v6 :: v_dual_mul_f32 v6, v17, v84
	s_delay_alu instid0(VALU_DEP_3) | instskip(NEXT) | instid1(VALU_DEP_2)
	v_mul_f32_e32 v29, v75, v37
	v_add_f32_e32 v4, v4, v5
	s_delay_alu instid0(VALU_DEP_3) | instskip(NEXT) | instid1(VALU_DEP_3)
	v_fmac_f32_e32 v6, v15, v7
	v_dual_fmac_f32 v29, v39, v3 :: v_dual_mul_f32 v0, v28, v82
	s_delay_alu instid0(VALU_DEP_2) | instskip(NEXT) | instid1(VALU_DEP_2)
	v_add_f32_e32 v61, v4, v6
	v_add_f32_e32 v64, v32, v29
	s_delay_alu instid0(VALU_DEP_3) | instskip(SKIP_1) | instid1(VALU_DEP_2)
	v_dual_fmac_f32 v0, v13, v1 :: v_dual_mul_f32 v1, v10, v55
	v_mul_f32_e32 v78, v75, v84
	v_dual_add_f32 v0, v8, v0 :: v_dual_fmac_f32 v1, v14, v2
	v_mul_f32_e32 v2, v17, v37
	s_delay_alu instid0(VALU_DEP_3) | instskip(NEXT) | instid1(VALU_DEP_3)
	v_fmac_f32_e32 v78, v39, v7
	v_add_f32_e32 v0, v0, v1
	s_delay_alu instid0(VALU_DEP_2) | instskip(NEXT) | instid1(VALU_DEP_1)
	v_dual_fmac_f32 v2, v15, v3 :: v_dual_add_f32 v65, v33, v78
	v_add_f32_e32 v60, v0, v2
	s_cbranch_scc1 .LBB195_42
.LBB195_24:                             ;   Parent Loop BB195_19 Depth=1
                                        ; =>  This Inner Loop Header: Depth=2
	v_dual_mov_b32 v14, 0 :: v_dual_add_nc_u32 v55, s1, v57
	s_waitcnt vmcnt(2)
	v_dual_mov_b32 v13, 0 :: v_dual_mov_b32 v12, 0
	v_dual_mov_b32 v39, 0 :: v_dual_mov_b32 v38, 0
	s_delay_alu instid0(VALU_DEP_3) | instskip(SKIP_2) | instid1(VALU_DEP_3)
	v_min_u32_e32 v44, s21, v55
	v_dual_mov_b32 v15, 0 :: v_dual_add_nc_u32 v54, 0x100, v55
	v_dual_mov_b32 v37, 0 :: v_dual_mov_b32 v36, 0
	v_lshlrev_b64 v[0:1], 1, v[44:45]
	s_delay_alu instid0(VALU_DEP_3) | instskip(SKIP_3) | instid1(VALU_DEP_4)
	v_min_u32_e32 v44, s21, v54
	v_dual_mov_b32 v35, 0 :: v_dual_mov_b32 v34, 0
	v_dual_mov_b32 v33, 0 :: v_dual_mov_b32 v32, 0
	s_waitcnt vmcnt(0)
	v_add_co_u32 v6, vcc_lo, s16, v0
	v_add_co_ci_u32_e32 v7, vcc_lo, s17, v1, vcc_lo
	v_lshlrev_b64 v[0:1], 1, v[44:45]
	s_delay_alu instid0(VALU_DEP_3) | instskip(NEXT) | instid1(VALU_DEP_3)
	v_add_co_u32 v2, vcc_lo, v6, v48
	v_add_co_ci_u32_e32 v3, vcc_lo, v7, v49, vcc_lo
	v_add_co_u32 v4, vcc_lo, v6, v50
	v_add_co_ci_u32_e32 v5, vcc_lo, v7, v51, vcc_lo
	;; [unrolled: 2-line block ×4, first 2 shown]
	s_delay_alu instid0(VALU_DEP_4) | instskip(NEXT) | instid1(VALU_DEP_4)
	v_add_co_u32 v6, vcc_lo, v10, v48
	v_add_co_ci_u32_e32 v7, vcc_lo, v11, v49, vcc_lo
	v_add_co_u32 v8, vcc_lo, v10, v50
	v_add_co_ci_u32_e32 v9, vcc_lo, v11, v51, vcc_lo
	;; [unrolled: 2-line block ×3, first 2 shown]
	s_clause 0x5
	global_load_b128 v[28:31], v[2:3], off slc dlc
	global_load_b128 v[24:27], v[4:5], off slc dlc
	;; [unrolled: 1-line block ×6, first 2 shown]
	v_dual_mov_b32 v11, 0 :: v_dual_mov_b32 v10, 0
	v_dual_mov_b32 v9, 0 :: v_dual_mov_b32 v8, 0
	s_mov_b32 s2, exec_lo
	v_cmpx_gt_u32_e64 s4, v55
	s_cbranch_execz .LBB195_23
; %bb.25:                               ;   in Loop: Header=BB195_24 Depth=2
	s_mov_b32 s3, exec_lo
                                        ; implicit-def: $vgpr35
	v_cmpx_lt_u32_e32 0x7fff, v55
	s_xor_b32 s3, exec_lo, s3
	s_cbranch_execz .LBB195_27
; %bb.26:                               ;   in Loop: Header=BB195_24 Depth=2
	v_mov_b32_e32 v56, v45
	s_delay_alu instid0(VALU_DEP_1) | instskip(NEXT) | instid1(VALU_DEP_1)
	v_lshlrev_b64 v[8:9], 1, v[55:56]
	v_add_co_u32 v8, vcc_lo, s12, v8
	s_delay_alu instid0(VALU_DEP_2)
	v_add_co_ci_u32_e32 v9, vcc_lo, s13, v9, vcc_lo
	global_load_b128 v[32:35], v[8:9], off
.LBB195_27:                             ;   in Loop: Header=BB195_24 Depth=2
	s_and_not1_saveexec_b32 s3, s3
	s_cbranch_execz .LBB195_29
; %bb.28:                               ;   in Loop: Header=BB195_24 Depth=2
	v_lshlrev_b32_e32 v8, 1, v55
	s_waitcnt vmcnt(0)
	ds_load_b128 v[32:35], v8
.LBB195_29:                             ;   in Loop: Header=BB195_24 Depth=2
	s_or_b32 exec_lo, exec_lo, s3
	v_add_nc_u32_e32 v44, s6, v55
	s_mov_b32 s3, exec_lo
                                        ; implicit-def: $vgpr11
	s_delay_alu instid0(VALU_DEP_1)
	v_cmpx_lt_u32_e32 0x7fff, v44
	s_xor_b32 s3, exec_lo, s3
	s_cbranch_execz .LBB195_31
; %bb.30:                               ;   in Loop: Header=BB195_24 Depth=2
	v_lshlrev_b64 v[8:9], 1, v[44:45]
	s_delay_alu instid0(VALU_DEP_1) | instskip(NEXT) | instid1(VALU_DEP_2)
	v_add_co_u32 v8, vcc_lo, s12, v8
	v_add_co_ci_u32_e32 v9, vcc_lo, s13, v9, vcc_lo
	global_load_b128 v[8:11], v[8:9], off
.LBB195_31:                             ;   in Loop: Header=BB195_24 Depth=2
	s_and_not1_saveexec_b32 s3, s3
	s_cbranch_execz .LBB195_33
; %bb.32:                               ;   in Loop: Header=BB195_24 Depth=2
	s_waitcnt vmcnt(0)
	v_lshlrev_b32_e32 v8, 1, v44
	ds_load_b128 v[8:11], v8
.LBB195_33:                             ;   in Loop: Header=BB195_24 Depth=2
	s_or_b32 exec_lo, exec_lo, s3
	v_dual_mov_b32 v15, 0 :: v_dual_mov_b32 v14, 0
	v_dual_mov_b32 v13, 0 :: v_dual_mov_b32 v12, 0
	v_dual_mov_b32 v39, 0 :: v_dual_mov_b32 v38, 0
	v_dual_mov_b32 v37, 0 :: v_dual_mov_b32 v36, 0
	s_mov_b32 s3, exec_lo
	v_cmpx_gt_u32_e64 s4, v54
	s_cbranch_execz .LBB195_22
; %bb.34:                               ;   in Loop: Header=BB195_24 Depth=2
	s_mov_b32 s18, exec_lo
                                        ; implicit-def: $vgpr39
	v_cmpx_lt_u32_e32 0x7fff, v54
	s_xor_b32 s18, exec_lo, s18
	s_cbranch_execz .LBB195_36
; %bb.35:                               ;   in Loop: Header=BB195_24 Depth=2
	v_mov_b32_e32 v55, v45
	s_delay_alu instid0(VALU_DEP_1) | instskip(NEXT) | instid1(VALU_DEP_1)
	v_lshlrev_b64 v[12:13], 1, v[54:55]
                                        ; implicit-def: $vgpr55
	v_add_co_u32 v12, vcc_lo, s12, v12
	s_delay_alu instid0(VALU_DEP_2)
	v_add_co_ci_u32_e32 v13, vcc_lo, s13, v13, vcc_lo
	global_load_b128 v[36:39], v[12:13], off
.LBB195_36:                             ;   in Loop: Header=BB195_24 Depth=2
	s_and_not1_saveexec_b32 s18, s18
	s_cbranch_execz .LBB195_38
; %bb.37:                               ;   in Loop: Header=BB195_24 Depth=2
	v_lshlrev_b32_e32 v12, 1, v55
	s_waitcnt vmcnt(0)
	ds_load_b128 v[36:39], v12 offset:512
.LBB195_38:                             ;   in Loop: Header=BB195_24 Depth=2
	s_or_b32 exec_lo, exec_lo, s18
	v_add_nc_u32_e32 v12, s6, v54
	s_mov_b32 s18, exec_lo
                                        ; implicit-def: $vgpr15
	s_delay_alu instid0(VALU_DEP_1)
	v_cmpx_lt_u32_e32 0x7fff, v12
	s_xor_b32 s18, exec_lo, s18
	s_cbranch_execz .LBB195_40
; %bb.39:                               ;   in Loop: Header=BB195_24 Depth=2
	v_mov_b32_e32 v13, v45
	s_delay_alu instid0(VALU_DEP_1) | instskip(NEXT) | instid1(VALU_DEP_1)
	v_lshlrev_b64 v[12:13], 1, v[12:13]
	v_add_co_u32 v12, vcc_lo, s12, v12
	s_delay_alu instid0(VALU_DEP_2)
	v_add_co_ci_u32_e32 v13, vcc_lo, s13, v13, vcc_lo
	global_load_b128 v[12:15], v[12:13], off
.LBB195_40:                             ;   in Loop: Header=BB195_24 Depth=2
	s_and_not1_saveexec_b32 s18, s18
	s_cbranch_execz .LBB195_21
; %bb.41:                               ;   in Loop: Header=BB195_24 Depth=2
	s_waitcnt vmcnt(0)
	v_lshlrev_b32_e32 v12, 1, v44
	ds_load_b128 v[12:15], v12 offset:512
	s_branch .LBB195_21
.LBB195_42:                             ;   in Loop: Header=BB195_19 Depth=1
	s_delay_alu instid0(VALU_DEP_1)
	v_cvt_i32_f32_e32 v0, v62
	s_waitcnt lgkmcnt(0)
	v_cvt_i32_f32_e32 v1, v65
	v_cvt_i32_f32_e32 v2, v64
	;; [unrolled: 1-line block ×4, first 2 shown]
	v_cvt_f32_i32_dpp v0, v0 row_shr:8 row_mask:0xf bank_mask:0xf bound_ctrl:1
	v_cvt_f32_i32_dpp v1, v1 row_shr:8 row_mask:0xf bank_mask:0xf bound_ctrl:1
	;; [unrolled: 1-line block ×4, first 2 shown]
	v_cvt_i32_f32_e32 v5, v60
	s_delay_alu instid0(VALU_DEP_4) | instskip(SKIP_1) | instid1(VALU_DEP_4)
	v_dual_add_f32 v0, v62, v0 :: v_dual_add_f32 v1, v65, v1
	v_cvt_f32_i32_dpp v4, v4 row_shr:8 row_mask:0xf bank_mask:0xf bound_ctrl:1
	v_dual_add_f32 v2, v64, v2 :: v_dual_add_f32 v3, v63, v3
	s_waitcnt vmcnt(0)
	s_delay_alu instid0(VALU_DEP_3)
	v_cvt_i32_f32_e32 v6, v0
	v_cvt_f32_i32_dpp v5, v5 row_shr:8 row_mask:0xf bank_mask:0xf bound_ctrl:1
	v_add_f32_e32 v4, v61, v4
	v_cvt_i32_f32_e32 v7, v1
	v_cvt_i32_f32_e32 v8, v2
	v_cvt_f32_i32_dpp v6, v6 row_shr:4 row_mask:0xf bank_mask:0xf bound_ctrl:1
	v_add_f32_e32 v5, v60, v5
	v_cvt_i32_f32_e32 v9, v3
	v_cvt_i32_f32_e32 v10, v4
	s_delay_alu instid0(VALU_DEP_4)
	v_add_f32_e32 v0, v0, v6
	v_cvt_f32_i32_dpp v6, v7 row_shr:4 row_mask:0xf bank_mask:0xf bound_ctrl:1
	v_cvt_f32_i32_dpp v7, v8 row_shr:4 row_mask:0xf bank_mask:0xf bound_ctrl:1
	;; [unrolled: 1-line block ×3, first 2 shown]
	v_cvt_i32_f32_e32 v11, v5
	v_cvt_f32_i32_dpp v9, v10 row_shr:4 row_mask:0xf bank_mask:0xf bound_ctrl:1
	s_delay_alu instid0(VALU_DEP_4) | instskip(NEXT) | instid1(VALU_DEP_4)
	v_dual_add_f32 v1, v1, v6 :: v_dual_add_f32 v2, v2, v7
	v_add_f32_e32 v3, v3, v8
	v_cvt_i32_f32_e32 v10, v0
	v_cvt_f32_i32_dpp v11, v11 row_shr:4 row_mask:0xf bank_mask:0xf bound_ctrl:1
	s_delay_alu instid0(VALU_DEP_4)
	v_cvt_i32_f32_e32 v7, v1
	v_add_f32_e32 v4, v4, v9
	v_cvt_i32_f32_e32 v8, v2
	v_cvt_f32_i32_dpp v6, v10 row_shr:2 row_mask:0xf bank_mask:0xf bound_ctrl:1
	v_add_f32_e32 v5, v5, v11
	v_cvt_f32_i32_dpp v7, v7 row_shr:2 row_mask:0xf bank_mask:0xf bound_ctrl:1
	v_cvt_i32_f32_e32 v9, v4
	v_cvt_f32_i32_dpp v8, v8 row_shr:2 row_mask:0xf bank_mask:0xf bound_ctrl:1
	v_add_f32_e32 v0, v0, v6
	v_cvt_i32_f32_e32 v6, v3
	v_add_f32_e32 v1, v1, v7
	v_cvt_i32_f32_e32 v10, v5
	v_cvt_f32_i32_dpp v9, v9 row_shr:2 row_mask:0xf bank_mask:0xf bound_ctrl:1
	v_cvt_i32_f32_e32 v11, v0
	v_cvt_f32_i32_dpp v6, v6 row_shr:2 row_mask:0xf bank_mask:0xf bound_ctrl:1
	v_add_f32_e32 v2, v2, v8
	v_cvt_f32_i32_dpp v10, v10 row_shr:2 row_mask:0xf bank_mask:0xf bound_ctrl:1
	s_delay_alu instid0(VALU_DEP_4) | instskip(NEXT) | instid1(VALU_DEP_4)
	v_cvt_f32_i32_dpp v11, v11 row_shr:1 row_mask:0xf bank_mask:0xf bound_ctrl:1
	v_dual_add_f32 v3, v3, v6 :: v_dual_add_f32 v6, v4, v9
	v_cvt_i32_f32_e32 v4, v1
	s_delay_alu instid0(VALU_DEP_3) | instskip(SKIP_1) | instid1(VALU_DEP_4)
	v_dual_add_f32 v13, v0, v11 :: v_dual_add_f32 v0, v5, v10
	v_cvt_i32_f32_e32 v5, v2
	v_cvt_i32_f32_e32 v7, v3
	v_cvt_i32_f32_e32 v8, v6
	v_cvt_f32_i32_dpp v4, v4 row_shr:1 row_mask:0xf bank_mask:0xf bound_ctrl:1
	v_cvt_i32_f32_e32 v9, v0
	v_cvt_f32_i32_dpp v5, v5 row_shr:1 row_mask:0xf bank_mask:0xf bound_ctrl:1
	v_cvt_f32_i32_dpp v11, v7 row_shr:1 row_mask:0xf bank_mask:0xf bound_ctrl:1
	;; [unrolled: 1-line block ×3, first 2 shown]
	v_add_f32_e32 v10, v1, v4
	v_cvt_f32_i32_dpp v9, v9 row_shr:1 row_mask:0xf bank_mask:0xf bound_ctrl:1
	s_delay_alu instid0(VALU_DEP_4) | instskip(NEXT) | instid1(VALU_DEP_4)
	v_dual_add_f32 v7, v2, v5 :: v_dual_add_f32 v4, v3, v11
	v_add_f32_e32 v2, v6, v8
	ds_bpermute_b32 v14, v58, v13
	v_add_f32_e32 v0, v0, v9
	ds_bpermute_b32 v11, v58, v10
	ds_bpermute_b32 v8, v58, v7
	;; [unrolled: 1-line block ×5, first 2 shown]
	s_and_saveexec_b32 s18, s0
	s_cbranch_execz .LBB195_81
; %bb.43:                               ;   in Loop: Header=BB195_19 Depth=1
	v_dual_mov_b32 v17, 0 :: v_dual_mov_b32 v16, 0
	v_dual_mov_b32 v15, 0 :: v_dual_mov_b32 v12, 0
	;; [unrolled: 1-line block ×3, first 2 shown]
	s_and_not1_b32 vcc_lo, exec_lo, s23
	s_cbranch_vccnz .LBB195_45
; %bb.44:                               ;   in Loop: Header=BB195_19 Depth=1
	v_mul_hi_u32 v6, v43, v59
	v_mul_hi_u32 v9, v47, v59
	;; [unrolled: 1-line block ×3, first 2 shown]
	v_mov_b32_e32 v18, v45
	s_delay_alu instid0(VALU_DEP_4) | instskip(NEXT) | instid1(VALU_DEP_4)
	v_mul_lo_u32 v6, v6, s14
	v_mul_lo_u32 v9, v9, s14
	s_delay_alu instid0(VALU_DEP_4) | instskip(NEXT) | instid1(VALU_DEP_3)
	v_mul_lo_u32 v12, v12, s14
	v_sub_nc_u32_e32 v6, v43, v6
	s_delay_alu instid0(VALU_DEP_3) | instskip(NEXT) | instid1(VALU_DEP_3)
	v_sub_nc_u32_e32 v9, v47, v9
	v_sub_nc_u32_e32 v12, v46, v12
	s_delay_alu instid0(VALU_DEP_3) | instskip(SKIP_1) | instid1(VALU_DEP_4)
	v_subrev_nc_u32_e32 v15, s14, v6
	v_cmp_le_u32_e32 vcc_lo, s14, v6
	v_subrev_nc_u32_e32 v16, s14, v9
	s_delay_alu instid0(VALU_DEP_4) | instskip(NEXT) | instid1(VALU_DEP_4)
	v_subrev_nc_u32_e32 v17, s14, v12
	v_cndmask_b32_e32 v6, v6, v15, vcc_lo
	v_cmp_le_u32_e32 vcc_lo, s14, v9
	s_delay_alu instid0(VALU_DEP_4) | instskip(SKIP_1) | instid1(VALU_DEP_4)
	v_cndmask_b32_e32 v9, v9, v16, vcc_lo
	v_cmp_le_u32_e32 vcc_lo, s14, v12
	v_subrev_nc_u32_e32 v15, s14, v6
	v_cndmask_b32_e32 v12, v12, v17, vcc_lo
	v_cmp_le_u32_e32 vcc_lo, s14, v6
	v_subrev_nc_u32_e32 v17, s14, v9
	s_delay_alu instid0(VALU_DEP_3) | instskip(SKIP_2) | instid1(VALU_DEP_4)
	v_subrev_nc_u32_e32 v19, s14, v12
	v_cndmask_b32_e32 v44, v6, v15, vcc_lo
	v_cmp_le_u32_e32 vcc_lo, s14, v9
	v_cndmask_b32_e32 v15, v9, v17, vcc_lo
	v_cmp_le_u32_e32 vcc_lo, s14, v12
	v_dual_mov_b32 v16, v45 :: v_dual_cndmask_b32 v17, v12, v19
	v_lshlrev_b64 v[19:20], 1, v[44:45]
	v_add_nc_u32_e32 v44, s26, v44
	s_delay_alu instid0(VALU_DEP_3) | instskip(NEXT) | instid1(VALU_DEP_4)
	v_lshlrev_b64 v[21:22], 1, v[15:16]
	v_lshlrev_b64 v[23:24], 1, v[17:18]
	s_delay_alu instid0(VALU_DEP_3)
	v_lshlrev_b64 v[25:26], 1, v[44:45]
	v_add_nc_u32_e32 v44, s26, v15
	v_add_co_u32 v15, vcc_lo, s8, v19
	v_add_co_ci_u32_e32 v16, vcc_lo, s9, v20, vcc_lo
	v_add_co_u32 v18, vcc_lo, s8, v21
	v_add_co_ci_u32_e32 v19, vcc_lo, s9, v22, vcc_lo
	v_add_co_u32 v20, vcc_lo, s8, v23
	v_lshlrev_b64 v[22:23], 1, v[44:45]
	v_add_nc_u32_e32 v44, s26, v17
	v_add_co_ci_u32_e32 v21, vcc_lo, s9, v24, vcc_lo
	v_add_co_u32 v24, vcc_lo, s8, v25
	v_add_co_ci_u32_e32 v25, vcc_lo, s9, v26, vcc_lo
	s_delay_alu instid0(VALU_DEP_4) | instskip(SKIP_2) | instid1(VALU_DEP_3)
	v_lshlrev_b64 v[26:27], 1, v[44:45]
	v_add_co_u32 v22, vcc_lo, s8, v22
	v_add_co_ci_u32_e32 v23, vcc_lo, s9, v23, vcc_lo
	v_add_co_u32 v26, vcc_lo, s8, v26
	s_delay_alu instid0(VALU_DEP_4)
	v_add_co_ci_u32_e32 v27, vcc_lo, s9, v27, vcc_lo
	s_clause 0x5
	global_load_u16 v17, v[15:16], off
	global_load_u16 v16, v[18:19], off
	;; [unrolled: 1-line block ×6, first 2 shown]
.LBB195_45:                             ;   in Loop: Header=BB195_19 Depth=1
	v_cmp_ne_u32_e32 vcc_lo, 0, v40
	s_and_saveexec_b32 s2, vcc_lo
	s_cbranch_execnz .LBB195_51
; %bb.46:                               ;   in Loop: Header=BB195_19 Depth=1
	s_or_b32 exec_lo, exec_lo, s2
	v_cmp_ne_u32_e64 s1, 0, v41
	s_delay_alu instid0(VALU_DEP_1)
	s_and_saveexec_b32 s3, s1
	s_cbranch_execnz .LBB195_56
.LBB195_47:                             ;   in Loop: Header=BB195_19 Depth=1
	s_or_b32 exec_lo, exec_lo, s3
	v_cmp_ne_u32_e64 s2, 0, v42
	s_delay_alu instid0(VALU_DEP_1)
	s_and_saveexec_b32 s19, s2
	s_cbranch_execnz .LBB195_61
.LBB195_48:                             ;   in Loop: Header=BB195_19 Depth=1
	s_or_b32 exec_lo, exec_lo, s19
	v_add_nc_u32_e32 v44, s7, v43
	s_and_saveexec_b32 s3, vcc_lo
	s_cbranch_execnz .LBB195_66
.LBB195_49:                             ;   in Loop: Header=BB195_19 Depth=1
	s_or_b32 exec_lo, exec_lo, s3
	s_and_saveexec_b32 s3, s1
	s_cbranch_execnz .LBB195_71
.LBB195_50:                             ;   in Loop: Header=BB195_19 Depth=1
	s_or_b32 exec_lo, exec_lo, s3
	s_delay_alu instid0(SALU_CYCLE_1)
	s_and_b32 exec_lo, exec_lo, s2
	s_cbranch_execnz .LBB195_76
	s_branch .LBB195_81
.LBB195_51:                             ;   in Loop: Header=BB195_19 Depth=1
	s_waitcnt vmcnt(5) lgkmcnt(5)
	v_dual_add_f32 v13, v13, v14 :: v_dual_lshlrev_b32 v14, 16, v17
	s_delay_alu instid0(VALU_DEP_1) | instskip(NEXT) | instid1(VALU_DEP_1)
	v_add_f32_e32 v14, v13, v14
	v_and_b32_e32 v13, 0x7f800000, v14
	s_delay_alu instid0(VALU_DEP_1) | instskip(NEXT) | instid1(VALU_DEP_1)
	v_cmp_ne_u32_e64 s1, 0x7f800000, v13
                                        ; implicit-def: $vgpr13
	s_and_saveexec_b32 s3, s1
	s_delay_alu instid0(SALU_CYCLE_1)
	s_xor_b32 s1, exec_lo, s3
; %bb.52:                               ;   in Loop: Header=BB195_19 Depth=1
	v_bfe_u32 v13, v14, 16, 1
	s_delay_alu instid0(VALU_DEP_1)
	v_add3_u32 v13, v14, v13, 0x7fff
                                        ; implicit-def: $vgpr14
; %bb.53:                               ;   in Loop: Header=BB195_19 Depth=1
	s_and_not1_saveexec_b32 s3, s1
; %bb.54:                               ;   in Loop: Header=BB195_19 Depth=1
	v_and_b32_e32 v13, 0xffff, v14
	v_or_b32_e32 v17, 0x10000, v14
	s_delay_alu instid0(VALU_DEP_2) | instskip(NEXT) | instid1(VALU_DEP_1)
	v_cmp_eq_u32_e64 s1, 0, v13
	v_cndmask_b32_e64 v13, v17, v14, s1
; %bb.55:                               ;   in Loop: Header=BB195_19 Depth=1
	s_or_b32 exec_lo, exec_lo, s3
	v_mov_b32_e32 v44, v45
	s_delay_alu instid0(VALU_DEP_1) | instskip(NEXT) | instid1(VALU_DEP_1)
	v_lshlrev_b64 v[17:18], 1, v[43:44]
	v_add_co_u32 v17, s1, s10, v17
	s_delay_alu instid0(VALU_DEP_1) | instskip(SKIP_3) | instid1(VALU_DEP_1)
	v_add_co_ci_u32_e64 v18, s1, s11, v18, s1
	global_store_d16_hi_b16 v[17:18], v13, off
	s_or_b32 exec_lo, exec_lo, s2
	v_cmp_ne_u32_e64 s1, 0, v41
	s_and_saveexec_b32 s3, s1
	s_cbranch_execz .LBB195_47
.LBB195_56:                             ;   in Loop: Header=BB195_19 Depth=1
	s_waitcnt vmcnt(4) lgkmcnt(4)
	v_dual_add_f32 v10, v10, v11 :: v_dual_lshlrev_b32 v11, 16, v16
	s_delay_alu instid0(VALU_DEP_1) | instskip(NEXT) | instid1(VALU_DEP_1)
	v_add_f32_e32 v11, v10, v11
	v_and_b32_e32 v10, 0x7f800000, v11
	s_delay_alu instid0(VALU_DEP_1) | instskip(NEXT) | instid1(VALU_DEP_1)
	v_cmp_ne_u32_e64 s2, 0x7f800000, v10
                                        ; implicit-def: $vgpr10
	s_and_saveexec_b32 s19, s2
	s_delay_alu instid0(SALU_CYCLE_1)
	s_xor_b32 s2, exec_lo, s19
; %bb.57:                               ;   in Loop: Header=BB195_19 Depth=1
	v_bfe_u32 v10, v11, 16, 1
	s_delay_alu instid0(VALU_DEP_1)
	v_add3_u32 v10, v11, v10, 0x7fff
                                        ; implicit-def: $vgpr11
; %bb.58:                               ;   in Loop: Header=BB195_19 Depth=1
	s_and_not1_saveexec_b32 s19, s2
; %bb.59:                               ;   in Loop: Header=BB195_19 Depth=1
	v_and_b32_e32 v10, 0xffff, v11
	v_or_b32_e32 v13, 0x10000, v11
	s_delay_alu instid0(VALU_DEP_2) | instskip(NEXT) | instid1(VALU_DEP_1)
	v_cmp_eq_u32_e64 s2, 0, v10
	v_cndmask_b32_e64 v10, v13, v11, s2
; %bb.60:                               ;   in Loop: Header=BB195_19 Depth=1
	s_or_b32 exec_lo, exec_lo, s19
	v_mov_b32_e32 v48, v45
	s_delay_alu instid0(VALU_DEP_1) | instskip(NEXT) | instid1(VALU_DEP_1)
	v_lshlrev_b64 v[13:14], 1, v[47:48]
	v_add_co_u32 v13, s2, s10, v13
	s_delay_alu instid0(VALU_DEP_1) | instskip(SKIP_3) | instid1(VALU_DEP_1)
	v_add_co_ci_u32_e64 v14, s2, s11, v14, s2
	global_store_d16_hi_b16 v[13:14], v10, off
	s_or_b32 exec_lo, exec_lo, s3
	v_cmp_ne_u32_e64 s2, 0, v42
	s_and_saveexec_b32 s19, s2
	s_cbranch_execz .LBB195_48
.LBB195_61:                             ;   in Loop: Header=BB195_19 Depth=1
	s_waitcnt vmcnt(3) lgkmcnt(3)
	v_dual_add_f32 v7, v7, v8 :: v_dual_lshlrev_b32 v8, 16, v15
	s_delay_alu instid0(VALU_DEP_1) | instskip(NEXT) | instid1(VALU_DEP_1)
	v_add_f32_e32 v8, v7, v8
	v_and_b32_e32 v7, 0x7f800000, v8
	s_delay_alu instid0(VALU_DEP_1) | instskip(NEXT) | instid1(VALU_DEP_1)
	v_cmp_ne_u32_e64 s3, 0x7f800000, v7
                                        ; implicit-def: $vgpr7
	s_and_saveexec_b32 s27, s3
	s_delay_alu instid0(SALU_CYCLE_1)
	s_xor_b32 s3, exec_lo, s27
; %bb.62:                               ;   in Loop: Header=BB195_19 Depth=1
	v_bfe_u32 v7, v8, 16, 1
	s_delay_alu instid0(VALU_DEP_1)
	v_add3_u32 v7, v8, v7, 0x7fff
                                        ; implicit-def: $vgpr8
; %bb.63:                               ;   in Loop: Header=BB195_19 Depth=1
	s_and_not1_saveexec_b32 s27, s3
; %bb.64:                               ;   in Loop: Header=BB195_19 Depth=1
	v_and_b32_e32 v7, 0xffff, v8
	v_or_b32_e32 v10, 0x10000, v8
	s_delay_alu instid0(VALU_DEP_2) | instskip(NEXT) | instid1(VALU_DEP_1)
	v_cmp_eq_u32_e64 s3, 0, v7
	v_cndmask_b32_e64 v7, v10, v8, s3
; %bb.65:                               ;   in Loop: Header=BB195_19 Depth=1
	s_or_b32 exec_lo, exec_lo, s27
	v_mov_b32_e32 v47, v45
	s_delay_alu instid0(VALU_DEP_1) | instskip(NEXT) | instid1(VALU_DEP_1)
	v_lshlrev_b64 v[10:11], 1, v[46:47]
	v_add_co_u32 v10, s3, s10, v10
	s_delay_alu instid0(VALU_DEP_1)
	v_add_co_ci_u32_e64 v11, s3, s11, v11, s3
	global_store_d16_hi_b16 v[10:11], v7, off
	s_or_b32 exec_lo, exec_lo, s19
	v_add_nc_u32_e32 v44, s7, v43
	s_and_saveexec_b32 s3, vcc_lo
	s_cbranch_execz .LBB195_49
.LBB195_66:                             ;   in Loop: Header=BB195_19 Depth=1
	s_waitcnt vmcnt(2) lgkmcnt(2)
	v_dual_add_f32 v4, v4, v5 :: v_dual_lshlrev_b32 v5, 16, v12
	s_delay_alu instid0(VALU_DEP_1) | instskip(NEXT) | instid1(VALU_DEP_1)
	v_add_f32_e32 v5, v4, v5
	v_and_b32_e32 v4, 0x7f800000, v5
	s_delay_alu instid0(VALU_DEP_1) | instskip(SKIP_1) | instid1(SALU_CYCLE_1)
	v_cmp_ne_u32_e32 vcc_lo, 0x7f800000, v4
                                        ; implicit-def: $vgpr4
	s_and_saveexec_b32 s19, vcc_lo
	s_xor_b32 s19, exec_lo, s19
; %bb.67:                               ;   in Loop: Header=BB195_19 Depth=1
	v_bfe_u32 v4, v5, 16, 1
	s_delay_alu instid0(VALU_DEP_1)
	v_add3_u32 v4, v5, v4, 0x7fff
                                        ; implicit-def: $vgpr5
; %bb.68:                               ;   in Loop: Header=BB195_19 Depth=1
	s_and_not1_saveexec_b32 s19, s19
; %bb.69:                               ;   in Loop: Header=BB195_19 Depth=1
	v_and_b32_e32 v4, 0xffff, v5
	v_or_b32_e32 v7, 0x10000, v5
	s_delay_alu instid0(VALU_DEP_2) | instskip(NEXT) | instid1(VALU_DEP_2)
	v_cmp_eq_u32_e32 vcc_lo, 0, v4
	v_cndmask_b32_e32 v4, v7, v5, vcc_lo
; %bb.70:                               ;   in Loop: Header=BB195_19 Depth=1
	s_or_b32 exec_lo, exec_lo, s19
	v_lshlrev_b64 v[7:8], 1, v[44:45]
	s_delay_alu instid0(VALU_DEP_1) | instskip(NEXT) | instid1(VALU_DEP_2)
	v_add_co_u32 v7, vcc_lo, s10, v7
	v_add_co_ci_u32_e32 v8, vcc_lo, s11, v8, vcc_lo
	global_store_d16_hi_b16 v[7:8], v4, off
	s_or_b32 exec_lo, exec_lo, s3
	s_and_saveexec_b32 s3, s1
	s_cbranch_execz .LBB195_50
.LBB195_71:                             ;   in Loop: Header=BB195_19 Depth=1
	s_waitcnt vmcnt(1) lgkmcnt(1)
	v_dual_add_f32 v2, v2, v3 :: v_dual_lshlrev_b32 v3, 16, v9
	s_delay_alu instid0(VALU_DEP_1) | instskip(NEXT) | instid1(VALU_DEP_1)
	v_add_f32_e32 v3, v2, v3
	v_and_b32_e32 v2, 0x7f800000, v3
	s_delay_alu instid0(VALU_DEP_1) | instskip(SKIP_1) | instid1(SALU_CYCLE_1)
	v_cmp_ne_u32_e32 vcc_lo, 0x7f800000, v2
                                        ; implicit-def: $vgpr2
	s_and_saveexec_b32 s1, vcc_lo
	s_xor_b32 s1, exec_lo, s1
; %bb.72:                               ;   in Loop: Header=BB195_19 Depth=1
	v_bfe_u32 v2, v3, 16, 1
	s_delay_alu instid0(VALU_DEP_1)
	v_add3_u32 v2, v3, v2, 0x7fff
                                        ; implicit-def: $vgpr3
; %bb.73:                               ;   in Loop: Header=BB195_19 Depth=1
	s_and_not1_saveexec_b32 s1, s1
; %bb.74:                               ;   in Loop: Header=BB195_19 Depth=1
	v_and_b32_e32 v2, 0xffff, v3
	v_or_b32_e32 v4, 0x10000, v3
	s_delay_alu instid0(VALU_DEP_2) | instskip(NEXT) | instid1(VALU_DEP_2)
	v_cmp_eq_u32_e32 vcc_lo, 0, v2
	v_cndmask_b32_e32 v2, v4, v3, vcc_lo
; %bb.75:                               ;   in Loop: Header=BB195_19 Depth=1
	s_or_b32 exec_lo, exec_lo, s1
	v_dual_mov_b32 v4, v45 :: v_dual_add_nc_u32 v3, 1, v44
	s_delay_alu instid0(VALU_DEP_1) | instskip(NEXT) | instid1(VALU_DEP_1)
	v_lshlrev_b64 v[3:4], 1, v[3:4]
	v_add_co_u32 v3, vcc_lo, s10, v3
	s_delay_alu instid0(VALU_DEP_2) | instskip(SKIP_2) | instid1(SALU_CYCLE_1)
	v_add_co_ci_u32_e32 v4, vcc_lo, s11, v4, vcc_lo
	global_store_d16_hi_b16 v[3:4], v2, off
	s_or_b32 exec_lo, exec_lo, s3
	s_and_b32 exec_lo, exec_lo, s2
	s_cbranch_execz .LBB195_81
.LBB195_76:                             ;   in Loop: Header=BB195_19 Depth=1
	s_waitcnt vmcnt(0) lgkmcnt(0)
	v_dual_add_f32 v0, v0, v1 :: v_dual_lshlrev_b32 v1, 16, v6
	s_delay_alu instid0(VALU_DEP_1) | instskip(NEXT) | instid1(VALU_DEP_1)
	v_add_f32_e32 v1, v0, v1
	v_and_b32_e32 v0, 0x7f800000, v1
	s_delay_alu instid0(VALU_DEP_1) | instskip(SKIP_1) | instid1(SALU_CYCLE_1)
	v_cmp_ne_u32_e32 vcc_lo, 0x7f800000, v0
                                        ; implicit-def: $vgpr0
	s_and_saveexec_b32 s1, vcc_lo
	s_xor_b32 s1, exec_lo, s1
; %bb.77:                               ;   in Loop: Header=BB195_19 Depth=1
	v_bfe_u32 v0, v1, 16, 1
	s_delay_alu instid0(VALU_DEP_1)
	v_add3_u32 v0, v1, v0, 0x7fff
                                        ; implicit-def: $vgpr1
; %bb.78:                               ;   in Loop: Header=BB195_19 Depth=1
	s_and_not1_saveexec_b32 s1, s1
; %bb.79:                               ;   in Loop: Header=BB195_19 Depth=1
	v_and_b32_e32 v0, 0xffff, v1
	v_or_b32_e32 v2, 0x10000, v1
	s_delay_alu instid0(VALU_DEP_2) | instskip(NEXT) | instid1(VALU_DEP_2)
	v_cmp_eq_u32_e32 vcc_lo, 0, v0
	v_cndmask_b32_e32 v0, v2, v1, vcc_lo
; %bb.80:                               ;   in Loop: Header=BB195_19 Depth=1
	s_or_b32 exec_lo, exec_lo, s1
	v_add_nc_u32_e32 v44, 2, v44
	s_delay_alu instid0(VALU_DEP_1) | instskip(NEXT) | instid1(VALU_DEP_1)
	v_lshlrev_b64 v[1:2], 1, v[44:45]
	v_add_co_u32 v1, vcc_lo, s10, v1
	s_delay_alu instid0(VALU_DEP_2)
	v_add_co_ci_u32_e32 v2, vcc_lo, s11, v2, vcc_lo
	global_store_d16_hi_b16 v[1:2], v0, off
.LBB195_81:                             ;   in Loop: Header=BB195_19 Depth=1
	s_or_b32 exec_lo, exec_lo, s18
	v_add_nc_u32_e32 v43, s15, v43
	s_delay_alu instid0(VALU_DEP_1) | instskip(SKIP_1) | instid1(VALU_DEP_2)
	v_add_nc_u32_e32 v0, 3, v43
	v_cmp_gt_u32_e32 vcc_lo, s7, v43
	v_cmp_le_u32_e64 s1, s7, v0
	s_delay_alu instid0(VALU_DEP_1) | instskip(NEXT) | instid1(SALU_CYCLE_1)
	s_and_b32 s1, vcc_lo, s1
	s_and_saveexec_b32 s27, s1
	s_cbranch_execz .LBB195_18
; %bb.82:                               ;   in Loop: Header=BB195_19 Depth=1
	s_mov_b32 s28, exec_lo
	v_cmpx_ne_u32_e64 s25, v43
	s_cbranch_execz .LBB195_17
; %bb.83:                               ;   in Loop: Header=BB195_19 Depth=1
	v_subrev_nc_u32_e32 v0, s25, v43
	s_mov_b32 s29, 0
	s_mov_b64 s[18:19], 0
	s_delay_alu instid0(VALU_DEP_1)
	v_cmp_lt_u32_e32 vcc_lo, 1, v0
	v_cndmask_b32_e32 v0, 1, v0, vcc_lo
	.p2align	6
.LBB195_84:                             ;   Parent Loop BB195_19 Depth=1
                                        ; =>  This Inner Loop Header: Depth=2
	s_cmp_lg_u32 s18, 2
	s_cselect_b32 vcc_lo, -1, 0
	s_cmp_lg_u32 s18, 1
	v_cndmask_b32_e32 v42, 0, v42, vcc_lo
	s_cselect_b32 s1, -1, 0
	s_cmp_lg_u32 s18, 0
	v_cndmask_b32_e64 v41, 0, v41, s1
	s_cselect_b32 s2, -1, 0
	s_add_u32 s18, s18, 1
	v_cndmask_b32_e64 v40, 0, v40, s2
	v_cmp_eq_u32_e64 s3, s18, v0
	s_addc_u32 s19, s19, 0
	s_delay_alu instid0(VALU_DEP_1) | instskip(NEXT) | instid1(SALU_CYCLE_1)
	s_or_b32 s29, s3, s29
	s_and_not1_b32 exec_lo, exec_lo, s29
	s_cbranch_execnz .LBB195_84
; %bb.85:                               ;   in Loop: Header=BB195_19 Depth=1
	s_or_b32 exec_lo, exec_lo, s29
	s_branch .LBB195_17
.LBB195_86:
	s_nop 0
	s_sendmsg sendmsg(MSG_DEALLOC_VGPRS)
	s_endpgm
	.section	.rodata,"a",@progbits
	.p2align	6, 0x0
	.amdhsa_kernel _Z12wvSplitK_hf_I14__hip_bfloat16Li32ELi3ELi16ELi8ELi2ELi2EEviiiiiiPKT_S3_S3_PS1_ii
		.amdhsa_group_segment_fixed_size 65536
		.amdhsa_private_segment_fixed_size 0
		.amdhsa_kernarg_size 64
		.amdhsa_user_sgpr_count 15
		.amdhsa_user_sgpr_dispatch_ptr 0
		.amdhsa_user_sgpr_queue_ptr 0
		.amdhsa_user_sgpr_kernarg_segment_ptr 1
		.amdhsa_user_sgpr_dispatch_id 0
		.amdhsa_user_sgpr_private_segment_size 0
		.amdhsa_wavefront_size32 1
		.amdhsa_uses_dynamic_stack 0
		.amdhsa_enable_private_segment 0
		.amdhsa_system_sgpr_workgroup_id_x 1
		.amdhsa_system_sgpr_workgroup_id_y 0
		.amdhsa_system_sgpr_workgroup_id_z 0
		.amdhsa_system_sgpr_workgroup_info 0
		.amdhsa_system_vgpr_workitem_id 1
		.amdhsa_next_free_vgpr 85
		.amdhsa_next_free_sgpr 30
		.amdhsa_reserve_vcc 1
		.amdhsa_float_round_mode_32 0
		.amdhsa_float_round_mode_16_64 0
		.amdhsa_float_denorm_mode_32 3
		.amdhsa_float_denorm_mode_16_64 3
		.amdhsa_dx10_clamp 1
		.amdhsa_ieee_mode 1
		.amdhsa_fp16_overflow 0
		.amdhsa_workgroup_processor_mode 1
		.amdhsa_memory_ordered 1
		.amdhsa_forward_progress 0
		.amdhsa_shared_vgpr_count 0
		.amdhsa_exception_fp_ieee_invalid_op 0
		.amdhsa_exception_fp_denorm_src 0
		.amdhsa_exception_fp_ieee_div_zero 0
		.amdhsa_exception_fp_ieee_overflow 0
		.amdhsa_exception_fp_ieee_underflow 0
		.amdhsa_exception_fp_ieee_inexact 0
		.amdhsa_exception_int_div_zero 0
	.end_amdhsa_kernel
	.section	.text._Z12wvSplitK_hf_I14__hip_bfloat16Li32ELi3ELi16ELi8ELi2ELi2EEviiiiiiPKT_S3_S3_PS1_ii,"axG",@progbits,_Z12wvSplitK_hf_I14__hip_bfloat16Li32ELi3ELi16ELi8ELi2ELi2EEviiiiiiPKT_S3_S3_PS1_ii,comdat
.Lfunc_end195:
	.size	_Z12wvSplitK_hf_I14__hip_bfloat16Li32ELi3ELi16ELi8ELi2ELi2EEviiiiiiPKT_S3_S3_PS1_ii, .Lfunc_end195-_Z12wvSplitK_hf_I14__hip_bfloat16Li32ELi3ELi16ELi8ELi2ELi2EEviiiiiiPKT_S3_S3_PS1_ii
                                        ; -- End function
	.section	.AMDGPU.csdata,"",@progbits
; Kernel info:
; codeLenInByte = 5432
; NumSgprs: 32
; NumVgprs: 85
; ScratchSize: 0
; MemoryBound: 0
; FloatMode: 240
; IeeeMode: 1
; LDSByteSize: 65536 bytes/workgroup (compile time only)
; SGPRBlocks: 3
; VGPRBlocks: 10
; NumSGPRsForWavesPerEU: 32
; NumVGPRsForWavesPerEU: 85
; Occupancy: 8
; WaveLimiterHint : 0
; COMPUTE_PGM_RSRC2:SCRATCH_EN: 0
; COMPUTE_PGM_RSRC2:USER_SGPR: 15
; COMPUTE_PGM_RSRC2:TRAP_HANDLER: 0
; COMPUTE_PGM_RSRC2:TGID_X_EN: 1
; COMPUTE_PGM_RSRC2:TGID_Y_EN: 0
; COMPUTE_PGM_RSRC2:TGID_Z_EN: 0
; COMPUTE_PGM_RSRC2:TIDIG_COMP_CNT: 1
	.section	.text._Z16wvSplitK_hf_big_I14__hip_bfloat16Li32ELi3ELi16ELi8ELi2ELi2EEviiiiiiPKT_S3_S3_PS1_ii,"axG",@progbits,_Z16wvSplitK_hf_big_I14__hip_bfloat16Li32ELi3ELi16ELi8ELi2ELi2EEviiiiiiPKT_S3_S3_PS1_ii,comdat
	.protected	_Z16wvSplitK_hf_big_I14__hip_bfloat16Li32ELi3ELi16ELi8ELi2ELi2EEviiiiiiPKT_S3_S3_PS1_ii ; -- Begin function _Z16wvSplitK_hf_big_I14__hip_bfloat16Li32ELi3ELi16ELi8ELi2ELi2EEviiiiiiPKT_S3_S3_PS1_ii
	.globl	_Z16wvSplitK_hf_big_I14__hip_bfloat16Li32ELi3ELi16ELi8ELi2ELi2EEviiiiiiPKT_S3_S3_PS1_ii
	.p2align	8
	.type	_Z16wvSplitK_hf_big_I14__hip_bfloat16Li32ELi3ELi16ELi8ELi2ELi2EEviiiiiiPKT_S3_S3_PS1_ii,@function
_Z16wvSplitK_hf_big_I14__hip_bfloat16Li32ELi3ELi16ELi8ELi2ELi2EEviiiiiiPKT_S3_S3_PS1_ii: ; @_Z16wvSplitK_hf_big_I14__hip_bfloat16Li32ELi3ELi16ELi8ELi2ELi2EEviiiiiiPKT_S3_S3_PS1_ii
; %bb.0:
	s_load_b64 s[20:21], s[0:1], 0x38
	v_bfe_u32 v1, v0, 10, 10
	s_mov_b32 s2, exec_lo
	s_waitcnt lgkmcnt(0)
	s_delay_alu instid0(VALU_DEP_1)
	v_cmpx_gt_u32_e64 s20, v1
	s_cbranch_execz .LBB196_76
; %bb.1:
	s_load_b128 s[16:19], s[0:1], 0x0
	v_mad_u64_u32 v[2:3], null, s15, s20, v[1:2]
	s_mov_b32 s4, 1
	s_delay_alu instid0(SALU_CYCLE_1) | instskip(SKIP_1) | instid1(SALU_CYCLE_1)
	s_mov_b32 s5, s4
	s_mov_b32 s6, s4
	v_mov_b32_e32 v42, s6
	s_delay_alu instid0(VALU_DEP_2) | instskip(SKIP_1) | instid1(VALU_DEP_2)
	v_lshl_add_u32 v43, v2, 1, v2
	v_dual_mov_b32 v40, s4 :: v_dual_mov_b32 v41, s5
	v_add_nc_u32_e32 v2, 3, v43
	s_waitcnt lgkmcnt(0)
	v_cmp_gt_u32_e32 vcc_lo, s19, v43
	s_delay_alu instid0(VALU_DEP_2) | instskip(NEXT) | instid1(VALU_DEP_1)
	v_cmp_le_u32_e64 s2, s19, v2
	s_and_b32 s2, vcc_lo, s2
	s_delay_alu instid0(SALU_CYCLE_1)
	s_and_saveexec_b32 s7, s2
	s_cbranch_execz .LBB196_7
; %bb.2:
	v_dual_mov_b32 v42, s6 :: v_dual_mov_b32 v41, s5
	v_mov_b32_e32 v40, s4
	s_add_i32 s8, s19, -3
	s_mov_b32 s9, exec_lo
	v_cmpx_ne_u32_e64 s8, v43
	s_cbranch_execz .LBB196_6
; %bb.3:
	v_subrev_nc_u32_e32 v2, s8, v43
	s_mov_b32 s10, 0
	s_mov_b64 s[2:3], 0
	s_mov_b32 s5, s4
	s_mov_b32 s6, s4
	v_cmp_lt_u32_e32 vcc_lo, 1, v2
	v_cndmask_b32_e32 v2, 1, v2, vcc_lo
.LBB196_4:                              ; =>This Inner Loop Header: Depth=1
	s_cmp_lg_u32 s2, 2
	s_cselect_b32 s6, s6, 0
	s_cmp_lg_u32 s2, 1
	s_cselect_b32 s5, s5, 0
	;; [unrolled: 2-line block ×3, first 2 shown]
	s_add_u32 s2, s2, 1
	v_dual_mov_b32 v42, s6 :: v_dual_mov_b32 v41, s5
	v_cmp_eq_u32_e32 vcc_lo, s2, v2
	v_mov_b32_e32 v40, s4
	s_addc_u32 s3, s3, 0
	s_or_b32 s10, vcc_lo, s10
	s_delay_alu instid0(SALU_CYCLE_1)
	s_and_not1_b32 exec_lo, exec_lo, s10
	s_cbranch_execnz .LBB196_4
; %bb.5:
	s_or_b32 exec_lo, exec_lo, s10
	v_mov_b32_e32 v43, s8
.LBB196_6:
	s_or_b32 exec_lo, exec_lo, s9
.LBB196_7:
	s_delay_alu instid0(SALU_CYCLE_1)
	s_or_b32 exec_lo, exec_lo, s7
	s_mul_i32 s2, s20, 3
	s_abs_i32 s6, s19
	s_abs_i32 s3, s2
	s_mov_b32 s23, 0
	v_cvt_f32_u32_e32 v2, s3
	s_sub_i32 s5, 0, s3
	s_delay_alu instid0(VALU_DEP_1) | instskip(SKIP_2) | instid1(VALU_DEP_1)
	v_rcp_iflag_f32_e32 v2, v2
	s_waitcnt_depctr 0xfff
	v_mul_f32_e32 v2, 0x4f7ffffe, v2
	v_cvt_u32_f32_e32 v2, v2
	s_delay_alu instid0(VALU_DEP_1) | instskip(NEXT) | instid1(VALU_DEP_1)
	v_readfirstlane_b32 s4, v2
	s_mul_i32 s5, s5, s4
	s_delay_alu instid0(SALU_CYCLE_1) | instskip(NEXT) | instid1(SALU_CYCLE_1)
	s_mul_hi_u32 s5, s4, s5
	s_add_i32 s4, s4, s5
	s_ashr_i32 s5, s19, 31
	s_mul_hi_u32 s4, s6, s4
	s_delay_alu instid0(SALU_CYCLE_1) | instskip(NEXT) | instid1(SALU_CYCLE_1)
	s_mul_i32 s4, s4, s3
	s_sub_i32 s4, s6, s4
	s_delay_alu instid0(SALU_CYCLE_1) | instskip(SKIP_2) | instid1(SALU_CYCLE_1)
	s_sub_i32 s6, s4, s3
	s_cmp_ge_u32 s4, s3
	s_cselect_b32 s4, s6, s4
	s_sub_i32 s6, s4, s3
	s_cmp_ge_u32 s4, s3
	s_cselect_b32 s3, s6, s4
	s_add_i32 s4, s2, s19
	s_xor_b32 s3, s3, s5
	s_delay_alu instid0(SALU_CYCLE_1) | instskip(NEXT) | instid1(SALU_CYCLE_1)
	s_sub_i32 s3, s3, s5
	s_sub_i32 s4, s4, s3
	s_cmp_eq_u32 s3, 0
	s_cselect_b32 s22, s19, s4
	s_delay_alu instid0(SALU_CYCLE_1)
	v_cmp_gt_u32_e32 vcc_lo, s22, v43
	s_and_b32 exec_lo, exec_lo, vcc_lo
	s_cbranch_execz .LBB196_76
; %bb.8:
	s_load_b256 s[4:11], s[0:1], 0x10
	s_min_u32 s24, s18, 0x4000
	s_cmp_lg_u32 s16, 0
	s_load_b64 s[12:13], s[0:1], 0x30
	s_cselect_b32 s25, -1, 0
	s_cmp_lg_u32 s18, 0
	v_and_b32_e32 v0, 0x3ff, v0
	s_cselect_b32 s26, -1, 0
	s_lshl_b32 s27, s20, 8
	s_add_i32 s28, s16, -8
	s_add_i32 s29, s19, -1
	v_dual_mov_b32 v46, 0 :: v_dual_lshlrev_b32 v53, 3, v0
	s_mul_i32 s21, s2, s21
	v_cmp_eq_u32_e64 s0, 31, v0
	v_lshlrev_b32_e32 v0, 4, v0
	v_mbcnt_lo_u32_b32 v58, -1, 0
	v_lshl_add_u32 v54, v1, 8, v53
	s_delay_alu instid0(VALU_DEP_3)
	v_lshl_add_u32 v55, v1, 9, v0
	s_waitcnt lgkmcnt(0)
	v_cvt_f32_u32_e32 v2, s4
	s_cmp_lg_u64 s[10:11], 0
	v_add_nc_u32_e32 v56, s18, v54
	s_cselect_b32 s30, -1, 0
	s_sub_i32 s1, 0, s4
	v_rcp_iflag_f32_e32 v2, v2
	s_waitcnt_depctr 0xfff
	v_mul_f32_e32 v2, 0x4f7ffffe, v2
	s_delay_alu instid0(VALU_DEP_1) | instskip(NEXT) | instid1(VALU_DEP_1)
	v_cvt_u32_f32_e32 v2, v2
	v_mul_lo_u32 v3, s1, v2
	s_abs_i32 s1, s5
	s_add_i32 s5, s19, -3
	s_sub_i32 s2, 1, s1
	s_cmp_lt_u32 s1, 2
	s_cselect_b32 s2, s2, 1
	s_delay_alu instid0(VALU_DEP_1)
	v_mul_hi_u32 v3, v2, v3
	s_sub_i32 s3, s2, s1
	s_cmp_ge_u32 s2, s1
	s_cselect_b32 s33, s3, s2
	s_add_u32 s31, s12, 2
	s_mul_i32 s33, s33, s4
	s_addc_u32 s34, s13, 0
	s_delay_alu instid0(VALU_DEP_1)
	v_add_nc_u32_e32 v57, v2, v3
	s_lshl_b32 s35, s24, 1
	s_lshl_b32 s20, s20, 9
	s_branch .LBB196_12
.LBB196_9:                              ;   in Loop: Header=BB196_12 Depth=1
	s_or_b32 exec_lo, exec_lo, s38
	v_mov_b32_e32 v43, s5
.LBB196_10:                             ;   in Loop: Header=BB196_12 Depth=1
	s_or_b32 exec_lo, exec_lo, s37
.LBB196_11:                             ;   in Loop: Header=BB196_12 Depth=1
	s_delay_alu instid0(SALU_CYCLE_1) | instskip(NEXT) | instid1(VALU_DEP_1)
	s_or_b32 exec_lo, exec_lo, s36
	v_cmp_le_u32_e32 vcc_lo, s22, v43
	s_or_b32 s23, vcc_lo, s23
	s_delay_alu instid0(SALU_CYCLE_1)
	s_and_not1_b32 exec_lo, exec_lo, s23
	s_cbranch_execz .LBB196_76
.LBB196_12:                             ; =>This Loop Header: Depth=1
                                        ;     Child Loop BB196_17 Depth 2
                                        ;       Child Loop BB196_22 Depth 3
                                        ;     Child Loop BB196_74 Depth 2
	v_mov_b32_e32 v44, v46
	v_mov_b32_e32 v59, v46
	;; [unrolled: 1-line block ×6, first 2 shown]
	s_and_not1_b32 vcc_lo, exec_lo, s25
	s_mov_b32 s3, 0
	s_cbranch_vccnz .LBB196_29
; %bb.13:                               ;   in Loop: Header=BB196_12 Depth=1
	v_add_nc_u32_e32 v0, 1, v43
	s_waitcnt lgkmcnt(0)
	v_dual_mov_b32 v60, 0 :: v_dual_add_nc_u32 v1, 2, v43
	v_min_u32_e32 v2, s29, v43
	v_cmp_gt_u32_e64 s1, s19, v43
	v_dual_mov_b32 v63, 0 :: v_dual_mov_b32 v44, 0
	s_delay_alu instid0(VALU_DEP_4)
	v_min_u32_e32 v3, s29, v1
	v_mov_b32_e32 v1, v46
	v_min_u32_e32 v0, s29, v0
	v_mul_lo_u32 v45, v2, s17
	v_mov_b32_e32 v62, 0
	v_mul_lo_u32 v2, v3, s17
	v_mov_b32_e32 v3, v46
	;; [unrolled: 2-line block ×3, first 2 shown]
	v_mov_b32_e32 v59, 0
	s_mov_b32 s14, 0
	v_lshlrev_b64 v[47:48], 1, v[45:46]
	v_lshlrev_b64 v[51:52], 1, v[2:3]
	;; [unrolled: 1-line block ×3, first 2 shown]
	s_branch .LBB196_17
.LBB196_14:                             ;   in Loop: Header=BB196_17 Depth=2
	s_or_b32 exec_lo, exec_lo, s36
.LBB196_15:                             ;   in Loop: Header=BB196_17 Depth=2
	s_delay_alu instid0(SALU_CYCLE_1)
	s_or_b32 exec_lo, exec_lo, s15
	s_waitcnt lgkmcnt(1)
	v_and_b32_e32 v69, 0xffff0000, v38
	s_waitcnt vmcnt(5)
	v_and_b32_e32 v70, 0xffff0000, v34
	v_and_b32_e32 v64, 0xffff0000, v32
	;; [unrolled: 1-line block ×3, first 2 shown]
	v_lshlrev_b32_e32 v34, 16, v34
	s_delay_alu instid0(VALU_DEP_4)
	v_dual_mul_f32 v71, v69, v70 :: v_dual_and_b32 v72, 0xffff0000, v35
	v_and_b32_e32 v66, 0xffff0000, v33
	v_and_b32_e32 v45, 0xffff0000, v36
	v_lshlrev_b32_e32 v38, 16, v38
	v_lshlrev_b32_e32 v36, 16, v36
	s_waitcnt vmcnt(4)
	v_and_b32_e32 v74, 0xffff0000, v29
	v_mul_f32_e32 v68, v65, v66
	v_lshlrev_b32_e32 v32, 16, v32
	v_mul_f32_e32 v67, v45, v64
	v_fmac_f32_e32 v71, v38, v34
	s_delay_alu instid0(VALU_DEP_2) | instskip(NEXT) | instid1(VALU_DEP_1)
	v_fmac_f32_e32 v67, v36, v32
	v_dual_add_f32 v60, v60, v67 :: v_dual_lshlrev_b32 v37, 16, v37
	v_dual_mul_f32 v76, v65, v74 :: v_dual_lshlrev_b32 v33, 16, v33
	s_delay_alu instid0(VALU_DEP_1) | instskip(NEXT) | instid1(VALU_DEP_1)
	v_fmac_f32_e32 v68, v37, v33
	v_add_f32_e32 v60, v60, v68
	v_and_b32_e32 v67, 0xffff0000, v28
	v_lshlrev_b32_e32 v35, 16, v35
	v_lshlrev_b32_e32 v28, 16, v28
	s_delay_alu instid0(VALU_DEP_4) | instskip(NEXT) | instid1(VALU_DEP_4)
	v_add_f32_e32 v60, v60, v71
	v_mul_f32_e32 v73, v45, v67
	v_lshlrev_b32_e32 v29, 16, v29
	s_delay_alu instid0(VALU_DEP_2) | instskip(NEXT) | instid1(VALU_DEP_2)
	v_dual_fmac_f32 v73, v36, v28 :: v_dual_and_b32 v68, 0xffff0000, v39
	v_dual_fmac_f32 v76, v37, v29 :: v_dual_lshlrev_b32 v39, 16, v39
	s_delay_alu instid0(VALU_DEP_2) | instskip(SKIP_2) | instid1(VALU_DEP_2)
	v_add_f32_e32 v63, v63, v73
	s_waitcnt vmcnt(3)
	v_and_b32_e32 v73, 0xffff0000, v24
	v_add_f32_e32 v63, v63, v76
	v_mul_f32_e32 v75, v68, v72
	s_delay_alu instid0(VALU_DEP_3) | instskip(NEXT) | instid1(VALU_DEP_2)
	v_mul_f32_e32 v45, v45, v73
	v_fmac_f32_e32 v75, v39, v35
	s_delay_alu instid0(VALU_DEP_1)
	v_dual_add_f32 v60, v60, v75 :: v_dual_and_b32 v75, 0xffff0000, v25
	v_and_b32_e32 v71, 0xffff0000, v30
	v_lshlrev_b32_e32 v30, 16, v30
	v_lshlrev_b32_e32 v24, 16, v24
	v_and_b32_e32 v76, 0xffff0000, v31
	v_lshlrev_b32_e32 v25, 16, v25
	s_delay_alu instid0(VALU_DEP_3) | instskip(SKIP_1) | instid1(VALU_DEP_4)
	v_dual_fmac_f32 v45, v36, v24 :: v_dual_mul_f32 v36, v65, v75
	v_mul_f32_e32 v77, v69, v71
	v_mul_f32_e32 v65, v68, v76
	s_delay_alu instid0(VALU_DEP_3) | instskip(NEXT) | instid1(VALU_DEP_3)
	v_add_f32_e32 v45, v62, v45
	v_dual_fmac_f32 v36, v37, v25 :: v_dual_fmac_f32 v77, v38, v30
	v_and_b32_e32 v62, 0xffff0000, v26
	s_waitcnt lgkmcnt(0)
	v_and_b32_e32 v37, 0xffff0000, v20
	v_lshlrev_b32_e32 v20, 16, v20
	v_dual_add_f32 v36, v45, v36 :: v_dual_and_b32 v45, 0xffff0000, v27
	s_delay_alu instid0(VALU_DEP_3) | instskip(SKIP_1) | instid1(VALU_DEP_3)
	v_dual_mul_f32 v64, v37, v64 :: v_dual_lshlrev_b32 v31, 16, v31
	v_dual_add_f32 v63, v63, v77 :: v_dual_lshlrev_b32 v26, 16, v26
	v_dual_mul_f32 v68, v68, v45 :: v_dual_lshlrev_b32 v27, 16, v27
	v_mul_f32_e32 v69, v69, v62
	s_delay_alu instid0(VALU_DEP_4) | instskip(NEXT) | instid1(VALU_DEP_2)
	v_dual_fmac_f32 v65, v39, v31 :: v_dual_fmac_f32 v64, v20, v32
	v_dual_fmac_f32 v68, v39, v27 :: v_dual_fmac_f32 v69, v38, v26
	s_delay_alu instid0(VALU_DEP_2) | instskip(SKIP_1) | instid1(VALU_DEP_2)
	v_dual_add_f32 v39, v61, v64 :: v_dual_and_b32 v38, 0xffff0000, v21
	v_lshlrev_b32_e32 v21, 16, v21
	v_dual_add_f32 v63, v63, v65 :: v_dual_mul_f32 v32, v38, v66
	v_and_b32_e32 v66, 0xffff0000, v22
	v_dual_mul_f32 v61, v37, v67 :: v_dual_lshlrev_b32 v22, 16, v22
	v_mul_f32_e32 v37, v37, v73
	s_delay_alu instid0(VALU_DEP_3) | instskip(SKIP_1) | instid1(VALU_DEP_4)
	v_dual_fmac_f32 v32, v21, v33 :: v_dual_mul_f32 v33, v66, v70
	v_add_f32_e32 v36, v36, v69
	v_dual_fmac_f32 v61, v20, v28 :: v_dual_mul_f32 v28, v38, v74
	s_delay_alu instid0(VALU_DEP_3) | instskip(SKIP_1) | instid1(VALU_DEP_3)
	v_dual_add_f32 v32, v39, v32 :: v_dual_fmac_f32 v33, v22, v34
	v_dual_fmac_f32 v37, v20, v24 :: v_dual_mul_f32 v20, v38, v75
	v_dual_fmac_f32 v28, v21, v29 :: v_dual_mul_f32 v29, v66, v71
	v_and_b32_e32 v34, 0xffff0000, v23
	v_add_f32_e32 v36, v36, v68
	s_delay_alu instid0(VALU_DEP_3) | instskip(SKIP_3) | instid1(VALU_DEP_3)
	v_dual_fmac_f32 v20, v21, v25 :: v_dual_fmac_f32 v29, v22, v30
	v_add_f32_e32 v30, v44, v37
	v_add_f32_e32 v39, v59, v61
	v_mul_f32_e32 v25, v34, v76
	v_dual_add_f32 v20, v30, v20 :: v_dual_lshlrev_b32 v23, 16, v23
	s_delay_alu instid0(VALU_DEP_3)
	v_add_f32_e32 v24, v39, v28
	s_waitcnt vmcnt(2)
	v_and_b32_e32 v30, 0xffff0000, v12
	v_lshlrev_b32_e32 v12, 16, v12
	v_add_f32_e32 v28, v32, v33
	v_dual_add_f32 v21, v24, v29 :: v_dual_mul_f32 v24, v66, v62
	v_and_b32_e32 v29, 0xffff0000, v16
	v_lshlrev_b32_e32 v16, 16, v16
	s_delay_alu instid0(VALU_DEP_3) | instskip(NEXT) | instid1(VALU_DEP_3)
	v_fmac_f32_e32 v24, v22, v26
	v_dual_mul_f32 v59, v34, v72 :: v_dual_mul_f32 v22, v29, v30
	s_delay_alu instid0(VALU_DEP_1)
	v_dual_add_f32 v20, v20, v24 :: v_dual_fmac_f32 v59, v23, v35
	v_dual_fmac_f32 v25, v23, v31 :: v_dual_and_b32 v24, 0xffff0000, v17
	v_mul_f32_e32 v31, v34, v45
	v_and_b32_e32 v26, 0xffff0000, v13
	v_dual_fmac_f32 v22, v16, v12 :: v_dual_lshlrev_b32 v17, 16, v17
	v_add_f32_e32 v28, v28, v59
	s_delay_alu instid0(VALU_DEP_4) | instskip(NEXT) | instid1(VALU_DEP_4)
	v_fmac_f32_e32 v31, v23, v27
	v_dual_mul_f32 v32, v24, v26 :: v_dual_lshlrev_b32 v13, 16, v13
	v_and_b32_e32 v23, 0xffff0000, v18
	v_and_b32_e32 v27, 0xffff0000, v14
	v_dual_add_f32 v21, v21, v25 :: v_dual_lshlrev_b32 v18, 16, v18
	s_delay_alu instid0(VALU_DEP_4) | instskip(NEXT) | instid1(VALU_DEP_3)
	v_fmac_f32_e32 v32, v17, v13
	v_dual_add_f32 v22, v60, v22 :: v_dual_mul_f32 v33, v23, v27
	s_waitcnt vmcnt(0)
	v_and_b32_e32 v39, 0xffff0000, v4
	v_and_b32_e32 v38, 0xffff0000, v10
	v_add_f32_e32 v20, v20, v31
	v_dual_add_f32 v22, v22, v32 :: v_dual_and_b32 v31, 0xffff0000, v19
	v_and_b32_e32 v35, 0xffff0000, v9
	s_delay_alu instid0(VALU_DEP_4) | instskip(SKIP_2) | instid1(VALU_DEP_2)
	v_dual_mul_f32 v44, v23, v38 :: v_dual_lshlrev_b32 v9, 16, v9
	v_and_b32_e32 v32, 0xffff0000, v15
	v_lshlrev_b32_e32 v14, 16, v14
	v_dual_mul_f32 v37, v31, v32 :: v_dual_lshlrev_b32 v10, 16, v10
	s_delay_alu instid0(VALU_DEP_2) | instskip(SKIP_2) | instid1(VALU_DEP_4)
	v_fmac_f32_e32 v33, v18, v14
	v_and_b32_e32 v25, 0xffff0000, v8
	v_lshlrev_b32_e32 v8, 16, v8
	v_fmac_f32_e32 v44, v18, v10
	s_delay_alu instid0(VALU_DEP_4) | instskip(NEXT) | instid1(VALU_DEP_4)
	v_dual_add_f32 v22, v22, v33 :: v_dual_mul_f32 v33, v24, v35
	v_dual_mul_f32 v34, v29, v25 :: v_dual_lshlrev_b32 v19, 16, v19
	v_lshlrev_b32_e32 v15, 16, v15
	v_mul_f32_e32 v29, v29, v39
	s_delay_alu instid0(VALU_DEP_3) | instskip(NEXT) | instid1(VALU_DEP_3)
	v_dual_fmac_f32 v33, v17, v9 :: v_dual_fmac_f32 v34, v16, v8
	v_fmac_f32_e32 v37, v19, v15
	s_delay_alu instid0(VALU_DEP_2) | instskip(SKIP_1) | instid1(VALU_DEP_3)
	v_add_f32_e32 v34, v63, v34
	v_lshlrev_b32_e32 v4, 16, v4
	v_dual_add_f32 v60, v22, v37 :: v_dual_and_b32 v37, 0xffff0000, v7
	v_lshlrev_b32_e32 v7, 16, v7
	s_delay_alu instid0(VALU_DEP_4) | instskip(NEXT) | instid1(VALU_DEP_4)
	v_add_f32_e32 v33, v34, v33
	v_dual_fmac_f32 v29, v16, v4 :: v_dual_and_b32 v34, 0xffff0000, v5
	s_delay_alu instid0(VALU_DEP_2) | instskip(NEXT) | instid1(VALU_DEP_2)
	v_dual_add_f32 v22, v33, v44 :: v_dual_lshlrev_b32 v5, 16, v5
	v_mul_f32_e32 v16, v24, v34
	s_delay_alu instid0(VALU_DEP_3)
	v_add_f32_e32 v29, v36, v29
	v_and_b32_e32 v33, 0xffff0000, v0
	v_and_b32_e32 v36, 0xffff0000, v6
	v_and_b32_e32 v24, 0xffff0000, v11
	v_dual_fmac_f32 v16, v17, v5 :: v_dual_lshlrev_b32 v11, 16, v11
	v_lshlrev_b32_e32 v0, 16, v0
	s_delay_alu instid0(VALU_DEP_4) | instskip(NEXT) | instid1(VALU_DEP_4)
	v_dual_mul_f32 v30, v33, v30 :: v_dual_mul_f32 v23, v23, v36
	v_mul_f32_e32 v17, v31, v24
	s_delay_alu instid0(VALU_DEP_4) | instskip(SKIP_1) | instid1(VALU_DEP_4)
	v_dual_add_f32 v16, v29, v16 :: v_dual_and_b32 v29, 0xffff0000, v1
	v_lshlrev_b32_e32 v6, 16, v6
	v_dual_fmac_f32 v30, v0, v12 :: v_dual_lshlrev_b32 v1, 16, v1
	s_delay_alu instid0(VALU_DEP_3) | instskip(SKIP_1) | instid1(VALU_DEP_3)
	v_dual_fmac_f32 v17, v19, v11 :: v_dual_mul_f32 v12, v29, v26
	v_and_b32_e32 v26, 0xffff0000, v2
	v_add_f32_e32 v28, v28, v30
	v_fmac_f32_e32 v23, v18, v6
	s_delay_alu instid0(VALU_DEP_4) | instskip(NEXT) | instid1(VALU_DEP_4)
	v_add_f32_e32 v63, v22, v17
	v_dual_fmac_f32 v12, v1, v13 :: v_dual_mul_f32 v13, v26, v27
	v_mul_f32_e32 v18, v31, v37
	s_delay_alu instid0(VALU_DEP_2) | instskip(NEXT) | instid1(VALU_DEP_2)
	v_add_f32_e32 v12, v28, v12
	v_fmac_f32_e32 v18, v19, v7
	v_dual_mul_f32 v19, v33, v39 :: v_dual_lshlrev_b32 v2, 16, v2
	s_delay_alu instid0(VALU_DEP_1) | instskip(NEXT) | instid1(VALU_DEP_2)
	v_fmac_f32_e32 v19, v0, v4
	v_dual_fmac_f32 v13, v2, v14 :: v_dual_add_f32 v14, v16, v23
	v_mul_f32_e32 v16, v33, v25
	s_delay_alu instid0(VALU_DEP_2) | instskip(NEXT) | instid1(VALU_DEP_2)
	v_dual_add_f32 v12, v12, v13 :: v_dual_and_b32 v13, 0xffff0000, v3
	v_dual_fmac_f32 v16, v0, v8 :: v_dual_lshlrev_b32 v3, 16, v3
	v_mul_f32_e32 v8, v29, v35
	s_delay_alu instid0(VALU_DEP_3) | instskip(NEXT) | instid1(VALU_DEP_1)
	v_mul_f32_e32 v23, v13, v32
	v_dual_mul_f32 v0, v29, v34 :: v_dual_fmac_f32 v23, v3, v15
	s_delay_alu instid0(VALU_DEP_3) | instskip(NEXT) | instid1(VALU_DEP_2)
	v_dual_fmac_f32 v8, v1, v9 :: v_dual_mul_f32 v9, v26, v38
	v_dual_fmac_f32 v0, v1, v5 :: v_dual_mul_f32 v1, v26, v36
	v_add_f32_e32 v62, v14, v18
	s_delay_alu instid0(VALU_DEP_3) | instskip(SKIP_4) | instid1(VALU_DEP_3)
	v_fmac_f32_e32 v9, v2, v10
	v_add_f32_e32 v61, v12, v23
	v_mul_f32_e32 v5, v13, v24
	v_dual_fmac_f32 v1, v2, v6 :: v_dual_add_f32 v4, v21, v16
	v_add_f32_e32 v16, v20, v19
	v_dual_mul_f32 v2, v13, v37 :: v_dual_fmac_f32 v5, v3, v11
	s_delay_alu instid0(VALU_DEP_3) | instskip(NEXT) | instid1(VALU_DEP_3)
	v_add_f32_e32 v4, v4, v8
	v_add_f32_e32 v0, v16, v0
	s_delay_alu instid0(VALU_DEP_2) | instskip(NEXT) | instid1(VALU_DEP_2)
	v_add_f32_e32 v4, v4, v9
	v_add_f32_e32 v0, v0, v1
	s_delay_alu instid0(VALU_DEP_2) | instskip(NEXT) | instid1(VALU_DEP_1)
	v_dual_fmac_f32 v2, v3, v7 :: v_dual_add_f32 v59, v4, v5
	v_add_f32_e32 v44, v0, v2
.LBB196_16:                             ;   in Loop: Header=BB196_17 Depth=2
	s_or_b32 exec_lo, exec_lo, s2
	s_addk_i32 s14, 0x200
	s_delay_alu instid0(SALU_CYCLE_1)
	s_cmp_ge_u32 s14, s16
	s_cbranch_scc1 .LBB196_29
.LBB196_17:                             ;   Parent Loop BB196_12 Depth=1
                                        ; =>  This Loop Header: Depth=2
                                        ;       Child Loop BB196_22 Depth 3
	s_cmp_eq_u32 s14, 0
	s_cselect_b32 s15, -1, 0
	s_add_i32 s2, s3, s24
	s_delay_alu instid0(SALU_CYCLE_1) | instskip(SKIP_1) | instid1(SALU_CYCLE_1)
	s_cmp_eq_u32 s14, s2
	s_cselect_b32 s36, -1, 0
	s_or_b32 s36, s15, s36
	s_delay_alu instid0(SALU_CYCLE_1)
	s_and_not1_b32 vcc_lo, exec_lo, s36
	s_cbranch_vccz .LBB196_19
; %bb.18:                               ;   in Loop: Header=BB196_17 Depth=2
	s_and_saveexec_b32 s2, s1
	s_cbranch_execz .LBB196_16
	s_branch .LBB196_26
.LBB196_19:                             ;   in Loop: Header=BB196_17 Depth=2
	s_and_b32 s15, s15, exec_lo
	s_cselect_b32 s3, s3, s2
	s_and_not1_b32 vcc_lo, exec_lo, s26
	s_waitcnt vmcnt(0)
	s_waitcnt_vscnt null, 0x0
	s_barrier
	buffer_gl0_inv
	s_cbranch_vccnz .LBB196_25
; %bb.20:                               ;   in Loop: Header=BB196_17 Depth=2
	v_add_nc_u32_e32 v0, s3, v56
	v_dual_mov_b32 v2, v55 :: v_dual_add_nc_u32 v1, s3, v54
	s_mov_b32 s15, 0
	s_mov_b32 s36, 0
                                        ; implicit-def: $sgpr37
	s_set_inst_prefetch_distance 0x1
	s_branch .LBB196_22
	.p2align	6
.LBB196_21:                             ;   in Loop: Header=BB196_22 Depth=3
	s_or_b32 exec_lo, exec_lo, s2
	s_delay_alu instid0(SALU_CYCLE_1) | instskip(NEXT) | instid1(SALU_CYCLE_1)
	s_and_b32 s2, exec_lo, s37
	s_or_b32 s15, s2, s15
	s_delay_alu instid0(SALU_CYCLE_1)
	s_and_not1_b32 exec_lo, exec_lo, s15
	s_cbranch_execz .LBB196_24
.LBB196_22:                             ;   Parent Loop BB196_12 Depth=1
                                        ;     Parent Loop BB196_17 Depth=2
                                        ; =>    This Inner Loop Header: Depth=3
	v_add_nc_u32_e32 v45, s36, v1
	v_add_nc_u32_e32 v3, s36, v54
	s_or_b32 s37, s37, exec_lo
	s_delay_alu instid0(VALU_DEP_2) | instskip(NEXT) | instid1(VALU_DEP_2)
	v_cmp_gt_u32_e32 vcc_lo, s18, v45
	v_cmp_gt_u32_e64 s2, s24, v3
	s_delay_alu instid0(VALU_DEP_1) | instskip(NEXT) | instid1(SALU_CYCLE_1)
	s_and_b32 s38, s2, vcc_lo
	s_and_saveexec_b32 s2, s38
	s_cbranch_execz .LBB196_21
; %bb.23:                               ;   in Loop: Header=BB196_22 Depth=3
	v_lshlrev_b64 v[3:4], 1, v[45:46]
	v_add_nc_u32_e32 v45, s36, v0
	s_add_i32 s36, s36, s27
	v_add_nc_u32_e32 v11, s35, v2
	s_cmp_ge_u32 s36, s24
	s_delay_alu instid0(VALU_DEP_2) | instskip(SKIP_3) | instid1(VALU_DEP_3)
	v_lshlrev_b64 v[7:8], 1, v[45:46]
	v_add_co_u32 v3, vcc_lo, s8, v3
	v_add_co_ci_u32_e32 v4, vcc_lo, s9, v4, vcc_lo
	s_cselect_b32 s38, -1, 0
	v_add_co_u32 v7, vcc_lo, s8, v7
	global_load_b128 v[3:6], v[3:4], off
	v_add_co_ci_u32_e32 v8, vcc_lo, s9, v8, vcc_lo
	s_and_not1_b32 s37, s37, exec_lo
	s_and_b32 s38, s38, exec_lo
	global_load_b128 v[7:10], v[7:8], off
	s_or_b32 s37, s37, s38
	s_waitcnt vmcnt(1)
	ds_store_b128 v2, v[3:6]
	v_add_nc_u32_e32 v2, s20, v2
	s_waitcnt vmcnt(0)
	ds_store_2addr_b64 v11, v[7:8], v[9:10] offset1:1
	s_branch .LBB196_21
.LBB196_24:                             ;   in Loop: Header=BB196_17 Depth=2
	s_set_inst_prefetch_distance 0x2
	s_or_b32 exec_lo, exec_lo, s15
.LBB196_25:                             ;   in Loop: Header=BB196_17 Depth=2
	s_waitcnt lgkmcnt(0)
	s_barrier
	buffer_gl0_inv
	s_and_saveexec_b32 s2, s1
	s_cbranch_execz .LBB196_16
.LBB196_26:                             ;   in Loop: Header=BB196_17 Depth=2
	v_dual_mov_b32 v19, 0 :: v_dual_add_nc_u32 v64, s14, v53
	v_dual_mov_b32 v18, 0 :: v_dual_mov_b32 v23, 0
	v_mov_b32_e32 v22, 0
	s_delay_alu instid0(VALU_DEP_3) | instskip(SKIP_3) | instid1(VALU_DEP_4)
	v_min_u32_e32 v45, s28, v64
	v_add_nc_u32_e32 v65, 0x100, v64
	v_dual_mov_b32 v21, 0 :: v_dual_mov_b32 v20, 0
	v_dual_mov_b32 v39, 0 :: v_dual_mov_b32 v38, 0
	v_lshlrev_b64 v[0:1], 1, v[45:46]
	s_delay_alu instid0(VALU_DEP_4) | instskip(SKIP_3) | instid1(VALU_DEP_3)
	v_min_u32_e32 v45, s28, v65
	v_dual_mov_b32 v37, 0 :: v_dual_mov_b32 v36, 0
	s_mov_b32 s15, exec_lo
	s_waitcnt vmcnt(0)
	v_add_co_u32 v6, vcc_lo, s6, v0
	v_add_co_ci_u32_e32 v7, vcc_lo, s7, v1, vcc_lo
	v_lshlrev_b64 v[0:1], 1, v[45:46]
	s_delay_alu instid0(VALU_DEP_3) | instskip(NEXT) | instid1(VALU_DEP_3)
	v_add_co_u32 v2, vcc_lo, v6, v47
	v_add_co_ci_u32_e32 v3, vcc_lo, v7, v48, vcc_lo
	v_add_co_u32 v4, vcc_lo, v6, v49
	v_add_co_ci_u32_e32 v5, vcc_lo, v7, v50, vcc_lo
	;; [unrolled: 2-line block ×4, first 2 shown]
	s_delay_alu instid0(VALU_DEP_4) | instskip(NEXT) | instid1(VALU_DEP_4)
	v_add_co_u32 v6, vcc_lo, v10, v47
	v_add_co_ci_u32_e32 v7, vcc_lo, v11, v48, vcc_lo
	v_add_co_u32 v8, vcc_lo, v10, v49
	v_add_co_ci_u32_e32 v9, vcc_lo, v11, v50, vcc_lo
	;; [unrolled: 2-line block ×3, first 2 shown]
	s_clause 0x5
	global_load_b128 v[32:35], v[2:3], off slc dlc
	global_load_b128 v[28:31], v[4:5], off slc dlc
	;; [unrolled: 1-line block ×6, first 2 shown]
	v_dual_mov_b32 v3, 0 :: v_dual_mov_b32 v2, 0
	v_dual_mov_b32 v1, 0 :: v_dual_mov_b32 v0, 0
	;; [unrolled: 1-line block ×3, first 2 shown]
	v_cmpx_gt_u32_e64 s16, v64
	s_cbranch_execz .LBB196_15
; %bb.27:                               ;   in Loop: Header=BB196_17 Depth=2
	v_subrev_nc_u32_e32 v0, s3, v64
	v_dual_mov_b32 v16, 0 :: v_dual_mov_b32 v19, 0
	v_dual_mov_b32 v18, 0 :: v_dual_mov_b32 v1, 0
	s_delay_alu instid0(VALU_DEP_3) | instskip(SKIP_2) | instid1(VALU_DEP_3)
	v_dual_mov_b32 v17, 0 :: v_dual_lshlrev_b32 v64, 1, v0
	v_dual_mov_b32 v0, 0 :: v_dual_mov_b32 v3, 0
	v_mov_b32_e32 v2, 0
	v_lshl_add_u32 v45, s24, 1, v64
	s_mov_b32 s36, exec_lo
	ds_load_b128 v[36:39], v64
	ds_load_b128 v[20:23], v45
	v_cmpx_gt_u32_e64 s16, v65
	s_cbranch_execz .LBB196_14
; %bb.28:                               ;   in Loop: Header=BB196_17 Depth=2
	ds_load_b128 v[16:19], v64 offset:512
	ds_load_b128 v[0:3], v45 offset:512
	s_branch .LBB196_14
.LBB196_29:                             ;   in Loop: Header=BB196_12 Depth=1
	s_mov_b32 s1, exec_lo
	v_cmpx_le_u32_e64 s19, v43
	s_xor_b32 s1, exec_lo, s1
; %bb.30:                               ;   in Loop: Header=BB196_12 Depth=1
	v_add_nc_u32_e32 v43, s21, v43
                                        ; implicit-def: $vgpr60
                                        ; implicit-def: $vgpr63
                                        ; implicit-def: $vgpr62
                                        ; implicit-def: $vgpr61
                                        ; implicit-def: $vgpr59
                                        ; implicit-def: $vgpr44
; %bb.31:                               ;   in Loop: Header=BB196_12 Depth=1
	s_and_not1_saveexec_b32 s36, s1
	s_cbranch_execz .LBB196_11
; %bb.32:                               ;   in Loop: Header=BB196_12 Depth=1
	v_cvt_i32_f32_e32 v0, v60
	s_waitcnt lgkmcnt(0)
	v_xor_b32_e32 v1, 16, v58
	v_cvt_i32_f32_e32 v5, v59
	s_waitcnt vmcnt(0)
	v_cvt_i32_f32_e32 v6, v44
	v_cvt_i32_f32_e32 v3, v62
	v_cvt_f32_i32_dpp v0, v0 row_shr:8 row_mask:0xf bank_mask:0xf bound_ctrl:1
	v_cmp_gt_i32_e32 vcc_lo, 32, v1
	v_cvt_f32_i32_dpp v5, v5 row_shr:8 row_mask:0xf bank_mask:0xf bound_ctrl:1
	v_cvt_f32_i32_dpp v6, v6 row_shr:8 row_mask:0xf bank_mask:0xf bound_ctrl:1
	v_cvt_i32_f32_e32 v4, v61
	v_dual_add_f32 v0, v60, v0 :: v_dual_cndmask_b32 v1, v58, v1
	s_delay_alu instid0(VALU_DEP_3) | instskip(SKIP_1) | instid1(VALU_DEP_3)
	v_dual_add_f32 v5, v59, v5 :: v_dual_add_f32 v6, v44, v6
	v_cvt_i32_f32_e32 v2, v63
	v_cvt_i32_f32_e32 v7, v0
	v_cvt_f32_i32_dpp v3, v3 row_shr:8 row_mask:0xf bank_mask:0xf bound_ctrl:1
	s_delay_alu instid0(VALU_DEP_4)
	v_cvt_i32_f32_e32 v10, v5
	v_cvt_f32_i32_dpp v4, v4 row_shr:8 row_mask:0xf bank_mask:0xf bound_ctrl:1
	v_cvt_f32_i32_dpp v2, v2 row_shr:8 row_mask:0xf bank_mask:0xf bound_ctrl:1
	;; [unrolled: 1-line block ×3, first 2 shown]
	v_add_f32_e32 v3, v62, v3
	v_cvt_f32_i32_dpp v10, v10 row_shr:4 row_mask:0xf bank_mask:0xf bound_ctrl:1
	v_add_f32_e32 v4, v61, v4
	v_cvt_i32_f32_e32 v11, v6
	v_dual_add_f32 v0, v0, v7 :: v_dual_lshlrev_b32 v1, 2, v1
	v_add_f32_e32 v2, v63, v2
	v_add_f32_e32 v5, v5, v10
	v_cvt_i32_f32_e32 v9, v4
	s_delay_alu instid0(VALU_DEP_4)
	v_cvt_i32_f32_e32 v12, v0
	v_cvt_f32_i32_dpp v11, v11 row_shr:4 row_mask:0xf bank_mask:0xf bound_ctrl:1
	v_cvt_i32_f32_e32 v8, v2
	v_cvt_i32_f32_e32 v7, v3
	v_cvt_f32_i32_dpp v9, v9 row_shr:4 row_mask:0xf bank_mask:0xf bound_ctrl:1
	v_cvt_f32_i32_dpp v12, v12 row_shr:2 row_mask:0xf bank_mask:0xf bound_ctrl:1
	s_delay_alu instid0(VALU_DEP_4) | instskip(NEXT) | instid1(VALU_DEP_4)
	v_cvt_f32_i32_dpp v8, v8 row_shr:4 row_mask:0xf bank_mask:0xf bound_ctrl:1
	v_cvt_f32_i32_dpp v7, v7 row_shr:4 row_mask:0xf bank_mask:0xf bound_ctrl:1
	s_delay_alu instid0(VALU_DEP_3) | instskip(SKIP_2) | instid1(VALU_DEP_4)
	v_add_f32_e32 v0, v0, v12
	v_add_f32_e32 v6, v6, v11
	v_cvt_i32_f32_e32 v11, v5
	v_dual_add_f32 v2, v2, v8 :: v_dual_add_f32 v3, v3, v7
	s_delay_alu instid0(VALU_DEP_2) | instskip(SKIP_2) | instid1(VALU_DEP_4)
	v_cvt_f32_i32_dpp v11, v11 row_shr:2 row_mask:0xf bank_mask:0xf bound_ctrl:1
	v_add_f32_e32 v4, v4, v9
	v_cvt_i32_f32_e32 v9, v0
	v_cvt_i32_f32_e32 v7, v2
	;; [unrolled: 1-line block ×3, first 2 shown]
	v_add_f32_e32 v5, v5, v11
	v_cvt_i32_f32_e32 v10, v4
	v_cvt_f32_i32_dpp v9, v9 row_shr:1 row_mask:0xf bank_mask:0xf bound_ctrl:1
	v_cvt_f32_i32_dpp v7, v7 row_shr:2 row_mask:0xf bank_mask:0xf bound_ctrl:1
	;; [unrolled: 1-line block ×3, first 2 shown]
	s_delay_alu instid0(VALU_DEP_4) | instskip(NEXT) | instid1(VALU_DEP_4)
	v_cvt_f32_i32_dpp v10, v10 row_shr:2 row_mask:0xf bank_mask:0xf bound_ctrl:1
	v_add_f32_e32 v13, v0, v9
	v_cvt_i32_f32_e32 v12, v6
	v_add_f32_e32 v0, v2, v7
	s_delay_alu instid0(VALU_DEP_4) | instskip(SKIP_1) | instid1(VALU_DEP_4)
	v_dual_add_f32 v2, v3, v8 :: v_dual_add_f32 v3, v4, v10
	v_cvt_i32_f32_e32 v9, v5
	v_cvt_f32_i32_dpp v12, v12 row_shr:2 row_mask:0xf bank_mask:0xf bound_ctrl:1
	s_delay_alu instid0(VALU_DEP_4) | instskip(NEXT) | instid1(VALU_DEP_4)
	v_cvt_i32_f32_e32 v4, v0
	v_cvt_i32_f32_e32 v7, v2
	;; [unrolled: 1-line block ×3, first 2 shown]
	v_cvt_f32_i32_dpp v9, v9 row_shr:1 row_mask:0xf bank_mask:0xf bound_ctrl:1
	v_add_f32_e32 v6, v6, v12
	v_cvt_f32_i32_dpp v4, v4 row_shr:1 row_mask:0xf bank_mask:0xf bound_ctrl:1
	v_cvt_f32_i32_dpp v7, v7 row_shr:1 row_mask:0xf bank_mask:0xf bound_ctrl:1
	;; [unrolled: 1-line block ×3, first 2 shown]
	ds_bpermute_b32 v14, v1, v13
	v_cvt_i32_f32_e32 v10, v6
	v_dual_add_f32 v7, v2, v7 :: v_dual_add_f32 v2, v5, v9
	s_delay_alu instid0(VALU_DEP_2)
	v_cvt_f32_i32_dpp v11, v10 row_shr:1 row_mask:0xf bank_mask:0xf bound_ctrl:1
	v_add_f32_e32 v10, v0, v4
	v_add_f32_e32 v4, v3, v8
	ds_bpermute_b32 v8, v1, v7
	ds_bpermute_b32 v3, v1, v2
	v_add_f32_e32 v0, v6, v11
	ds_bpermute_b32 v11, v1, v10
	ds_bpermute_b32 v5, v1, v4
	;; [unrolled: 1-line block ×3, first 2 shown]
	s_and_saveexec_b32 s14, s0
	s_cbranch_execz .LBB196_71
; %bb.33:                               ;   in Loop: Header=BB196_12 Depth=1
	v_dual_mov_b32 v17, 0 :: v_dual_mov_b32 v16, 0
	v_dual_mov_b32 v12, 0 :: v_dual_add_nc_u32 v45, 2, v43
	v_dual_mov_b32 v15, 0 :: v_dual_mov_b32 v6, 0
	v_mov_b32_e32 v9, 0
	s_and_not1_b32 vcc_lo, exec_lo, s30
	s_cbranch_vccnz .LBB196_35
; %bb.34:                               ;   in Loop: Header=BB196_12 Depth=1
	v_dual_mov_b32 v23, v46 :: v_dual_add_nc_u32 v6, 1, v43
	v_mul_hi_u32 v9, v43, v57
	v_mul_hi_u32 v12, v45, v57
	s_delay_alu instid0(VALU_DEP_3) | instskip(NEXT) | instid1(VALU_DEP_3)
	v_mul_hi_u32 v15, v6, v57
	v_mul_lo_u32 v9, v9, s4
	s_delay_alu instid0(VALU_DEP_3) | instskip(NEXT) | instid1(VALU_DEP_3)
	v_mul_lo_u32 v12, v12, s4
	v_mul_lo_u32 v15, v15, s4
	s_delay_alu instid0(VALU_DEP_3) | instskip(NEXT) | instid1(VALU_DEP_3)
	v_sub_nc_u32_e32 v9, v43, v9
	v_sub_nc_u32_e32 v12, v45, v12
	s_delay_alu instid0(VALU_DEP_3) | instskip(NEXT) | instid1(VALU_DEP_3)
	v_sub_nc_u32_e32 v6, v6, v15
	v_subrev_nc_u32_e32 v15, s4, v9
	v_cmp_le_u32_e32 vcc_lo, s4, v9
	v_mov_b32_e32 v16, v46
	v_subrev_nc_u32_e32 v17, s4, v12
	v_subrev_nc_u32_e32 v19, s4, v6
	v_cndmask_b32_e32 v9, v9, v15, vcc_lo
	v_cmp_le_u32_e32 vcc_lo, s4, v12
	s_delay_alu instid0(VALU_DEP_2) | instskip(SKIP_2) | instid1(VALU_DEP_2)
	v_subrev_nc_u32_e32 v15, s4, v9
	v_cndmask_b32_e32 v12, v12, v17, vcc_lo
	v_cmp_le_u32_e32 vcc_lo, s4, v6
	v_subrev_nc_u32_e32 v17, s4, v12
	v_cndmask_b32_e32 v6, v6, v19, vcc_lo
	v_cmp_le_u32_e32 vcc_lo, s4, v9
	v_mov_b32_e32 v18, v46
	s_delay_alu instid0(VALU_DEP_3)
	v_subrev_nc_u32_e32 v21, s4, v6
	v_cndmask_b32_e32 v15, v9, v15, vcc_lo
	v_cmp_le_u32_e32 vcc_lo, s4, v12
	v_dual_mov_b32 v20, v46 :: v_dual_cndmask_b32 v19, v12, v17
	v_cmp_le_u32_e32 vcc_lo, s4, v6
	v_mov_b32_e32 v22, v46
	s_delay_alu instid0(VALU_DEP_3) | instskip(SKIP_4) | instid1(VALU_DEP_4)
	v_lshlrev_b64 v[24:25], 1, v[19:20]
	v_add_nc_u32_e32 v19, s33, v19
	v_cndmask_b32_e32 v17, v6, v21, vcc_lo
	v_add_nc_u32_e32 v21, s33, v15
	v_lshlrev_b64 v[15:16], 1, v[15:16]
	v_lshlrev_b64 v[19:20], 1, v[19:20]
	s_delay_alu instid0(VALU_DEP_4) | instskip(NEXT) | instid1(VALU_DEP_4)
	v_lshlrev_b64 v[26:27], 1, v[17:18]
	v_lshlrev_b64 v[28:29], 1, v[21:22]
	v_add_nc_u32_e32 v22, s33, v17
	v_add_co_u32 v15, vcc_lo, s10, v15
	v_add_co_ci_u32_e32 v16, vcc_lo, s11, v16, vcc_lo
	v_add_co_u32 v24, vcc_lo, s10, v24
	v_add_co_ci_u32_e32 v25, vcc_lo, s11, v25, vcc_lo
	v_lshlrev_b64 v[17:18], 1, v[22:23]
	v_add_co_u32 v21, vcc_lo, s10, v26
	v_add_co_ci_u32_e32 v22, vcc_lo, s11, v27, vcc_lo
	v_add_co_u32 v26, vcc_lo, s10, v28
	v_add_co_ci_u32_e32 v27, vcc_lo, s11, v29, vcc_lo
	;; [unrolled: 2-line block ×4, first 2 shown]
	s_clause 0x5
	global_load_u16 v17, v[15:16], off
	global_load_u16 v16, v[21:22], off
	;; [unrolled: 1-line block ×6, first 2 shown]
.LBB196_35:                             ;   in Loop: Header=BB196_12 Depth=1
	v_cmp_ne_u32_e32 vcc_lo, 0, v40
	s_and_saveexec_b32 s2, vcc_lo
	s_cbranch_execnz .LBB196_41
; %bb.36:                               ;   in Loop: Header=BB196_12 Depth=1
	s_or_b32 exec_lo, exec_lo, s2
	v_cmp_ne_u32_e64 s1, 0, v41
	s_delay_alu instid0(VALU_DEP_1)
	s_and_saveexec_b32 s3, s1
	s_cbranch_execnz .LBB196_46
.LBB196_37:                             ;   in Loop: Header=BB196_12 Depth=1
	s_or_b32 exec_lo, exec_lo, s3
	v_cmp_ne_u32_e64 s2, 0, v42
	s_delay_alu instid0(VALU_DEP_1)
	s_and_saveexec_b32 s15, s2
	s_cbranch_execnz .LBB196_51
.LBB196_38:                             ;   in Loop: Header=BB196_12 Depth=1
	s_or_b32 exec_lo, exec_lo, s15
	v_add_nc_u32_e32 v45, s19, v43
	s_and_saveexec_b32 s3, vcc_lo
	s_cbranch_execnz .LBB196_56
.LBB196_39:                             ;   in Loop: Header=BB196_12 Depth=1
	s_or_b32 exec_lo, exec_lo, s3
	s_and_saveexec_b32 s3, s1
	s_cbranch_execnz .LBB196_61
.LBB196_40:                             ;   in Loop: Header=BB196_12 Depth=1
	s_or_b32 exec_lo, exec_lo, s3
	s_delay_alu instid0(SALU_CYCLE_1)
	s_and_b32 exec_lo, exec_lo, s2
	s_cbranch_execnz .LBB196_66
	s_branch .LBB196_71
.LBB196_41:                             ;   in Loop: Header=BB196_12 Depth=1
	s_waitcnt vmcnt(5) lgkmcnt(5)
	v_dual_add_f32 v13, v13, v14 :: v_dual_lshlrev_b32 v14, 16, v17
	s_delay_alu instid0(VALU_DEP_1) | instskip(NEXT) | instid1(VALU_DEP_1)
	v_add_f32_e32 v14, v13, v14
	v_and_b32_e32 v13, 0x7f800000, v14
	s_delay_alu instid0(VALU_DEP_1) | instskip(NEXT) | instid1(VALU_DEP_1)
	v_cmp_ne_u32_e64 s1, 0x7f800000, v13
                                        ; implicit-def: $vgpr13
	s_and_saveexec_b32 s3, s1
	s_delay_alu instid0(SALU_CYCLE_1)
	s_xor_b32 s1, exec_lo, s3
; %bb.42:                               ;   in Loop: Header=BB196_12 Depth=1
	v_bfe_u32 v13, v14, 16, 1
	s_delay_alu instid0(VALU_DEP_1)
	v_add3_u32 v13, v14, v13, 0x7fff
                                        ; implicit-def: $vgpr14
; %bb.43:                               ;   in Loop: Header=BB196_12 Depth=1
	s_and_not1_saveexec_b32 s3, s1
; %bb.44:                               ;   in Loop: Header=BB196_12 Depth=1
	v_and_b32_e32 v13, 0xffff, v14
	v_or_b32_e32 v17, 0x10000, v14
	s_delay_alu instid0(VALU_DEP_2) | instskip(NEXT) | instid1(VALU_DEP_1)
	v_cmp_eq_u32_e64 s1, 0, v13
	v_cndmask_b32_e64 v13, v17, v14, s1
; %bb.45:                               ;   in Loop: Header=BB196_12 Depth=1
	s_or_b32 exec_lo, exec_lo, s3
	v_mov_b32_e32 v44, v46
	s_delay_alu instid0(VALU_DEP_1) | instskip(NEXT) | instid1(VALU_DEP_1)
	v_lshlrev_b64 v[17:18], 1, v[43:44]
	v_add_co_u32 v17, s1, s12, v17
	s_delay_alu instid0(VALU_DEP_1) | instskip(SKIP_3) | instid1(VALU_DEP_1)
	v_add_co_ci_u32_e64 v18, s1, s13, v18, s1
	global_store_d16_hi_b16 v[17:18], v13, off
	s_or_b32 exec_lo, exec_lo, s2
	v_cmp_ne_u32_e64 s1, 0, v41
	s_and_saveexec_b32 s3, s1
	s_cbranch_execz .LBB196_37
.LBB196_46:                             ;   in Loop: Header=BB196_12 Depth=1
	s_waitcnt vmcnt(4) lgkmcnt(2)
	v_dual_add_f32 v10, v10, v11 :: v_dual_lshlrev_b32 v11, 16, v16
	s_delay_alu instid0(VALU_DEP_1) | instskip(NEXT) | instid1(VALU_DEP_1)
	v_add_f32_e32 v11, v10, v11
	v_and_b32_e32 v10, 0x7f800000, v11
	s_delay_alu instid0(VALU_DEP_1) | instskip(NEXT) | instid1(VALU_DEP_1)
	v_cmp_ne_u32_e64 s2, 0x7f800000, v10
                                        ; implicit-def: $vgpr10
	s_and_saveexec_b32 s15, s2
	s_delay_alu instid0(SALU_CYCLE_1)
	s_xor_b32 s2, exec_lo, s15
; %bb.47:                               ;   in Loop: Header=BB196_12 Depth=1
	v_bfe_u32 v10, v11, 16, 1
	s_delay_alu instid0(VALU_DEP_1)
	v_add3_u32 v10, v11, v10, 0x7fff
                                        ; implicit-def: $vgpr11
; %bb.48:                               ;   in Loop: Header=BB196_12 Depth=1
	s_and_not1_saveexec_b32 s15, s2
; %bb.49:                               ;   in Loop: Header=BB196_12 Depth=1
	v_and_b32_e32 v10, 0xffff, v11
	v_or_b32_e32 v13, 0x10000, v11
	s_delay_alu instid0(VALU_DEP_2) | instskip(NEXT) | instid1(VALU_DEP_1)
	v_cmp_eq_u32_e64 s2, 0, v10
	v_cndmask_b32_e64 v10, v13, v11, s2
; %bb.50:                               ;   in Loop: Header=BB196_12 Depth=1
	s_or_b32 exec_lo, exec_lo, s15
	v_mov_b32_e32 v44, v46
	s_delay_alu instid0(VALU_DEP_1) | instskip(NEXT) | instid1(VALU_DEP_1)
	v_lshlrev_b64 v[13:14], 1, v[43:44]
	v_add_co_u32 v13, s2, s31, v13
	s_delay_alu instid0(VALU_DEP_1) | instskip(SKIP_3) | instid1(VALU_DEP_1)
	v_add_co_ci_u32_e64 v14, s2, s34, v14, s2
	global_store_d16_hi_b16 v[13:14], v10, off
	s_or_b32 exec_lo, exec_lo, s3
	v_cmp_ne_u32_e64 s2, 0, v42
	s_and_saveexec_b32 s15, s2
	s_cbranch_execz .LBB196_38
.LBB196_51:                             ;   in Loop: Header=BB196_12 Depth=1
	s_waitcnt vmcnt(3) lgkmcnt(4)
	v_dual_add_f32 v7, v7, v8 :: v_dual_lshlrev_b32 v8, 16, v15
	s_delay_alu instid0(VALU_DEP_1) | instskip(NEXT) | instid1(VALU_DEP_1)
	v_add_f32_e32 v8, v7, v8
	v_and_b32_e32 v7, 0x7f800000, v8
	s_delay_alu instid0(VALU_DEP_1) | instskip(NEXT) | instid1(VALU_DEP_1)
	v_cmp_ne_u32_e64 s3, 0x7f800000, v7
                                        ; implicit-def: $vgpr7
	s_and_saveexec_b32 s37, s3
	s_delay_alu instid0(SALU_CYCLE_1)
	s_xor_b32 s3, exec_lo, s37
; %bb.52:                               ;   in Loop: Header=BB196_12 Depth=1
	v_bfe_u32 v7, v8, 16, 1
	s_delay_alu instid0(VALU_DEP_1)
	v_add3_u32 v7, v8, v7, 0x7fff
                                        ; implicit-def: $vgpr8
; %bb.53:                               ;   in Loop: Header=BB196_12 Depth=1
	s_and_not1_saveexec_b32 s37, s3
; %bb.54:                               ;   in Loop: Header=BB196_12 Depth=1
	v_and_b32_e32 v7, 0xffff, v8
	v_or_b32_e32 v10, 0x10000, v8
	s_delay_alu instid0(VALU_DEP_2) | instskip(NEXT) | instid1(VALU_DEP_1)
	v_cmp_eq_u32_e64 s3, 0, v7
	v_cndmask_b32_e64 v7, v10, v8, s3
; %bb.55:                               ;   in Loop: Header=BB196_12 Depth=1
	s_or_b32 exec_lo, exec_lo, s37
	s_waitcnt lgkmcnt(2)
	v_lshlrev_b64 v[10:11], 1, v[45:46]
	s_delay_alu instid0(VALU_DEP_1) | instskip(NEXT) | instid1(VALU_DEP_1)
	v_add_co_u32 v10, s3, s12, v10
	v_add_co_ci_u32_e64 v11, s3, s13, v11, s3
	global_store_d16_hi_b16 v[10:11], v7, off
	s_or_b32 exec_lo, exec_lo, s15
	v_add_nc_u32_e32 v45, s19, v43
	s_and_saveexec_b32 s3, vcc_lo
	s_cbranch_execz .LBB196_39
.LBB196_56:                             ;   in Loop: Header=BB196_12 Depth=1
	s_waitcnt vmcnt(2) lgkmcnt(1)
	v_dual_add_f32 v4, v4, v5 :: v_dual_lshlrev_b32 v5, 16, v12
	s_delay_alu instid0(VALU_DEP_1) | instskip(NEXT) | instid1(VALU_DEP_1)
	v_add_f32_e32 v5, v4, v5
	v_and_b32_e32 v4, 0x7f800000, v5
	s_delay_alu instid0(VALU_DEP_1) | instskip(SKIP_1) | instid1(SALU_CYCLE_1)
	v_cmp_ne_u32_e32 vcc_lo, 0x7f800000, v4
                                        ; implicit-def: $vgpr4
	s_and_saveexec_b32 s15, vcc_lo
	s_xor_b32 s15, exec_lo, s15
; %bb.57:                               ;   in Loop: Header=BB196_12 Depth=1
	v_bfe_u32 v4, v5, 16, 1
	s_delay_alu instid0(VALU_DEP_1)
	v_add3_u32 v4, v5, v4, 0x7fff
                                        ; implicit-def: $vgpr5
; %bb.58:                               ;   in Loop: Header=BB196_12 Depth=1
	s_and_not1_saveexec_b32 s15, s15
; %bb.59:                               ;   in Loop: Header=BB196_12 Depth=1
	v_and_b32_e32 v4, 0xffff, v5
	v_or_b32_e32 v7, 0x10000, v5
	s_delay_alu instid0(VALU_DEP_2) | instskip(NEXT) | instid1(VALU_DEP_2)
	v_cmp_eq_u32_e32 vcc_lo, 0, v4
	v_cndmask_b32_e32 v4, v7, v5, vcc_lo
; %bb.60:                               ;   in Loop: Header=BB196_12 Depth=1
	s_or_b32 exec_lo, exec_lo, s15
	v_lshlrev_b64 v[7:8], 1, v[45:46]
	s_delay_alu instid0(VALU_DEP_1) | instskip(NEXT) | instid1(VALU_DEP_2)
	v_add_co_u32 v7, vcc_lo, s12, v7
	v_add_co_ci_u32_e32 v8, vcc_lo, s13, v8, vcc_lo
	global_store_d16_hi_b16 v[7:8], v4, off
	s_or_b32 exec_lo, exec_lo, s3
	s_and_saveexec_b32 s3, s1
	s_cbranch_execz .LBB196_40
.LBB196_61:                             ;   in Loop: Header=BB196_12 Depth=1
	s_waitcnt vmcnt(1) lgkmcnt(3)
	v_dual_add_f32 v2, v2, v3 :: v_dual_lshlrev_b32 v3, 16, v9
	s_delay_alu instid0(VALU_DEP_1) | instskip(NEXT) | instid1(VALU_DEP_1)
	v_add_f32_e32 v3, v2, v3
	v_and_b32_e32 v2, 0x7f800000, v3
	s_delay_alu instid0(VALU_DEP_1) | instskip(SKIP_1) | instid1(SALU_CYCLE_1)
	v_cmp_ne_u32_e32 vcc_lo, 0x7f800000, v2
                                        ; implicit-def: $vgpr2
	s_and_saveexec_b32 s1, vcc_lo
	s_xor_b32 s1, exec_lo, s1
; %bb.62:                               ;   in Loop: Header=BB196_12 Depth=1
	v_bfe_u32 v2, v3, 16, 1
	s_delay_alu instid0(VALU_DEP_1)
	v_add3_u32 v2, v3, v2, 0x7fff
                                        ; implicit-def: $vgpr3
; %bb.63:                               ;   in Loop: Header=BB196_12 Depth=1
	s_and_not1_saveexec_b32 s1, s1
; %bb.64:                               ;   in Loop: Header=BB196_12 Depth=1
	v_and_b32_e32 v2, 0xffff, v3
	v_or_b32_e32 v4, 0x10000, v3
	s_delay_alu instid0(VALU_DEP_2) | instskip(NEXT) | instid1(VALU_DEP_2)
	v_cmp_eq_u32_e32 vcc_lo, 0, v2
	v_cndmask_b32_e32 v2, v4, v3, vcc_lo
; %bb.65:                               ;   in Loop: Header=BB196_12 Depth=1
	s_or_b32 exec_lo, exec_lo, s1
	v_dual_mov_b32 v4, v46 :: v_dual_add_nc_u32 v3, 1, v45
	s_delay_alu instid0(VALU_DEP_1) | instskip(NEXT) | instid1(VALU_DEP_1)
	v_lshlrev_b64 v[3:4], 1, v[3:4]
	v_add_co_u32 v3, vcc_lo, s12, v3
	s_delay_alu instid0(VALU_DEP_2) | instskip(SKIP_2) | instid1(SALU_CYCLE_1)
	v_add_co_ci_u32_e32 v4, vcc_lo, s13, v4, vcc_lo
	global_store_d16_hi_b16 v[3:4], v2, off
	s_or_b32 exec_lo, exec_lo, s3
	s_and_b32 exec_lo, exec_lo, s2
	s_cbranch_execz .LBB196_71
.LBB196_66:                             ;   in Loop: Header=BB196_12 Depth=1
	s_waitcnt vmcnt(0) lgkmcnt(0)
	v_dual_add_f32 v0, v0, v1 :: v_dual_lshlrev_b32 v1, 16, v6
	s_delay_alu instid0(VALU_DEP_1) | instskip(NEXT) | instid1(VALU_DEP_1)
	v_add_f32_e32 v1, v0, v1
	v_and_b32_e32 v0, 0x7f800000, v1
	s_delay_alu instid0(VALU_DEP_1) | instskip(SKIP_1) | instid1(SALU_CYCLE_1)
	v_cmp_ne_u32_e32 vcc_lo, 0x7f800000, v0
                                        ; implicit-def: $vgpr0
	s_and_saveexec_b32 s1, vcc_lo
	s_xor_b32 s1, exec_lo, s1
; %bb.67:                               ;   in Loop: Header=BB196_12 Depth=1
	v_bfe_u32 v0, v1, 16, 1
	s_delay_alu instid0(VALU_DEP_1)
	v_add3_u32 v0, v1, v0, 0x7fff
                                        ; implicit-def: $vgpr1
; %bb.68:                               ;   in Loop: Header=BB196_12 Depth=1
	s_and_not1_saveexec_b32 s1, s1
; %bb.69:                               ;   in Loop: Header=BB196_12 Depth=1
	v_and_b32_e32 v0, 0xffff, v1
	v_or_b32_e32 v2, 0x10000, v1
	s_delay_alu instid0(VALU_DEP_2) | instskip(NEXT) | instid1(VALU_DEP_2)
	v_cmp_eq_u32_e32 vcc_lo, 0, v0
	v_cndmask_b32_e32 v0, v2, v1, vcc_lo
; %bb.70:                               ;   in Loop: Header=BB196_12 Depth=1
	s_or_b32 exec_lo, exec_lo, s1
	v_add_nc_u32_e32 v45, 2, v45
	s_delay_alu instid0(VALU_DEP_1) | instskip(NEXT) | instid1(VALU_DEP_1)
	v_lshlrev_b64 v[1:2], 1, v[45:46]
	v_add_co_u32 v1, vcc_lo, s12, v1
	s_delay_alu instid0(VALU_DEP_2)
	v_add_co_ci_u32_e32 v2, vcc_lo, s13, v2, vcc_lo
	global_store_d16_hi_b16 v[1:2], v0, off
.LBB196_71:                             ;   in Loop: Header=BB196_12 Depth=1
	s_or_b32 exec_lo, exec_lo, s14
	v_add_nc_u32_e32 v43, s21, v43
	s_delay_alu instid0(VALU_DEP_1) | instskip(SKIP_1) | instid1(VALU_DEP_2)
	v_add_nc_u32_e32 v0, 3, v43
	v_cmp_gt_u32_e32 vcc_lo, s19, v43
	v_cmp_le_u32_e64 s1, s19, v0
	s_delay_alu instid0(VALU_DEP_1) | instskip(NEXT) | instid1(SALU_CYCLE_1)
	s_and_b32 s1, vcc_lo, s1
	s_and_saveexec_b32 s37, s1
	s_cbranch_execz .LBB196_10
; %bb.72:                               ;   in Loop: Header=BB196_12 Depth=1
	s_mov_b32 s38, exec_lo
	v_cmpx_ne_u32_e64 s5, v43
	s_cbranch_execz .LBB196_9
; %bb.73:                               ;   in Loop: Header=BB196_12 Depth=1
	v_subrev_nc_u32_e32 v0, s5, v43
	s_mov_b32 s39, 0
	s_mov_b64 s[14:15], 0
	s_delay_alu instid0(VALU_DEP_1)
	v_cmp_lt_u32_e32 vcc_lo, 1, v0
	v_cndmask_b32_e32 v0, 1, v0, vcc_lo
	.p2align	6
.LBB196_74:                             ;   Parent Loop BB196_12 Depth=1
                                        ; =>  This Inner Loop Header: Depth=2
	s_cmp_lg_u32 s14, 2
	s_cselect_b32 vcc_lo, -1, 0
	s_cmp_lg_u32 s14, 1
	v_cndmask_b32_e32 v42, 0, v42, vcc_lo
	s_cselect_b32 s1, -1, 0
	s_cmp_lg_u32 s14, 0
	v_cndmask_b32_e64 v41, 0, v41, s1
	s_cselect_b32 s2, -1, 0
	s_add_u32 s14, s14, 1
	v_cndmask_b32_e64 v40, 0, v40, s2
	v_cmp_eq_u32_e64 s3, s14, v0
	s_addc_u32 s15, s15, 0
	s_delay_alu instid0(VALU_DEP_1) | instskip(NEXT) | instid1(SALU_CYCLE_1)
	s_or_b32 s39, s3, s39
	s_and_not1_b32 exec_lo, exec_lo, s39
	s_cbranch_execnz .LBB196_74
; %bb.75:                               ;   in Loop: Header=BB196_12 Depth=1
	s_or_b32 exec_lo, exec_lo, s39
	s_branch .LBB196_9
.LBB196_76:
	s_nop 0
	s_sendmsg sendmsg(MSG_DEALLOC_VGPRS)
	s_endpgm
	.section	.rodata,"a",@progbits
	.p2align	6, 0x0
	.amdhsa_kernel _Z16wvSplitK_hf_big_I14__hip_bfloat16Li32ELi3ELi16ELi8ELi2ELi2EEviiiiiiPKT_S3_S3_PS1_ii
		.amdhsa_group_segment_fixed_size 65536
		.amdhsa_private_segment_fixed_size 0
		.amdhsa_kernarg_size 64
		.amdhsa_user_sgpr_count 15
		.amdhsa_user_sgpr_dispatch_ptr 0
		.amdhsa_user_sgpr_queue_ptr 0
		.amdhsa_user_sgpr_kernarg_segment_ptr 1
		.amdhsa_user_sgpr_dispatch_id 0
		.amdhsa_user_sgpr_private_segment_size 0
		.amdhsa_wavefront_size32 1
		.amdhsa_uses_dynamic_stack 0
		.amdhsa_enable_private_segment 0
		.amdhsa_system_sgpr_workgroup_id_x 1
		.amdhsa_system_sgpr_workgroup_id_y 0
		.amdhsa_system_sgpr_workgroup_id_z 0
		.amdhsa_system_sgpr_workgroup_info 0
		.amdhsa_system_vgpr_workitem_id 1
		.amdhsa_next_free_vgpr 78
		.amdhsa_next_free_sgpr 40
		.amdhsa_reserve_vcc 1
		.amdhsa_float_round_mode_32 0
		.amdhsa_float_round_mode_16_64 0
		.amdhsa_float_denorm_mode_32 3
		.amdhsa_float_denorm_mode_16_64 3
		.amdhsa_dx10_clamp 1
		.amdhsa_ieee_mode 1
		.amdhsa_fp16_overflow 0
		.amdhsa_workgroup_processor_mode 1
		.amdhsa_memory_ordered 1
		.amdhsa_forward_progress 0
		.amdhsa_shared_vgpr_count 0
		.amdhsa_exception_fp_ieee_invalid_op 0
		.amdhsa_exception_fp_denorm_src 0
		.amdhsa_exception_fp_ieee_div_zero 0
		.amdhsa_exception_fp_ieee_overflow 0
		.amdhsa_exception_fp_ieee_underflow 0
		.amdhsa_exception_fp_ieee_inexact 0
		.amdhsa_exception_int_div_zero 0
	.end_amdhsa_kernel
	.section	.text._Z16wvSplitK_hf_big_I14__hip_bfloat16Li32ELi3ELi16ELi8ELi2ELi2EEviiiiiiPKT_S3_S3_PS1_ii,"axG",@progbits,_Z16wvSplitK_hf_big_I14__hip_bfloat16Li32ELi3ELi16ELi8ELi2ELi2EEviiiiiiPKT_S3_S3_PS1_ii,comdat
.Lfunc_end196:
	.size	_Z16wvSplitK_hf_big_I14__hip_bfloat16Li32ELi3ELi16ELi8ELi2ELi2EEviiiiiiPKT_S3_S3_PS1_ii, .Lfunc_end196-_Z16wvSplitK_hf_big_I14__hip_bfloat16Li32ELi3ELi16ELi8ELi2ELi2EEviiiiiiPKT_S3_S3_PS1_ii
                                        ; -- End function
	.section	.AMDGPU.csdata,"",@progbits
; Kernel info:
; codeLenInByte = 5152
; NumSgprs: 42
; NumVgprs: 78
; ScratchSize: 0
; MemoryBound: 0
; FloatMode: 240
; IeeeMode: 1
; LDSByteSize: 65536 bytes/workgroup (compile time only)
; SGPRBlocks: 5
; VGPRBlocks: 9
; NumSGPRsForWavesPerEU: 42
; NumVGPRsForWavesPerEU: 78
; Occupancy: 8
; WaveLimiterHint : 0
; COMPUTE_PGM_RSRC2:SCRATCH_EN: 0
; COMPUTE_PGM_RSRC2:USER_SGPR: 15
; COMPUTE_PGM_RSRC2:TRAP_HANDLER: 0
; COMPUTE_PGM_RSRC2:TGID_X_EN: 1
; COMPUTE_PGM_RSRC2:TGID_Y_EN: 0
; COMPUTE_PGM_RSRC2:TGID_Z_EN: 0
; COMPUTE_PGM_RSRC2:TIDIG_COMP_CNT: 1
	.section	.text._Z16wvSplitK_hf_sml_I14__hip_bfloat16Li32ELi4ELi16ELi8ELi1ELi2EEviiiiiiPKT_S3_S3_PS1_ii,"axG",@progbits,_Z16wvSplitK_hf_sml_I14__hip_bfloat16Li32ELi4ELi16ELi8ELi1ELi2EEviiiiiiPKT_S3_S3_PS1_ii,comdat
	.protected	_Z16wvSplitK_hf_sml_I14__hip_bfloat16Li32ELi4ELi16ELi8ELi1ELi2EEviiiiiiPKT_S3_S3_PS1_ii ; -- Begin function _Z16wvSplitK_hf_sml_I14__hip_bfloat16Li32ELi4ELi16ELi8ELi1ELi2EEviiiiiiPKT_S3_S3_PS1_ii
	.globl	_Z16wvSplitK_hf_sml_I14__hip_bfloat16Li32ELi4ELi16ELi8ELi1ELi2EEviiiiiiPKT_S3_S3_PS1_ii
	.p2align	8
	.type	_Z16wvSplitK_hf_sml_I14__hip_bfloat16Li32ELi4ELi16ELi8ELi1ELi2EEviiiiiiPKT_S3_S3_PS1_ii,@function
_Z16wvSplitK_hf_sml_I14__hip_bfloat16Li32ELi4ELi16ELi8ELi1ELi2EEviiiiiiPKT_S3_S3_PS1_ii: ; @_Z16wvSplitK_hf_sml_I14__hip_bfloat16Li32ELi4ELi16ELi8ELi1ELi2EEviiiiiiPKT_S3_S3_PS1_ii
; %bb.0:
	s_load_b128 s[4:7], s[0:1], 0x0
	v_and_b32_e32 v1, 0x3ff, v0
	v_bfe_u32 v0, v0, 10, 10
	s_mov_b32 s8, exec_lo
	s_delay_alu instid0(VALU_DEP_2) | instskip(NEXT) | instid1(VALU_DEP_1)
	v_lshlrev_b32_e32 v35, 3, v1
	v_lshl_add_u32 v3, v0, 8, v35
	s_waitcnt lgkmcnt(0)
	s_lshl_b32 s6, s6, 1
	s_delay_alu instid0(SALU_CYCLE_1)
	s_min_u32 s9, s6, 0x8000
	s_delay_alu instid0(VALU_DEP_1) | instid1(SALU_CYCLE_1)
	v_cmpx_gt_u32_e64 s9, v3
	s_cbranch_execz .LBB197_9
; %bb.1:
	s_load_b64 s[2:3], s[0:1], 0x20
	v_lshlrev_b32_e32 v2, 1, v3
	v_add_nc_u32_e32 v8, 0x1000, v3
	s_mov_b32 s10, exec_lo
	s_waitcnt lgkmcnt(0)
	global_load_b128 v[4:7], v2, s[2:3]
	s_waitcnt vmcnt(0)
	ds_store_b128 v2, v[4:7]
	v_cmpx_gt_u32_e64 s9, v8
	s_xor_b32 s10, exec_lo, s10
	s_cbranch_execz .LBB197_9
; %bb.2:
	v_add_co_u32 v4, s2, s2, v2
	s_delay_alu instid0(VALU_DEP_1) | instskip(SKIP_1) | instid1(VALU_DEP_3)
	v_add_co_ci_u32_e64 v5, null, s3, 0, s2
	v_add_nc_u32_e32 v10, 0x2000, v3
	v_add_co_u32 v6, vcc_lo, 0x2000, v4
	s_delay_alu instid0(VALU_DEP_3)
	v_add_co_ci_u32_e32 v7, vcc_lo, 0, v5, vcc_lo
	s_mov_b32 s2, exec_lo
	global_load_b128 v[6:9], v[6:7], off
	s_waitcnt vmcnt(0)
	ds_store_b128 v2, v[6:9] offset:8192
	v_cmpx_gt_u32_e64 s9, v10
	s_xor_b32 s2, exec_lo, s2
	s_cbranch_execz .LBB197_9
; %bb.3:
	v_add_co_u32 v6, vcc_lo, 0x4000, v4
	v_add_co_ci_u32_e32 v7, vcc_lo, 0, v5, vcc_lo
	v_add_nc_u32_e32 v10, 0x3000, v3
	s_mov_b32 s2, exec_lo
	global_load_b128 v[6:9], v[6:7], off
	s_waitcnt vmcnt(0)
	ds_store_b128 v2, v[6:9] offset:16384
	v_cmpx_gt_u32_e64 s9, v10
	s_xor_b32 s2, exec_lo, s2
	s_cbranch_execz .LBB197_9
; %bb.4:
	v_add_co_u32 v6, vcc_lo, 0x6000, v4
	v_add_co_ci_u32_e32 v7, vcc_lo, 0, v5, vcc_lo
	v_add_nc_u32_e32 v10, 0x4000, v3
	;; [unrolled: 11-line block ×5, first 2 shown]
	s_mov_b32 s2, exec_lo
	global_load_b128 v[6:9], v[6:7], off
	s_waitcnt vmcnt(0)
	ds_store_b128 v2, v[6:9] offset:49152
	v_cmpx_gt_u32_e64 s9, v3
	s_xor_b32 s2, exec_lo, s2
	s_cbranch_execz .LBB197_9
; %bb.8:
	v_add_co_u32 v3, vcc_lo, 0xe000, v4
	v_add_co_ci_u32_e32 v4, vcc_lo, 0, v5, vcc_lo
	global_load_b128 v[3:6], v[3:4], off
	s_waitcnt vmcnt(0)
	ds_store_b128 v2, v[3:6] offset:57344
.LBB197_9:
	s_or_b32 exec_lo, exec_lo, s8
	s_load_b64 s[16:17], s[0:1], 0x38
	s_waitcnt lgkmcnt(0)
	s_barrier
	buffer_gl0_inv
	s_mov_b32 s2, exec_lo
	v_cmpx_gt_u32_e64 s16, v0
	s_cbranch_execz .LBB197_54
; %bb.10:
	s_load_b64 s[2:3], s[0:1], 0x10
	s_mul_i32 s15, s15, s16
	s_delay_alu instid0(SALU_CYCLE_1) | instskip(NEXT) | instid1(VALU_DEP_1)
	v_add_lshl_u32 v24, s15, v0, 2
	v_cmp_gt_u32_e32 vcc_lo, s7, v24
	s_and_b32 exec_lo, exec_lo, vcc_lo
	s_cbranch_execz .LBB197_54
; %bb.11:
	s_waitcnt lgkmcnt(0)
	v_cvt_f32_u32_e32 v0, s2
	s_clause 0x1
	s_load_b128 s[8:11], s[0:1], 0x28
	s_load_b64 s[12:13], s[0:1], 0x18
	v_mbcnt_lo_u32_b32 v2, -1, 0
	s_cmp_lg_u32 s4, 0
	v_rcp_iflag_f32_e32 v0, v0
	s_cselect_b32 s1, -1, 0
	s_add_i32 s14, s4, -8
	v_xor_b32_e32 v3, 16, v2
	s_add_i32 s15, s7, -1
	s_mul_i32 s17, s16, s17
	v_lshlrev_b32_e32 v36, 4, v1
	s_delay_alu instid0(VALU_DEP_2) | instskip(SKIP_2) | instid1(VALU_DEP_1)
	v_cmp_gt_i32_e32 vcc_lo, 32, v3
	s_waitcnt_depctr 0xfff
	v_mul_f32_e32 v0, 0x4f7ffffe, v0
	v_cvt_u32_f32_e32 v0, v0
	s_waitcnt lgkmcnt(0)
	s_cmp_lg_u64 s[8:9], 0
	s_cselect_b32 s16, -1, 0
	s_sub_i32 s0, 0, s2
	s_abs_i32 s3, s3
	v_mul_lo_u32 v4, s0, v0
	v_cmp_eq_u32_e64 s0, 31, v1
	v_cndmask_b32_e32 v1, v2, v3, vcc_lo
	s_lshl_b32 s17, s17, 2
	s_sub_i32 s18, 1, s3
	s_cmp_lt_u32 s3, 2
	s_delay_alu instid0(VALU_DEP_1) | instskip(NEXT) | instid1(VALU_DEP_4)
	v_dual_mov_b32 v26, 0 :: v_dual_lshlrev_b32 v37, 2, v1
	v_mul_hi_u32 v2, v0, v4
	s_cselect_b32 s18, s18, 1
	s_delay_alu instid0(SALU_CYCLE_1) | instskip(SKIP_3) | instid1(VALU_DEP_1)
	s_sub_i32 s19, s18, s3
	s_cmp_ge_u32 s18, s3
	s_mov_b32 s3, 0
	s_cselect_b32 s18, s19, s18
	v_add_nc_u32_e32 v38, v0, v2
	s_mul_i32 s18, s18, s2
	s_branch .LBB197_14
.LBB197_12:                             ;   in Loop: Header=BB197_14 Depth=1
	s_or_b32 exec_lo, exec_lo, s20
	v_add_nc_u32_e32 v25, 3, v25
	s_delay_alu instid0(VALU_DEP_1) | instskip(NEXT) | instid1(VALU_DEP_1)
	v_lshlrev_b64 v[1:2], 1, v[25:26]
	v_add_co_u32 v1, vcc_lo, s10, v1
	s_delay_alu instid0(VALU_DEP_2)
	v_add_co_ci_u32_e32 v2, vcc_lo, s11, v2, vcc_lo
	global_store_d16_hi_b16 v[1:2], v0, off
.LBB197_13:                             ;   in Loop: Header=BB197_14 Depth=1
	s_or_b32 exec_lo, exec_lo, s19
	v_add_nc_u32_e32 v24, s17, v24
	s_delay_alu instid0(VALU_DEP_1) | instskip(SKIP_1) | instid1(SALU_CYCLE_1)
	v_cmp_le_u32_e32 vcc_lo, s7, v24
	s_or_b32 s3, vcc_lo, s3
	s_and_not1_b32 exec_lo, exec_lo, s3
	s_cbranch_execz .LBB197_54
.LBB197_14:                             ; =>This Loop Header: Depth=1
                                        ;     Child Loop BB197_17 Depth 2
	v_mov_b32_e32 v39, v26
	v_mov_b32_e32 v40, v26
	;; [unrolled: 1-line block ×8, first 2 shown]
	s_and_not1_b32 vcc_lo, exec_lo, s1
	s_cbranch_vccnz .LBB197_19
; %bb.15:                               ;   in Loop: Header=BB197_14 Depth=1
	v_or_b32_e32 v0, 1, v24
	s_waitcnt lgkmcnt(5)
	v_or_b32_e32 v1, 2, v24
	v_or_b32_e32 v2, 3, v24
	s_waitcnt lgkmcnt(4)
	v_min_u32_e32 v3, s15, v24
	s_waitcnt lgkmcnt(0)
	v_dual_mov_b32 v5, v26 :: v_dual_mov_b32 v42, 0
	v_min_u32_e32 v0, s15, v0
	v_min_u32_e32 v1, s15, v1
	;; [unrolled: 1-line block ×3, first 2 shown]
	v_mul_lo_u32 v25, v3, s5
	v_dual_mov_b32 v3, v26 :: v_dual_mov_b32 v44, 0
	v_mul_lo_u32 v0, v0, s5
	v_mul_lo_u32 v2, v1, s5
	;; [unrolled: 1-line block ×3, first 2 shown]
	v_dual_mov_b32 v1, v26 :: v_dual_mov_b32 v46, v36
	v_lshlrev_b64 v[27:28], 1, v[25:26]
	v_dual_mov_b32 v47, 0 :: v_dual_mov_b32 v40, 0
	s_delay_alu instid0(VALU_DEP_3)
	v_lshlrev_b64 v[29:30], 1, v[0:1]
	v_lshlrev_b64 v[31:32], 1, v[2:3]
	;; [unrolled: 1-line block ×3, first 2 shown]
	v_mov_b32_e32 v45, 0
	v_mov_b32_e32 v43, 0
	;; [unrolled: 1-line block ×4, first 2 shown]
	s_mov_b32 s19, 0
	s_branch .LBB197_17
.LBB197_16:                             ;   in Loop: Header=BB197_17 Depth=2
	s_or_b32 exec_lo, exec_lo, s20
	s_waitcnt vmcnt(3)
	v_and_b32_e32 v48, 0xffff0000, v16
	v_and_b32_e32 v50, 0xffff0000, v17
	s_waitcnt lgkmcnt(1)
	v_and_b32_e32 v53, 0xffff0000, v22
	v_and_b32_e32 v60, 0xffff0000, v19
	s_waitcnt vmcnt(1)
	v_and_b32_e32 v61, 0xffff0000, v8
	s_waitcnt vmcnt(0)
	v_and_b32_e32 v67, 0xffff0000, v5
	v_and_b32_e32 v65, 0xffff0000, v4
	v_lshlrev_b32_e32 v8, 16, v8
	v_lshlrev_b32_e32 v19, 16, v19
	v_and_b32_e32 v59, 0xffff0000, v14
	v_and_b32_e32 v55, 0xffff0000, v12
	;; [unrolled: 1-line block ×5, first 2 shown]
	v_lshlrev_b32_e32 v20, 16, v20
	v_lshlrev_b32_e32 v22, 16, v22
	v_mul_f32_e32 v52, v49, v50
	v_dual_mul_f32 v51, v25, v48 :: v_dual_lshlrev_b32 v18, 16, v18
	v_lshlrev_b32_e32 v16, 16, v16
	v_dual_mul_f32 v56, v25, v55 :: v_dual_lshlrev_b32 v17, 16, v17
	v_lshlrev_b32_e32 v12, 16, v12
	s_delay_alu instid0(VALU_DEP_3) | instskip(SKIP_2) | instid1(SALU_CYCLE_1)
	v_dual_fmac_f32 v51, v20, v16 :: v_dual_lshlrev_b32 v14, 16, v14
	v_add_nc_u32_e32 v46, 0x200, v46
	s_addk_i32 s19, 0x100
	s_cmp_ge_u32 s19, s4
	s_delay_alu instid0(VALU_DEP_2) | instskip(SKIP_2) | instid1(VALU_DEP_1)
	v_add_f32_e32 v47, v47, v51
	v_mul_f32_e32 v51, v53, v54
	v_dual_fmac_f32 v56, v20, v12 :: v_dual_lshlrev_b32 v21, 16, v21
	v_dual_fmac_f32 v52, v21, v17 :: v_dual_and_b32 v63, 0xffff0000, v15
	s_delay_alu instid0(VALU_DEP_2) | instskip(NEXT) | instid1(VALU_DEP_4)
	v_add_f32_e32 v45, v45, v56
	v_fmac_f32_e32 v51, v22, v18
	s_delay_alu instid0(VALU_DEP_3) | instskip(SKIP_1) | instid1(VALU_DEP_2)
	v_dual_add_f32 v47, v47, v52 :: v_dual_and_b32 v52, 0xffff0000, v13
	v_lshlrev_b32_e32 v13, 16, v13
	v_dual_add_f32 v47, v47, v51 :: v_dual_mul_f32 v58, v49, v52
	s_delay_alu instid0(VALU_DEP_1) | instskip(SKIP_2) | instid1(VALU_DEP_3)
	v_fmac_f32_e32 v58, v21, v13
	v_mul_f32_e32 v56, v53, v59
	v_and_b32_e32 v57, 0xffff0000, v23
	v_add_f32_e32 v45, v45, v58
	s_delay_alu instid0(VALU_DEP_3) | instskip(NEXT) | instid1(VALU_DEP_3)
	v_dual_fmac_f32 v56, v22, v14 :: v_dual_and_b32 v51, 0xffff0000, v9
	v_mul_f32_e32 v64, v57, v63
	s_delay_alu instid0(VALU_DEP_2) | instskip(NEXT) | instid1(VALU_DEP_3)
	v_add_f32_e32 v45, v45, v56
	v_mul_f32_e32 v56, v49, v51
	v_dual_mul_f32 v58, v25, v61 :: v_dual_lshlrev_b32 v23, 16, v23
	s_delay_alu instid0(VALU_DEP_1) | instskip(NEXT) | instid1(VALU_DEP_1)
	v_dual_mul_f32 v25, v25, v65 :: v_dual_fmac_f32 v58, v20, v8
	v_dual_add_f32 v43, v43, v58 :: v_dual_mul_f32 v62, v57, v60
	s_delay_alu instid0(VALU_DEP_1) | instskip(NEXT) | instid1(VALU_DEP_1)
	v_fmac_f32_e32 v62, v23, v19
	v_dual_add_f32 v47, v47, v62 :: v_dual_lshlrev_b32 v4, 16, v4
	s_delay_alu instid0(VALU_DEP_1) | instskip(SKIP_2) | instid1(VALU_DEP_3)
	v_dual_fmac_f32 v25, v20, v4 :: v_dual_and_b32 v58, 0xffff0000, v10
	v_lshlrev_b32_e32 v9, 16, v9
	v_lshlrev_b32_e32 v10, 16, v10
	v_dual_mul_f32 v66, v53, v58 :: v_dual_add_f32 v25, v44, v25
	s_delay_alu instid0(VALU_DEP_3) | instskip(NEXT) | instid1(VALU_DEP_2)
	v_dual_fmac_f32 v56, v21, v9 :: v_dual_lshlrev_b32 v15, 16, v15
	v_dual_fmac_f32 v66, v22, v10 :: v_dual_lshlrev_b32 v5, 16, v5
	s_delay_alu instid0(VALU_DEP_2) | instskip(NEXT) | instid1(VALU_DEP_3)
	v_add_f32_e32 v43, v43, v56
	v_fmac_f32_e32 v64, v23, v15
	s_delay_alu instid0(VALU_DEP_2) | instskip(NEXT) | instid1(VALU_DEP_2)
	v_dual_add_f32 v43, v43, v66 :: v_dual_and_b32 v56, 0xffff0000, v11
	v_add_f32_e32 v45, v45, v64
	s_delay_alu instid0(VALU_DEP_2) | instskip(SKIP_1) | instid1(VALU_DEP_1)
	v_mul_f32_e32 v68, v57, v56
	v_mul_f32_e32 v20, v49, v67
	v_dual_fmac_f32 v20, v21, v5 :: v_dual_lshlrev_b32 v11, 16, v11
	s_waitcnt lgkmcnt(0)
	s_delay_alu instid0(VALU_DEP_1) | instskip(NEXT) | instid1(VALU_DEP_2)
	v_dual_fmac_f32 v68, v23, v11 :: v_dual_and_b32 v21, 0xffff0000, v0
	v_dual_add_f32 v20, v25, v20 :: v_dual_and_b32 v25, 0xffff0000, v6
	s_delay_alu instid0(VALU_DEP_2) | instskip(SKIP_1) | instid1(VALU_DEP_4)
	v_dual_add_f32 v43, v43, v68 :: v_dual_lshlrev_b32 v6, 16, v6
	v_lshlrev_b32_e32 v0, 16, v0
	v_mul_f32_e32 v44, v21, v48
	s_delay_alu instid0(VALU_DEP_4) | instskip(SKIP_2) | instid1(VALU_DEP_4)
	v_mul_f32_e32 v49, v53, v25
	v_and_b32_e32 v53, 0xffff0000, v7
	v_and_b32_e32 v48, 0xffff0000, v1
	v_dual_fmac_f32 v44, v0, v16 :: v_dual_lshlrev_b32 v1, 16, v1
	s_delay_alu instid0(VALU_DEP_4) | instskip(NEXT) | instid1(VALU_DEP_4)
	v_fmac_f32_e32 v49, v22, v6
	v_dual_mul_f32 v22, v57, v53 :: v_dual_lshlrev_b32 v7, 16, v7
	s_delay_alu instid0(VALU_DEP_4) | instskip(NEXT) | instid1(VALU_DEP_4)
	v_mul_f32_e32 v16, v48, v50
	v_add_f32_e32 v42, v42, v44
	s_delay_alu instid0(VALU_DEP_2) | instskip(SKIP_3) | instid1(VALU_DEP_3)
	v_fmac_f32_e32 v16, v1, v17
	v_mul_f32_e32 v17, v21, v55
	v_dual_fmac_f32 v22, v23, v7 :: v_dual_and_b32 v23, 0xffff0000, v2
	v_add_f32_e32 v20, v20, v49
	v_dual_fmac_f32 v17, v0, v12 :: v_dual_lshlrev_b32 v2, 16, v2
	v_mul_f32_e32 v12, v48, v52
	v_add_f32_e32 v16, v42, v16
	v_and_b32_e32 v44, 0xffff0000, v3
	v_lshlrev_b32_e32 v3, 16, v3
	v_add_f32_e32 v17, v41, v17
	v_dual_fmac_f32 v12, v1, v13 :: v_dual_mul_f32 v13, v23, v59
	s_delay_alu instid0(VALU_DEP_1) | instskip(SKIP_1) | instid1(VALU_DEP_3)
	v_add_f32_e32 v12, v17, v12
	v_mul_f32_e32 v17, v21, v65
	v_dual_fmac_f32 v13, v2, v14 :: v_dual_mul_f32 v14, v21, v61
	s_delay_alu instid0(VALU_DEP_2) | instskip(NEXT) | instid1(VALU_DEP_2)
	v_dual_mul_f32 v42, v23, v54 :: v_dual_fmac_f32 v17, v0, v4
	v_fmac_f32_e32 v14, v0, v8
	v_mul_f32_e32 v8, v48, v51
	v_mul_f32_e32 v0, v48, v67
	s_delay_alu instid0(VALU_DEP_3) | instskip(NEXT) | instid1(VALU_DEP_3)
	v_add_f32_e32 v4, v40, v14
	v_dual_fmac_f32 v8, v1, v9 :: v_dual_mul_f32 v9, v23, v58
	v_add_f32_e32 v14, v39, v17
	s_delay_alu instid0(VALU_DEP_4)
	v_fmac_f32_e32 v0, v1, v5
	v_mul_f32_e32 v1, v23, v25
	v_mul_f32_e32 v5, v44, v56
	v_add_f32_e32 v12, v12, v13
	v_dual_mul_f32 v13, v44, v63 :: v_dual_fmac_f32 v42, v2, v18
	v_dual_mul_f32 v18, v44, v60 :: v_dual_fmac_f32 v9, v2, v10
	v_dual_fmac_f32 v1, v2, v6 :: v_dual_mul_f32 v2, v44, v53
	s_delay_alu instid0(VALU_DEP_3) | instskip(NEXT) | instid1(VALU_DEP_3)
	v_dual_add_f32 v16, v16, v42 :: v_dual_fmac_f32 v13, v3, v15
	v_fmac_f32_e32 v18, v3, v19
	v_dual_fmac_f32 v5, v3, v11 :: v_dual_add_f32 v0, v14, v0
	s_delay_alu instid0(VALU_DEP_3) | instskip(SKIP_1) | instid1(VALU_DEP_4)
	v_dual_fmac_f32 v2, v3, v7 :: v_dual_add_f32 v41, v12, v13
	v_add_f32_e32 v44, v20, v22
	v_add_f32_e32 v42, v16, v18
	s_delay_alu instid0(VALU_DEP_4) | instskip(NEXT) | instid1(VALU_DEP_1)
	v_add_f32_e32 v0, v0, v1
	v_add_f32_e32 v39, v0, v2
	;; [unrolled: 1-line block ×3, first 2 shown]
	s_delay_alu instid0(VALU_DEP_1) | instskip(NEXT) | instid1(VALU_DEP_1)
	v_add_f32_e32 v4, v4, v9
	v_add_f32_e32 v40, v4, v5
	s_cbranch_scc1 .LBB197_19
.LBB197_17:                             ;   Parent Loop BB197_14 Depth=1
                                        ; =>  This Inner Loop Header: Depth=2
	v_add_nc_u32_e32 v20, s19, v35
	v_dual_mov_b32 v22, 0 :: v_dual_mov_b32 v21, 0
	v_mov_b32_e32 v23, 0
	s_delay_alu instid0(VALU_DEP_3) | instskip(NEXT) | instid1(VALU_DEP_1)
	v_min_u32_e32 v25, s14, v20
	v_lshlrev_b64 v[0:1], 1, v[25:26]
	s_delay_alu instid0(VALU_DEP_1) | instskip(NEXT) | instid1(VALU_DEP_2)
	v_add_co_u32 v6, vcc_lo, s12, v0
	v_add_co_ci_u32_e32 v7, vcc_lo, s13, v1, vcc_lo
	s_delay_alu instid0(VALU_DEP_2) | instskip(NEXT) | instid1(VALU_DEP_2)
	v_add_co_u32 v0, vcc_lo, v6, v27
	v_add_co_ci_u32_e32 v1, vcc_lo, v7, v28, vcc_lo
	v_add_co_u32 v2, vcc_lo, v6, v29
	v_add_co_ci_u32_e32 v3, vcc_lo, v7, v30, vcc_lo
	;; [unrolled: 2-line block ×4, first 2 shown]
	s_clause 0x3
	global_load_b128 v[16:19], v[0:1], off slc dlc
	global_load_b128 v[12:15], v[2:3], off slc dlc
	;; [unrolled: 1-line block ×4, first 2 shown]
	v_mov_b32_e32 v3, 0
	v_cmp_gt_u32_e32 vcc_lo, s4, v20
	v_dual_mov_b32 v2, 0 :: v_dual_mov_b32 v1, 0
	v_mov_b32_e32 v0, 0
	v_mov_b32_e32 v20, 0
	s_and_saveexec_b32 s20, vcc_lo
	s_cbranch_execz .LBB197_16
; %bb.18:                               ;   in Loop: Header=BB197_17 Depth=2
	v_add_nc_u32_e32 v0, s6, v46
	ds_load_b128 v[20:23], v46
	ds_load_b128 v[0:3], v0
	s_branch .LBB197_16
.LBB197_19:                             ;   in Loop: Header=BB197_14 Depth=1
	; sched_barrier mask(0x00000000)
	s_delay_alu instid0(VALU_DEP_1)
	v_cvt_i32_f32_e32 v0, v47
	s_waitcnt lgkmcnt(5)
	v_cvt_i32_f32_e32 v1, v45
	v_cvt_i32_f32_e32 v2, v43
	s_waitcnt lgkmcnt(4)
	v_cvt_i32_f32_e32 v3, v44
	s_waitcnt lgkmcnt(0)
	v_cvt_i32_f32_e32 v5, v41
	v_cvt_f32_i32_dpp v0, v0 row_shr:8 row_mask:0xf bank_mask:0xf bound_ctrl:1
	v_cvt_f32_i32_dpp v1, v1 row_shr:8 row_mask:0xf bank_mask:0xf bound_ctrl:1
	;; [unrolled: 1-line block ×3, first 2 shown]
	v_cvt_i32_f32_e32 v10, v39
	v_cvt_f32_i32_dpp v3, v3 row_shr:8 row_mask:0xf bank_mask:0xf bound_ctrl:1
	s_delay_alu instid0(VALU_DEP_4) | instskip(SKIP_3) | instid1(VALU_DEP_4)
	v_dual_add_f32 v0, v47, v0 :: v_dual_add_f32 v1, v45, v1
	v_cvt_f32_i32_dpp v5, v5 row_shr:8 row_mask:0xf bank_mask:0xf bound_ctrl:1
	v_cvt_i32_f32_e32 v4, v42
	v_cvt_i32_f32_e32 v6, v40
	;; [unrolled: 1-line block ×4, first 2 shown]
	v_add_f32_e32 v5, v41, v5
	v_cvt_f32_i32_dpp v4, v4 row_shr:8 row_mask:0xf bank_mask:0xf bound_ctrl:1
	v_cvt_f32_i32_dpp v6, v6 row_shr:8 row_mask:0xf bank_mask:0xf bound_ctrl:1
	;; [unrolled: 1-line block ×4, first 2 shown]
	v_add_f32_e32 v2, v43, v2
	v_cvt_i32_f32_e32 v14, v5
	v_add_f32_e32 v3, v44, v3
	s_delay_alu instid0(VALU_DEP_4) | instskip(NEXT) | instid1(VALU_DEP_4)
	v_dual_add_f32 v0, v0, v7 :: v_dual_add_f32 v1, v1, v8
	v_cvt_i32_f32_e32 v9, v2
	v_cvt_f32_i32_dpp v7, v10 row_shr:8 row_mask:0xf bank_mask:0xf bound_ctrl:1
	v_add_f32_e32 v6, v40, v6
	s_delay_alu instid0(VALU_DEP_4) | instskip(NEXT) | instid1(VALU_DEP_4)
	v_cvt_i32_f32_e32 v8, v0
	v_cvt_f32_i32_dpp v9, v9 row_shr:4 row_mask:0xf bank_mask:0xf bound_ctrl:1
	s_delay_alu instid0(VALU_DEP_4) | instskip(NEXT) | instid1(VALU_DEP_4)
	v_add_f32_e32 v7, v39, v7
	v_cvt_i32_f32_e32 v15, v6
	s_delay_alu instid0(VALU_DEP_4) | instskip(NEXT) | instid1(VALU_DEP_4)
	v_cvt_f32_i32_dpp v8, v8 row_shr:2 row_mask:0xf bank_mask:0xf bound_ctrl:1
	v_add_f32_e32 v2, v2, v9
	v_cvt_i32_f32_e32 v9, v1
	v_cvt_i32_f32_e32 v18, v7
	s_delay_alu instid0(VALU_DEP_4) | instskip(SKIP_4) | instid1(VALU_DEP_3)
	v_add_f32_e32 v0, v0, v8
	v_cvt_i32_f32_e32 v8, v3
	v_cvt_i32_f32_e32 v10, v2
	v_cvt_f32_i32_dpp v9, v9 row_shr:2 row_mask:0xf bank_mask:0xf bound_ctrl:1
	v_add_f32_e32 v4, v42, v4
	v_cvt_f32_i32_dpp v10, v10 row_shr:2 row_mask:0xf bank_mask:0xf bound_ctrl:1
	s_delay_alu instid0(VALU_DEP_3) | instskip(SKIP_1) | instid1(VALU_DEP_4)
	v_add_f32_e32 v1, v1, v9
	v_cvt_i32_f32_e32 v9, v0
	v_cvt_i32_f32_e32 v12, v4
	s_delay_alu instid0(VALU_DEP_4) | instskip(NEXT) | instid1(VALU_DEP_4)
	v_add_f32_e32 v2, v2, v10
	v_cvt_i32_f32_e32 v10, v1
	s_delay_alu instid0(VALU_DEP_4) | instskip(NEXT) | instid1(VALU_DEP_3)
	v_cvt_f32_i32_dpp v9, v9 row_shr:1 row_mask:0xf bank_mask:0xf bound_ctrl:1
	v_cvt_i32_f32_e32 v11, v2
	s_delay_alu instid0(VALU_DEP_3) | instskip(NEXT) | instid1(VALU_DEP_3)
	v_cvt_f32_i32_dpp v10, v10 row_shr:1 row_mask:0xf bank_mask:0xf bound_ctrl:1
	v_add_f32_e32 v16, v0, v9
	v_cvt_f32_i32_dpp v9, v14 row_shr:4 row_mask:0xf bank_mask:0xf bound_ctrl:1
	s_delay_alu instid0(VALU_DEP_4) | instskip(NEXT) | instid1(VALU_DEP_4)
	v_cvt_f32_i32_dpp v11, v11 row_shr:1 row_mask:0xf bank_mask:0xf bound_ctrl:1
	v_add_f32_e32 v0, v1, v10
	s_delay_alu instid0(VALU_DEP_2)
	v_add_f32_e32 v10, v2, v11
	v_cvt_f32_i32_dpp v2, v8 row_shr:4 row_mask:0xf bank_mask:0xf bound_ctrl:1
	v_cvt_f32_i32_dpp v8, v12 row_shr:4 row_mask:0xf bank_mask:0xf bound_ctrl:1
	;; [unrolled: 1-line block ×4, first 2 shown]
	ds_bpermute_b32 v13, v37, v10
	v_dual_add_f32 v2, v3, v2 :: v_dual_add_f32 v3, v4, v8
	v_dual_add_f32 v4, v5, v9 :: v_dual_add_f32 v5, v6, v11
	v_add_f32_e32 v6, v7, v12
	s_delay_alu instid0(VALU_DEP_3) | instskip(NEXT) | instid1(VALU_DEP_3)
	v_cvt_i32_f32_e32 v8, v3
	v_cvt_i32_f32_e32 v11, v5
	s_delay_alu instid0(VALU_DEP_3) | instskip(NEXT) | instid1(VALU_DEP_3)
	v_cvt_i32_f32_e32 v12, v6
	v_cvt_f32_i32_dpp v8, v8 row_shr:2 row_mask:0xf bank_mask:0xf bound_ctrl:1
	s_delay_alu instid0(VALU_DEP_3) | instskip(NEXT) | instid1(VALU_DEP_3)
	v_cvt_f32_i32_dpp v11, v11 row_shr:2 row_mask:0xf bank_mask:0xf bound_ctrl:1
	v_cvt_f32_i32_dpp v12, v12 row_shr:2 row_mask:0xf bank_mask:0xf bound_ctrl:1
	s_delay_alu instid0(VALU_DEP_3) | instskip(SKIP_4) | instid1(VALU_DEP_3)
	v_add_f32_e32 v3, v3, v8
	ds_bpermute_b32 v17, v37, v16
	v_add_f32_e32 v5, v5, v11
	v_cvt_i32_f32_e32 v7, v2
	v_cvt_i32_f32_e32 v8, v3
	;; [unrolled: 1-line block ×3, first 2 shown]
	s_delay_alu instid0(VALU_DEP_3) | instskip(NEXT) | instid1(VALU_DEP_3)
	v_cvt_f32_i32_dpp v7, v7 row_shr:2 row_mask:0xf bank_mask:0xf bound_ctrl:1
	v_cvt_f32_i32_dpp v8, v8 row_shr:1 row_mask:0xf bank_mask:0xf bound_ctrl:1
	s_delay_alu instid0(VALU_DEP_3) | instskip(NEXT) | instid1(VALU_DEP_3)
	v_cvt_f32_i32_dpp v14, v11 row_shr:1 row_mask:0xf bank_mask:0xf bound_ctrl:1
	v_add_f32_e32 v2, v2, v7
	v_add_f32_e32 v7, v6, v12
	s_delay_alu instid0(VALU_DEP_4) | instskip(SKIP_3) | instid1(VALU_DEP_2)
	v_add_f32_e32 v8, v3, v8
	ds_bpermute_b32 v1, v37, v0
	v_cvt_i32_f32_e32 v6, v2
	v_cvt_i32_f32_e32 v12, v7
	v_cvt_f32_i32_dpp v6, v6 row_shr:1 row_mask:0xf bank_mask:0xf bound_ctrl:1
	s_delay_alu instid0(VALU_DEP_2) | instskip(NEXT) | instid1(VALU_DEP_2)
	v_cvt_f32_i32_dpp v12, v12 row_shr:1 row_mask:0xf bank_mask:0xf bound_ctrl:1
	v_add_f32_e32 v11, v2, v6
	v_cvt_i32_f32_e32 v9, v4
	s_delay_alu instid0(VALU_DEP_3) | instskip(NEXT) | instid1(VALU_DEP_2)
	v_add_f32_e32 v2, v7, v12
	v_cvt_f32_i32_dpp v9, v9 row_shr:2 row_mask:0xf bank_mask:0xf bound_ctrl:1
	ds_bpermute_b32 v3, v37, v2
	v_add_f32_e32 v4, v4, v9
	s_delay_alu instid0(VALU_DEP_1) | instskip(NEXT) | instid1(VALU_DEP_1)
	v_cvt_i32_f32_e32 v9, v4
	v_cvt_f32_i32_dpp v9, v9 row_shr:1 row_mask:0xf bank_mask:0xf bound_ctrl:1
	s_delay_alu instid0(VALU_DEP_1)
	v_add_f32_e32 v6, v4, v9
	v_add_f32_e32 v4, v5, v14
	ds_bpermute_b32 v14, v37, v11
	ds_bpermute_b32 v9, v37, v8
	;; [unrolled: 1-line block ×4, first 2 shown]
	s_and_saveexec_b32 s19, s0
	s_cbranch_execz .LBB197_13
; %bb.20:                               ;   in Loop: Header=BB197_14 Depth=1
	v_dual_mov_b32 v23, 0 :: v_dual_mov_b32 v22, 0
	v_dual_mov_b32 v21, 0 :: v_dual_mov_b32 v20, 0
	v_dual_mov_b32 v19, 0 :: v_dual_mov_b32 v18, 0
	v_dual_mov_b32 v15, 0 :: v_dual_mov_b32 v12, 0
	s_and_not1_b32 vcc_lo, exec_lo, s16
	s_cbranch_vccnz .LBB197_22
; %bb.21:                               ;   in Loop: Header=BB197_14 Depth=1
	v_mul_hi_u32 v12, v24, v38
	v_or_b32_e32 v15, 1, v24
	v_or_b32_e32 v18, 2, v24
	v_or_b32_e32 v20, 3, v24
	s_delay_alu instid0(VALU_DEP_3) | instskip(NEXT) | instid1(VALU_DEP_3)
	v_mul_hi_u32 v19, v15, v38
	v_mul_hi_u32 v21, v18, v38
	v_mul_lo_u32 v12, v12, s2
	s_delay_alu instid0(VALU_DEP_4) | instskip(NEXT) | instid1(VALU_DEP_4)
	v_mul_hi_u32 v22, v20, v38
	v_mul_lo_u32 v23, v19, s2
	s_delay_alu instid0(VALU_DEP_4) | instskip(NEXT) | instid1(VALU_DEP_4)
	v_mul_lo_u32 v25, v21, s2
	v_sub_nc_u32_e32 v12, v24, v12
	s_delay_alu instid0(VALU_DEP_4) | instskip(NEXT) | instid1(VALU_DEP_2)
	v_mul_lo_u32 v22, v22, s2
	v_subrev_nc_u32_e32 v27, s2, v12
	v_sub_nc_u32_e32 v15, v15, v23
	v_cmp_le_u32_e32 vcc_lo, s2, v12
	v_mov_b32_e32 v19, v26
	v_sub_nc_u32_e32 v18, v18, v25
	v_sub_nc_u32_e32 v20, v20, v22
	v_subrev_nc_u32_e32 v22, s2, v15
	v_cndmask_b32_e32 v12, v12, v27, vcc_lo
	v_cmp_le_u32_e32 vcc_lo, s2, v15
	v_subrev_nc_u32_e32 v25, s2, v18
	v_subrev_nc_u32_e32 v27, s2, v20
	s_delay_alu instid0(VALU_DEP_4) | instskip(SKIP_4) | instid1(VALU_DEP_4)
	v_subrev_nc_u32_e32 v28, s2, v12
	v_cndmask_b32_e32 v15, v15, v22, vcc_lo
	v_cmp_le_u32_e32 vcc_lo, s2, v18
	v_cndmask_b32_e32 v22, v18, v25, vcc_lo
	v_cmp_le_u32_e32 vcc_lo, s2, v20
	v_subrev_nc_u32_e32 v18, s2, v15
	v_cndmask_b32_e32 v29, v20, v27, vcc_lo
	v_cmp_le_u32_e32 vcc_lo, s2, v12
	v_cndmask_b32_e32 v25, v12, v28, vcc_lo
	v_cmp_le_u32_e32 vcc_lo, s2, v15
	v_mov_b32_e32 v21, v26
	v_subrev_nc_u32_e32 v12, s2, v22
	s_delay_alu instid0(VALU_DEP_4) | instskip(SKIP_2) | instid1(VALU_DEP_4)
	v_lshlrev_b64 v[27:28], 1, v[25:26]
	v_cndmask_b32_e32 v18, v15, v18, vcc_lo
	v_cmp_le_u32_e32 vcc_lo, s2, v22
	v_dual_cndmask_b32 v20, v22, v12 :: v_dual_add_nc_u32 v25, s18, v25
	v_subrev_nc_u32_e32 v30, s2, v29
	v_cmp_le_u32_e32 vcc_lo, s2, v29
	v_mov_b32_e32 v23, v26
	s_delay_alu instid0(VALU_DEP_4)
	v_lshlrev_b64 v[39:40], 1, v[25:26]
	v_lshlrev_b64 v[31:32], 1, v[20:21]
	v_add_nc_u32_e32 v25, s18, v18
	v_cndmask_b32_e32 v22, v29, v30, vcc_lo
	v_lshlrev_b64 v[29:30], 1, v[18:19]
	v_add_co_u32 v27, vcc_lo, s8, v27
	v_add_co_ci_u32_e32 v28, vcc_lo, s9, v28, vcc_lo
	s_delay_alu instid0(VALU_DEP_4) | instskip(NEXT) | instid1(VALU_DEP_4)
	v_lshlrev_b64 v[33:34], 1, v[22:23]
	v_add_co_u32 v29, vcc_lo, s8, v29
	v_add_co_ci_u32_e32 v30, vcc_lo, s9, v30, vcc_lo
	v_add_co_u32 v31, vcc_lo, s8, v31
	v_add_co_ci_u32_e32 v32, vcc_lo, s9, v32, vcc_lo
	;; [unrolled: 2-line block ×3, first 2 shown]
	v_lshlrev_b64 v[33:34], 1, v[25:26]
	v_add_nc_u32_e32 v25, s18, v20
	v_add_co_u32 v39, vcc_lo, s8, v39
	v_add_co_ci_u32_e32 v40, vcc_lo, s9, v40, vcc_lo
	s_delay_alu instid0(VALU_DEP_3) | instskip(SKIP_3) | instid1(VALU_DEP_3)
	v_lshlrev_b64 v[20:21], 1, v[25:26]
	v_add_nc_u32_e32 v25, s18, v22
	v_add_co_u32 v33, vcc_lo, s8, v33
	v_add_co_ci_u32_e32 v34, vcc_lo, s9, v34, vcc_lo
	v_lshlrev_b64 v[22:23], 1, v[25:26]
	v_add_co_u32 v41, vcc_lo, s8, v20
	v_add_co_ci_u32_e32 v42, vcc_lo, s9, v21, vcc_lo
	s_delay_alu instid0(VALU_DEP_3) | instskip(NEXT) | instid1(VALU_DEP_4)
	v_add_co_u32 v43, vcc_lo, s8, v22
	v_add_co_ci_u32_e32 v44, vcc_lo, s9, v23, vcc_lo
	s_clause 0x7
	global_load_u16 v23, v[27:28], off
	global_load_u16 v22, v[29:30], off
	;; [unrolled: 1-line block ×8, first 2 shown]
.LBB197_22:                             ;   in Loop: Header=BB197_14 Depth=1
	s_waitcnt vmcnt(7) lgkmcnt(6)
	v_dual_add_f32 v16, v16, v17 :: v_dual_lshlrev_b32 v17, 16, v23
	s_delay_alu instid0(VALU_DEP_1) | instskip(NEXT) | instid1(VALU_DEP_1)
	v_add_f32_e32 v17, v16, v17
	v_and_b32_e32 v16, 0x7f800000, v17
	s_delay_alu instid0(VALU_DEP_1) | instskip(SKIP_1) | instid1(SALU_CYCLE_1)
	v_cmp_ne_u32_e32 vcc_lo, 0x7f800000, v16
                                        ; implicit-def: $vgpr16
	s_and_saveexec_b32 s20, vcc_lo
	s_xor_b32 s20, exec_lo, s20
; %bb.23:                               ;   in Loop: Header=BB197_14 Depth=1
	v_bfe_u32 v16, v17, 16, 1
	s_delay_alu instid0(VALU_DEP_1)
	v_add3_u32 v16, v17, v16, 0x7fff
                                        ; implicit-def: $vgpr17
; %bb.24:                               ;   in Loop: Header=BB197_14 Depth=1
	s_and_not1_saveexec_b32 s20, s20
; %bb.25:                               ;   in Loop: Header=BB197_14 Depth=1
	v_and_b32_e32 v16, 0xffff, v17
	v_or_b32_e32 v23, 0x10000, v17
	s_delay_alu instid0(VALU_DEP_2) | instskip(NEXT) | instid1(VALU_DEP_2)
	v_cmp_eq_u32_e32 vcc_lo, 0, v16
	v_cndmask_b32_e32 v16, v23, v17, vcc_lo
; %bb.26:                               ;   in Loop: Header=BB197_14 Depth=1
	s_or_b32 exec_lo, exec_lo, s20
	s_waitcnt vmcnt(6) lgkmcnt(5)
	v_dual_add_f32 v0, v0, v1 :: v_dual_lshlrev_b32 v1, 16, v22
	s_mov_b32 s20, exec_lo
	s_delay_alu instid0(VALU_DEP_1) | instskip(NEXT) | instid1(VALU_DEP_1)
	v_add_f32_e32 v17, v0, v1
	v_dual_mov_b32 v25, v26 :: v_dual_and_b32 v22, 0x7f800000, v17
	s_delay_alu instid0(VALU_DEP_1) | instskip(NEXT) | instid1(VALU_DEP_1)
	v_lshlrev_b64 v[0:1], 1, v[24:25]
	v_add_co_u32 v0, vcc_lo, s10, v0
	s_delay_alu instid0(VALU_DEP_2)
	v_add_co_ci_u32_e32 v1, vcc_lo, s11, v1, vcc_lo
	global_store_d16_hi_b16 v[0:1], v16, off
                                        ; implicit-def: $vgpr16
	v_cmpx_ne_u32_e32 0x7f800000, v22
	s_xor_b32 s20, exec_lo, s20
; %bb.27:                               ;   in Loop: Header=BB197_14 Depth=1
	v_bfe_u32 v16, v17, 16, 1
	s_delay_alu instid0(VALU_DEP_1)
	v_add3_u32 v16, v17, v16, 0x7fff
                                        ; implicit-def: $vgpr17
; %bb.28:                               ;   in Loop: Header=BB197_14 Depth=1
	s_and_not1_saveexec_b32 s20, s20
; %bb.29:                               ;   in Loop: Header=BB197_14 Depth=1
	v_and_b32_e32 v16, 0xffff, v17
	v_or_b32_e32 v22, 0x10000, v17
	s_delay_alu instid0(VALU_DEP_2) | instskip(NEXT) | instid1(VALU_DEP_2)
	v_cmp_eq_u32_e32 vcc_lo, 0, v16
	v_cndmask_b32_e32 v16, v22, v17, vcc_lo
; %bb.30:                               ;   in Loop: Header=BB197_14 Depth=1
	s_or_b32 exec_lo, exec_lo, s20
	v_add_f32_e32 v10, v10, v13
	s_waitcnt vmcnt(5)
	v_lshlrev_b32_e32 v13, 16, v21
	global_store_d16_hi_b16 v[0:1], v16, off offset:2
	v_add_f32_e32 v13, v10, v13
	s_delay_alu instid0(VALU_DEP_1) | instskip(NEXT) | instid1(VALU_DEP_1)
	v_and_b32_e32 v10, 0x7f800000, v13
	v_cmp_ne_u32_e32 vcc_lo, 0x7f800000, v10
                                        ; implicit-def: $vgpr10
	s_and_saveexec_b32 s20, vcc_lo
	s_delay_alu instid0(SALU_CYCLE_1)
	s_xor_b32 s20, exec_lo, s20
; %bb.31:                               ;   in Loop: Header=BB197_14 Depth=1
	v_bfe_u32 v10, v13, 16, 1
	s_delay_alu instid0(VALU_DEP_1)
	v_add3_u32 v10, v13, v10, 0x7fff
                                        ; implicit-def: $vgpr13
; %bb.32:                               ;   in Loop: Header=BB197_14 Depth=1
	s_and_not1_saveexec_b32 s20, s20
; %bb.33:                               ;   in Loop: Header=BB197_14 Depth=1
	v_and_b32_e32 v10, 0xffff, v13
	v_or_b32_e32 v16, 0x10000, v13
	s_delay_alu instid0(VALU_DEP_2) | instskip(NEXT) | instid1(VALU_DEP_2)
	v_cmp_eq_u32_e32 vcc_lo, 0, v10
	v_cndmask_b32_e32 v10, v16, v13, vcc_lo
; %bb.34:                               ;   in Loop: Header=BB197_14 Depth=1
	s_or_b32 exec_lo, exec_lo, s20
	s_waitcnt lgkmcnt(3)
	v_add_f32_e32 v11, v11, v14
	s_waitcnt vmcnt(4)
	v_lshlrev_b32_e32 v13, 16, v20
	s_mov_b32 s20, exec_lo
	global_store_d16_hi_b16 v[0:1], v10, off offset:4
                                        ; implicit-def: $vgpr10
	v_add_f32_e32 v11, v11, v13
	s_delay_alu instid0(VALU_DEP_1) | instskip(NEXT) | instid1(VALU_DEP_1)
	v_and_b32_e32 v13, 0x7f800000, v11
	v_cmpx_ne_u32_e32 0x7f800000, v13
	s_xor_b32 s20, exec_lo, s20
; %bb.35:                               ;   in Loop: Header=BB197_14 Depth=1
	v_bfe_u32 v10, v11, 16, 1
	s_delay_alu instid0(VALU_DEP_1)
	v_add3_u32 v10, v11, v10, 0x7fff
                                        ; implicit-def: $vgpr11
; %bb.36:                               ;   in Loop: Header=BB197_14 Depth=1
	s_and_not1_saveexec_b32 s20, s20
; %bb.37:                               ;   in Loop: Header=BB197_14 Depth=1
	v_and_b32_e32 v10, 0xffff, v11
	v_or_b32_e32 v13, 0x10000, v11
	s_delay_alu instid0(VALU_DEP_2) | instskip(NEXT) | instid1(VALU_DEP_2)
	v_cmp_eq_u32_e32 vcc_lo, 0, v10
	v_cndmask_b32_e32 v10, v13, v11, vcc_lo
; %bb.38:                               ;   in Loop: Header=BB197_14 Depth=1
	s_or_b32 exec_lo, exec_lo, s20
	s_waitcnt vmcnt(3) lgkmcnt(2)
	v_dual_add_f32 v8, v8, v9 :: v_dual_lshlrev_b32 v9, 16, v19
	s_mov_b32 s20, exec_lo
	global_store_d16_hi_b16 v[0:1], v10, off offset:6
                                        ; implicit-def: $vgpr0
	v_add_f32_e32 v8, v8, v9
	s_delay_alu instid0(VALU_DEP_1) | instskip(NEXT) | instid1(VALU_DEP_1)
	v_and_b32_e32 v9, 0x7f800000, v8
	v_cmpx_ne_u32_e32 0x7f800000, v9
	s_xor_b32 s20, exec_lo, s20
; %bb.39:                               ;   in Loop: Header=BB197_14 Depth=1
	v_bfe_u32 v0, v8, 16, 1
	s_delay_alu instid0(VALU_DEP_1)
	v_add3_u32 v0, v8, v0, 0x7fff
                                        ; implicit-def: $vgpr8
; %bb.40:                               ;   in Loop: Header=BB197_14 Depth=1
	s_and_not1_saveexec_b32 s20, s20
; %bb.41:                               ;   in Loop: Header=BB197_14 Depth=1
	v_and_b32_e32 v0, 0xffff, v8
	v_or_b32_e32 v1, 0x10000, v8
	s_delay_alu instid0(VALU_DEP_2) | instskip(NEXT) | instid1(VALU_DEP_2)
	v_cmp_eq_u32_e32 vcc_lo, 0, v0
	v_cndmask_b32_e32 v0, v1, v8, vcc_lo
; %bb.42:                               ;   in Loop: Header=BB197_14 Depth=1
	s_or_b32 exec_lo, exec_lo, s20
	s_waitcnt vmcnt(2) lgkmcnt(1)
	v_dual_add_f32 v1, v6, v7 :: v_dual_lshlrev_b32 v6, 16, v18
	v_add_nc_u32_e32 v25, s7, v24
	s_mov_b32 s20, exec_lo
	s_delay_alu instid0(VALU_DEP_2) | instskip(NEXT) | instid1(VALU_DEP_2)
	v_add_f32_e32 v1, v1, v6
	v_lshlrev_b64 v[6:7], 1, v[25:26]
	s_delay_alu instid0(VALU_DEP_2) | instskip(NEXT) | instid1(VALU_DEP_2)
	v_and_b32_e32 v8, 0x7f800000, v1
	v_add_co_u32 v6, vcc_lo, s10, v6
	s_delay_alu instid0(VALU_DEP_3)
	v_add_co_ci_u32_e32 v7, vcc_lo, s11, v7, vcc_lo
	global_store_d16_hi_b16 v[6:7], v0, off
                                        ; implicit-def: $vgpr0
	v_cmpx_ne_u32_e32 0x7f800000, v8
	s_xor_b32 s20, exec_lo, s20
; %bb.43:                               ;   in Loop: Header=BB197_14 Depth=1
	v_bfe_u32 v0, v1, 16, 1
	s_delay_alu instid0(VALU_DEP_1)
	v_add3_u32 v0, v1, v0, 0x7fff
                                        ; implicit-def: $vgpr1
; %bb.44:                               ;   in Loop: Header=BB197_14 Depth=1
	s_and_not1_saveexec_b32 s20, s20
; %bb.45:                               ;   in Loop: Header=BB197_14 Depth=1
	v_and_b32_e32 v0, 0xffff, v1
	v_or_b32_e32 v6, 0x10000, v1
	s_delay_alu instid0(VALU_DEP_2) | instskip(NEXT) | instid1(VALU_DEP_2)
	v_cmp_eq_u32_e32 vcc_lo, 0, v0
	v_cndmask_b32_e32 v0, v6, v1, vcc_lo
; %bb.46:                               ;   in Loop: Header=BB197_14 Depth=1
	s_or_b32 exec_lo, exec_lo, s20
	s_waitcnt vmcnt(1) lgkmcnt(0)
	v_dual_add_f32 v1, v4, v5 :: v_dual_lshlrev_b32 v6, 16, v15
	v_dual_mov_b32 v5, v26 :: v_dual_add_nc_u32 v4, 1, v25
	s_mov_b32 s20, exec_lo
	s_delay_alu instid0(VALU_DEP_2) | instskip(NEXT) | instid1(VALU_DEP_2)
	v_add_f32_e32 v1, v1, v6
	v_lshlrev_b64 v[4:5], 1, v[4:5]
	s_delay_alu instid0(VALU_DEP_2) | instskip(NEXT) | instid1(VALU_DEP_2)
	v_and_b32_e32 v6, 0x7f800000, v1
	v_add_co_u32 v4, vcc_lo, s10, v4
	s_delay_alu instid0(VALU_DEP_3)
	v_add_co_ci_u32_e32 v5, vcc_lo, s11, v5, vcc_lo
	global_store_d16_hi_b16 v[4:5], v0, off
                                        ; implicit-def: $vgpr0
	v_cmpx_ne_u32_e32 0x7f800000, v6
	s_xor_b32 s20, exec_lo, s20
; %bb.47:                               ;   in Loop: Header=BB197_14 Depth=1
	v_bfe_u32 v0, v1, 16, 1
	s_delay_alu instid0(VALU_DEP_1)
	v_add3_u32 v0, v1, v0, 0x7fff
                                        ; implicit-def: $vgpr1
; %bb.48:                               ;   in Loop: Header=BB197_14 Depth=1
	s_and_not1_saveexec_b32 s20, s20
; %bb.49:                               ;   in Loop: Header=BB197_14 Depth=1
	v_and_b32_e32 v0, 0xffff, v1
	v_or_b32_e32 v4, 0x10000, v1
	s_delay_alu instid0(VALU_DEP_2) | instskip(NEXT) | instid1(VALU_DEP_2)
	v_cmp_eq_u32_e32 vcc_lo, 0, v0
	v_cndmask_b32_e32 v0, v4, v1, vcc_lo
; %bb.50:                               ;   in Loop: Header=BB197_14 Depth=1
	s_or_b32 exec_lo, exec_lo, s20
	v_dual_add_f32 v1, v2, v3 :: v_dual_add_nc_u32 v2, 2, v25
	s_waitcnt vmcnt(0)
	v_dual_mov_b32 v3, v26 :: v_dual_lshlrev_b32 v4, 16, v12
	s_mov_b32 s20, exec_lo
	s_delay_alu instid0(VALU_DEP_1) | instskip(NEXT) | instid1(VALU_DEP_2)
	v_add_f32_e32 v1, v1, v4
	v_lshlrev_b64 v[2:3], 1, v[2:3]
	s_delay_alu instid0(VALU_DEP_2) | instskip(NEXT) | instid1(VALU_DEP_2)
	v_and_b32_e32 v4, 0x7f800000, v1
	v_add_co_u32 v2, vcc_lo, s10, v2
	s_delay_alu instid0(VALU_DEP_3)
	v_add_co_ci_u32_e32 v3, vcc_lo, s11, v3, vcc_lo
	global_store_d16_hi_b16 v[2:3], v0, off
                                        ; implicit-def: $vgpr0
	v_cmpx_ne_u32_e32 0x7f800000, v4
	s_xor_b32 s20, exec_lo, s20
; %bb.51:                               ;   in Loop: Header=BB197_14 Depth=1
	v_bfe_u32 v0, v1, 16, 1
	s_delay_alu instid0(VALU_DEP_1)
	v_add3_u32 v0, v1, v0, 0x7fff
                                        ; implicit-def: $vgpr1
; %bb.52:                               ;   in Loop: Header=BB197_14 Depth=1
	s_and_not1_saveexec_b32 s20, s20
	s_cbranch_execz .LBB197_12
; %bb.53:                               ;   in Loop: Header=BB197_14 Depth=1
	v_and_b32_e32 v0, 0xffff, v1
	v_or_b32_e32 v2, 0x10000, v1
	s_delay_alu instid0(VALU_DEP_2) | instskip(NEXT) | instid1(VALU_DEP_2)
	v_cmp_eq_u32_e32 vcc_lo, 0, v0
	v_cndmask_b32_e32 v0, v2, v1, vcc_lo
	s_branch .LBB197_12
.LBB197_54:
	s_nop 0
	s_sendmsg sendmsg(MSG_DEALLOC_VGPRS)
	s_endpgm
	.section	.rodata,"a",@progbits
	.p2align	6, 0x0
	.amdhsa_kernel _Z16wvSplitK_hf_sml_I14__hip_bfloat16Li32ELi4ELi16ELi8ELi1ELi2EEviiiiiiPKT_S3_S3_PS1_ii
		.amdhsa_group_segment_fixed_size 65536
		.amdhsa_private_segment_fixed_size 0
		.amdhsa_kernarg_size 64
		.amdhsa_user_sgpr_count 15
		.amdhsa_user_sgpr_dispatch_ptr 0
		.amdhsa_user_sgpr_queue_ptr 0
		.amdhsa_user_sgpr_kernarg_segment_ptr 1
		.amdhsa_user_sgpr_dispatch_id 0
		.amdhsa_user_sgpr_private_segment_size 0
		.amdhsa_wavefront_size32 1
		.amdhsa_uses_dynamic_stack 0
		.amdhsa_enable_private_segment 0
		.amdhsa_system_sgpr_workgroup_id_x 1
		.amdhsa_system_sgpr_workgroup_id_y 0
		.amdhsa_system_sgpr_workgroup_id_z 0
		.amdhsa_system_sgpr_workgroup_info 0
		.amdhsa_system_vgpr_workitem_id 1
		.amdhsa_next_free_vgpr 69
		.amdhsa_next_free_sgpr 21
		.amdhsa_reserve_vcc 1
		.amdhsa_float_round_mode_32 0
		.amdhsa_float_round_mode_16_64 0
		.amdhsa_float_denorm_mode_32 3
		.amdhsa_float_denorm_mode_16_64 3
		.amdhsa_dx10_clamp 1
		.amdhsa_ieee_mode 1
		.amdhsa_fp16_overflow 0
		.amdhsa_workgroup_processor_mode 1
		.amdhsa_memory_ordered 1
		.amdhsa_forward_progress 0
		.amdhsa_shared_vgpr_count 0
		.amdhsa_exception_fp_ieee_invalid_op 0
		.amdhsa_exception_fp_denorm_src 0
		.amdhsa_exception_fp_ieee_div_zero 0
		.amdhsa_exception_fp_ieee_overflow 0
		.amdhsa_exception_fp_ieee_underflow 0
		.amdhsa_exception_fp_ieee_inexact 0
		.amdhsa_exception_int_div_zero 0
	.end_amdhsa_kernel
	.section	.text._Z16wvSplitK_hf_sml_I14__hip_bfloat16Li32ELi4ELi16ELi8ELi1ELi2EEviiiiiiPKT_S3_S3_PS1_ii,"axG",@progbits,_Z16wvSplitK_hf_sml_I14__hip_bfloat16Li32ELi4ELi16ELi8ELi1ELi2EEviiiiiiPKT_S3_S3_PS1_ii,comdat
.Lfunc_end197:
	.size	_Z16wvSplitK_hf_sml_I14__hip_bfloat16Li32ELi4ELi16ELi8ELi1ELi2EEviiiiiiPKT_S3_S3_PS1_ii, .Lfunc_end197-_Z16wvSplitK_hf_sml_I14__hip_bfloat16Li32ELi4ELi16ELi8ELi1ELi2EEviiiiiiPKT_S3_S3_PS1_ii
                                        ; -- End function
	.section	.AMDGPU.csdata,"",@progbits
; Kernel info:
; codeLenInByte = 4432
; NumSgprs: 23
; NumVgprs: 69
; ScratchSize: 0
; MemoryBound: 0
; FloatMode: 240
; IeeeMode: 1
; LDSByteSize: 65536 bytes/workgroup (compile time only)
; SGPRBlocks: 2
; VGPRBlocks: 8
; NumSGPRsForWavesPerEU: 23
; NumVGPRsForWavesPerEU: 69
; Occupancy: 8
; WaveLimiterHint : 0
; COMPUTE_PGM_RSRC2:SCRATCH_EN: 0
; COMPUTE_PGM_RSRC2:USER_SGPR: 15
; COMPUTE_PGM_RSRC2:TRAP_HANDLER: 0
; COMPUTE_PGM_RSRC2:TGID_X_EN: 1
; COMPUTE_PGM_RSRC2:TGID_Y_EN: 0
; COMPUTE_PGM_RSRC2:TGID_Z_EN: 0
; COMPUTE_PGM_RSRC2:TIDIG_COMP_CNT: 1
	.section	.text._Z12wvSplitK_hf_I14__hip_bfloat16Li32ELi4ELi16ELi8ELi1ELi2EEviiiiiiPKT_S3_S3_PS1_ii,"axG",@progbits,_Z12wvSplitK_hf_I14__hip_bfloat16Li32ELi4ELi16ELi8ELi1ELi2EEviiiiiiPKT_S3_S3_PS1_ii,comdat
	.protected	_Z12wvSplitK_hf_I14__hip_bfloat16Li32ELi4ELi16ELi8ELi1ELi2EEviiiiiiPKT_S3_S3_PS1_ii ; -- Begin function _Z12wvSplitK_hf_I14__hip_bfloat16Li32ELi4ELi16ELi8ELi1ELi2EEviiiiiiPKT_S3_S3_PS1_ii
	.globl	_Z12wvSplitK_hf_I14__hip_bfloat16Li32ELi4ELi16ELi8ELi1ELi2EEviiiiiiPKT_S3_S3_PS1_ii
	.p2align	8
	.type	_Z12wvSplitK_hf_I14__hip_bfloat16Li32ELi4ELi16ELi8ELi1ELi2EEviiiiiiPKT_S3_S3_PS1_ii,@function
_Z12wvSplitK_hf_I14__hip_bfloat16Li32ELi4ELi16ELi8ELi1ELi2EEviiiiiiPKT_S3_S3_PS1_ii: ; @_Z12wvSplitK_hf_I14__hip_bfloat16Li32ELi4ELi16ELi8ELi1ELi2EEviiiiiiPKT_S3_S3_PS1_ii
; %bb.0:
	s_clause 0x1
	s_load_b64 s[20:21], s[0:1], 0x38
	s_load_b128 s[8:11], s[0:1], 0x0
	v_bfe_u32 v5, v0, 10, 10
	s_clause 0x1
	s_load_b64 s[16:17], s[0:1], 0x20
	s_load_b64 s[18:19], s[0:1], 0x10
	s_mov_b32 s4, 1
	s_delay_alu instid0(SALU_CYCLE_1) | instskip(SKIP_4) | instid1(SALU_CYCLE_1)
	s_mov_b32 s5, s4
	s_mov_b32 s6, s4
	;; [unrolled: 1-line block ×3, first 2 shown]
	s_waitcnt lgkmcnt(0)
	s_mul_i32 s15, s15, s20
	v_add_lshl_u32 v29, s15, v5, 2
	s_delay_alu instid0(VALU_DEP_1) | instskip(SKIP_1) | instid1(VALU_DEP_2)
	v_add_nc_u32_e32 v1, 4, v29
	v_cmp_gt_u32_e32 vcc_lo, s11, v29
	v_cmp_le_u32_e64 s2, s11, v1
	v_dual_mov_b32 v1, s4 :: v_dual_mov_b32 v4, s7
	v_dual_mov_b32 v2, s5 :: v_dual_mov_b32 v3, s6
	s_delay_alu instid0(VALU_DEP_3) | instskip(NEXT) | instid1(SALU_CYCLE_1)
	s_and_b32 s2, vcc_lo, s2
	s_and_saveexec_b32 s12, s2
	s_cbranch_execz .LBB198_6
; %bb.1:
	v_dual_mov_b32 v1, s4 :: v_dual_mov_b32 v2, s5
	v_dual_mov_b32 v3, s6 :: v_dual_mov_b32 v4, s7
	s_add_i32 s13, s11, -4
	s_mov_b32 s14, exec_lo
	v_cmpx_ne_u32_e64 s13, v29
	s_cbranch_execz .LBB198_5
; %bb.2:
	v_subrev_nc_u32_e32 v1, s13, v29
	s_mov_b32 s15, 0
	s_mov_b64 s[2:3], 0
	s_mov_b32 s5, s4
	s_mov_b32 s6, s4
	v_cmp_lt_u32_e32 vcc_lo, 1, v1
	s_mov_b32 s7, s4
	v_cndmask_b32_e32 v6, 1, v1, vcc_lo
	.p2align	6
.LBB198_3:                              ; =>This Inner Loop Header: Depth=1
	s_cmp_lg_u32 s2, 3
	s_cselect_b32 s7, s7, 0
	s_cmp_lg_u32 s2, 2
	s_cselect_b32 s6, s6, 0
	;; [unrolled: 2-line block ×4, first 2 shown]
	s_add_u32 s2, s2, 1
	v_dual_mov_b32 v1, s4 :: v_dual_mov_b32 v2, s5
	v_cmp_eq_u32_e32 vcc_lo, s2, v6
	v_dual_mov_b32 v3, s6 :: v_dual_mov_b32 v4, s7
	s_addc_u32 s3, s3, 0
	s_or_b32 s15, vcc_lo, s15
	s_delay_alu instid0(SALU_CYCLE_1)
	s_and_not1_b32 exec_lo, exec_lo, s15
	s_cbranch_execnz .LBB198_3
; %bb.4:
	s_or_b32 exec_lo, exec_lo, s15
	v_mov_b32_e32 v29, s13
.LBB198_5:
	s_or_b32 exec_lo, exec_lo, s14
.LBB198_6:
	s_delay_alu instid0(SALU_CYCLE_1) | instskip(SKIP_4) | instid1(VALU_DEP_1)
	s_or_b32 exec_lo, exec_lo, s12
	v_and_b32_e32 v6, 0x3ff, v0
	s_lshl_b32 s22, s10, 1
	s_mov_b32 s2, exec_lo
	s_min_u32 s3, s22, 0x8000
	v_lshlrev_b32_e32 v0, 3, v6
	s_delay_alu instid0(VALU_DEP_1) | instskip(NEXT) | instid1(VALU_DEP_1)
	v_lshl_add_u32 v8, v5, 8, v0
	v_cmpx_gt_u32_e64 s3, v8
	s_cbranch_execz .LBB198_15
; %bb.7:
	v_lshlrev_b32_e32 v7, 1, v8
	v_add_nc_u32_e32 v13, 0x1000, v8
	s_mov_b32 s4, exec_lo
	global_load_b128 v[9:12], v7, s[16:17]
	s_waitcnt vmcnt(0)
	ds_store_b128 v7, v[9:12]
	v_cmpx_gt_u32_e64 s3, v13
	s_xor_b32 s4, exec_lo, s4
	s_cbranch_execz .LBB198_15
; %bb.8:
	v_add_co_u32 v9, s4, s16, v7
	s_delay_alu instid0(VALU_DEP_1) | instskip(SKIP_1) | instid1(VALU_DEP_3)
	v_add_co_ci_u32_e64 v10, null, s17, 0, s4
	v_add_nc_u32_e32 v15, 0x2000, v8
	v_add_co_u32 v11, vcc_lo, 0x2000, v9
	s_delay_alu instid0(VALU_DEP_3)
	v_add_co_ci_u32_e32 v12, vcc_lo, 0, v10, vcc_lo
	s_mov_b32 s4, exec_lo
	global_load_b128 v[11:14], v[11:12], off
	s_waitcnt vmcnt(0)
	ds_store_b128 v7, v[11:14] offset:8192
	v_cmpx_gt_u32_e64 s3, v15
	s_xor_b32 s4, exec_lo, s4
	s_cbranch_execz .LBB198_15
; %bb.9:
	v_add_co_u32 v11, vcc_lo, 0x4000, v9
	v_add_co_ci_u32_e32 v12, vcc_lo, 0, v10, vcc_lo
	v_add_nc_u32_e32 v15, 0x3000, v8
	s_mov_b32 s4, exec_lo
	global_load_b128 v[11:14], v[11:12], off
	s_waitcnt vmcnt(0)
	ds_store_b128 v7, v[11:14] offset:16384
	v_cmpx_gt_u32_e64 s3, v15
	s_xor_b32 s4, exec_lo, s4
	s_cbranch_execz .LBB198_15
; %bb.10:
	v_add_co_u32 v11, vcc_lo, 0x6000, v9
	v_add_co_ci_u32_e32 v12, vcc_lo, 0, v10, vcc_lo
	v_add_nc_u32_e32 v15, 0x4000, v8
	s_mov_b32 s4, exec_lo
	global_load_b128 v[11:14], v[11:12], off
	s_waitcnt vmcnt(0)
	ds_store_b128 v7, v[11:14] offset:24576
	v_cmpx_gt_u32_e64 s3, v15
	s_xor_b32 s4, exec_lo, s4
	s_cbranch_execz .LBB198_15
; %bb.11:
	v_add_co_u32 v11, vcc_lo, 0x8000, v9
	v_add_co_ci_u32_e32 v12, vcc_lo, 0, v10, vcc_lo
	v_add_nc_u32_e32 v15, 0x5000, v8
	s_mov_b32 s4, exec_lo
	global_load_b128 v[11:14], v[11:12], off
	s_waitcnt vmcnt(0)
	ds_store_b128 v7, v[11:14] offset:32768
	v_cmpx_gt_u32_e64 s3, v15
	s_xor_b32 s4, exec_lo, s4
	s_cbranch_execz .LBB198_15
; %bb.12:
	v_add_co_u32 v11, vcc_lo, 0xa000, v9
	v_add_co_ci_u32_e32 v12, vcc_lo, 0, v10, vcc_lo
	v_add_nc_u32_e32 v15, 0x6000, v8
	s_mov_b32 s4, exec_lo
	global_load_b128 v[11:14], v[11:12], off
	s_waitcnt vmcnt(0)
	ds_store_b128 v7, v[11:14] offset:40960
	v_cmpx_gt_u32_e64 s3, v15
	s_xor_b32 s4, exec_lo, s4
	s_cbranch_execz .LBB198_15
; %bb.13:
	v_add_co_u32 v11, vcc_lo, 0xc000, v9
	v_add_co_ci_u32_e32 v12, vcc_lo, 0, v10, vcc_lo
	v_add_nc_u32_e32 v8, 0x7000, v8
	global_load_b128 v[11:14], v[11:12], off
	v_cmp_gt_u32_e32 vcc_lo, s3, v8
	s_waitcnt vmcnt(0)
	ds_store_b128 v7, v[11:14] offset:49152
	s_and_saveexec_b32 s3, vcc_lo
	s_delay_alu instid0(SALU_CYCLE_1)
	s_xor_b32 s3, exec_lo, s3
	s_cbranch_execz .LBB198_15
; %bb.14:
	v_add_co_u32 v8, vcc_lo, 0xe000, v9
	v_add_co_ci_u32_e32 v9, vcc_lo, 0, v10, vcc_lo
	global_load_b128 v[8:11], v[8:9], off
	s_waitcnt vmcnt(0)
	ds_store_b128 v7, v[8:11] offset:57344
.LBB198_15:
	s_or_b32 exec_lo, exec_lo, s2
	v_cmp_gt_u32_e32 vcc_lo, s20, v5
	v_cmp_gt_u32_e64 s2, s11, v29
	s_waitcnt lgkmcnt(0)
	s_barrier
	buffer_gl0_inv
	s_and_b32 s2, vcc_lo, s2
	s_delay_alu instid0(SALU_CYCLE_1)
	s_and_saveexec_b32 s3, s2
	s_cbranch_execz .LBB198_88
; %bb.16:
	v_cvt_f32_u32_e32 v5, s18
	s_clause 0x1
	s_load_b128 s[12:15], s[0:1], 0x28
	s_load_b64 s[6:7], s[0:1], 0x18
	v_mbcnt_lo_u32_b32 v7, -1, 0
	s_cmp_lg_u32 s8, 0
	v_rcp_iflag_f32_e32 v5, v5
	s_mul_i32 s1, s20, s21
	s_cselect_b32 s20, -1, 0
	v_xor_b32_e32 v8, 16, v7
	s_add_i32 s21, s8, -8
	s_add_i32 s23, s11, -1
	v_cmp_eq_u32_e64 s0, 31, v6
	v_lshlrev_b32_e32 v45, 4, v6
	v_cmp_gt_i32_e32 vcc_lo, 32, v8
	v_dual_mov_b32 v31, 0 :: v_dual_add_nc_u32 v46, s10, v0
	s_waitcnt_depctr 0xfff
	v_mul_f32_e32 v5, 0x4f7ffffe, v5
	s_mov_b32 s10, 0
	v_cndmask_b32_e32 v6, v7, v8, vcc_lo
	s_delay_alu instid0(VALU_DEP_2) | instskip(SKIP_2) | instid1(VALU_DEP_2)
	v_cvt_u32_f32_e32 v5, v5
	s_waitcnt lgkmcnt(0)
	s_cmp_lg_u64 s[12:13], 0
	v_lshlrev_b32_e32 v47, 2, v6
	s_cselect_b32 s24, -1, 0
	s_sub_i32 s2, 0, s18
	s_lshl_b32 s25, s1, 2
	v_mul_lo_u32 v9, s2, v5
	s_abs_i32 s1, s19
	s_add_i32 s26, s11, -4
	s_sub_i32 s2, 1, s1
	s_cmp_lt_u32 s1, 2
	s_cselect_b32 s2, s2, 1
	s_delay_alu instid0(VALU_DEP_1) | instskip(SKIP_3) | instid1(SALU_CYCLE_1)
	v_mul_hi_u32 v7, v5, v9
	s_sub_i32 s3, s2, s1
	s_cmp_ge_u32 s2, s1
	s_cselect_b32 s19, s3, s2
	s_mul_i32 s19, s19, s18
	s_delay_alu instid0(VALU_DEP_1)
	v_add_nc_u32_e32 v48, v5, v7
	s_branch .LBB198_19
.LBB198_17:                             ;   in Loop: Header=BB198_19 Depth=1
	s_or_b32 exec_lo, exec_lo, s28
	v_mov_b32_e32 v29, s26
.LBB198_18:                             ;   in Loop: Header=BB198_19 Depth=1
	s_or_b32 exec_lo, exec_lo, s27
	s_delay_alu instid0(VALU_DEP_1) | instskip(SKIP_1) | instid1(SALU_CYCLE_1)
	v_cmp_le_u32_e32 vcc_lo, s11, v29
	s_or_b32 s10, vcc_lo, s10
	s_and_not1_b32 exec_lo, exec_lo, s10
	s_cbranch_execz .LBB198_88
.LBB198_19:                             ; =>This Loop Header: Depth=1
                                        ;     Child Loop BB198_23 Depth 2
                                        ;     Child Loop BB198_86 Depth 2
	v_dual_mov_b32 v49, v31 :: v_dual_add_nc_u32 v34, 1, v29
	v_dual_mov_b32 v50, v31 :: v_dual_add_nc_u32 v33, 2, v29
	;; [unrolled: 1-line block ×3, first 2 shown]
	v_mov_b32_e32 v52, v31
	v_mov_b32_e32 v54, v31
	;; [unrolled: 1-line block ×5, first 2 shown]
	s_and_not1_b32 vcc_lo, exec_lo, s20
	s_cbranch_vccnz .LBB198_32
; %bb.20:                               ;   in Loop: Header=BB198_19 Depth=1
	v_min_u32_e32 v5, s23, v29
	s_waitcnt lgkmcnt(3)
	v_min_u32_e32 v6, s23, v34
	v_min_u32_e32 v7, s23, v33
	s_waitcnt lgkmcnt(0)
	v_min_u32_e32 v8, s23, v32
	v_dual_mov_b32 v10, v31 :: v_dual_mov_b32 v53, 0
	v_mul_lo_u32 v30, v5, s9
	v_mul_lo_u32 v5, v6, s9
	;; [unrolled: 1-line block ×4, first 2 shown]
	v_dual_mov_b32 v6, v31 :: v_dual_mov_b32 v57, 0
	v_dual_mov_b32 v8, v31 :: v_dual_mov_b32 v55, 0
	v_lshlrev_b64 v[35:36], 1, v[30:31]
	s_delay_alu instid0(VALU_DEP_3) | instskip(SKIP_1) | instid1(VALU_DEP_4)
	v_lshlrev_b64 v[37:38], 1, v[5:6]
	v_dual_mov_b32 v56, v45 :: v_dual_mov_b32 v51, 0
	v_lshlrev_b64 v[39:40], 1, v[7:8]
	v_lshlrev_b64 v[41:42], 1, v[9:10]
	v_dual_mov_b32 v54, 0 :: v_dual_mov_b32 v49, 0
	v_mov_b32_e32 v52, 0
	v_mov_b32_e32 v50, 0
	s_mov_b32 s1, 0
	s_branch .LBB198_23
.LBB198_21:                             ;   in Loop: Header=BB198_23 Depth=2
	s_or_b32 exec_lo, exec_lo, s3
.LBB198_22:                             ;   in Loop: Header=BB198_23 Depth=2
	s_delay_alu instid0(SALU_CYCLE_1)
	s_or_b32 exec_lo, exec_lo, s2
	s_waitcnt vmcnt(0) lgkmcnt(0)
	v_and_b32_e32 v30, 0xffff0000, v25
	v_and_b32_e32 v44, 0xffff0000, v26
	v_and_b32_e32 v58, 0xffff0000, v22
	v_and_b32_e32 v43, 0xffff0000, v21
	v_lshlrev_b32_e32 v26, 16, v26
	v_and_b32_e32 v68, 0xffff0000, v24
	v_lshlrev_b32_e32 v24, 16, v24
	s_delay_alu instid0(VALU_DEP_4)
	v_dual_mul_f32 v60, v44, v58 :: v_dual_mul_f32 v59, v30, v43
	v_and_b32_e32 v63, 0xffff0000, v17
	v_and_b32_e32 v69, 0xffff0000, v13
	;; [unrolled: 1-line block ×3, first 2 shown]
	v_lshlrev_b32_e32 v17, 16, v17
	v_and_b32_e32 v61, 0xffff0000, v27
	v_lshlrev_b32_e32 v27, 16, v27
	v_lshlrev_b32_e32 v19, 16, v19
	v_and_b32_e32 v65, 0xffff0000, v28
	v_lshlrev_b32_e32 v21, 16, v21
	v_and_b32_e32 v62, 0xffff0000, v23
	v_lshlrev_b32_e32 v23, 16, v23
	s_addk_i32 s1, 0x100
	v_mul_f32_e32 v70, v65, v68
	v_lshlrev_b32_e32 v22, 16, v22
	v_lshlrev_b32_e32 v25, 16, v25
	s_cmp_ge_u32 s1, s8
	v_lshlrev_b32_e32 v28, 16, v28
	v_add_nc_u32_e32 v56, 0x200, v56
	s_delay_alu instid0(VALU_DEP_3) | instskip(NEXT) | instid1(VALU_DEP_1)
	v_dual_fmac_f32 v60, v26, v22 :: v_dual_fmac_f32 v59, v25, v21
	v_add_f32_e32 v57, v57, v59
	s_delay_alu instid0(VALU_DEP_1) | instskip(SKIP_1) | instid1(VALU_DEP_2)
	v_dual_add_f32 v57, v57, v60 :: v_dual_and_b32 v60, 0xffff0000, v18
	v_lshlrev_b32_e32 v18, 16, v18
	v_mul_f32_e32 v66, v44, v60
	v_mul_f32_e32 v64, v30, v63
	s_delay_alu instid0(VALU_DEP_2) | instskip(NEXT) | instid1(VALU_DEP_2)
	v_fmac_f32_e32 v66, v26, v18
	v_fmac_f32_e32 v64, v25, v17
	v_and_b32_e32 v73, 0xffff0000, v5
	s_delay_alu instid0(VALU_DEP_2) | instskip(SKIP_1) | instid1(VALU_DEP_2)
	v_add_f32_e32 v55, v55, v64
	v_mul_f32_e32 v59, v61, v62
	v_add_f32_e32 v55, v55, v66
	s_delay_alu instid0(VALU_DEP_2) | instskip(SKIP_1) | instid1(VALU_DEP_2)
	v_dual_fmac_f32 v59, v27, v23 :: v_dual_mul_f32 v66, v30, v69
	v_mul_f32_e32 v64, v61, v67
	v_dual_mul_f32 v30, v30, v73 :: v_dual_add_f32 v57, v57, v59
	v_and_b32_e32 v59, 0xffff0000, v14
	v_lshlrev_b32_e32 v14, 16, v14
	v_lshlrev_b32_e32 v13, 16, v13
	s_delay_alu instid0(VALU_DEP_1) | instskip(NEXT) | instid1(VALU_DEP_1)
	v_fmac_f32_e32 v66, v25, v13
	v_dual_add_f32 v53, v53, v66 :: v_dual_fmac_f32 v70, v28, v24
	s_delay_alu instid0(VALU_DEP_1) | instskip(NEXT) | instid1(VALU_DEP_1)
	v_dual_fmac_f32 v64, v27, v19 :: v_dual_add_f32 v57, v57, v70
	v_dual_add_f32 v55, v55, v64 :: v_dual_mul_f32 v64, v44, v59
	s_delay_alu instid0(VALU_DEP_1) | instskip(NEXT) | instid1(VALU_DEP_1)
	v_fmac_f32_e32 v64, v26, v14
	v_add_f32_e32 v53, v53, v64
	v_and_b32_e32 v64, 0xffff0000, v16
	s_delay_alu instid0(VALU_DEP_1) | instskip(NEXT) | instid1(VALU_DEP_1)
	v_dual_mul_f32 v76, v65, v64 :: v_dual_lshlrev_b32 v5, 16, v5
	v_dual_fmac_f32 v30, v25, v5 :: v_dual_and_b32 v75, 0xffff0000, v6
	v_lshlrev_b32_e32 v6, 16, v6
	v_and_b32_e32 v66, 0xffff0000, v15
	v_lshlrev_b32_e32 v15, 16, v15
	v_and_b32_e32 v71, 0xffff0000, v20
	v_dual_mul_f32 v25, v44, v75 :: v_dual_lshlrev_b32 v20, 16, v20
	v_add_f32_e32 v30, v54, v30
	s_delay_alu instid0(VALU_DEP_2) | instskip(SKIP_4) | instid1(VALU_DEP_4)
	v_fmac_f32_e32 v25, v26, v6
	v_mul_f32_e32 v74, v61, v66
	v_lshlrev_b32_e32 v16, 16, v16
	v_and_b32_e32 v26, 0xffff0000, v9
	v_lshlrev_b32_e32 v9, 16, v9
	v_dual_add_f32 v25, v30, v25 :: v_dual_fmac_f32 v74, v27, v15
	s_delay_alu instid0(VALU_DEP_3) | instskip(SKIP_1) | instid1(VALU_DEP_3)
	v_dual_fmac_f32 v76, v28, v16 :: v_dual_mul_f32 v43, v26, v43
	v_and_b32_e32 v30, 0xffff0000, v7
	v_dual_add_f32 v44, v53, v74 :: v_dual_lshlrev_b32 v7, 16, v7
	v_mul_f32_e32 v72, v65, v71
	s_delay_alu instid0(VALU_DEP_4) | instskip(NEXT) | instid1(VALU_DEP_4)
	v_fmac_f32_e32 v43, v9, v21
	v_dual_mul_f32 v54, v61, v30 :: v_dual_and_b32 v61, 0xffff0000, v8
	s_delay_alu instid0(VALU_DEP_4) | instskip(NEXT) | instid1(VALU_DEP_4)
	v_add_f32_e32 v53, v44, v76
	v_fmac_f32_e32 v72, v28, v20
	s_delay_alu instid0(VALU_DEP_4) | instskip(NEXT) | instid1(VALU_DEP_4)
	v_dual_add_f32 v43, v52, v43 :: v_dual_and_b32 v44, 0xffff0000, v10
	v_fmac_f32_e32 v54, v27, v7
	v_dual_mul_f32 v27, v65, v61 :: v_dual_lshlrev_b32 v8, 16, v8
	v_lshlrev_b32_e32 v10, 16, v10
	s_delay_alu instid0(VALU_DEP_4) | instskip(SKIP_1) | instid1(VALU_DEP_4)
	v_dual_mul_f32 v21, v44, v58 :: v_dual_and_b32 v52, 0xffff0000, v12
	v_lshlrev_b32_e32 v12, 16, v12
	v_dual_fmac_f32 v27, v28, v8 :: v_dual_and_b32 v28, 0xffff0000, v11
	s_delay_alu instid0(VALU_DEP_3)
	v_fmac_f32_e32 v21, v10, v22
	v_mul_f32_e32 v22, v26, v63
	v_lshlrev_b32_e32 v11, 16, v11
	v_add_f32_e32 v55, v55, v72
	v_add_f32_e32 v25, v25, v54
	;; [unrolled: 1-line block ×3, first 2 shown]
	v_dual_fmac_f32 v22, v9, v17 :: v_dual_mul_f32 v17, v44, v60
	s_delay_alu instid0(VALU_DEP_3) | instskip(NEXT) | instid1(VALU_DEP_2)
	v_dual_mul_f32 v43, v28, v62 :: v_dual_add_f32 v54, v25, v27
	v_add_f32_e32 v22, v51, v22
	s_delay_alu instid0(VALU_DEP_3) | instskip(NEXT) | instid1(VALU_DEP_3)
	v_dual_fmac_f32 v17, v10, v18 :: v_dual_mul_f32 v18, v28, v67
	v_fmac_f32_e32 v43, v11, v23
	v_mul_f32_e32 v23, v52, v68
	s_delay_alu instid0(VALU_DEP_3) | instskip(SKIP_1) | instid1(VALU_DEP_4)
	v_dual_add_f32 v17, v22, v17 :: v_dual_fmac_f32 v18, v11, v19
	v_mul_f32_e32 v19, v26, v69
	v_dual_add_f32 v21, v21, v43 :: v_dual_mul_f32 v22, v26, v73
	s_delay_alu instid0(VALU_DEP_4) | instskip(NEXT) | instid1(VALU_DEP_4)
	v_fmac_f32_e32 v23, v12, v24
	v_dual_add_f32 v17, v17, v18 :: v_dual_mul_f32 v18, v52, v71
	s_delay_alu instid0(VALU_DEP_4) | instskip(NEXT) | instid1(VALU_DEP_4)
	v_fmac_f32_e32 v19, v9, v13
	v_dual_mul_f32 v13, v44, v59 :: v_dual_fmac_f32 v22, v9, v5
	v_mul_f32_e32 v5, v44, v75
	s_delay_alu instid0(VALU_DEP_2) | instskip(NEXT) | instid1(VALU_DEP_4)
	v_dual_fmac_f32 v18, v12, v20 :: v_dual_fmac_f32 v13, v10, v14
	v_dual_mul_f32 v14, v28, v66 :: v_dual_add_f32 v9, v50, v19
	s_delay_alu instid0(VALU_DEP_3) | instskip(SKIP_1) | instid1(VALU_DEP_3)
	v_fmac_f32_e32 v5, v10, v6
	v_mul_f32_e32 v6, v28, v30
	v_dual_add_f32 v19, v49, v22 :: v_dual_fmac_f32 v14, v11, v15
	s_delay_alu instid0(VALU_DEP_4) | instskip(NEXT) | instid1(VALU_DEP_3)
	v_dual_mul_f32 v10, v52, v64 :: v_dual_add_f32 v9, v9, v13
	v_fmac_f32_e32 v6, v11, v7
	s_delay_alu instid0(VALU_DEP_3) | instskip(SKIP_1) | instid1(VALU_DEP_4)
	v_add_f32_e32 v5, v19, v5
	v_dual_mul_f32 v7, v52, v61 :: v_dual_add_f32 v52, v21, v23
	v_dual_fmac_f32 v10, v12, v16 :: v_dual_add_f32 v9, v9, v14
	s_delay_alu instid0(VALU_DEP_3) | instskip(NEXT) | instid1(VALU_DEP_3)
	v_add_f32_e32 v5, v5, v6
	v_fmac_f32_e32 v7, v12, v8
	v_add_f32_e32 v51, v17, v18
	s_delay_alu instid0(VALU_DEP_4) | instskip(NEXT) | instid1(VALU_DEP_3)
	v_add_f32_e32 v50, v9, v10
	v_add_f32_e32 v49, v5, v7
	s_cbranch_scc1 .LBB198_32
.LBB198_23:                             ;   Parent Loop BB198_19 Depth=1
                                        ; =>  This Inner Loop Header: Depth=2
	v_add_nc_u32_e32 v43, s1, v0
	s_waitcnt vmcnt(5)
	v_dual_mov_b32 v27, 0 :: v_dual_mov_b32 v26, 0
	s_waitcnt vmcnt(4)
	v_mov_b32_e32 v25, 0
	s_mov_b32 s2, exec_lo
	v_min_u32_e32 v30, s21, v43
	v_mov_b32_e32 v28, 0
	s_delay_alu instid0(VALU_DEP_2) | instskip(NEXT) | instid1(VALU_DEP_1)
	v_lshlrev_b64 v[5:6], 1, v[30:31]
	v_add_co_u32 v11, vcc_lo, s6, v5
	s_delay_alu instid0(VALU_DEP_2) | instskip(NEXT) | instid1(VALU_DEP_2)
	v_add_co_ci_u32_e32 v12, vcc_lo, s7, v6, vcc_lo
	v_add_co_u32 v5, vcc_lo, v11, v35
	s_delay_alu instid0(VALU_DEP_2)
	v_add_co_ci_u32_e32 v6, vcc_lo, v12, v36, vcc_lo
	v_add_co_u32 v7, vcc_lo, v11, v37
	v_add_co_ci_u32_e32 v8, vcc_lo, v12, v38, vcc_lo
	v_add_co_u32 v9, vcc_lo, v11, v39
	;; [unrolled: 2-line block ×3, first 2 shown]
	v_add_co_ci_u32_e32 v12, vcc_lo, v12, v42, vcc_lo
	s_clause 0x3
	global_load_b128 v[21:24], v[5:6], off slc dlc
	global_load_b128 v[17:20], v[7:8], off slc dlc
	;; [unrolled: 1-line block ×4, first 2 shown]
	v_dual_mov_b32 v12, 0 :: v_dual_mov_b32 v11, 0
	v_dual_mov_b32 v10, 0 :: v_dual_mov_b32 v9, 0
	v_cmpx_gt_u32_e64 s8, v43
	s_cbranch_execz .LBB198_22
; %bb.24:                               ;   in Loop: Header=BB198_23 Depth=2
	s_mov_b32 s3, exec_lo
                                        ; implicit-def: $vgpr28
	v_cmpx_lt_u32_e32 0x7fff, v43
	s_xor_b32 s3, exec_lo, s3
	s_cbranch_execz .LBB198_26
; %bb.25:                               ;   in Loop: Header=BB198_23 Depth=2
	v_mov_b32_e32 v44, v31
	s_delay_alu instid0(VALU_DEP_1) | instskip(NEXT) | instid1(VALU_DEP_1)
	v_lshlrev_b64 v[9:10], 1, v[43:44]
	v_add_co_u32 v9, vcc_lo, s16, v9
	s_delay_alu instid0(VALU_DEP_2)
	v_add_co_ci_u32_e32 v10, vcc_lo, s17, v10, vcc_lo
	global_load_b128 v[25:28], v[9:10], off
.LBB198_26:                             ;   in Loop: Header=BB198_23 Depth=2
	s_and_not1_saveexec_b32 s3, s3
	s_cbranch_execz .LBB198_28
; %bb.27:                               ;   in Loop: Header=BB198_23 Depth=2
	s_waitcnt vmcnt(0)
	ds_load_b128 v[25:28], v56
.LBB198_28:                             ;   in Loop: Header=BB198_23 Depth=2
	s_or_b32 exec_lo, exec_lo, s3
	v_add_nc_u32_e32 v30, s1, v46
	s_mov_b32 s3, exec_lo
                                        ; implicit-def: $vgpr12
	s_delay_alu instid0(VALU_DEP_1)
	v_cmpx_lt_u32_e32 0x7fff, v30
	s_xor_b32 s3, exec_lo, s3
	s_cbranch_execz .LBB198_30
; %bb.29:                               ;   in Loop: Header=BB198_23 Depth=2
	v_lshlrev_b64 v[9:10], 1, v[30:31]
	s_delay_alu instid0(VALU_DEP_1) | instskip(NEXT) | instid1(VALU_DEP_2)
	v_add_co_u32 v9, vcc_lo, s16, v9
	v_add_co_ci_u32_e32 v10, vcc_lo, s17, v10, vcc_lo
	global_load_b128 v[9:12], v[9:10], off
.LBB198_30:                             ;   in Loop: Header=BB198_23 Depth=2
	s_and_not1_saveexec_b32 s3, s3
	s_cbranch_execz .LBB198_21
; %bb.31:                               ;   in Loop: Header=BB198_23 Depth=2
	s_waitcnt vmcnt(0)
	v_add_nc_u32_e32 v9, s22, v56
	ds_load_b128 v[9:12], v9
	s_branch .LBB198_21
.LBB198_32:                             ;   in Loop: Header=BB198_19 Depth=1
	s_delay_alu instid0(VALU_DEP_1)
	v_cvt_i32_f32_e32 v5, v57
	s_waitcnt lgkmcnt(3)
	v_cvt_i32_f32_e32 v6, v55
	v_cvt_i32_f32_e32 v7, v53
	s_waitcnt lgkmcnt(0)
	v_cvt_i32_f32_e32 v8, v54
	v_cvt_i32_f32_e32 v9, v52
	v_cvt_f32_i32_dpp v5, v5 row_shr:8 row_mask:0xf bank_mask:0xf bound_ctrl:1
	v_cvt_f32_i32_dpp v6, v6 row_shr:8 row_mask:0xf bank_mask:0xf bound_ctrl:1
	;; [unrolled: 1-line block ×3, first 2 shown]
	v_cvt_i32_f32_e32 v10, v51
	v_cvt_i32_f32_e32 v15, v49
	s_delay_alu instid0(VALU_DEP_4) | instskip(SKIP_3) | instid1(VALU_DEP_4)
	v_dual_add_f32 v5, v57, v5 :: v_dual_add_f32 v6, v55, v6
	v_cvt_f32_i32_dpp v8, v8 row_shr:8 row_mask:0xf bank_mask:0xf bound_ctrl:1
	v_cvt_f32_i32_dpp v9, v9 row_shr:8 row_mask:0xf bank_mask:0xf bound_ctrl:1
	;; [unrolled: 1-line block ×3, first 2 shown]
	v_cvt_i32_f32_e32 v12, v5
	s_waitcnt vmcnt(0)
	v_cvt_i32_f32_e32 v13, v6
	v_cvt_i32_f32_e32 v11, v50
	v_add_f32_e32 v8, v54, v8
	v_add_f32_e32 v10, v51, v10
	v_cvt_f32_i32_dpp v12, v12 row_shr:4 row_mask:0xf bank_mask:0xf bound_ctrl:1
	v_cvt_f32_i32_dpp v13, v13 row_shr:4 row_mask:0xf bank_mask:0xf bound_ctrl:1
	v_add_f32_e32 v7, v53, v7
	v_cvt_f32_i32_dpp v11, v11 row_shr:8 row_mask:0xf bank_mask:0xf bound_ctrl:1
	v_cvt_i32_f32_e32 v19, v10
	s_delay_alu instid0(VALU_DEP_4) | instskip(NEXT) | instid1(VALU_DEP_4)
	v_dual_add_f32 v5, v5, v12 :: v_dual_add_f32 v6, v6, v13
	v_cvt_i32_f32_e32 v14, v7
	v_cvt_f32_i32_dpp v12, v15 row_shr:8 row_mask:0xf bank_mask:0xf bound_ctrl:1
	v_add_f32_e32 v11, v50, v11
	s_delay_alu instid0(VALU_DEP_4) | instskip(NEXT) | instid1(VALU_DEP_4)
	v_cvt_i32_f32_e32 v13, v5
	v_cvt_f32_i32_dpp v14, v14 row_shr:4 row_mask:0xf bank_mask:0xf bound_ctrl:1
	s_delay_alu instid0(VALU_DEP_4) | instskip(NEXT) | instid1(VALU_DEP_4)
	v_add_f32_e32 v12, v49, v12
	v_cvt_i32_f32_e32 v22, v11
	s_delay_alu instid0(VALU_DEP_4) | instskip(NEXT) | instid1(VALU_DEP_4)
	v_cvt_f32_i32_dpp v13, v13 row_shr:2 row_mask:0xf bank_mask:0xf bound_ctrl:1
	v_add_f32_e32 v7, v7, v14
	v_cvt_i32_f32_e32 v14, v6
	v_cvt_i32_f32_e32 v25, v12
	s_delay_alu instid0(VALU_DEP_3) | instskip(NEXT) | instid1(VALU_DEP_3)
	v_cvt_i32_f32_e32 v15, v7
	v_cvt_f32_i32_dpp v14, v14 row_shr:2 row_mask:0xf bank_mask:0xf bound_ctrl:1
	v_add_f32_e32 v9, v52, v9
	s_delay_alu instid0(VALU_DEP_3) | instskip(NEXT) | instid1(VALU_DEP_3)
	v_cvt_f32_i32_dpp v15, v15 row_shr:2 row_mask:0xf bank_mask:0xf bound_ctrl:1
	v_add_f32_e32 v6, v6, v14
	s_delay_alu instid0(VALU_DEP_3) | instskip(NEXT) | instid1(VALU_DEP_3)
	v_cvt_i32_f32_e32 v18, v9
	v_add_f32_e32 v7, v7, v15
	s_delay_alu instid0(VALU_DEP_3) | instskip(NEXT) | instid1(VALU_DEP_1)
	v_cvt_i32_f32_e32 v15, v6
	v_cvt_f32_i32_dpp v15, v15 row_shr:1 row_mask:0xf bank_mask:0xf bound_ctrl:1
	v_add_f32_e32 v5, v5, v13
	v_cvt_i32_f32_e32 v13, v8
	s_delay_alu instid0(VALU_DEP_3) | instskip(NEXT) | instid1(VALU_DEP_3)
	v_add_f32_e32 v20, v6, v15
	v_cvt_i32_f32_e32 v14, v5
	v_cvt_f32_i32_dpp v6, v18 row_shr:4 row_mask:0xf bank_mask:0xf bound_ctrl:1
	ds_bpermute_b32 v21, v47, v20
	v_cvt_f32_i32_dpp v14, v14 row_shr:1 row_mask:0xf bank_mask:0xf bound_ctrl:1
	v_add_f32_e32 v6, v9, v6
	v_cvt_i32_f32_e32 v16, v7
	s_delay_alu instid0(VALU_DEP_3) | instskip(SKIP_4) | instid1(VALU_DEP_4)
	v_add_f32_e32 v23, v5, v14
	v_cvt_f32_i32_dpp v14, v25 row_shr:4 row_mask:0xf bank_mask:0xf bound_ctrl:1
	v_cvt_f32_i32_dpp v5, v13 row_shr:4 row_mask:0xf bank_mask:0xf bound_ctrl:1
	;; [unrolled: 1-line block ×4, first 2 shown]
	v_add_f32_e32 v9, v12, v14
	s_delay_alu instid0(VALU_DEP_1) | instskip(NEXT) | instid1(VALU_DEP_1)
	v_cvt_i32_f32_e32 v14, v9
	v_cvt_f32_i32_dpp v14, v14 row_shr:2 row_mask:0xf bank_mask:0xf bound_ctrl:1
	v_add_f32_e32 v5, v8, v5
	v_add_f32_e32 v8, v11, v13
	v_cvt_i32_f32_e32 v11, v6
	ds_bpermute_b32 v24, v47, v23
	v_cvt_i32_f32_e32 v13, v8
	v_cvt_f32_i32_dpp v11, v11 row_shr:2 row_mask:0xf bank_mask:0xf bound_ctrl:1
	v_add_f32_e32 v17, v7, v16
	v_cvt_f32_i32_dpp v7, v19 row_shr:4 row_mask:0xf bank_mask:0xf bound_ctrl:1
	s_delay_alu instid0(VALU_DEP_4) | instskip(NEXT) | instid1(VALU_DEP_4)
	v_cvt_f32_i32_dpp v13, v13 row_shr:2 row_mask:0xf bank_mask:0xf bound_ctrl:1
	v_add_f32_e32 v6, v6, v11
	ds_bpermute_b32 v18, v47, v17
	v_add_f32_e32 v7, v10, v7
	v_cvt_i32_f32_e32 v10, v5
	v_add_f32_e32 v8, v8, v13
	v_cvt_i32_f32_e32 v11, v6
	s_delay_alu instid0(VALU_DEP_4) | instskip(NEXT) | instid1(VALU_DEP_4)
	v_cvt_i32_f32_e32 v12, v7
	v_cvt_f32_i32_dpp v10, v10 row_shr:2 row_mask:0xf bank_mask:0xf bound_ctrl:1
	s_delay_alu instid0(VALU_DEP_4) | instskip(NEXT) | instid1(VALU_DEP_4)
	v_cvt_i32_f32_e32 v13, v8
	v_cvt_f32_i32_dpp v11, v11 row_shr:1 row_mask:0xf bank_mask:0xf bound_ctrl:1
	s_delay_alu instid0(VALU_DEP_4) | instskip(NEXT) | instid1(VALU_DEP_4)
	v_cvt_f32_i32_dpp v12, v12 row_shr:2 row_mask:0xf bank_mask:0xf bound_ctrl:1
	v_add_f32_e32 v5, v5, v10
	v_add_f32_e32 v10, v9, v14
	v_cvt_f32_i32_dpp v13, v13 row_shr:1 row_mask:0xf bank_mask:0xf bound_ctrl:1
	v_add_f32_e32 v11, v6, v11
	s_delay_alu instid0(VALU_DEP_4) | instskip(NEXT) | instid1(VALU_DEP_4)
	v_cvt_i32_f32_e32 v9, v5
	v_cvt_i32_f32_e32 v14, v10
	s_delay_alu instid0(VALU_DEP_2) | instskip(SKIP_1) | instid1(VALU_DEP_3)
	v_cvt_f32_i32_dpp v9, v9 row_shr:1 row_mask:0xf bank_mask:0xf bound_ctrl:1
	v_add_f32_e32 v7, v7, v12
	v_cvt_f32_i32_dpp v15, v14 row_shr:1 row_mask:0xf bank_mask:0xf bound_ctrl:1
	s_delay_alu instid0(VALU_DEP_3) | instskip(NEXT) | instid1(VALU_DEP_3)
	v_add_f32_e32 v14, v5, v9
	v_cvt_i32_f32_e32 v12, v7
	s_delay_alu instid0(VALU_DEP_3)
	v_add_f32_e32 v5, v10, v15
	ds_bpermute_b32 v15, v47, v14
	v_cvt_f32_i32_dpp v12, v12 row_shr:1 row_mask:0xf bank_mask:0xf bound_ctrl:1
	ds_bpermute_b32 v6, v47, v5
	v_add_f32_e32 v9, v7, v12
	v_add_f32_e32 v7, v8, v13
	ds_bpermute_b32 v12, v47, v11
	ds_bpermute_b32 v10, v47, v9
	;; [unrolled: 1-line block ×3, first 2 shown]
	s_and_saveexec_b32 s5, s0
	s_cbranch_execz .LBB198_83
; %bb.33:                               ;   in Loop: Header=BB198_19 Depth=1
	v_dual_mov_b32 v28, 0 :: v_dual_mov_b32 v27, 0
	v_dual_mov_b32 v26, 0 :: v_dual_mov_b32 v25, 0
	;; [unrolled: 1-line block ×4, first 2 shown]
	s_and_not1_b32 vcc_lo, exec_lo, s24
	s_cbranch_vccnz .LBB198_35
; %bb.34:                               ;   in Loop: Header=BB198_19 Depth=1
	v_mul_hi_u32 v13, v29, v48
	v_mul_hi_u32 v16, v34, v48
	;; [unrolled: 1-line block ×4, first 2 shown]
	s_delay_alu instid0(VALU_DEP_4) | instskip(NEXT) | instid1(VALU_DEP_4)
	v_mul_lo_u32 v13, v13, s18
	v_mul_lo_u32 v16, v16, s18
	s_delay_alu instid0(VALU_DEP_4) | instskip(NEXT) | instid1(VALU_DEP_4)
	v_mul_lo_u32 v19, v19, s18
	v_mul_lo_u32 v22, v22, s18
	s_delay_alu instid0(VALU_DEP_4) | instskip(NEXT) | instid1(VALU_DEP_4)
	v_sub_nc_u32_e32 v13, v29, v13
	v_sub_nc_u32_e32 v16, v34, v16
	s_delay_alu instid0(VALU_DEP_4) | instskip(NEXT) | instid1(VALU_DEP_4)
	v_sub_nc_u32_e32 v19, v33, v19
	v_sub_nc_u32_e32 v22, v32, v22
	s_delay_alu instid0(VALU_DEP_4)
	v_subrev_nc_u32_e32 v25, s18, v13
	v_cmp_le_u32_e32 vcc_lo, s18, v13
	v_mov_b32_e32 v26, v31
	v_subrev_nc_u32_e32 v27, s18, v16
	v_subrev_nc_u32_e32 v30, s18, v19
	v_subrev_nc_u32_e32 v35, s18, v22
	v_cndmask_b32_e32 v13, v13, v25, vcc_lo
	v_cmp_le_u32_e32 vcc_lo, s18, v16
	s_delay_alu instid0(VALU_DEP_2) | instskip(SKIP_4) | instid1(VALU_DEP_4)
	v_subrev_nc_u32_e32 v25, s18, v13
	v_cndmask_b32_e32 v16, v16, v27, vcc_lo
	v_cmp_le_u32_e32 vcc_lo, s18, v19
	v_cndmask_b32_e32 v19, v19, v30, vcc_lo
	v_cmp_le_u32_e32 vcc_lo, s18, v22
	v_subrev_nc_u32_e32 v27, s18, v16
	v_cndmask_b32_e32 v22, v22, v35, vcc_lo
	v_cmp_le_u32_e32 vcc_lo, s18, v13
	v_subrev_nc_u32_e32 v35, s18, v19
	s_delay_alu instid0(VALU_DEP_3)
	v_subrev_nc_u32_e32 v39, s18, v22
	v_cndmask_b32_e32 v30, v13, v25, vcc_lo
	v_cmp_le_u32_e32 vcc_lo, s18, v16
	v_dual_mov_b32 v28, v31 :: v_dual_cndmask_b32 v25, v16, v27
	v_cmp_le_u32_e32 vcc_lo, s18, v19
	v_cndmask_b32_e32 v27, v19, v35, vcc_lo
	v_cmp_le_u32_e32 vcc_lo, s18, v22
	v_lshlrev_b64 v[37:38], 1, v[30:31]
	v_mov_b32_e32 v36, v31
	v_add_nc_u32_e32 v30, s19, v30
	v_lshlrev_b64 v[41:42], 1, v[27:28]
	v_cndmask_b32_e32 v35, v22, v39, vcc_lo
	v_lshlrev_b64 v[39:40], 1, v[25:26]
	v_add_co_u32 v37, vcc_lo, s12, v37
	v_add_co_ci_u32_e32 v38, vcc_lo, s13, v38, vcc_lo
	v_lshlrev_b64 v[49:50], 1, v[30:31]
	v_add_nc_u32_e32 v30, s19, v25
	v_add_co_u32 v39, vcc_lo, s12, v39
	v_lshlrev_b64 v[43:44], 1, v[35:36]
	v_add_co_ci_u32_e32 v40, vcc_lo, s13, v40, vcc_lo
	v_add_co_u32 v41, vcc_lo, s12, v41
	v_lshlrev_b64 v[25:26], 1, v[30:31]
	v_add_nc_u32_e32 v30, s19, v27
	v_add_co_ci_u32_e32 v42, vcc_lo, s13, v42, vcc_lo
	v_add_co_u32 v43, vcc_lo, s12, v43
	v_add_co_ci_u32_e32 v44, vcc_lo, s13, v44, vcc_lo
	v_add_co_u32 v49, vcc_lo, s12, v49
	v_lshlrev_b64 v[27:28], 1, v[30:31]
	v_add_nc_u32_e32 v30, s19, v35
	v_add_co_ci_u32_e32 v50, vcc_lo, s13, v50, vcc_lo
	v_add_co_u32 v35, vcc_lo, s12, v25
	v_add_co_ci_u32_e32 v36, vcc_lo, s13, v26, vcc_lo
	s_delay_alu instid0(VALU_DEP_4) | instskip(SKIP_2) | instid1(VALU_DEP_3)
	v_lshlrev_b64 v[25:26], 1, v[30:31]
	v_add_co_u32 v51, vcc_lo, s12, v27
	v_add_co_ci_u32_e32 v52, vcc_lo, s13, v28, vcc_lo
	v_add_co_u32 v53, vcc_lo, s12, v25
	s_delay_alu instid0(VALU_DEP_4)
	v_add_co_ci_u32_e32 v54, vcc_lo, s13, v26, vcc_lo
	s_clause 0x7
	global_load_u16 v28, v[37:38], off
	global_load_u16 v27, v[39:40], off
	;; [unrolled: 1-line block ×8, first 2 shown]
.LBB198_35:                             ;   in Loop: Header=BB198_19 Depth=1
	v_cmp_ne_u32_e32 vcc_lo, 0, v1
	s_and_saveexec_b32 s2, vcc_lo
	s_cbranch_execnz .LBB198_43
; %bb.36:                               ;   in Loop: Header=BB198_19 Depth=1
	s_or_b32 exec_lo, exec_lo, s2
	v_cmp_ne_u32_e64 s1, 0, v2
	s_delay_alu instid0(VALU_DEP_1)
	s_and_saveexec_b32 s3, s1
	s_cbranch_execnz .LBB198_48
.LBB198_37:                             ;   in Loop: Header=BB198_19 Depth=1
	s_or_b32 exec_lo, exec_lo, s3
	v_cmp_ne_u32_e64 s2, 0, v3
	s_delay_alu instid0(VALU_DEP_1)
	s_and_saveexec_b32 s4, s2
	s_cbranch_execnz .LBB198_53
.LBB198_38:                             ;   in Loop: Header=BB198_19 Depth=1
	s_or_b32 exec_lo, exec_lo, s4
	v_cmp_ne_u32_e64 s3, 0, v4
	s_delay_alu instid0(VALU_DEP_1)
	s_and_saveexec_b32 s27, s3
	s_cbranch_execnz .LBB198_58
.LBB198_39:                             ;   in Loop: Header=BB198_19 Depth=1
	s_or_b32 exec_lo, exec_lo, s27
	v_add_nc_u32_e32 v30, s11, v29
	s_and_saveexec_b32 s4, vcc_lo
	s_cbranch_execnz .LBB198_63
.LBB198_40:                             ;   in Loop: Header=BB198_19 Depth=1
	s_or_b32 exec_lo, exec_lo, s4
	s_and_saveexec_b32 s4, s1
	s_cbranch_execnz .LBB198_68
.LBB198_41:                             ;   in Loop: Header=BB198_19 Depth=1
	s_or_b32 exec_lo, exec_lo, s4
	s_and_saveexec_b32 s1, s2
	s_cbranch_execnz .LBB198_73
.LBB198_42:                             ;   in Loop: Header=BB198_19 Depth=1
	s_or_b32 exec_lo, exec_lo, s1
	s_delay_alu instid0(SALU_CYCLE_1)
	s_and_b32 exec_lo, exec_lo, s3
	s_cbranch_execnz .LBB198_78
	s_branch .LBB198_83
.LBB198_43:                             ;   in Loop: Header=BB198_19 Depth=1
	s_waitcnt lgkmcnt(6)
	v_add_f32_e32 v23, v23, v24
	s_waitcnt vmcnt(7)
	v_lshlrev_b32_e32 v24, 16, v28
	s_delay_alu instid0(VALU_DEP_1) | instskip(NEXT) | instid1(VALU_DEP_1)
	v_add_f32_e32 v24, v23, v24
	v_and_b32_e32 v23, 0x7f800000, v24
	s_delay_alu instid0(VALU_DEP_1) | instskip(NEXT) | instid1(VALU_DEP_1)
	v_cmp_ne_u32_e64 s1, 0x7f800000, v23
                                        ; implicit-def: $vgpr23
	s_and_saveexec_b32 s3, s1
	s_delay_alu instid0(SALU_CYCLE_1)
	s_xor_b32 s1, exec_lo, s3
; %bb.44:                               ;   in Loop: Header=BB198_19 Depth=1
	v_bfe_u32 v23, v24, 16, 1
	s_delay_alu instid0(VALU_DEP_1)
	v_add3_u32 v23, v24, v23, 0x7fff
                                        ; implicit-def: $vgpr24
; %bb.45:                               ;   in Loop: Header=BB198_19 Depth=1
	s_and_not1_saveexec_b32 s3, s1
; %bb.46:                               ;   in Loop: Header=BB198_19 Depth=1
	v_and_b32_e32 v23, 0xffff, v24
	v_or_b32_e32 v28, 0x10000, v24
	s_delay_alu instid0(VALU_DEP_2) | instskip(NEXT) | instid1(VALU_DEP_1)
	v_cmp_eq_u32_e64 s1, 0, v23
	v_cndmask_b32_e64 v23, v28, v24, s1
; %bb.47:                               ;   in Loop: Header=BB198_19 Depth=1
	s_or_b32 exec_lo, exec_lo, s3
	v_mov_b32_e32 v30, v31
	s_delay_alu instid0(VALU_DEP_1) | instskip(NEXT) | instid1(VALU_DEP_1)
	v_lshlrev_b64 v[35:36], 1, v[29:30]
	v_add_co_u32 v35, s1, s14, v35
	s_delay_alu instid0(VALU_DEP_1) | instskip(SKIP_3) | instid1(VALU_DEP_1)
	v_add_co_ci_u32_e64 v36, s1, s15, v36, s1
	global_store_d16_hi_b16 v[35:36], v23, off
	s_or_b32 exec_lo, exec_lo, s2
	v_cmp_ne_u32_e64 s1, 0, v2
	s_and_saveexec_b32 s3, s1
	s_cbranch_execz .LBB198_37
.LBB198_48:                             ;   in Loop: Header=BB198_19 Depth=1
	s_waitcnt vmcnt(6) lgkmcnt(7)
	v_dual_add_f32 v20, v20, v21 :: v_dual_lshlrev_b32 v21, 16, v27
	s_delay_alu instid0(VALU_DEP_1) | instskip(NEXT) | instid1(VALU_DEP_1)
	v_add_f32_e32 v21, v20, v21
	v_and_b32_e32 v20, 0x7f800000, v21
	s_delay_alu instid0(VALU_DEP_1) | instskip(NEXT) | instid1(VALU_DEP_1)
	v_cmp_ne_u32_e64 s2, 0x7f800000, v20
                                        ; implicit-def: $vgpr20
	s_and_saveexec_b32 s4, s2
	s_delay_alu instid0(SALU_CYCLE_1)
	s_xor_b32 s2, exec_lo, s4
; %bb.49:                               ;   in Loop: Header=BB198_19 Depth=1
	v_bfe_u32 v20, v21, 16, 1
	s_delay_alu instid0(VALU_DEP_1)
	v_add3_u32 v20, v21, v20, 0x7fff
                                        ; implicit-def: $vgpr21
; %bb.50:                               ;   in Loop: Header=BB198_19 Depth=1
	s_and_not1_saveexec_b32 s4, s2
; %bb.51:                               ;   in Loop: Header=BB198_19 Depth=1
	v_and_b32_e32 v20, 0xffff, v21
	v_or_b32_e32 v23, 0x10000, v21
	s_delay_alu instid0(VALU_DEP_2) | instskip(NEXT) | instid1(VALU_DEP_1)
	v_cmp_eq_u32_e64 s2, 0, v20
	v_cndmask_b32_e64 v20, v23, v21, s2
; %bb.52:                               ;   in Loop: Header=BB198_19 Depth=1
	s_or_b32 exec_lo, exec_lo, s4
	v_mov_b32_e32 v35, v31
	s_waitcnt lgkmcnt(6)
	s_delay_alu instid0(VALU_DEP_1) | instskip(NEXT) | instid1(VALU_DEP_1)
	v_lshlrev_b64 v[23:24], 1, v[34:35]
	v_add_co_u32 v23, s2, s14, v23
	s_delay_alu instid0(VALU_DEP_1) | instskip(SKIP_3) | instid1(VALU_DEP_1)
	v_add_co_ci_u32_e64 v24, s2, s15, v24, s2
	global_store_d16_hi_b16 v[23:24], v20, off
	s_or_b32 exec_lo, exec_lo, s3
	v_cmp_ne_u32_e64 s2, 0, v3
	s_and_saveexec_b32 s4, s2
	s_cbranch_execz .LBB198_38
.LBB198_53:                             ;   in Loop: Header=BB198_19 Depth=1
	s_waitcnt lgkmcnt(5)
	v_add_f32_e32 v17, v17, v18
	s_waitcnt vmcnt(5)
	v_lshlrev_b32_e32 v18, 16, v26
	s_delay_alu instid0(VALU_DEP_1) | instskip(NEXT) | instid1(VALU_DEP_1)
	v_add_f32_e32 v18, v17, v18
	v_and_b32_e32 v17, 0x7f800000, v18
	s_delay_alu instid0(VALU_DEP_1) | instskip(NEXT) | instid1(VALU_DEP_1)
	v_cmp_ne_u32_e64 s3, 0x7f800000, v17
                                        ; implicit-def: $vgpr17
	s_and_saveexec_b32 s27, s3
	s_delay_alu instid0(SALU_CYCLE_1)
	s_xor_b32 s3, exec_lo, s27
; %bb.54:                               ;   in Loop: Header=BB198_19 Depth=1
	v_bfe_u32 v17, v18, 16, 1
	s_delay_alu instid0(VALU_DEP_1)
	v_add3_u32 v17, v18, v17, 0x7fff
                                        ; implicit-def: $vgpr18
; %bb.55:                               ;   in Loop: Header=BB198_19 Depth=1
	s_and_not1_saveexec_b32 s27, s3
; %bb.56:                               ;   in Loop: Header=BB198_19 Depth=1
	v_and_b32_e32 v17, 0xffff, v18
	v_or_b32_e32 v20, 0x10000, v18
	s_delay_alu instid0(VALU_DEP_2) | instskip(NEXT) | instid1(VALU_DEP_1)
	v_cmp_eq_u32_e64 s3, 0, v17
	v_cndmask_b32_e64 v17, v20, v18, s3
; %bb.57:                               ;   in Loop: Header=BB198_19 Depth=1
	s_or_b32 exec_lo, exec_lo, s27
	v_mov_b32_e32 v34, v31
	s_delay_alu instid0(VALU_DEP_1) | instskip(NEXT) | instid1(VALU_DEP_1)
	v_lshlrev_b64 v[20:21], 1, v[33:34]
	v_add_co_u32 v20, s3, s14, v20
	s_delay_alu instid0(VALU_DEP_1) | instskip(SKIP_3) | instid1(VALU_DEP_1)
	v_add_co_ci_u32_e64 v21, s3, s15, v21, s3
	global_store_d16_hi_b16 v[20:21], v17, off
	s_or_b32 exec_lo, exec_lo, s4
	v_cmp_ne_u32_e64 s3, 0, v4
	s_and_saveexec_b32 s27, s3
	s_cbranch_execz .LBB198_39
.LBB198_58:                             ;   in Loop: Header=BB198_19 Depth=1
	s_waitcnt vmcnt(4) lgkmcnt(4)
	v_dual_add_f32 v14, v14, v15 :: v_dual_lshlrev_b32 v15, 16, v25
	s_delay_alu instid0(VALU_DEP_1) | instskip(NEXT) | instid1(VALU_DEP_1)
	v_add_f32_e32 v15, v14, v15
	v_and_b32_e32 v14, 0x7f800000, v15
	s_delay_alu instid0(VALU_DEP_1) | instskip(NEXT) | instid1(VALU_DEP_1)
	v_cmp_ne_u32_e64 s4, 0x7f800000, v14
                                        ; implicit-def: $vgpr14
	s_and_saveexec_b32 s28, s4
	s_delay_alu instid0(SALU_CYCLE_1)
	s_xor_b32 s4, exec_lo, s28
; %bb.59:                               ;   in Loop: Header=BB198_19 Depth=1
	v_bfe_u32 v14, v15, 16, 1
	s_delay_alu instid0(VALU_DEP_1)
	v_add3_u32 v14, v15, v14, 0x7fff
                                        ; implicit-def: $vgpr15
; %bb.60:                               ;   in Loop: Header=BB198_19 Depth=1
	s_and_not1_saveexec_b32 s28, s4
; %bb.61:                               ;   in Loop: Header=BB198_19 Depth=1
	v_and_b32_e32 v14, 0xffff, v15
	v_or_b32_e32 v17, 0x10000, v15
	s_delay_alu instid0(VALU_DEP_2) | instskip(NEXT) | instid1(VALU_DEP_1)
	v_cmp_eq_u32_e64 s4, 0, v14
	v_cndmask_b32_e64 v14, v17, v15, s4
; %bb.62:                               ;   in Loop: Header=BB198_19 Depth=1
	s_or_b32 exec_lo, exec_lo, s28
	v_mov_b32_e32 v33, v31
	s_delay_alu instid0(VALU_DEP_1) | instskip(NEXT) | instid1(VALU_DEP_1)
	v_lshlrev_b64 v[17:18], 1, v[32:33]
	v_add_co_u32 v17, s4, s14, v17
	s_delay_alu instid0(VALU_DEP_1)
	v_add_co_ci_u32_e64 v18, s4, s15, v18, s4
	global_store_d16_hi_b16 v[17:18], v14, off
	s_or_b32 exec_lo, exec_lo, s27
	v_add_nc_u32_e32 v30, s11, v29
	s_and_saveexec_b32 s4, vcc_lo
	s_cbranch_execz .LBB198_40
.LBB198_63:                             ;   in Loop: Header=BB198_19 Depth=1
	s_waitcnt vmcnt(3) lgkmcnt(2)
	v_dual_add_f32 v11, v11, v12 :: v_dual_lshlrev_b32 v12, 16, v22
	s_delay_alu instid0(VALU_DEP_1) | instskip(NEXT) | instid1(VALU_DEP_1)
	v_add_f32_e32 v12, v11, v12
	v_and_b32_e32 v11, 0x7f800000, v12
	s_delay_alu instid0(VALU_DEP_1) | instskip(SKIP_1) | instid1(SALU_CYCLE_1)
	v_cmp_ne_u32_e32 vcc_lo, 0x7f800000, v11
                                        ; implicit-def: $vgpr11
	s_and_saveexec_b32 s27, vcc_lo
	s_xor_b32 s27, exec_lo, s27
; %bb.64:                               ;   in Loop: Header=BB198_19 Depth=1
	v_bfe_u32 v11, v12, 16, 1
	s_delay_alu instid0(VALU_DEP_1)
	v_add3_u32 v11, v12, v11, 0x7fff
                                        ; implicit-def: $vgpr12
; %bb.65:                               ;   in Loop: Header=BB198_19 Depth=1
	s_and_not1_saveexec_b32 s27, s27
; %bb.66:                               ;   in Loop: Header=BB198_19 Depth=1
	v_and_b32_e32 v11, 0xffff, v12
	v_or_b32_e32 v14, 0x10000, v12
	s_delay_alu instid0(VALU_DEP_2) | instskip(NEXT) | instid1(VALU_DEP_2)
	v_cmp_eq_u32_e32 vcc_lo, 0, v11
	v_cndmask_b32_e32 v11, v14, v12, vcc_lo
; %bb.67:                               ;   in Loop: Header=BB198_19 Depth=1
	s_or_b32 exec_lo, exec_lo, s27
	v_lshlrev_b64 v[14:15], 1, v[30:31]
	s_delay_alu instid0(VALU_DEP_1) | instskip(NEXT) | instid1(VALU_DEP_2)
	v_add_co_u32 v14, vcc_lo, s14, v14
	v_add_co_ci_u32_e32 v15, vcc_lo, s15, v15, vcc_lo
	global_store_d16_hi_b16 v[14:15], v11, off
	s_or_b32 exec_lo, exec_lo, s4
	s_and_saveexec_b32 s4, s1
	s_cbranch_execz .LBB198_41
.LBB198_68:                             ;   in Loop: Header=BB198_19 Depth=1
	s_waitcnt vmcnt(2) lgkmcnt(1)
	v_dual_add_f32 v9, v9, v10 :: v_dual_lshlrev_b32 v10, 16, v19
	s_delay_alu instid0(VALU_DEP_1) | instskip(NEXT) | instid1(VALU_DEP_1)
	v_add_f32_e32 v10, v9, v10
	v_and_b32_e32 v9, 0x7f800000, v10
	s_delay_alu instid0(VALU_DEP_1) | instskip(SKIP_1) | instid1(SALU_CYCLE_1)
	v_cmp_ne_u32_e32 vcc_lo, 0x7f800000, v9
                                        ; implicit-def: $vgpr9
	s_and_saveexec_b32 s1, vcc_lo
	s_xor_b32 s1, exec_lo, s1
; %bb.69:                               ;   in Loop: Header=BB198_19 Depth=1
	v_bfe_u32 v9, v10, 16, 1
	s_delay_alu instid0(VALU_DEP_1)
	v_add3_u32 v9, v10, v9, 0x7fff
                                        ; implicit-def: $vgpr10
; %bb.70:                               ;   in Loop: Header=BB198_19 Depth=1
	s_and_not1_saveexec_b32 s1, s1
; %bb.71:                               ;   in Loop: Header=BB198_19 Depth=1
	v_and_b32_e32 v9, 0xffff, v10
	v_or_b32_e32 v11, 0x10000, v10
	s_delay_alu instid0(VALU_DEP_2) | instskip(NEXT) | instid1(VALU_DEP_2)
	v_cmp_eq_u32_e32 vcc_lo, 0, v9
	v_cndmask_b32_e32 v9, v11, v10, vcc_lo
; %bb.72:                               ;   in Loop: Header=BB198_19 Depth=1
	s_or_b32 exec_lo, exec_lo, s1
	v_dual_mov_b32 v11, v31 :: v_dual_add_nc_u32 v10, 1, v30
	s_delay_alu instid0(VALU_DEP_1) | instskip(NEXT) | instid1(VALU_DEP_1)
	v_lshlrev_b64 v[10:11], 1, v[10:11]
	v_add_co_u32 v10, vcc_lo, s14, v10
	s_delay_alu instid0(VALU_DEP_2)
	v_add_co_ci_u32_e32 v11, vcc_lo, s15, v11, vcc_lo
	global_store_d16_hi_b16 v[10:11], v9, off
	s_or_b32 exec_lo, exec_lo, s4
	s_and_saveexec_b32 s1, s2
	s_cbranch_execz .LBB198_42
.LBB198_73:                             ;   in Loop: Header=BB198_19 Depth=1
	s_waitcnt lgkmcnt(0)
	v_add_f32_e32 v7, v7, v8
	s_waitcnt vmcnt(1)
	v_lshlrev_b32_e32 v8, 16, v16
	s_delay_alu instid0(VALU_DEP_1) | instskip(NEXT) | instid1(VALU_DEP_1)
	v_add_f32_e32 v8, v7, v8
	v_and_b32_e32 v7, 0x7f800000, v8
	s_delay_alu instid0(VALU_DEP_1) | instskip(SKIP_1) | instid1(SALU_CYCLE_1)
	v_cmp_ne_u32_e32 vcc_lo, 0x7f800000, v7
                                        ; implicit-def: $vgpr7
	s_and_saveexec_b32 s2, vcc_lo
	s_xor_b32 s2, exec_lo, s2
; %bb.74:                               ;   in Loop: Header=BB198_19 Depth=1
	v_bfe_u32 v7, v8, 16, 1
	s_delay_alu instid0(VALU_DEP_1)
	v_add3_u32 v7, v8, v7, 0x7fff
                                        ; implicit-def: $vgpr8
; %bb.75:                               ;   in Loop: Header=BB198_19 Depth=1
	s_and_not1_saveexec_b32 s2, s2
; %bb.76:                               ;   in Loop: Header=BB198_19 Depth=1
	v_and_b32_e32 v7, 0xffff, v8
	v_or_b32_e32 v9, 0x10000, v8
	s_delay_alu instid0(VALU_DEP_2) | instskip(NEXT) | instid1(VALU_DEP_2)
	v_cmp_eq_u32_e32 vcc_lo, 0, v7
	v_cndmask_b32_e32 v7, v9, v8, vcc_lo
; %bb.77:                               ;   in Loop: Header=BB198_19 Depth=1
	s_or_b32 exec_lo, exec_lo, s2
	v_dual_mov_b32 v9, v31 :: v_dual_add_nc_u32 v8, 2, v30
	s_delay_alu instid0(VALU_DEP_1) | instskip(NEXT) | instid1(VALU_DEP_1)
	v_lshlrev_b64 v[8:9], 1, v[8:9]
	v_add_co_u32 v8, vcc_lo, s14, v8
	s_delay_alu instid0(VALU_DEP_2) | instskip(SKIP_2) | instid1(SALU_CYCLE_1)
	v_add_co_ci_u32_e32 v9, vcc_lo, s15, v9, vcc_lo
	global_store_d16_hi_b16 v[8:9], v7, off
	s_or_b32 exec_lo, exec_lo, s1
	s_and_b32 exec_lo, exec_lo, s3
	s_cbranch_execz .LBB198_83
.LBB198_78:                             ;   in Loop: Header=BB198_19 Depth=1
	s_waitcnt vmcnt(0) lgkmcnt(3)
	v_dual_add_f32 v5, v5, v6 :: v_dual_lshlrev_b32 v6, 16, v13
	s_delay_alu instid0(VALU_DEP_1) | instskip(NEXT) | instid1(VALU_DEP_1)
	v_add_f32_e32 v6, v5, v6
	v_and_b32_e32 v5, 0x7f800000, v6
	s_delay_alu instid0(VALU_DEP_1) | instskip(SKIP_1) | instid1(SALU_CYCLE_1)
	v_cmp_ne_u32_e32 vcc_lo, 0x7f800000, v5
                                        ; implicit-def: $vgpr5
	s_and_saveexec_b32 s1, vcc_lo
	s_xor_b32 s1, exec_lo, s1
; %bb.79:                               ;   in Loop: Header=BB198_19 Depth=1
	v_bfe_u32 v5, v6, 16, 1
	s_delay_alu instid0(VALU_DEP_1)
	v_add3_u32 v5, v6, v5, 0x7fff
                                        ; implicit-def: $vgpr6
; %bb.80:                               ;   in Loop: Header=BB198_19 Depth=1
	s_and_not1_saveexec_b32 s1, s1
; %bb.81:                               ;   in Loop: Header=BB198_19 Depth=1
	v_and_b32_e32 v5, 0xffff, v6
	v_or_b32_e32 v7, 0x10000, v6
	s_delay_alu instid0(VALU_DEP_2) | instskip(NEXT) | instid1(VALU_DEP_2)
	v_cmp_eq_u32_e32 vcc_lo, 0, v5
	v_cndmask_b32_e32 v5, v7, v6, vcc_lo
; %bb.82:                               ;   in Loop: Header=BB198_19 Depth=1
	s_or_b32 exec_lo, exec_lo, s1
	v_add_nc_u32_e32 v30, 3, v30
	s_delay_alu instid0(VALU_DEP_1) | instskip(NEXT) | instid1(VALU_DEP_1)
	v_lshlrev_b64 v[6:7], 1, v[30:31]
	v_add_co_u32 v6, vcc_lo, s14, v6
	s_delay_alu instid0(VALU_DEP_2)
	v_add_co_ci_u32_e32 v7, vcc_lo, s15, v7, vcc_lo
	global_store_d16_hi_b16 v[6:7], v5, off
.LBB198_83:                             ;   in Loop: Header=BB198_19 Depth=1
	s_or_b32 exec_lo, exec_lo, s5
	v_add_nc_u32_e32 v29, s25, v29
	s_delay_alu instid0(VALU_DEP_1) | instskip(SKIP_1) | instid1(VALU_DEP_2)
	v_add_nc_u32_e32 v5, 4, v29
	v_cmp_gt_u32_e32 vcc_lo, s11, v29
	v_cmp_le_u32_e64 s1, s11, v5
	s_delay_alu instid0(VALU_DEP_1) | instskip(NEXT) | instid1(SALU_CYCLE_1)
	s_and_b32 s1, vcc_lo, s1
	s_and_saveexec_b32 s27, s1
	s_cbranch_execz .LBB198_18
; %bb.84:                               ;   in Loop: Header=BB198_19 Depth=1
	s_mov_b32 s28, exec_lo
	v_cmpx_ne_u32_e64 s26, v29
	s_cbranch_execz .LBB198_17
; %bb.85:                               ;   in Loop: Header=BB198_19 Depth=1
	v_subrev_nc_u32_e32 v5, s26, v29
	s_mov_b32 s29, 0
	s_mov_b64 s[4:5], 0
	s_delay_alu instid0(VALU_DEP_1)
	v_cmp_lt_u32_e32 vcc_lo, 1, v5
	v_cndmask_b32_e32 v5, 1, v5, vcc_lo
	.p2align	6
.LBB198_86:                             ;   Parent Loop BB198_19 Depth=1
                                        ; =>  This Inner Loop Header: Depth=2
	s_cmp_lg_u32 s4, 3
	s_cselect_b32 vcc_lo, -1, 0
	s_cmp_lg_u32 s4, 2
	v_cndmask_b32_e32 v4, 0, v4, vcc_lo
	s_cselect_b32 s1, -1, 0
	s_cmp_lg_u32 s4, 1
	v_cndmask_b32_e64 v3, 0, v3, s1
	s_cselect_b32 s2, -1, 0
	s_cmp_lg_u32 s4, 0
	v_cndmask_b32_e64 v2, 0, v2, s2
	s_cselect_b32 s3, -1, 0
	s_add_u32 s4, s4, 1
	v_cndmask_b32_e64 v1, 0, v1, s3
	v_cmp_eq_u32_e32 vcc_lo, s4, v5
	s_addc_u32 s5, s5, 0
	s_or_b32 s29, vcc_lo, s29
	s_delay_alu instid0(SALU_CYCLE_1)
	s_and_not1_b32 exec_lo, exec_lo, s29
	s_cbranch_execnz .LBB198_86
; %bb.87:                               ;   in Loop: Header=BB198_19 Depth=1
	s_or_b32 exec_lo, exec_lo, s29
	s_branch .LBB198_17
.LBB198_88:
	s_nop 0
	s_sendmsg sendmsg(MSG_DEALLOC_VGPRS)
	s_endpgm
	.section	.rodata,"a",@progbits
	.p2align	6, 0x0
	.amdhsa_kernel _Z12wvSplitK_hf_I14__hip_bfloat16Li32ELi4ELi16ELi8ELi1ELi2EEviiiiiiPKT_S3_S3_PS1_ii
		.amdhsa_group_segment_fixed_size 65536
		.amdhsa_private_segment_fixed_size 0
		.amdhsa_kernarg_size 64
		.amdhsa_user_sgpr_count 15
		.amdhsa_user_sgpr_dispatch_ptr 0
		.amdhsa_user_sgpr_queue_ptr 0
		.amdhsa_user_sgpr_kernarg_segment_ptr 1
		.amdhsa_user_sgpr_dispatch_id 0
		.amdhsa_user_sgpr_private_segment_size 0
		.amdhsa_wavefront_size32 1
		.amdhsa_uses_dynamic_stack 0
		.amdhsa_enable_private_segment 0
		.amdhsa_system_sgpr_workgroup_id_x 1
		.amdhsa_system_sgpr_workgroup_id_y 0
		.amdhsa_system_sgpr_workgroup_id_z 0
		.amdhsa_system_sgpr_workgroup_info 0
		.amdhsa_system_vgpr_workitem_id 1
		.amdhsa_next_free_vgpr 77
		.amdhsa_next_free_sgpr 30
		.amdhsa_reserve_vcc 1
		.amdhsa_float_round_mode_32 0
		.amdhsa_float_round_mode_16_64 0
		.amdhsa_float_denorm_mode_32 3
		.amdhsa_float_denorm_mode_16_64 3
		.amdhsa_dx10_clamp 1
		.amdhsa_ieee_mode 1
		.amdhsa_fp16_overflow 0
		.amdhsa_workgroup_processor_mode 1
		.amdhsa_memory_ordered 1
		.amdhsa_forward_progress 0
		.amdhsa_shared_vgpr_count 0
		.amdhsa_exception_fp_ieee_invalid_op 0
		.amdhsa_exception_fp_denorm_src 0
		.amdhsa_exception_fp_ieee_div_zero 0
		.amdhsa_exception_fp_ieee_overflow 0
		.amdhsa_exception_fp_ieee_underflow 0
		.amdhsa_exception_fp_ieee_inexact 0
		.amdhsa_exception_int_div_zero 0
	.end_amdhsa_kernel
	.section	.text._Z12wvSplitK_hf_I14__hip_bfloat16Li32ELi4ELi16ELi8ELi1ELi2EEviiiiiiPKT_S3_S3_PS1_ii,"axG",@progbits,_Z12wvSplitK_hf_I14__hip_bfloat16Li32ELi4ELi16ELi8ELi1ELi2EEviiiiiiPKT_S3_S3_PS1_ii,comdat
.Lfunc_end198:
	.size	_Z12wvSplitK_hf_I14__hip_bfloat16Li32ELi4ELi16ELi8ELi1ELi2EEviiiiiiPKT_S3_S3_PS1_ii, .Lfunc_end198-_Z12wvSplitK_hf_I14__hip_bfloat16Li32ELi4ELi16ELi8ELi1ELi2EEviiiiiiPKT_S3_S3_PS1_ii
                                        ; -- End function
	.section	.AMDGPU.csdata,"",@progbits
; Kernel info:
; codeLenInByte = 5420
; NumSgprs: 32
; NumVgprs: 77
; ScratchSize: 0
; MemoryBound: 0
; FloatMode: 240
; IeeeMode: 1
; LDSByteSize: 65536 bytes/workgroup (compile time only)
; SGPRBlocks: 3
; VGPRBlocks: 9
; NumSGPRsForWavesPerEU: 32
; NumVGPRsForWavesPerEU: 77
; Occupancy: 8
; WaveLimiterHint : 0
; COMPUTE_PGM_RSRC2:SCRATCH_EN: 0
; COMPUTE_PGM_RSRC2:USER_SGPR: 15
; COMPUTE_PGM_RSRC2:TRAP_HANDLER: 0
; COMPUTE_PGM_RSRC2:TGID_X_EN: 1
; COMPUTE_PGM_RSRC2:TGID_Y_EN: 0
; COMPUTE_PGM_RSRC2:TGID_Z_EN: 0
; COMPUTE_PGM_RSRC2:TIDIG_COMP_CNT: 1
	.section	.text._Z16wvSplitK_hf_big_I14__hip_bfloat16Li32ELi4ELi16ELi8ELi1ELi2EEviiiiiiPKT_S3_S3_PS1_ii,"axG",@progbits,_Z16wvSplitK_hf_big_I14__hip_bfloat16Li32ELi4ELi16ELi8ELi1ELi2EEviiiiiiPKT_S3_S3_PS1_ii,comdat
	.protected	_Z16wvSplitK_hf_big_I14__hip_bfloat16Li32ELi4ELi16ELi8ELi1ELi2EEviiiiiiPKT_S3_S3_PS1_ii ; -- Begin function _Z16wvSplitK_hf_big_I14__hip_bfloat16Li32ELi4ELi16ELi8ELi1ELi2EEviiiiiiPKT_S3_S3_PS1_ii
	.globl	_Z16wvSplitK_hf_big_I14__hip_bfloat16Li32ELi4ELi16ELi8ELi1ELi2EEviiiiiiPKT_S3_S3_PS1_ii
	.p2align	8
	.type	_Z16wvSplitK_hf_big_I14__hip_bfloat16Li32ELi4ELi16ELi8ELi1ELi2EEviiiiiiPKT_S3_S3_PS1_ii,@function
_Z16wvSplitK_hf_big_I14__hip_bfloat16Li32ELi4ELi16ELi8ELi1ELi2EEviiiiiiPKT_S3_S3_PS1_ii: ; @_Z16wvSplitK_hf_big_I14__hip_bfloat16Li32ELi4ELi16ELi8ELi1ELi2EEviiiiiiPKT_S3_S3_PS1_ii
; %bb.0:
	s_load_b64 s[20:21], s[0:1], 0x38
	v_bfe_u32 v5, v0, 10, 10
	s_mov_b32 s2, exec_lo
	s_waitcnt lgkmcnt(0)
	s_delay_alu instid0(VALU_DEP_1)
	v_cmpx_gt_u32_e64 s20, v5
	s_cbranch_execz .LBB199_86
; %bb.1:
	s_load_b128 s[16:19], s[0:1], 0x0
	s_mul_i32 s15, s15, s20
	s_mov_b32 s4, 1
	v_add_lshl_u32 v29, s15, v5, 2
	s_mov_b32 s5, s4
	s_mov_b32 s6, s4
	;; [unrolled: 1-line block ×3, first 2 shown]
	s_delay_alu instid0(VALU_DEP_1) | instskip(SKIP_2) | instid1(VALU_DEP_2)
	v_add_nc_u32_e32 v1, 4, v29
	s_waitcnt lgkmcnt(0)
	v_cmp_gt_u32_e32 vcc_lo, s19, v29
	v_cmp_le_u32_e64 s2, s19, v1
	v_dual_mov_b32 v1, s4 :: v_dual_mov_b32 v4, s7
	v_dual_mov_b32 v2, s5 :: v_dual_mov_b32 v3, s6
	s_delay_alu instid0(VALU_DEP_3) | instskip(NEXT) | instid1(SALU_CYCLE_1)
	s_and_b32 s2, vcc_lo, s2
	s_and_saveexec_b32 s8, s2
	s_cbranch_execz .LBB199_7
; %bb.2:
	v_dual_mov_b32 v1, s4 :: v_dual_mov_b32 v2, s5
	v_dual_mov_b32 v3, s6 :: v_dual_mov_b32 v4, s7
	s_add_i32 s9, s19, -4
	s_mov_b32 s10, exec_lo
	v_cmpx_ne_u32_e64 s9, v29
	s_cbranch_execz .LBB199_6
; %bb.3:
	v_subrev_nc_u32_e32 v1, s9, v29
	s_mov_b32 s11, 0
	s_mov_b64 s[2:3], 0
	s_mov_b32 s5, s4
	s_mov_b32 s6, s4
	v_cmp_lt_u32_e32 vcc_lo, 1, v1
	s_mov_b32 s7, s4
	v_cndmask_b32_e32 v6, 1, v1, vcc_lo
	.p2align	6
.LBB199_4:                              ; =>This Inner Loop Header: Depth=1
	s_cmp_lg_u32 s2, 3
	s_cselect_b32 s7, s7, 0
	s_cmp_lg_u32 s2, 2
	s_cselect_b32 s6, s6, 0
	;; [unrolled: 2-line block ×4, first 2 shown]
	s_add_u32 s2, s2, 1
	v_dual_mov_b32 v1, s4 :: v_dual_mov_b32 v2, s5
	v_cmp_eq_u32_e32 vcc_lo, s2, v6
	v_dual_mov_b32 v3, s6 :: v_dual_mov_b32 v4, s7
	s_addc_u32 s3, s3, 0
	s_or_b32 s11, vcc_lo, s11
	s_delay_alu instid0(SALU_CYCLE_1)
	s_and_not1_b32 exec_lo, exec_lo, s11
	s_cbranch_execnz .LBB199_4
; %bb.5:
	s_or_b32 exec_lo, exec_lo, s11
	v_mov_b32_e32 v29, s9
.LBB199_6:
	s_or_b32 exec_lo, exec_lo, s10
.LBB199_7:
	s_delay_alu instid0(SALU_CYCLE_1)
	s_or_b32 exec_lo, exec_lo, s8
	s_lshl_b32 s2, s20, 2
	s_abs_i32 s6, s19
	s_abs_i32 s3, s2
	s_mov_b32 s23, 0
	v_cvt_f32_u32_e32 v6, s3
	s_sub_i32 s5, 0, s3
	s_delay_alu instid0(VALU_DEP_1) | instskip(SKIP_2) | instid1(VALU_DEP_1)
	v_rcp_iflag_f32_e32 v6, v6
	s_waitcnt_depctr 0xfff
	v_mul_f32_e32 v6, 0x4f7ffffe, v6
	v_cvt_u32_f32_e32 v6, v6
	s_delay_alu instid0(VALU_DEP_1) | instskip(NEXT) | instid1(VALU_DEP_1)
	v_readfirstlane_b32 s4, v6
	s_mul_i32 s5, s5, s4
	s_delay_alu instid0(SALU_CYCLE_1) | instskip(NEXT) | instid1(SALU_CYCLE_1)
	s_mul_hi_u32 s5, s4, s5
	s_add_i32 s4, s4, s5
	s_ashr_i32 s5, s19, 31
	s_mul_hi_u32 s4, s6, s4
	s_delay_alu instid0(SALU_CYCLE_1) | instskip(NEXT) | instid1(SALU_CYCLE_1)
	s_mul_i32 s4, s4, s3
	s_sub_i32 s4, s6, s4
	s_delay_alu instid0(SALU_CYCLE_1) | instskip(SKIP_2) | instid1(SALU_CYCLE_1)
	s_sub_i32 s6, s4, s3
	s_cmp_ge_u32 s4, s3
	s_cselect_b32 s4, s6, s4
	s_sub_i32 s6, s4, s3
	s_cmp_ge_u32 s4, s3
	s_cselect_b32 s3, s6, s4
	s_add_i32 s2, s2, s19
	s_xor_b32 s3, s3, s5
	s_delay_alu instid0(SALU_CYCLE_1) | instskip(NEXT) | instid1(SALU_CYCLE_1)
	s_sub_i32 s3, s3, s5
	s_sub_i32 s2, s2, s3
	s_cmp_eq_u32 s3, 0
	s_cselect_b32 s22, s19, s2
	s_delay_alu instid0(SALU_CYCLE_1)
	v_cmp_gt_u32_e32 vcc_lo, s22, v29
	s_and_b32 exec_lo, exec_lo, vcc_lo
	s_cbranch_execz .LBB199_86
; %bb.8:
	s_load_b256 s[8:15], s[0:1], 0x10
	s_min_u32 s24, s18, 0x4000
	v_dual_mov_b32 v32, 0 :: v_dual_and_b32 v7, 0x3ff, v0
	s_cmp_lg_u32 s16, 0
	s_load_b64 s[6:7], s[0:1], 0x30
	s_mul_i32 s0, s21, s20
	s_cselect_b32 s21, -1, 0
	s_cmp_lg_u32 s18, 0
	v_lshlrev_b32_e32 v0, 3, v7
	s_cselect_b32 s25, -1, 0
	s_lshl_b32 s26, s20, 8
	s_add_i32 s27, s16, -8
	s_add_i32 s28, s19, -1
	s_lshl_b32 s29, s0, 2
	v_cmp_eq_u32_e64 s0, 31, v7
	v_lshl_add_u32 v41, v5, 8, v0
	v_mbcnt_lo_u32_b32 v45, -1, 0
	v_lshlrev_b32_e32 v7, 4, v7
	s_waitcnt lgkmcnt(0)
	v_cvt_f32_u32_e32 v6, s8
	s_cmp_lg_u64 s[14:15], 0
	v_add_nc_u32_e32 v43, s18, v41
	s_cselect_b32 s30, -1, 0
	s_sub_i32 s1, 0, s8
	v_rcp_iflag_f32_e32 v6, v6
	v_lshl_add_u32 v42, v5, 9, v7
	s_waitcnt_depctr 0xfff
	v_mul_f32_e32 v6, 0x4f7ffffe, v6
	s_delay_alu instid0(VALU_DEP_1) | instskip(NEXT) | instid1(VALU_DEP_1)
	v_cvt_u32_f32_e32 v6, v6
	v_mul_lo_u32 v8, s1, v6
	s_abs_i32 s1, s9
	s_add_i32 s9, s19, -4
	s_sub_i32 s2, 1, s1
	s_cmp_lt_u32 s1, 2
	s_cselect_b32 s2, s2, 1
	s_delay_alu instid0(SALU_CYCLE_1) | instskip(NEXT) | instid1(VALU_DEP_1)
	s_sub_i32 s3, s2, s1
	v_mul_hi_u32 v8, v6, v8
	s_cmp_ge_u32 s2, s1
	s_cselect_b32 s33, s3, s2
	s_add_u32 s31, s6, 2
	s_mul_i32 s33, s33, s8
	s_addc_u32 s34, s7, 0
	s_lshl_b32 s35, s24, 1
	s_delay_alu instid0(VALU_DEP_1)
	v_add_nc_u32_e32 v44, v6, v8
	s_lshl_b32 s20, s20, 9
	s_branch .LBB199_12
.LBB199_9:                              ;   in Loop: Header=BB199_12 Depth=1
	s_or_b32 exec_lo, exec_lo, s38
	v_mov_b32_e32 v29, s9
.LBB199_10:                             ;   in Loop: Header=BB199_12 Depth=1
	s_or_b32 exec_lo, exec_lo, s37
.LBB199_11:                             ;   in Loop: Header=BB199_12 Depth=1
	s_delay_alu instid0(SALU_CYCLE_1) | instskip(NEXT) | instid1(VALU_DEP_1)
	s_or_b32 exec_lo, exec_lo, s36
	v_cmp_le_u32_e32 vcc_lo, s22, v29
	s_or_b32 s23, vcc_lo, s23
	s_delay_alu instid0(SALU_CYCLE_1)
	s_and_not1_b32 exec_lo, exec_lo, s23
	s_cbranch_execz .LBB199_86
.LBB199_12:                             ; =>This Loop Header: Depth=1
                                        ;     Child Loop BB199_16 Depth 2
                                        ;       Child Loop BB199_21 Depth 3
                                        ;     Child Loop BB199_84 Depth 2
	s_waitcnt vmcnt(7)
	v_mov_b32_e32 v30, v32
	v_mov_b32_e32 v46, v32
	;; [unrolled: 1-line block ×8, first 2 shown]
	s_and_not1_b32 vcc_lo, exec_lo, s21
	s_mov_b32 s3, 0
	s_cbranch_vccnz .LBB199_27
; %bb.13:                               ;   in Loop: Header=BB199_12 Depth=1
	v_dual_mov_b32 v51, 0 :: v_dual_add_nc_u32 v6, 2, v29
	v_add_nc_u32_e32 v5, 1, v29
	v_add_nc_u32_e32 v7, 3, v29
	s_waitcnt lgkmcnt(0)
	v_min_u32_e32 v8, s28, v29
	v_min_u32_e32 v6, s28, v6
	v_dual_mov_b32 v10, v32 :: v_dual_mov_b32 v49, 0
	v_cmp_gt_u32_e64 s1, s19, v29
	s_delay_alu instid0(VALU_DEP_4)
	v_mul_lo_u32 v31, v8, s17
	v_mov_b32_e32 v8, v32
	v_min_u32_e32 v9, s28, v7
	v_mul_lo_u32 v7, v6, s17
	v_mov_b32_e32 v6, v32
	v_min_u32_e32 v5, s28, v5
	v_dual_mov_b32 v52, 0 :: v_dual_mov_b32 v47, 0
	v_mul_lo_u32 v9, v9, s17
	v_lshlrev_b64 v[33:34], 1, v[31:32]
	s_delay_alu instid0(VALU_DEP_4)
	v_mul_lo_u32 v5, v5, s17
	v_lshlrev_b64 v[37:38], 1, v[7:8]
	v_mov_b32_e32 v50, 0
	v_mov_b32_e32 v48, 0
	;; [unrolled: 1-line block ×4, first 2 shown]
	v_lshlrev_b64 v[39:40], 1, v[9:10]
	s_mov_b32 s4, 0
	v_lshlrev_b64 v[35:36], 1, v[5:6]
	s_branch .LBB199_16
.LBB199_14:                             ;   in Loop: Header=BB199_16 Depth=2
	s_or_b32 exec_lo, exec_lo, s5
	s_waitcnt lgkmcnt(1)
	v_and_b32_e32 v31, 0xffff0000, v25
	v_and_b32_e32 v58, 0xffff0000, v27
	s_waitcnt vmcnt(3)
	v_and_b32_e32 v59, 0xffff0000, v23
	v_and_b32_e32 v53, 0xffff0000, v21
	v_lshlrev_b32_e32 v21, 16, v21
	v_and_b32_e32 v55, 0xffff0000, v22
	v_lshlrev_b32_e32 v27, 16, v27
	v_lshlrev_b32_e32 v23, 16, v23
	v_lshlrev_b32_e32 v25, 16, v25
	v_mul_f32_e32 v56, v31, v53
	s_waitcnt vmcnt(2)
	v_and_b32_e32 v60, 0xffff0000, v17
	v_lshlrev_b32_e32 v17, 16, v17
	s_waitcnt vmcnt(1)
	v_and_b32_e32 v66, 0xffff0000, v13
	v_lshlrev_b32_e32 v13, 16, v13
	v_fmac_f32_e32 v56, v25, v21
	v_and_b32_e32 v68, 0xffff0000, v20
	s_waitcnt vmcnt(0)
	v_and_b32_e32 v70, 0xffff0000, v9
	v_and_b32_e32 v72, 0xffff0000, v10
	v_lshlrev_b32_e32 v10, 16, v10
	v_add_f32_e32 v52, v52, v56
	v_dual_mul_f32 v61, v31, v60 :: v_dual_and_b32 v54, 0xffff0000, v26
	v_mul_f32_e32 v56, v58, v59
	v_lshlrev_b32_e32 v26, 16, v26
	v_and_b32_e32 v64, 0xffff0000, v19
	s_delay_alu instid0(VALU_DEP_4) | instskip(SKIP_3) | instid1(VALU_DEP_1)
	v_mul_f32_e32 v57, v54, v55
	v_lshlrev_b32_e32 v19, 16, v19
	v_fmac_f32_e32 v56, v27, v23
	v_dual_fmac_f32 v61, v25, v17 :: v_dual_lshlrev_b32 v22, 16, v22
	v_dual_fmac_f32 v57, v26, v22 :: v_dual_and_b32 v62, 0xffff0000, v28
	s_delay_alu instid0(VALU_DEP_2) | instskip(NEXT) | instid1(VALU_DEP_2)
	v_add_f32_e32 v51, v51, v61
	v_dual_mul_f32 v69, v62, v68 :: v_dual_add_f32 v52, v52, v57
	v_and_b32_e32 v57, 0xffff0000, v18
	s_delay_alu instid0(VALU_DEP_2) | instskip(NEXT) | instid1(VALU_DEP_2)
	v_dual_add_f32 v52, v52, v56 :: v_dual_lshlrev_b32 v9, 16, v9
	v_dual_mul_f32 v63, v54, v57 :: v_dual_lshlrev_b32 v18, 16, v18
	v_mul_f32_e32 v61, v58, v64
	v_and_b32_e32 v65, 0xffff0000, v24
	s_delay_alu instid0(VALU_DEP_3) | instskip(NEXT) | instid1(VALU_DEP_2)
	v_dual_fmac_f32 v63, v26, v18 :: v_dual_lshlrev_b32 v28, 16, v28
	v_dual_mul_f32 v67, v62, v65 :: v_dual_lshlrev_b32 v24, 16, v24
	s_delay_alu instid0(VALU_DEP_4) | instskip(NEXT) | instid1(VALU_DEP_3)
	v_fmac_f32_e32 v61, v27, v19
	v_add_f32_e32 v51, v51, v63
	v_mul_f32_e32 v63, v31, v66
	s_delay_alu instid0(VALU_DEP_4) | instskip(SKIP_1) | instid1(VALU_DEP_4)
	v_dual_fmac_f32 v67, v28, v24 :: v_dual_and_b32 v56, 0xffff0000, v14
	v_mul_f32_e32 v31, v31, v70
	v_dual_add_f32 v51, v51, v61 :: v_dual_lshlrev_b32 v14, 16, v14
	s_delay_alu instid0(VALU_DEP_4) | instskip(NEXT) | instid1(VALU_DEP_4)
	v_fmac_f32_e32 v63, v25, v13
	v_mul_f32_e32 v61, v54, v56
	s_delay_alu instid0(VALU_DEP_4)
	v_fmac_f32_e32 v31, v25, v9
	v_mul_f32_e32 v25, v54, v72
	v_lshlrev_b32_e32 v20, 16, v20
	v_add_f32_e32 v50, v50, v63
	v_fmac_f32_e32 v61, v26, v14
	v_add_f32_e32 v31, v49, v31
	s_waitcnt lgkmcnt(0)
	v_dual_fmac_f32 v25, v26, v10 :: v_dual_and_b32 v26, 0xffff0000, v5
	v_and_b32_e32 v63, 0xffff0000, v15
	v_lshlrev_b32_e32 v5, 16, v5
	v_add_f32_e32 v50, v50, v61
	s_delay_alu instid0(VALU_DEP_4) | instskip(SKIP_1) | instid1(VALU_DEP_1)
	v_add_f32_e32 v25, v31, v25
	v_dual_mul_f32 v49, v26, v53 :: v_dual_add_f32 v52, v52, v67
	v_fmac_f32_e32 v49, v5, v21
	s_delay_alu instid0(VALU_DEP_1)
	v_dual_add_f32 v48, v48, v49 :: v_dual_and_b32 v49, 0xffff0000, v8
	v_and_b32_e32 v31, 0xffff0000, v11
	v_lshlrev_b32_e32 v11, 16, v11
	v_and_b32_e32 v53, 0xffff0000, v6
	v_lshlrev_b32_e32 v6, 16, v6
	v_lshlrev_b32_e32 v8, 16, v8
	v_dual_mul_f32 v54, v58, v31 :: v_dual_and_b32 v61, 0xffff0000, v16
	s_delay_alu instid0(VALU_DEP_4) | instskip(NEXT) | instid1(VALU_DEP_2)
	v_dual_mul_f32 v21, v53, v55 :: v_dual_lshlrev_b32 v16, 16, v16
	v_dual_fmac_f32 v54, v27, v11 :: v_dual_mul_f32 v73, v62, v61
	s_delay_alu instid0(VALU_DEP_2) | instskip(SKIP_3) | instid1(VALU_DEP_3)
	v_fmac_f32_e32 v21, v6, v22
	v_dual_mul_f32 v22, v26, v60 :: v_dual_lshlrev_b32 v15, 16, v15
	v_dual_mul_f32 v71, v58, v63 :: v_dual_and_b32 v58, 0xffff0000, v12
	v_lshlrev_b32_e32 v12, 16, v12
	v_dual_fmac_f32 v22, v5, v17 :: v_dual_fmac_f32 v69, v28, v20
	s_delay_alu instid0(VALU_DEP_3) | instskip(NEXT) | instid1(VALU_DEP_4)
	v_fmac_f32_e32 v71, v27, v15
	v_mul_f32_e32 v27, v62, v58
	s_delay_alu instid0(VALU_DEP_3) | instskip(NEXT) | instid1(VALU_DEP_3)
	v_dual_fmac_f32 v73, v28, v16 :: v_dual_add_f32 v22, v47, v22
	v_dual_add_f32 v21, v48, v21 :: v_dual_add_f32 v50, v50, v71
	s_delay_alu instid0(VALU_DEP_3) | instskip(SKIP_4) | instid1(VALU_DEP_4)
	v_dual_fmac_f32 v27, v28, v12 :: v_dual_and_b32 v28, 0xffff0000, v7
	v_mul_f32_e32 v17, v53, v57
	v_lshlrev_b32_e32 v7, 16, v7
	v_add_f32_e32 v51, v51, v69
	v_add_f32_e32 v50, v50, v73
	v_dual_mul_f32 v48, v28, v59 :: v_dual_fmac_f32 v17, v6, v18
	v_mul_f32_e32 v18, v28, v64
	s_delay_alu instid0(VALU_DEP_2) | instskip(NEXT) | instid1(VALU_DEP_2)
	v_dual_fmac_f32 v48, v7, v23 :: v_dual_add_f32 v17, v22, v17
	v_dual_fmac_f32 v18, v7, v19 :: v_dual_mul_f32 v19, v26, v66
	v_mul_f32_e32 v22, v26, v70
	s_delay_alu instid0(VALU_DEP_2) | instskip(NEXT) | instid1(VALU_DEP_3)
	v_add_f32_e32 v17, v17, v18
	v_fmac_f32_e32 v19, v5, v13
	v_mul_f32_e32 v13, v53, v56
	s_delay_alu instid0(VALU_DEP_4) | instskip(SKIP_1) | instid1(VALU_DEP_4)
	v_fmac_f32_e32 v22, v5, v9
	v_mul_f32_e32 v5, v53, v72
	v_dual_mul_f32 v18, v49, v68 :: v_dual_add_f32 v9, v46, v19
	s_delay_alu instid0(VALU_DEP_4) | instskip(NEXT) | instid1(VALU_DEP_4)
	v_dual_fmac_f32 v13, v6, v14 :: v_dual_mul_f32 v14, v28, v63
	v_add_f32_e32 v19, v30, v22
	s_delay_alu instid0(VALU_DEP_4) | instskip(NEXT) | instid1(VALU_DEP_3)
	v_dual_fmac_f32 v5, v6, v10 :: v_dual_mul_f32 v6, v28, v31
	v_dual_add_f32 v9, v9, v13 :: v_dual_fmac_f32 v14, v7, v15
	s_delay_alu instid0(VALU_DEP_2) | instskip(NEXT) | instid1(VALU_DEP_3)
	v_dual_fmac_f32 v18, v8, v20 :: v_dual_add_f32 v5, v19, v5
	v_dual_fmac_f32 v6, v7, v11 :: v_dual_mul_f32 v7, v49, v58
	s_delay_alu instid0(VALU_DEP_3) | instskip(NEXT) | instid1(VALU_DEP_3)
	v_add_f32_e32 v9, v9, v14
	v_add_f32_e32 v47, v17, v18
	s_delay_alu instid0(VALU_DEP_3) | instskip(NEXT) | instid1(VALU_DEP_4)
	v_add_f32_e32 v5, v5, v6
	v_fmac_f32_e32 v7, v8, v12
	s_delay_alu instid0(VALU_DEP_1) | instskip(SKIP_2) | instid1(VALU_DEP_2)
	v_add_f32_e32 v30, v5, v7
	v_mul_f32_e32 v10, v49, v61
	v_add_f32_e32 v25, v25, v54
	v_dual_mul_f32 v23, v49, v65 :: v_dual_fmac_f32 v10, v8, v16
	s_delay_alu instid0(VALU_DEP_1) | instskip(SKIP_1) | instid1(VALU_DEP_1)
	v_dual_fmac_f32 v23, v8, v24 :: v_dual_add_f32 v46, v9, v10
	v_add_f32_e32 v21, v21, v48
	v_add_f32_e32 v48, v21, v23
	;; [unrolled: 1-line block ×3, first 2 shown]
.LBB199_15:                             ;   in Loop: Header=BB199_16 Depth=2
	s_or_b32 exec_lo, exec_lo, s2
	s_addk_i32 s4, 0x100
	s_delay_alu instid0(SALU_CYCLE_1)
	s_cmp_ge_u32 s4, s16
	s_cbranch_scc1 .LBB199_27
.LBB199_16:                             ;   Parent Loop BB199_12 Depth=1
                                        ; =>  This Loop Header: Depth=2
                                        ;       Child Loop BB199_21 Depth 3
	s_cmp_eq_u32 s4, 0
	s_cselect_b32 s5, -1, 0
	s_add_i32 s2, s3, s24
	s_delay_alu instid0(SALU_CYCLE_1) | instskip(SKIP_1) | instid1(SALU_CYCLE_1)
	s_cmp_eq_u32 s4, s2
	s_cselect_b32 s36, -1, 0
	s_or_b32 s36, s5, s36
	s_delay_alu instid0(SALU_CYCLE_1)
	s_and_not1_b32 vcc_lo, exec_lo, s36
	s_cbranch_vccz .LBB199_18
; %bb.17:                               ;   in Loop: Header=BB199_16 Depth=2
	s_and_saveexec_b32 s2, s1
	s_cbranch_execz .LBB199_15
	s_branch .LBB199_25
.LBB199_18:                             ;   in Loop: Header=BB199_16 Depth=2
	s_and_b32 s5, s5, exec_lo
	s_cselect_b32 s3, s3, s2
	s_and_not1_b32 vcc_lo, exec_lo, s25
	s_waitcnt vmcnt(0)
	s_waitcnt_vscnt null, 0x0
	s_barrier
	buffer_gl0_inv
	s_cbranch_vccnz .LBB199_24
; %bb.19:                               ;   in Loop: Header=BB199_16 Depth=2
	v_add_nc_u32_e32 v5, s3, v43
	v_dual_mov_b32 v7, v42 :: v_dual_add_nc_u32 v6, s3, v41
	s_mov_b32 s5, 0
	s_mov_b32 s36, 0
                                        ; implicit-def: $sgpr37
	s_set_inst_prefetch_distance 0x1
	s_branch .LBB199_21
	.p2align	6
.LBB199_20:                             ;   in Loop: Header=BB199_21 Depth=3
	s_or_b32 exec_lo, exec_lo, s2
	s_delay_alu instid0(SALU_CYCLE_1) | instskip(NEXT) | instid1(SALU_CYCLE_1)
	s_and_b32 s2, exec_lo, s37
	s_or_b32 s5, s2, s5
	s_delay_alu instid0(SALU_CYCLE_1)
	s_and_not1_b32 exec_lo, exec_lo, s5
	s_cbranch_execz .LBB199_23
.LBB199_21:                             ;   Parent Loop BB199_12 Depth=1
                                        ;     Parent Loop BB199_16 Depth=2
                                        ; =>    This Inner Loop Header: Depth=3
	v_add_nc_u32_e32 v31, s36, v6
	v_add_nc_u32_e32 v8, s36, v41
	s_or_b32 s37, s37, exec_lo
	s_delay_alu instid0(VALU_DEP_2) | instskip(NEXT) | instid1(VALU_DEP_2)
	v_cmp_gt_u32_e32 vcc_lo, s18, v31
	v_cmp_gt_u32_e64 s2, s24, v8
	s_delay_alu instid0(VALU_DEP_1) | instskip(NEXT) | instid1(SALU_CYCLE_1)
	s_and_b32 s38, s2, vcc_lo
	s_and_saveexec_b32 s2, s38
	s_cbranch_execz .LBB199_20
; %bb.22:                               ;   in Loop: Header=BB199_21 Depth=3
	v_lshlrev_b64 v[8:9], 1, v[31:32]
	v_add_nc_u32_e32 v31, s36, v5
	s_add_i32 s36, s36, s26
	v_add_nc_u32_e32 v16, s35, v7
	s_cmp_ge_u32 s36, s24
	s_delay_alu instid0(VALU_DEP_2) | instskip(SKIP_3) | instid1(VALU_DEP_3)
	v_lshlrev_b64 v[12:13], 1, v[31:32]
	v_add_co_u32 v8, vcc_lo, s12, v8
	v_add_co_ci_u32_e32 v9, vcc_lo, s13, v9, vcc_lo
	s_cselect_b32 s38, -1, 0
	v_add_co_u32 v12, vcc_lo, s12, v12
	global_load_b128 v[8:11], v[8:9], off
	v_add_co_ci_u32_e32 v13, vcc_lo, s13, v13, vcc_lo
	s_and_not1_b32 s37, s37, exec_lo
	s_and_b32 s38, s38, exec_lo
	global_load_b128 v[12:15], v[12:13], off
	s_or_b32 s37, s37, s38
	s_waitcnt vmcnt(1)
	ds_store_b128 v7, v[8:11]
	v_add_nc_u32_e32 v7, s20, v7
	s_waitcnt vmcnt(0)
	ds_store_2addr_b64 v16, v[12:13], v[14:15] offset1:1
	s_branch .LBB199_20
.LBB199_23:                             ;   in Loop: Header=BB199_16 Depth=2
	s_set_inst_prefetch_distance 0x2
	s_or_b32 exec_lo, exec_lo, s5
.LBB199_24:                             ;   in Loop: Header=BB199_16 Depth=2
	s_waitcnt lgkmcnt(0)
	s_barrier
	buffer_gl0_inv
	s_and_saveexec_b32 s2, s1
	s_cbranch_execz .LBB199_15
.LBB199_25:                             ;   in Loop: Header=BB199_16 Depth=2
	v_add_nc_u32_e32 v53, s4, v0
	s_waitcnt vmcnt(4)
	v_dual_mov_b32 v27, 0 :: v_dual_mov_b32 v26, 0
	v_mov_b32_e32 v25, 0
	s_mov_b32 s5, exec_lo
	v_min_u32_e32 v31, s27, v53
	v_mov_b32_e32 v28, 0
	s_delay_alu instid0(VALU_DEP_2) | instskip(NEXT) | instid1(VALU_DEP_1)
	v_lshlrev_b64 v[5:6], 1, v[31:32]
	v_add_co_u32 v11, vcc_lo, s10, v5
	s_delay_alu instid0(VALU_DEP_2) | instskip(NEXT) | instid1(VALU_DEP_2)
	v_add_co_ci_u32_e32 v12, vcc_lo, s11, v6, vcc_lo
	v_add_co_u32 v5, vcc_lo, v11, v33
	s_delay_alu instid0(VALU_DEP_2)
	v_add_co_ci_u32_e32 v6, vcc_lo, v12, v34, vcc_lo
	v_add_co_u32 v7, vcc_lo, v11, v35
	v_add_co_ci_u32_e32 v8, vcc_lo, v12, v36, vcc_lo
	v_add_co_u32 v9, vcc_lo, v11, v37
	;; [unrolled: 2-line block ×3, first 2 shown]
	v_add_co_ci_u32_e32 v12, vcc_lo, v12, v40, vcc_lo
	s_clause 0x3
	global_load_b128 v[21:24], v[5:6], off slc dlc
	global_load_b128 v[17:20], v[7:8], off slc dlc
	;; [unrolled: 1-line block ×4, first 2 shown]
	v_dual_mov_b32 v8, 0 :: v_dual_mov_b32 v7, 0
	v_dual_mov_b32 v6, 0 :: v_dual_mov_b32 v5, 0
	v_cmpx_gt_u32_e64 s16, v53
	s_cbranch_execz .LBB199_14
; %bb.26:                               ;   in Loop: Header=BB199_16 Depth=2
	v_subrev_nc_u32_e32 v5, s3, v53
	s_delay_alu instid0(VALU_DEP_1) | instskip(NEXT) | instid1(VALU_DEP_1)
	v_lshlrev_b32_e32 v5, 1, v5
	v_lshl_add_u32 v6, s24, 1, v5
	ds_load_b128 v[25:28], v5
	ds_load_b128 v[5:8], v6
	s_branch .LBB199_14
.LBB199_27:                             ;   in Loop: Header=BB199_12 Depth=1
	s_mov_b32 s1, exec_lo
	v_cmpx_le_u32_e64 s19, v29
	s_xor_b32 s1, exec_lo, s1
; %bb.28:                               ;   in Loop: Header=BB199_12 Depth=1
	v_add_nc_u32_e32 v29, s29, v29
                                        ; implicit-def: $vgpr30
                                        ; implicit-def: $vgpr46
                                        ; implicit-def: $vgpr47
                                        ; implicit-def: $vgpr48
                                        ; implicit-def: $vgpr49
                                        ; implicit-def: $vgpr50
                                        ; implicit-def: $vgpr51
                                        ; implicit-def: $vgpr52
; %bb.29:                               ;   in Loop: Header=BB199_12 Depth=1
	s_and_not1_saveexec_b32 s36, s1
	s_cbranch_execz .LBB199_11
; %bb.30:                               ;   in Loop: Header=BB199_12 Depth=1
	v_cvt_i32_f32_e32 v5, v52
	v_cvt_i32_f32_e32 v6, v51
	;; [unrolled: 1-line block ×3, first 2 shown]
	s_waitcnt lgkmcnt(0)
	v_xor_b32_e32 v8, 16, v45
	v_cvt_i32_f32_e32 v9, v49
	v_cvt_f32_i32_dpp v5, v5 row_shr:8 row_mask:0xf bank_mask:0xf bound_ctrl:1
	v_cvt_f32_i32_dpp v6, v6 row_shr:8 row_mask:0xf bank_mask:0xf bound_ctrl:1
	v_cvt_f32_i32_dpp v7, v7 row_shr:8 row_mask:0xf bank_mask:0xf bound_ctrl:1
	v_cmp_gt_i32_e32 vcc_lo, 32, v8
	v_cvt_i32_f32_e32 v16, v30
	s_delay_alu instid0(VALU_DEP_4) | instskip(NEXT) | instid1(VALU_DEP_4)
	v_dual_add_f32 v5, v52, v5 :: v_dual_add_f32 v6, v51, v6
	v_dual_add_f32 v7, v50, v7 :: v_dual_cndmask_b32 v8, v45, v8
	v_cvt_i32_f32_e32 v10, v48
	s_delay_alu instid0(VALU_DEP_3) | instskip(NEXT) | instid1(VALU_DEP_4)
	v_cvt_i32_f32_e32 v12, v5
	v_cvt_i32_f32_e32 v13, v6
	s_delay_alu instid0(VALU_DEP_4)
	v_cvt_i32_f32_e32 v14, v7
	v_cvt_i32_f32_e32 v11, v47
	v_cvt_f32_i32_dpp v9, v9 row_shr:8 row_mask:0xf bank_mask:0xf bound_ctrl:1
	v_cvt_f32_i32_dpp v12, v12 row_shr:4 row_mask:0xf bank_mask:0xf bound_ctrl:1
	;; [unrolled: 1-line block ×6, first 2 shown]
	s_delay_alu instid0(VALU_DEP_4) | instskip(NEXT) | instid1(VALU_DEP_4)
	v_dual_add_f32 v5, v5, v12 :: v_dual_add_f32 v6, v6, v13
	v_dual_add_f32 v7, v7, v14 :: v_dual_lshlrev_b32 v8, 2, v8
	v_cvt_f32_i32_dpp v11, v11 row_shr:8 row_mask:0xf bank_mask:0xf bound_ctrl:1
	s_delay_alu instid0(VALU_DEP_3) | instskip(NEXT) | instid1(VALU_DEP_4)
	v_cvt_i32_f32_e32 v12, v5
	v_cvt_i32_f32_e32 v13, v6
	s_delay_alu instid0(VALU_DEP_4) | instskip(SKIP_1) | instid1(VALU_DEP_4)
	v_cvt_i32_f32_e32 v14, v7
	v_dual_add_f32 v9, v49, v9 :: v_dual_add_f32 v10, v48, v10
	v_cvt_f32_i32_dpp v12, v12 row_shr:2 row_mask:0xf bank_mask:0xf bound_ctrl:1
	s_delay_alu instid0(VALU_DEP_4) | instskip(NEXT) | instid1(VALU_DEP_4)
	v_cvt_f32_i32_dpp v13, v13 row_shr:2 row_mask:0xf bank_mask:0xf bound_ctrl:1
	v_cvt_f32_i32_dpp v14, v14 row_shr:2 row_mask:0xf bank_mask:0xf bound_ctrl:1
	s_waitcnt vmcnt(1)
	v_cvt_i32_f32_e32 v18, v9
	s_waitcnt vmcnt(0)
	v_cvt_i32_f32_e32 v15, v46
	v_dual_add_f32 v5, v5, v12 :: v_dual_add_f32 v6, v6, v13
	v_dual_add_f32 v7, v7, v14 :: v_dual_add_f32 v16, v30, v16
	s_delay_alu instid0(VALU_DEP_3) | instskip(NEXT) | instid1(VALU_DEP_3)
	v_cvt_f32_i32_dpp v15, v15 row_shr:8 row_mask:0xf bank_mask:0xf bound_ctrl:1
	v_cvt_i32_f32_e32 v12, v5
	s_delay_alu instid0(VALU_DEP_4) | instskip(NEXT) | instid1(VALU_DEP_4)
	v_cvt_i32_f32_e32 v13, v6
	v_cvt_i32_f32_e32 v14, v7
	s_delay_alu instid0(VALU_DEP_3) | instskip(SKIP_1) | instid1(VALU_DEP_4)
	v_cvt_f32_i32_dpp v12, v12 row_shr:1 row_mask:0xf bank_mask:0xf bound_ctrl:1
	v_add_f32_e32 v11, v47, v11
	v_cvt_f32_i32_dpp v13, v13 row_shr:1 row_mask:0xf bank_mask:0xf bound_ctrl:1
	s_delay_alu instid0(VALU_DEP_4) | instskip(NEXT) | instid1(VALU_DEP_4)
	v_cvt_f32_i32_dpp v14, v14 row_shr:1 row_mask:0xf bank_mask:0xf bound_ctrl:1
	v_add_f32_e32 v24, v5, v12
	v_cvt_i32_f32_e32 v12, v16
	v_cvt_i32_f32_e32 v5, v10
	ds_bpermute_b32 v25, v8, v24
	v_cvt_f32_i32_dpp v12, v12 row_shr:4 row_mask:0xf bank_mask:0xf bound_ctrl:1
	v_add_f32_e32 v21, v6, v13
	v_cvt_i32_f32_e32 v6, v11
	v_cvt_f32_i32_dpp v13, v18 row_shr:4 row_mask:0xf bank_mask:0xf bound_ctrl:1
	v_cvt_f32_i32_dpp v5, v5 row_shr:4 row_mask:0xf bank_mask:0xf bound_ctrl:1
	s_delay_alu instid0(VALU_DEP_3) | instskip(NEXT) | instid1(VALU_DEP_3)
	v_cvt_f32_i32_dpp v6, v6 row_shr:4 row_mask:0xf bank_mask:0xf bound_ctrl:1
	v_add_f32_e32 v9, v9, v13
	s_delay_alu instid0(VALU_DEP_2) | instskip(NEXT) | instid1(VALU_DEP_2)
	v_dual_add_f32 v15, v46, v15 :: v_dual_add_f32 v6, v11, v6
	v_cvt_i32_f32_e32 v11, v9
	s_delay_alu instid0(VALU_DEP_2) | instskip(NEXT) | instid1(VALU_DEP_2)
	v_cvt_i32_f32_e32 v13, v6
	v_cvt_f32_i32_dpp v11, v11 row_shr:2 row_mask:0xf bank_mask:0xf bound_ctrl:1
	s_delay_alu instid0(VALU_DEP_2) | instskip(NEXT) | instid1(VALU_DEP_2)
	v_cvt_f32_i32_dpp v13, v13 row_shr:2 row_mask:0xf bank_mask:0xf bound_ctrl:1
	v_add_f32_e32 v9, v9, v11
	s_delay_alu instid0(VALU_DEP_2) | instskip(NEXT) | instid1(VALU_DEP_2)
	v_add_f32_e32 v11, v6, v13
	v_cvt_i32_f32_e32 v6, v9
	s_delay_alu instid0(VALU_DEP_2) | instskip(NEXT) | instid1(VALU_DEP_2)
	v_cvt_i32_f32_e32 v13, v11
	v_cvt_f32_i32_dpp v6, v6 row_shr:1 row_mask:0xf bank_mask:0xf bound_ctrl:1
	v_dual_add_f32 v5, v10, v5 :: v_dual_add_f32 v10, v16, v12
	v_add_f32_e32 v17, v7, v14
	v_cvt_i32_f32_e32 v7, v15
	s_delay_alu instid0(VALU_DEP_4) | instskip(NEXT) | instid1(VALU_DEP_4)
	v_add_f32_e32 v6, v9, v6
	v_cvt_i32_f32_e32 v12, v5
	v_cvt_f32_i32_dpp v16, v13 row_shr:1 row_mask:0xf bank_mask:0xf bound_ctrl:1
	ds_bpermute_b32 v22, v8, v21
	v_cvt_f32_i32_dpp v7, v7 row_shr:4 row_mask:0xf bank_mask:0xf bound_ctrl:1
	v_cvt_f32_i32_dpp v12, v12 row_shr:2 row_mask:0xf bank_mask:0xf bound_ctrl:1
	v_add_f32_e32 v11, v11, v16
	ds_bpermute_b32 v16, v8, v6
	v_add_f32_e32 v7, v15, v7
	v_cvt_i32_f32_e32 v15, v10
	v_add_f32_e32 v5, v5, v12
	s_delay_alu instid0(VALU_DEP_3) | instskip(NEXT) | instid1(VALU_DEP_3)
	v_cvt_i32_f32_e32 v14, v7
	v_cvt_f32_i32_dpp v15, v15 row_shr:2 row_mask:0xf bank_mask:0xf bound_ctrl:1
	s_delay_alu instid0(VALU_DEP_3) | instskip(NEXT) | instid1(VALU_DEP_3)
	v_cvt_i32_f32_e32 v12, v5
	v_cvt_f32_i32_dpp v14, v14 row_shr:2 row_mask:0xf bank_mask:0xf bound_ctrl:1
	s_delay_alu instid0(VALU_DEP_3) | instskip(NEXT) | instid1(VALU_DEP_3)
	v_add_f32_e32 v10, v10, v15
	v_cvt_f32_i32_dpp v12, v12 row_shr:1 row_mask:0xf bank_mask:0xf bound_ctrl:1
	ds_bpermute_b32 v19, v8, v17
	v_add_f32_e32 v7, v7, v14
	v_cvt_i32_f32_e32 v15, v10
	v_add_f32_e32 v13, v5, v12
	ds_bpermute_b32 v12, v8, v11
	v_cvt_i32_f32_e32 v14, v7
	v_cvt_f32_i32_dpp v15, v15 row_shr:1 row_mask:0xf bank_mask:0xf bound_ctrl:1
	s_delay_alu instid0(VALU_DEP_2) | instskip(NEXT) | instid1(VALU_DEP_1)
	v_cvt_f32_i32_dpp v14, v14 row_shr:1 row_mask:0xf bank_mask:0xf bound_ctrl:1
	v_add_f32_e32 v9, v7, v14
	s_delay_alu instid0(VALU_DEP_3)
	v_add_f32_e32 v7, v10, v15
	ds_bpermute_b32 v14, v8, v13
	ds_bpermute_b32 v10, v8, v9
	;; [unrolled: 1-line block ×3, first 2 shown]
	s_and_saveexec_b32 s5, s0
	s_cbranch_execz .LBB199_81
; %bb.31:                               ;   in Loop: Header=BB199_12 Depth=1
	v_dual_mov_b32 v30, 0 :: v_dual_add_nc_u32 v31, 2, v29
	v_dual_mov_b32 v28, 0 :: v_dual_add_nc_u32 v5, 3, v29
	v_dual_mov_b32 v27, 0 :: v_dual_mov_b32 v26, 0
	v_dual_mov_b32 v23, 0 :: v_dual_mov_b32 v20, 0
	;; [unrolled: 1-line block ×3, first 2 shown]
	s_and_not1_b32 vcc_lo, exec_lo, s30
	s_cbranch_vccnz .LBB199_33
; %bb.32:                               ;   in Loop: Header=BB199_12 Depth=1
	v_mul_hi_u32 v15, v29, v44
	v_dual_mov_b32 v27, v32 :: v_dual_add_nc_u32 v18, 1, v29
	v_mul_hi_u32 v20, v31, v44
	v_mul_hi_u32 v23, v5, v44
	v_mov_b32_e32 v51, v32
	s_delay_alu instid0(VALU_DEP_4)
	v_mul_hi_u32 v26, v18, v44
	v_mov_b32_e32 v53, v32
	v_mul_lo_u32 v15, v15, s8
	v_mul_lo_u32 v20, v20, s8
	;; [unrolled: 1-line block ×4, first 2 shown]
	s_delay_alu instid0(VALU_DEP_4) | instskip(NEXT) | instid1(VALU_DEP_4)
	v_sub_nc_u32_e32 v15, v29, v15
	v_sub_nc_u32_e32 v20, v31, v20
	s_delay_alu instid0(VALU_DEP_4) | instskip(NEXT) | instid1(VALU_DEP_3)
	v_sub_nc_u32_e32 v23, v5, v23
	v_subrev_nc_u32_e32 v28, s8, v15
	v_cmp_le_u32_e32 vcc_lo, s8, v15
	v_mov_b32_e32 v34, v32
	v_sub_nc_u32_e32 v18, v18, v26
	v_subrev_nc_u32_e32 v26, s8, v20
	v_subrev_nc_u32_e32 v30, s8, v23
	v_cndmask_b32_e32 v15, v15, v28, vcc_lo
	v_cmp_le_u32_e32 vcc_lo, s8, v20
	v_subrev_nc_u32_e32 v28, s8, v18
	v_cndmask_b32_e32 v20, v20, v26, vcc_lo
	v_cmp_le_u32_e32 vcc_lo, s8, v23
	v_mov_b32_e32 v36, v32
	v_subrev_nc_u32_e32 v26, s8, v15
	v_cndmask_b32_e32 v23, v23, v30, vcc_lo
	v_cmp_le_u32_e32 vcc_lo, s8, v18
	s_delay_alu instid0(VALU_DEP_2)
	v_subrev_nc_u32_e32 v30, s8, v23
	v_cndmask_b32_e32 v18, v18, v28, vcc_lo
	v_cmp_le_u32_e32 vcc_lo, s8, v15
	v_subrev_nc_u32_e32 v28, s8, v20
	v_cndmask_b32_e32 v26, v15, v26, vcc_lo
	v_cmp_le_u32_e32 vcc_lo, s8, v20
	v_subrev_nc_u32_e32 v15, s8, v18
	s_delay_alu instid0(VALU_DEP_4)
	v_cndmask_b32_e32 v35, v20, v28, vcc_lo
	v_cmp_le_u32_e32 vcc_lo, s8, v23
	v_mov_b32_e32 v38, v32
	v_lshlrev_b64 v[27:28], 1, v[26:27]
	v_add_nc_u32_e32 v50, s33, v26
	v_lshlrev_b64 v[39:40], 1, v[35:36]
	v_cndmask_b32_e32 v37, v23, v30, vcc_lo
	v_cmp_le_u32_e32 vcc_lo, s8, v18
	v_add_nc_u32_e32 v35, s33, v35
	v_lshlrev_b64 v[50:51], 1, v[50:51]
	s_delay_alu instid0(VALU_DEP_4) | instskip(SKIP_3) | instid1(VALU_DEP_3)
	v_lshlrev_b64 v[46:47], 1, v[37:38]
	v_cndmask_b32_e32 v33, v18, v15, vcc_lo
	v_add_co_u32 v27, vcc_lo, s14, v27
	v_add_co_ci_u32_e32 v28, vcc_lo, s15, v28, vcc_lo
	v_lshlrev_b64 v[48:49], 1, v[33:34]
	v_add_nc_u32_e32 v33, s33, v33
	v_add_nc_u32_e32 v52, s33, v37
	v_lshlrev_b64 v[35:36], 1, v[35:36]
	s_delay_alu instid0(VALU_DEP_4)
	v_add_co_u32 v48, vcc_lo, s14, v48
	v_add_co_ci_u32_e32 v49, vcc_lo, s15, v49, vcc_lo
	v_add_co_u32 v38, vcc_lo, s14, v39
	v_add_co_ci_u32_e32 v39, vcc_lo, s15, v40, vcc_lo
	v_add_co_u32 v46, vcc_lo, s14, v46
	v_lshlrev_b64 v[33:34], 1, v[33:34]
	v_add_co_ci_u32_e32 v47, vcc_lo, s15, v47, vcc_lo
	v_add_co_u32 v50, vcc_lo, s14, v50
	v_add_co_ci_u32_e32 v51, vcc_lo, s15, v51, vcc_lo
	s_delay_alu instid0(VALU_DEP_4) | instskip(SKIP_4) | instid1(VALU_DEP_4)
	v_add_co_u32 v33, vcc_lo, s14, v33
	v_lshlrev_b64 v[52:53], 1, v[52:53]
	v_add_co_ci_u32_e32 v34, vcc_lo, s15, v34, vcc_lo
	v_add_co_u32 v35, vcc_lo, s14, v35
	v_add_co_ci_u32_e32 v36, vcc_lo, s15, v36, vcc_lo
	v_add_co_u32 v52, vcc_lo, s14, v52
	v_add_co_ci_u32_e32 v53, vcc_lo, s15, v53, vcc_lo
	s_clause 0x7
	global_load_u16 v30, v[27:28], off
	global_load_u16 v28, v[48:49], off
	;; [unrolled: 1-line block ×8, first 2 shown]
.LBB199_33:                             ;   in Loop: Header=BB199_12 Depth=1
	v_cmp_ne_u32_e32 vcc_lo, 0, v1
	s_and_saveexec_b32 s2, vcc_lo
	s_cbranch_execnz .LBB199_41
; %bb.34:                               ;   in Loop: Header=BB199_12 Depth=1
	s_or_b32 exec_lo, exec_lo, s2
	v_cmp_ne_u32_e64 s1, 0, v2
	s_delay_alu instid0(VALU_DEP_1)
	s_and_saveexec_b32 s3, s1
	s_cbranch_execnz .LBB199_46
.LBB199_35:                             ;   in Loop: Header=BB199_12 Depth=1
	s_or_b32 exec_lo, exec_lo, s3
	v_cmp_ne_u32_e64 s2, 0, v3
	s_delay_alu instid0(VALU_DEP_1)
	s_and_saveexec_b32 s4, s2
	s_cbranch_execnz .LBB199_51
.LBB199_36:                             ;   in Loop: Header=BB199_12 Depth=1
	s_or_b32 exec_lo, exec_lo, s4
	v_cmp_ne_u32_e64 s3, 0, v4
	s_delay_alu instid0(VALU_DEP_1)
	s_and_saveexec_b32 s37, s3
	s_cbranch_execnz .LBB199_56
.LBB199_37:                             ;   in Loop: Header=BB199_12 Depth=1
	s_or_b32 exec_lo, exec_lo, s37
	v_add_nc_u32_e32 v31, s19, v29
	s_and_saveexec_b32 s4, vcc_lo
	s_cbranch_execnz .LBB199_61
.LBB199_38:                             ;   in Loop: Header=BB199_12 Depth=1
	s_or_b32 exec_lo, exec_lo, s4
	s_and_saveexec_b32 s4, s1
	s_cbranch_execnz .LBB199_66
.LBB199_39:                             ;   in Loop: Header=BB199_12 Depth=1
	s_or_b32 exec_lo, exec_lo, s4
	s_and_saveexec_b32 s1, s2
	s_cbranch_execnz .LBB199_71
.LBB199_40:                             ;   in Loop: Header=BB199_12 Depth=1
	s_or_b32 exec_lo, exec_lo, s1
	s_delay_alu instid0(SALU_CYCLE_1)
	s_and_b32 exec_lo, exec_lo, s3
	s_cbranch_execnz .LBB199_76
	s_branch .LBB199_81
.LBB199_41:                             ;   in Loop: Header=BB199_12 Depth=1
	s_waitcnt vmcnt(7) lgkmcnt(7)
	v_dual_add_f32 v24, v24, v25 :: v_dual_lshlrev_b32 v25, 16, v30
	s_delay_alu instid0(VALU_DEP_1) | instskip(NEXT) | instid1(VALU_DEP_1)
	v_add_f32_e32 v25, v24, v25
	v_and_b32_e32 v24, 0x7f800000, v25
	s_delay_alu instid0(VALU_DEP_1) | instskip(NEXT) | instid1(VALU_DEP_1)
	v_cmp_ne_u32_e64 s1, 0x7f800000, v24
                                        ; implicit-def: $vgpr24
	s_and_saveexec_b32 s3, s1
	s_delay_alu instid0(SALU_CYCLE_1)
	s_xor_b32 s1, exec_lo, s3
; %bb.42:                               ;   in Loop: Header=BB199_12 Depth=1
	v_bfe_u32 v24, v25, 16, 1
	s_delay_alu instid0(VALU_DEP_1)
	v_add3_u32 v24, v25, v24, 0x7fff
                                        ; implicit-def: $vgpr25
; %bb.43:                               ;   in Loop: Header=BB199_12 Depth=1
	s_and_not1_saveexec_b32 s3, s1
; %bb.44:                               ;   in Loop: Header=BB199_12 Depth=1
	v_and_b32_e32 v24, 0xffff, v25
	v_or_b32_e32 v30, 0x10000, v25
	s_delay_alu instid0(VALU_DEP_2) | instskip(NEXT) | instid1(VALU_DEP_1)
	v_cmp_eq_u32_e64 s1, 0, v24
	v_cndmask_b32_e64 v24, v30, v25, s1
; %bb.45:                               ;   in Loop: Header=BB199_12 Depth=1
	s_or_b32 exec_lo, exec_lo, s3
	v_mov_b32_e32 v30, v32
	s_delay_alu instid0(VALU_DEP_1) | instskip(NEXT) | instid1(VALU_DEP_1)
	v_lshlrev_b64 v[33:34], 1, v[29:30]
	v_add_co_u32 v33, s1, s6, v33
	s_delay_alu instid0(VALU_DEP_1) | instskip(SKIP_3) | instid1(VALU_DEP_1)
	v_add_co_ci_u32_e64 v34, s1, s7, v34, s1
	global_store_d16_hi_b16 v[33:34], v24, off
	s_or_b32 exec_lo, exec_lo, s2
	v_cmp_ne_u32_e64 s1, 0, v2
	s_and_saveexec_b32 s3, s1
	s_cbranch_execz .LBB199_35
.LBB199_46:                             ;   in Loop: Header=BB199_12 Depth=1
	s_waitcnt vmcnt(6) lgkmcnt(6)
	v_dual_add_f32 v21, v21, v22 :: v_dual_lshlrev_b32 v22, 16, v28
	s_delay_alu instid0(VALU_DEP_1) | instskip(NEXT) | instid1(VALU_DEP_1)
	v_add_f32_e32 v22, v21, v22
	v_and_b32_e32 v21, 0x7f800000, v22
	s_delay_alu instid0(VALU_DEP_1) | instskip(NEXT) | instid1(VALU_DEP_1)
	v_cmp_ne_u32_e64 s2, 0x7f800000, v21
                                        ; implicit-def: $vgpr21
	s_and_saveexec_b32 s4, s2
	s_delay_alu instid0(SALU_CYCLE_1)
	s_xor_b32 s2, exec_lo, s4
; %bb.47:                               ;   in Loop: Header=BB199_12 Depth=1
	v_bfe_u32 v21, v22, 16, 1
	s_delay_alu instid0(VALU_DEP_1)
	v_add3_u32 v21, v22, v21, 0x7fff
                                        ; implicit-def: $vgpr22
; %bb.48:                               ;   in Loop: Header=BB199_12 Depth=1
	s_and_not1_saveexec_b32 s4, s2
; %bb.49:                               ;   in Loop: Header=BB199_12 Depth=1
	v_and_b32_e32 v21, 0xffff, v22
	v_or_b32_e32 v24, 0x10000, v22
	s_delay_alu instid0(VALU_DEP_2) | instskip(NEXT) | instid1(VALU_DEP_1)
	v_cmp_eq_u32_e64 s2, 0, v21
	v_cndmask_b32_e64 v21, v24, v22, s2
; %bb.50:                               ;   in Loop: Header=BB199_12 Depth=1
	s_or_b32 exec_lo, exec_lo, s4
	v_mov_b32_e32 v30, v32
	s_delay_alu instid0(VALU_DEP_1) | instskip(NEXT) | instid1(VALU_DEP_1)
	v_lshlrev_b64 v[24:25], 1, v[29:30]
	v_add_co_u32 v24, s2, s31, v24
	s_delay_alu instid0(VALU_DEP_1) | instskip(SKIP_3) | instid1(VALU_DEP_1)
	v_add_co_ci_u32_e64 v25, s2, s34, v25, s2
	global_store_d16_hi_b16 v[24:25], v21, off
	s_or_b32 exec_lo, exec_lo, s3
	v_cmp_ne_u32_e64 s2, 0, v3
	s_and_saveexec_b32 s4, s2
	s_cbranch_execz .LBB199_36
.LBB199_51:                             ;   in Loop: Header=BB199_12 Depth=1
	s_waitcnt lgkmcnt(4)
	v_add_f32_e32 v17, v17, v19
	s_waitcnt vmcnt(5)
	v_lshlrev_b32_e32 v19, 16, v27
	s_delay_alu instid0(VALU_DEP_1) | instskip(NEXT) | instid1(VALU_DEP_1)
	v_add_f32_e32 v19, v17, v19
	v_and_b32_e32 v17, 0x7f800000, v19
	s_delay_alu instid0(VALU_DEP_1) | instskip(NEXT) | instid1(VALU_DEP_1)
	v_cmp_ne_u32_e64 s3, 0x7f800000, v17
                                        ; implicit-def: $vgpr17
	s_and_saveexec_b32 s37, s3
	s_delay_alu instid0(SALU_CYCLE_1)
	s_xor_b32 s3, exec_lo, s37
; %bb.52:                               ;   in Loop: Header=BB199_12 Depth=1
	v_bfe_u32 v17, v19, 16, 1
	s_delay_alu instid0(VALU_DEP_1)
	v_add3_u32 v17, v19, v17, 0x7fff
                                        ; implicit-def: $vgpr19
; %bb.53:                               ;   in Loop: Header=BB199_12 Depth=1
	s_and_not1_saveexec_b32 s37, s3
; %bb.54:                               ;   in Loop: Header=BB199_12 Depth=1
	v_and_b32_e32 v17, 0xffff, v19
	v_or_b32_e32 v21, 0x10000, v19
	s_delay_alu instid0(VALU_DEP_2) | instskip(NEXT) | instid1(VALU_DEP_1)
	v_cmp_eq_u32_e64 s3, 0, v17
	v_cndmask_b32_e64 v17, v21, v19, s3
; %bb.55:                               ;   in Loop: Header=BB199_12 Depth=1
	s_or_b32 exec_lo, exec_lo, s37
	v_lshlrev_b64 v[21:22], 1, v[31:32]
	s_delay_alu instid0(VALU_DEP_1) | instskip(NEXT) | instid1(VALU_DEP_1)
	v_add_co_u32 v21, s3, s6, v21
	v_add_co_ci_u32_e64 v22, s3, s7, v22, s3
	global_store_d16_hi_b16 v[21:22], v17, off
	s_or_b32 exec_lo, exec_lo, s4
	v_cmp_ne_u32_e64 s3, 0, v4
	s_delay_alu instid0(VALU_DEP_1)
	s_and_saveexec_b32 s37, s3
	s_cbranch_execz .LBB199_37
.LBB199_56:                             ;   in Loop: Header=BB199_12 Depth=1
	s_waitcnt lgkmcnt(5)
	v_add_f32_e32 v6, v6, v16
	s_waitcnt vmcnt(4)
	v_lshlrev_b32_e32 v16, 16, v26
	s_delay_alu instid0(VALU_DEP_1) | instskip(NEXT) | instid1(VALU_DEP_1)
	v_add_f32_e32 v6, v6, v16
	v_and_b32_e32 v16, 0x7f800000, v6
	s_delay_alu instid0(VALU_DEP_1) | instskip(NEXT) | instid1(VALU_DEP_1)
	v_cmp_ne_u32_e64 s4, 0x7f800000, v16
                                        ; implicit-def: $vgpr16
	s_and_saveexec_b32 s38, s4
	s_delay_alu instid0(SALU_CYCLE_1)
	s_xor_b32 s4, exec_lo, s38
; %bb.57:                               ;   in Loop: Header=BB199_12 Depth=1
	v_bfe_u32 v16, v6, 16, 1
	s_delay_alu instid0(VALU_DEP_1)
	v_add3_u32 v16, v6, v16, 0x7fff
                                        ; implicit-def: $vgpr6
; %bb.58:                               ;   in Loop: Header=BB199_12 Depth=1
	s_and_not1_saveexec_b32 s38, s4
; %bb.59:                               ;   in Loop: Header=BB199_12 Depth=1
	v_and_b32_e32 v16, 0xffff, v6
	v_or_b32_e32 v17, 0x10000, v6
	s_delay_alu instid0(VALU_DEP_2) | instskip(NEXT) | instid1(VALU_DEP_1)
	v_cmp_eq_u32_e64 s4, 0, v16
	v_cndmask_b32_e64 v16, v17, v6, s4
; %bb.60:                               ;   in Loop: Header=BB199_12 Depth=1
	s_or_b32 exec_lo, exec_lo, s38
	v_mov_b32_e32 v6, v32
	s_delay_alu instid0(VALU_DEP_1) | instskip(NEXT) | instid1(VALU_DEP_1)
	v_lshlrev_b64 v[5:6], 1, v[5:6]
	v_add_co_u32 v5, s4, s6, v5
	s_delay_alu instid0(VALU_DEP_1)
	v_add_co_ci_u32_e64 v6, s4, s7, v6, s4
	global_store_d16_hi_b16 v[5:6], v16, off
	s_or_b32 exec_lo, exec_lo, s37
	v_add_nc_u32_e32 v31, s19, v29
	s_and_saveexec_b32 s4, vcc_lo
	s_cbranch_execz .LBB199_38
.LBB199_61:                             ;   in Loop: Header=BB199_12 Depth=1
	s_waitcnt vmcnt(3) lgkmcnt(2)
	v_dual_add_f32 v5, v13, v14 :: v_dual_lshlrev_b32 v6, 16, v23
	s_delay_alu instid0(VALU_DEP_1) | instskip(NEXT) | instid1(VALU_DEP_1)
	v_add_f32_e32 v6, v5, v6
	v_and_b32_e32 v5, 0x7f800000, v6
	s_delay_alu instid0(VALU_DEP_1) | instskip(SKIP_1) | instid1(SALU_CYCLE_1)
	v_cmp_ne_u32_e32 vcc_lo, 0x7f800000, v5
                                        ; implicit-def: $vgpr5
	s_and_saveexec_b32 s37, vcc_lo
	s_xor_b32 s37, exec_lo, s37
; %bb.62:                               ;   in Loop: Header=BB199_12 Depth=1
	v_bfe_u32 v5, v6, 16, 1
	s_delay_alu instid0(VALU_DEP_1)
	v_add3_u32 v5, v6, v5, 0x7fff
                                        ; implicit-def: $vgpr6
; %bb.63:                               ;   in Loop: Header=BB199_12 Depth=1
	s_and_not1_saveexec_b32 s37, s37
; %bb.64:                               ;   in Loop: Header=BB199_12 Depth=1
	v_and_b32_e32 v5, 0xffff, v6
	v_or_b32_e32 v13, 0x10000, v6
	s_delay_alu instid0(VALU_DEP_2) | instskip(NEXT) | instid1(VALU_DEP_2)
	v_cmp_eq_u32_e32 vcc_lo, 0, v5
	v_cndmask_b32_e32 v5, v13, v6, vcc_lo
; %bb.65:                               ;   in Loop: Header=BB199_12 Depth=1
	s_or_b32 exec_lo, exec_lo, s37
	v_lshlrev_b64 v[13:14], 1, v[31:32]
	s_delay_alu instid0(VALU_DEP_1) | instskip(NEXT) | instid1(VALU_DEP_2)
	v_add_co_u32 v13, vcc_lo, s6, v13
	v_add_co_ci_u32_e32 v14, vcc_lo, s7, v14, vcc_lo
	global_store_d16_hi_b16 v[13:14], v5, off
	s_or_b32 exec_lo, exec_lo, s4
	s_and_saveexec_b32 s4, s1
	s_cbranch_execz .LBB199_39
.LBB199_66:                             ;   in Loop: Header=BB199_12 Depth=1
	s_waitcnt lgkmcnt(3)
	v_add_f32_e32 v5, v11, v12
	s_waitcnt vmcnt(2)
	v_lshlrev_b32_e32 v6, 16, v20
	s_delay_alu instid0(VALU_DEP_1) | instskip(NEXT) | instid1(VALU_DEP_1)
	v_add_f32_e32 v6, v5, v6
	v_and_b32_e32 v5, 0x7f800000, v6
	s_delay_alu instid0(VALU_DEP_1) | instskip(SKIP_1) | instid1(SALU_CYCLE_1)
	v_cmp_ne_u32_e32 vcc_lo, 0x7f800000, v5
                                        ; implicit-def: $vgpr5
	s_and_saveexec_b32 s1, vcc_lo
	s_xor_b32 s1, exec_lo, s1
; %bb.67:                               ;   in Loop: Header=BB199_12 Depth=1
	v_bfe_u32 v5, v6, 16, 1
	s_delay_alu instid0(VALU_DEP_1)
	v_add3_u32 v5, v6, v5, 0x7fff
                                        ; implicit-def: $vgpr6
; %bb.68:                               ;   in Loop: Header=BB199_12 Depth=1
	s_and_not1_saveexec_b32 s1, s1
; %bb.69:                               ;   in Loop: Header=BB199_12 Depth=1
	v_and_b32_e32 v5, 0xffff, v6
	v_or_b32_e32 v11, 0x10000, v6
	s_delay_alu instid0(VALU_DEP_2) | instskip(NEXT) | instid1(VALU_DEP_2)
	v_cmp_eq_u32_e32 vcc_lo, 0, v5
	v_cndmask_b32_e32 v5, v11, v6, vcc_lo
; %bb.70:                               ;   in Loop: Header=BB199_12 Depth=1
	s_or_b32 exec_lo, exec_lo, s1
	v_dual_mov_b32 v12, v32 :: v_dual_add_nc_u32 v11, 1, v31
	s_delay_alu instid0(VALU_DEP_1) | instskip(NEXT) | instid1(VALU_DEP_1)
	v_lshlrev_b64 v[11:12], 1, v[11:12]
	v_add_co_u32 v11, vcc_lo, s6, v11
	s_delay_alu instid0(VALU_DEP_2)
	v_add_co_ci_u32_e32 v12, vcc_lo, s7, v12, vcc_lo
	global_store_d16_hi_b16 v[11:12], v5, off
	s_or_b32 exec_lo, exec_lo, s4
	s_and_saveexec_b32 s1, s2
	s_cbranch_execz .LBB199_40
.LBB199_71:                             ;   in Loop: Header=BB199_12 Depth=1
	s_waitcnt lgkmcnt(1)
	v_add_f32_e32 v5, v9, v10
	s_waitcnt vmcnt(1)
	v_lshlrev_b32_e32 v6, 16, v18
	s_delay_alu instid0(VALU_DEP_1) | instskip(NEXT) | instid1(VALU_DEP_1)
	v_add_f32_e32 v6, v5, v6
	v_and_b32_e32 v5, 0x7f800000, v6
	s_delay_alu instid0(VALU_DEP_1) | instskip(SKIP_1) | instid1(SALU_CYCLE_1)
	v_cmp_ne_u32_e32 vcc_lo, 0x7f800000, v5
                                        ; implicit-def: $vgpr5
	s_and_saveexec_b32 s2, vcc_lo
	s_xor_b32 s2, exec_lo, s2
; %bb.72:                               ;   in Loop: Header=BB199_12 Depth=1
	v_bfe_u32 v5, v6, 16, 1
	s_delay_alu instid0(VALU_DEP_1)
	v_add3_u32 v5, v6, v5, 0x7fff
                                        ; implicit-def: $vgpr6
; %bb.73:                               ;   in Loop: Header=BB199_12 Depth=1
	s_and_not1_saveexec_b32 s2, s2
; %bb.74:                               ;   in Loop: Header=BB199_12 Depth=1
	v_and_b32_e32 v5, 0xffff, v6
	v_or_b32_e32 v9, 0x10000, v6
	s_delay_alu instid0(VALU_DEP_2) | instskip(NEXT) | instid1(VALU_DEP_2)
	v_cmp_eq_u32_e32 vcc_lo, 0, v5
	v_cndmask_b32_e32 v5, v9, v6, vcc_lo
; %bb.75:                               ;   in Loop: Header=BB199_12 Depth=1
	s_or_b32 exec_lo, exec_lo, s2
	v_dual_mov_b32 v10, v32 :: v_dual_add_nc_u32 v9, 2, v31
	s_delay_alu instid0(VALU_DEP_1) | instskip(NEXT) | instid1(VALU_DEP_1)
	v_lshlrev_b64 v[9:10], 1, v[9:10]
	v_add_co_u32 v9, vcc_lo, s6, v9
	s_delay_alu instid0(VALU_DEP_2) | instskip(SKIP_2) | instid1(SALU_CYCLE_1)
	v_add_co_ci_u32_e32 v10, vcc_lo, s7, v10, vcc_lo
	global_store_d16_hi_b16 v[9:10], v5, off
	s_or_b32 exec_lo, exec_lo, s1
	s_and_b32 exec_lo, exec_lo, s3
	s_cbranch_execz .LBB199_81
.LBB199_76:                             ;   in Loop: Header=BB199_12 Depth=1
	s_waitcnt vmcnt(0) lgkmcnt(0)
	v_dual_add_f32 v5, v7, v8 :: v_dual_lshlrev_b32 v6, 16, v15
	s_delay_alu instid0(VALU_DEP_1) | instskip(NEXT) | instid1(VALU_DEP_1)
	v_add_f32_e32 v6, v5, v6
	v_and_b32_e32 v5, 0x7f800000, v6
	s_delay_alu instid0(VALU_DEP_1) | instskip(SKIP_1) | instid1(SALU_CYCLE_1)
	v_cmp_ne_u32_e32 vcc_lo, 0x7f800000, v5
                                        ; implicit-def: $vgpr5
	s_and_saveexec_b32 s1, vcc_lo
	s_xor_b32 s1, exec_lo, s1
; %bb.77:                               ;   in Loop: Header=BB199_12 Depth=1
	v_bfe_u32 v5, v6, 16, 1
	s_delay_alu instid0(VALU_DEP_1)
	v_add3_u32 v5, v6, v5, 0x7fff
                                        ; implicit-def: $vgpr6
; %bb.78:                               ;   in Loop: Header=BB199_12 Depth=1
	s_and_not1_saveexec_b32 s1, s1
; %bb.79:                               ;   in Loop: Header=BB199_12 Depth=1
	v_and_b32_e32 v5, 0xffff, v6
	v_or_b32_e32 v7, 0x10000, v6
	s_delay_alu instid0(VALU_DEP_2) | instskip(NEXT) | instid1(VALU_DEP_2)
	v_cmp_eq_u32_e32 vcc_lo, 0, v5
	v_cndmask_b32_e32 v5, v7, v6, vcc_lo
; %bb.80:                               ;   in Loop: Header=BB199_12 Depth=1
	s_or_b32 exec_lo, exec_lo, s1
	v_add_nc_u32_e32 v31, 3, v31
	s_delay_alu instid0(VALU_DEP_1) | instskip(NEXT) | instid1(VALU_DEP_1)
	v_lshlrev_b64 v[6:7], 1, v[31:32]
	v_add_co_u32 v6, vcc_lo, s6, v6
	s_delay_alu instid0(VALU_DEP_2)
	v_add_co_ci_u32_e32 v7, vcc_lo, s7, v7, vcc_lo
	global_store_d16_hi_b16 v[6:7], v5, off
.LBB199_81:                             ;   in Loop: Header=BB199_12 Depth=1
	s_or_b32 exec_lo, exec_lo, s5
	v_add_nc_u32_e32 v29, s29, v29
	s_delay_alu instid0(VALU_DEP_1) | instskip(SKIP_1) | instid1(VALU_DEP_2)
	v_add_nc_u32_e32 v5, 4, v29
	v_cmp_gt_u32_e32 vcc_lo, s19, v29
	v_cmp_le_u32_e64 s1, s19, v5
	s_delay_alu instid0(VALU_DEP_1) | instskip(NEXT) | instid1(SALU_CYCLE_1)
	s_and_b32 s1, vcc_lo, s1
	s_and_saveexec_b32 s37, s1
	s_cbranch_execz .LBB199_10
; %bb.82:                               ;   in Loop: Header=BB199_12 Depth=1
	s_mov_b32 s38, exec_lo
	v_cmpx_ne_u32_e64 s9, v29
	s_cbranch_execz .LBB199_9
; %bb.83:                               ;   in Loop: Header=BB199_12 Depth=1
	v_subrev_nc_u32_e32 v5, s9, v29
	s_mov_b32 s39, 0
	s_mov_b64 s[4:5], 0
	s_delay_alu instid0(VALU_DEP_1)
	v_cmp_lt_u32_e32 vcc_lo, 1, v5
	v_cndmask_b32_e32 v5, 1, v5, vcc_lo
	.p2align	6
.LBB199_84:                             ;   Parent Loop BB199_12 Depth=1
                                        ; =>  This Inner Loop Header: Depth=2
	s_cmp_lg_u32 s4, 3
	s_cselect_b32 vcc_lo, -1, 0
	s_cmp_lg_u32 s4, 2
	v_cndmask_b32_e32 v4, 0, v4, vcc_lo
	s_cselect_b32 s1, -1, 0
	s_cmp_lg_u32 s4, 1
	v_cndmask_b32_e64 v3, 0, v3, s1
	s_cselect_b32 s2, -1, 0
	s_cmp_lg_u32 s4, 0
	v_cndmask_b32_e64 v2, 0, v2, s2
	s_cselect_b32 s3, -1, 0
	s_add_u32 s4, s4, 1
	v_cndmask_b32_e64 v1, 0, v1, s3
	v_cmp_eq_u32_e32 vcc_lo, s4, v5
	s_addc_u32 s5, s5, 0
	s_or_b32 s39, vcc_lo, s39
	s_delay_alu instid0(SALU_CYCLE_1)
	s_and_not1_b32 exec_lo, exec_lo, s39
	s_cbranch_execnz .LBB199_84
; %bb.85:                               ;   in Loop: Header=BB199_12 Depth=1
	s_or_b32 exec_lo, exec_lo, s39
	s_branch .LBB199_9
.LBB199_86:
	s_nop 0
	s_sendmsg sendmsg(MSG_DEALLOC_VGPRS)
	s_endpgm
	.section	.rodata,"a",@progbits
	.p2align	6, 0x0
	.amdhsa_kernel _Z16wvSplitK_hf_big_I14__hip_bfloat16Li32ELi4ELi16ELi8ELi1ELi2EEviiiiiiPKT_S3_S3_PS1_ii
		.amdhsa_group_segment_fixed_size 65536
		.amdhsa_private_segment_fixed_size 0
		.amdhsa_kernarg_size 64
		.amdhsa_user_sgpr_count 15
		.amdhsa_user_sgpr_dispatch_ptr 0
		.amdhsa_user_sgpr_queue_ptr 0
		.amdhsa_user_sgpr_kernarg_segment_ptr 1
		.amdhsa_user_sgpr_dispatch_id 0
		.amdhsa_user_sgpr_private_segment_size 0
		.amdhsa_wavefront_size32 1
		.amdhsa_uses_dynamic_stack 0
		.amdhsa_enable_private_segment 0
		.amdhsa_system_sgpr_workgroup_id_x 1
		.amdhsa_system_sgpr_workgroup_id_y 0
		.amdhsa_system_sgpr_workgroup_id_z 0
		.amdhsa_system_sgpr_workgroup_info 0
		.amdhsa_system_vgpr_workitem_id 1
		.amdhsa_next_free_vgpr 74
		.amdhsa_next_free_sgpr 40
		.amdhsa_reserve_vcc 1
		.amdhsa_float_round_mode_32 0
		.amdhsa_float_round_mode_16_64 0
		.amdhsa_float_denorm_mode_32 3
		.amdhsa_float_denorm_mode_16_64 3
		.amdhsa_dx10_clamp 1
		.amdhsa_ieee_mode 1
		.amdhsa_fp16_overflow 0
		.amdhsa_workgroup_processor_mode 1
		.amdhsa_memory_ordered 1
		.amdhsa_forward_progress 0
		.amdhsa_shared_vgpr_count 0
		.amdhsa_exception_fp_ieee_invalid_op 0
		.amdhsa_exception_fp_denorm_src 0
		.amdhsa_exception_fp_ieee_div_zero 0
		.amdhsa_exception_fp_ieee_overflow 0
		.amdhsa_exception_fp_ieee_underflow 0
		.amdhsa_exception_fp_ieee_inexact 0
		.amdhsa_exception_int_div_zero 0
	.end_amdhsa_kernel
	.section	.text._Z16wvSplitK_hf_big_I14__hip_bfloat16Li32ELi4ELi16ELi8ELi1ELi2EEviiiiiiPKT_S3_S3_PS1_ii,"axG",@progbits,_Z16wvSplitK_hf_big_I14__hip_bfloat16Li32ELi4ELi16ELi8ELi1ELi2EEviiiiiiPKT_S3_S3_PS1_ii,comdat
.Lfunc_end199:
	.size	_Z16wvSplitK_hf_big_I14__hip_bfloat16Li32ELi4ELi16ELi8ELi1ELi2EEviiiiiiPKT_S3_S3_PS1_ii, .Lfunc_end199-_Z16wvSplitK_hf_big_I14__hip_bfloat16Li32ELi4ELi16ELi8ELi1ELi2EEviiiiiiPKT_S3_S3_PS1_ii
                                        ; -- End function
	.section	.AMDGPU.csdata,"",@progbits
; Kernel info:
; codeLenInByte = 5320
; NumSgprs: 42
; NumVgprs: 74
; ScratchSize: 0
; MemoryBound: 0
; FloatMode: 240
; IeeeMode: 1
; LDSByteSize: 65536 bytes/workgroup (compile time only)
; SGPRBlocks: 5
; VGPRBlocks: 9
; NumSGPRsForWavesPerEU: 42
; NumVGPRsForWavesPerEU: 74
; Occupancy: 8
; WaveLimiterHint : 0
; COMPUTE_PGM_RSRC2:SCRATCH_EN: 0
; COMPUTE_PGM_RSRC2:USER_SGPR: 15
; COMPUTE_PGM_RSRC2:TRAP_HANDLER: 0
; COMPUTE_PGM_RSRC2:TGID_X_EN: 1
; COMPUTE_PGM_RSRC2:TGID_Y_EN: 0
; COMPUTE_PGM_RSRC2:TGID_Z_EN: 0
; COMPUTE_PGM_RSRC2:TIDIG_COMP_CNT: 1
	.section	.text._Z16wvSplitK_hf_sml_I14__hip_bfloat16Li32ELi4ELi16ELi8ELi2ELi2EEviiiiiiPKT_S3_S3_PS1_ii,"axG",@progbits,_Z16wvSplitK_hf_sml_I14__hip_bfloat16Li32ELi4ELi16ELi8ELi2ELi2EEviiiiiiPKT_S3_S3_PS1_ii,comdat
	.protected	_Z16wvSplitK_hf_sml_I14__hip_bfloat16Li32ELi4ELi16ELi8ELi2ELi2EEviiiiiiPKT_S3_S3_PS1_ii ; -- Begin function _Z16wvSplitK_hf_sml_I14__hip_bfloat16Li32ELi4ELi16ELi8ELi2ELi2EEviiiiiiPKT_S3_S3_PS1_ii
	.globl	_Z16wvSplitK_hf_sml_I14__hip_bfloat16Li32ELi4ELi16ELi8ELi2ELi2EEviiiiiiPKT_S3_S3_PS1_ii
	.p2align	8
	.type	_Z16wvSplitK_hf_sml_I14__hip_bfloat16Li32ELi4ELi16ELi8ELi2ELi2EEviiiiiiPKT_S3_S3_PS1_ii,@function
_Z16wvSplitK_hf_sml_I14__hip_bfloat16Li32ELi4ELi16ELi8ELi2ELi2EEviiiiiiPKT_S3_S3_PS1_ii: ; @_Z16wvSplitK_hf_sml_I14__hip_bfloat16Li32ELi4ELi16ELi8ELi2ELi2EEviiiiiiPKT_S3_S3_PS1_ii
; %bb.0:
	s_load_b128 s[4:7], s[0:1], 0x0
	v_and_b32_e32 v1, 0x3ff, v0
	v_bfe_u32 v0, v0, 10, 10
	s_mov_b32 s8, exec_lo
	s_delay_alu instid0(VALU_DEP_2) | instskip(NEXT) | instid1(VALU_DEP_1)
	v_lshlrev_b32_e32 v59, 3, v1
	v_lshl_add_u32 v3, v0, 8, v59
	s_waitcnt lgkmcnt(0)
	s_lshl_b32 s6, s6, 1
	s_delay_alu instid0(SALU_CYCLE_1)
	s_min_u32 s9, s6, 0x8000
	s_delay_alu instid0(VALU_DEP_1) | instid1(SALU_CYCLE_1)
	v_cmpx_gt_u32_e64 s9, v3
	s_cbranch_execz .LBB200_9
; %bb.1:
	s_load_b64 s[2:3], s[0:1], 0x20
	v_lshlrev_b32_e32 v2, 1, v3
	v_add_nc_u32_e32 v8, 0x1000, v3
	s_mov_b32 s10, exec_lo
	s_waitcnt lgkmcnt(0)
	global_load_b128 v[4:7], v2, s[2:3]
	s_waitcnt vmcnt(0)
	ds_store_b128 v2, v[4:7]
	v_cmpx_gt_u32_e64 s9, v8
	s_xor_b32 s10, exec_lo, s10
	s_cbranch_execz .LBB200_9
; %bb.2:
	v_add_co_u32 v4, s2, s2, v2
	s_delay_alu instid0(VALU_DEP_1) | instskip(SKIP_1) | instid1(VALU_DEP_3)
	v_add_co_ci_u32_e64 v5, null, s3, 0, s2
	v_add_nc_u32_e32 v10, 0x2000, v3
	v_add_co_u32 v6, vcc_lo, 0x2000, v4
	s_delay_alu instid0(VALU_DEP_3)
	v_add_co_ci_u32_e32 v7, vcc_lo, 0, v5, vcc_lo
	s_mov_b32 s2, exec_lo
	global_load_b128 v[6:9], v[6:7], off
	s_waitcnt vmcnt(0)
	ds_store_b128 v2, v[6:9] offset:8192
	v_cmpx_gt_u32_e64 s9, v10
	s_xor_b32 s2, exec_lo, s2
	s_cbranch_execz .LBB200_9
; %bb.3:
	v_add_co_u32 v6, vcc_lo, 0x4000, v4
	v_add_co_ci_u32_e32 v7, vcc_lo, 0, v5, vcc_lo
	v_add_nc_u32_e32 v10, 0x3000, v3
	s_mov_b32 s2, exec_lo
	global_load_b128 v[6:9], v[6:7], off
	s_waitcnt vmcnt(0)
	ds_store_b128 v2, v[6:9] offset:16384
	v_cmpx_gt_u32_e64 s9, v10
	s_xor_b32 s2, exec_lo, s2
	s_cbranch_execz .LBB200_9
; %bb.4:
	v_add_co_u32 v6, vcc_lo, 0x6000, v4
	v_add_co_ci_u32_e32 v7, vcc_lo, 0, v5, vcc_lo
	v_add_nc_u32_e32 v10, 0x4000, v3
	;; [unrolled: 11-line block ×5, first 2 shown]
	s_mov_b32 s2, exec_lo
	global_load_b128 v[6:9], v[6:7], off
	s_waitcnt vmcnt(0)
	ds_store_b128 v2, v[6:9] offset:49152
	v_cmpx_gt_u32_e64 s9, v3
	s_xor_b32 s2, exec_lo, s2
	s_cbranch_execz .LBB200_9
; %bb.8:
	v_add_co_u32 v3, vcc_lo, 0xe000, v4
	v_add_co_ci_u32_e32 v4, vcc_lo, 0, v5, vcc_lo
	global_load_b128 v[3:6], v[3:4], off
	s_waitcnt vmcnt(0)
	ds_store_b128 v2, v[3:6] offset:57344
.LBB200_9:
	s_or_b32 exec_lo, exec_lo, s8
	s_load_b64 s[16:17], s[0:1], 0x38
	s_waitcnt lgkmcnt(0)
	s_barrier
	buffer_gl0_inv
	s_mov_b32 s2, exec_lo
	v_cmpx_gt_u32_e64 s16, v0
	s_cbranch_execz .LBB200_56
; %bb.10:
	s_load_b64 s[2:3], s[0:1], 0x10
	s_mul_i32 s15, s15, s16
	s_delay_alu instid0(SALU_CYCLE_1) | instskip(NEXT) | instid1(VALU_DEP_1)
	v_add_lshl_u32 v48, s15, v0, 2
	v_cmp_gt_u32_e32 vcc_lo, s7, v48
	s_and_b32 exec_lo, exec_lo, vcc_lo
	s_cbranch_execz .LBB200_56
; %bb.11:
	s_waitcnt lgkmcnt(0)
	v_cvt_f32_u32_e32 v0, s2
	v_mbcnt_lo_u32_b32 v2, -1, 0
	s_clause 0x1
	s_load_b128 s[8:11], s[0:1], 0x28
	s_load_b64 s[12:13], s[0:1], 0x18
	s_cmp_lg_u32 s4, 0
	v_rcp_iflag_f32_e32 v0, v0
	v_xor_b32_e32 v3, 16, v2
	s_cselect_b32 s1, -1, 0
	s_add_i32 s14, s4, -8
	s_add_i32 s15, s7, -1
	s_mul_i32 s16, s16, s17
	v_cmp_gt_i32_e32 vcc_lo, 32, v3
	v_mov_b32_e32 v50, 0
	v_lshlrev_b32_e32 v60, 4, v1
	v_cndmask_b32_e32 v2, v2, v3, vcc_lo
	s_waitcnt_depctr 0xfff
	v_dual_mul_f32 v0, 0x4f7ffffe, v0 :: v_dual_lshlrev_b32 v61, 2, v2
	s_delay_alu instid0(VALU_DEP_1)
	v_cvt_u32_f32_e32 v0, v0
	s_waitcnt lgkmcnt(0)
	s_cmp_lg_u64 s[8:9], 0
	s_cselect_b32 s18, -1, 0
	s_sub_i32 s0, 0, s2
	s_abs_i32 s3, s3
	v_mul_lo_u32 v4, s0, v0
	s_lshl_b32 s16, s16, 2
	s_sub_i32 s17, 1, s3
	s_cmp_lt_u32 s3, 2
	v_cmp_eq_u32_e64 s0, 31, v1
	s_cselect_b32 s17, s17, 1
	s_delay_alu instid0(SALU_CYCLE_1) | instskip(NEXT) | instid1(VALU_DEP_2)
	s_sub_i32 s19, s17, s3
	v_mul_hi_u32 v3, v0, v4
	s_cmp_ge_u32 s17, s3
	s_mov_b32 s3, 0
	s_cselect_b32 s17, s19, s17
	s_delay_alu instid0(SALU_CYCLE_1) | instskip(NEXT) | instid1(VALU_DEP_1)
	s_mul_i32 s17, s17, s2
	v_add_nc_u32_e32 v62, v0, v3
	s_branch .LBB200_14
.LBB200_12:                             ;   in Loop: Header=BB200_14 Depth=1
	s_or_b32 exec_lo, exec_lo, s20
	v_add_nc_u32_e32 v49, 3, v49
	s_delay_alu instid0(VALU_DEP_1) | instskip(NEXT) | instid1(VALU_DEP_1)
	v_lshlrev_b64 v[1:2], 1, v[49:50]
	v_add_co_u32 v1, vcc_lo, s10, v1
	s_delay_alu instid0(VALU_DEP_2)
	v_add_co_ci_u32_e32 v2, vcc_lo, s11, v2, vcc_lo
	global_store_d16_hi_b16 v[1:2], v0, off
.LBB200_13:                             ;   in Loop: Header=BB200_14 Depth=1
	s_or_b32 exec_lo, exec_lo, s19
	v_add_nc_u32_e32 v48, s16, v48
	s_delay_alu instid0(VALU_DEP_1) | instskip(SKIP_1) | instid1(SALU_CYCLE_1)
	v_cmp_le_u32_e32 vcc_lo, s7, v48
	s_or_b32 s3, vcc_lo, s3
	s_and_not1_b32 exec_lo, exec_lo, s3
	s_cbranch_execz .LBB200_56
.LBB200_14:                             ; =>This Loop Header: Depth=1
                                        ;     Child Loop BB200_18 Depth 2
	v_mov_b32_e32 v64, v50
	v_mov_b32_e32 v65, v50
	v_mov_b32_e32 v66, v50
	v_mov_b32_e32 v67, v50
	v_mov_b32_e32 v70, v50
	v_mov_b32_e32 v68, v50
	v_mov_b32_e32 v69, v50
	v_mov_b32_e32 v71, v50
	s_and_not1_b32 vcc_lo, exec_lo, s1
	s_cbranch_vccnz .LBB200_21
; %bb.15:                               ;   in Loop: Header=BB200_14 Depth=1
	v_or_b32_e32 v0, 1, v48
	s_waitcnt lgkmcnt(5)
	v_or_b32_e32 v1, 2, v48
	v_or_b32_e32 v2, 3, v48
	s_waitcnt lgkmcnt(4)
	v_min_u32_e32 v3, s15, v48
	s_waitcnt lgkmcnt(0)
	v_dual_mov_b32 v5, v50 :: v_dual_mov_b32 v66, 0
	v_min_u32_e32 v0, s15, v0
	v_min_u32_e32 v1, s15, v1
	;; [unrolled: 1-line block ×3, first 2 shown]
	v_mul_lo_u32 v49, v3, s5
	v_dual_mov_b32 v3, v50 :: v_dual_mov_b32 v70, 0
	v_mul_lo_u32 v0, v0, s5
	v_mul_lo_u32 v2, v1, s5
	;; [unrolled: 1-line block ×3, first 2 shown]
	v_dual_mov_b32 v1, v50 :: v_dual_mov_b32 v68, 0
	v_lshlrev_b64 v[51:52], 1, v[49:50]
	v_dual_mov_b32 v71, 0 :: v_dual_mov_b32 v64, 0
	s_delay_alu instid0(VALU_DEP_3)
	v_lshlrev_b64 v[53:54], 1, v[0:1]
	v_lshlrev_b64 v[55:56], 1, v[2:3]
	;; [unrolled: 1-line block ×3, first 2 shown]
	v_mov_b32_e32 v63, v60
	v_mov_b32_e32 v69, 0
	;; [unrolled: 1-line block ×4, first 2 shown]
	s_mov_b32 s19, 0
	s_branch .LBB200_18
.LBB200_16:                             ;   in Loop: Header=BB200_18 Depth=2
	s_or_b32 exec_lo, exec_lo, s21
.LBB200_17:                             ;   in Loop: Header=BB200_18 Depth=2
	s_delay_alu instid0(SALU_CYCLE_1)
	s_or_b32 exec_lo, exec_lo, s20
	s_waitcnt vmcnt(7)
	v_and_b32_e32 v72, 0xffff0000, v40
	s_waitcnt lgkmcnt(1)
	v_and_b32_e32 v73, 0xffff0000, v45
	v_and_b32_e32 v74, 0xffff0000, v41
	;; [unrolled: 1-line block ×5, first 2 shown]
	v_lshlrev_b32_e32 v42, 16, v42
	v_mul_f32_e32 v76, v73, v74
	v_and_b32_e32 v77, 0xffff0000, v46
	v_lshlrev_b32_e32 v44, 16, v44
	v_and_b32_e32 v79, 0xffff0000, v47
	v_dual_mul_f32 v75, v49, v72 :: v_dual_lshlrev_b32 v46, 16, v46
	v_lshlrev_b32_e32 v41, 16, v41
	v_lshlrev_b32_e32 v43, 16, v43
	s_delay_alu instid0(VALU_DEP_4)
	v_mul_f32_e32 v81, v79, v80
	v_lshlrev_b32_e32 v40, 16, v40
	v_lshlrev_b32_e32 v47, 16, v47
	s_addk_i32 s19, 0x200
	s_waitcnt vmcnt(6)
	v_and_b32_e32 v88, 0xffff0000, v39
	s_cmp_ge_u32 s19, s4
	v_fmac_f32_e32 v75, v44, v40
	s_waitcnt vmcnt(4)
	v_dual_fmac_f32 v81, v47, v43 :: v_dual_and_b32 v90, 0xffff0000, v30
	v_lshlrev_b32_e32 v30, 16, v30
	v_add_nc_u32_e32 v63, 0x400, v63
	v_add_f32_e32 v71, v71, v75
	v_mul_f32_e32 v75, v77, v78
	v_lshlrev_b32_e32 v45, 16, v45
	v_and_b32_e32 v87, 0xffff0000, v34
	v_lshlrev_b32_e32 v34, 16, v34
	s_delay_alu instid0(VALU_DEP_3) | instskip(NEXT) | instid1(VALU_DEP_1)
	v_dual_fmac_f32 v75, v46, v42 :: v_dual_fmac_f32 v76, v45, v41
	v_add_f32_e32 v71, v71, v76
	s_delay_alu instid0(VALU_DEP_1) | instskip(NEXT) | instid1(VALU_DEP_1)
	v_dual_add_f32 v71, v71, v75 :: v_dual_and_b32 v76, 0xffff0000, v36
	v_dual_mul_f32 v82, v49, v76 :: v_dual_add_f32 v71, v71, v81
	v_and_b32_e32 v81, 0xffff0000, v32
	v_lshlrev_b32_e32 v32, 16, v32
	s_delay_alu instid0(VALU_DEP_2) | instskip(NEXT) | instid1(VALU_DEP_1)
	v_mul_f32_e32 v84, v49, v81
	v_dual_fmac_f32 v84, v44, v32 :: v_dual_and_b32 v83, 0xffff0000, v37
	v_mul_f32_e32 v89, v79, v88
	s_delay_alu instid0(VALU_DEP_2) | instskip(SKIP_1) | instid1(VALU_DEP_4)
	v_add_f32_e32 v68, v68, v84
	v_mul_f32_e32 v84, v77, v87
	v_dual_mul_f32 v75, v73, v83 :: v_dual_lshlrev_b32 v36, 16, v36
	s_delay_alu instid0(VALU_DEP_2) | instskip(NEXT) | instid1(VALU_DEP_2)
	v_dual_fmac_f32 v84, v46, v34 :: v_dual_lshlrev_b32 v37, 16, v37
	v_dual_fmac_f32 v82, v44, v36 :: v_dual_and_b32 v85, 0xffff0000, v33
	s_delay_alu instid0(VALU_DEP_2) | instskip(SKIP_1) | instid1(VALU_DEP_3)
	v_fmac_f32_e32 v75, v45, v37
	v_lshlrev_b32_e32 v33, 16, v33
	v_add_f32_e32 v69, v69, v82
	v_and_b32_e32 v82, 0xffff0000, v38
	s_delay_alu instid0(VALU_DEP_2) | instskip(SKIP_1) | instid1(VALU_DEP_3)
	v_dual_add_f32 v69, v69, v75 :: v_dual_lshlrev_b32 v38, 16, v38
	v_mul_f32_e32 v75, v73, v85
	v_mul_f32_e32 v86, v77, v82
	s_delay_alu instid0(VALU_DEP_1) | instskip(NEXT) | instid1(VALU_DEP_1)
	v_dual_fmac_f32 v75, v45, v33 :: v_dual_fmac_f32 v86, v46, v38
	v_dual_add_f32 v68, v68, v75 :: v_dual_and_b32 v75, 0xffff0000, v28
	s_delay_alu instid0(VALU_DEP_2) | instskip(NEXT) | instid1(VALU_DEP_2)
	v_dual_add_f32 v69, v69, v86 :: v_dual_lshlrev_b32 v28, 16, v28
	v_add_f32_e32 v68, v68, v84
	s_delay_alu instid0(VALU_DEP_3) | instskip(NEXT) | instid1(VALU_DEP_1)
	v_dual_mul_f32 v49, v49, v75 :: v_dual_and_b32 v84, 0xffff0000, v29
	v_dual_fmac_f32 v49, v44, v28 :: v_dual_and_b32 v86, 0xffff0000, v35
	s_delay_alu instid0(VALU_DEP_1) | instskip(SKIP_1) | instid1(VALU_DEP_2)
	v_dual_mul_f32 v44, v73, v84 :: v_dual_mul_f32 v73, v79, v86
	s_waitcnt lgkmcnt(0)
	v_dual_add_f32 v49, v70, v49 :: v_dual_and_b32 v70, 0xffff0000, v24
	v_lshlrev_b32_e32 v39, 16, v39
	v_lshlrev_b32_e32 v24, 16, v24
	s_delay_alu instid0(VALU_DEP_3) | instskip(NEXT) | instid1(VALU_DEP_1)
	v_dual_mul_f32 v72, v70, v72 :: v_dual_lshlrev_b32 v29, 16, v29
	v_dual_fmac_f32 v89, v47, v39 :: v_dual_fmac_f32 v72, v24, v40
	s_delay_alu instid0(VALU_DEP_2) | instskip(SKIP_1) | instid1(VALU_DEP_3)
	v_dual_fmac_f32 v44, v45, v29 :: v_dual_lshlrev_b32 v35, 16, v35
	v_mul_f32_e32 v45, v77, v90
	v_add_f32_e32 v67, v67, v72
	s_delay_alu instid0(VALU_DEP_3) | instskip(SKIP_1) | instid1(VALU_DEP_2)
	v_dual_add_f32 v44, v49, v44 :: v_dual_and_b32 v49, 0xffff0000, v25
	v_lshlrev_b32_e32 v25, 16, v25
	v_dual_fmac_f32 v73, v47, v35 :: v_dual_mul_f32 v40, v49, v74
	v_fmac_f32_e32 v45, v46, v30
	v_and_b32_e32 v74, 0xffff0000, v26
	v_and_b32_e32 v46, 0xffff0000, v31
	v_lshlrev_b32_e32 v26, 16, v26
	v_dual_fmac_f32 v40, v25, v41 :: v_dual_lshlrev_b32 v31, 16, v31
	s_delay_alu instid0(VALU_DEP_4) | instskip(NEXT) | instid1(VALU_DEP_1)
	v_dual_add_f32 v44, v44, v45 :: v_dual_mul_f32 v41, v74, v78
	v_dual_add_f32 v40, v67, v40 :: v_dual_fmac_f32 v41, v26, v42
	v_dual_mul_f32 v77, v79, v46 :: v_dual_mul_f32 v42, v70, v76
	s_delay_alu instid0(VALU_DEP_1) | instskip(NEXT) | instid1(VALU_DEP_2)
	v_dual_add_f32 v40, v40, v41 :: v_dual_fmac_f32 v77, v47, v31
	v_fmac_f32_e32 v42, v24, v36
	v_mul_f32_e32 v36, v49, v83
	v_and_b32_e32 v41, 0xffff0000, v27
	v_add_f32_e32 v45, v69, v89
	s_delay_alu instid0(VALU_DEP_4) | instskip(NEXT) | instid1(VALU_DEP_4)
	v_dual_add_f32 v42, v66, v42 :: v_dual_lshlrev_b32 v27, 16, v27
	v_fmac_f32_e32 v36, v25, v37
	s_delay_alu instid0(VALU_DEP_4) | instskip(SKIP_2) | instid1(VALU_DEP_2)
	v_dual_add_f32 v47, v68, v73 :: v_dual_mul_f32 v66, v41, v80
	v_mul_f32_e32 v67, v70, v81
	v_add_f32_e32 v44, v44, v77
	v_dual_fmac_f32 v67, v24, v32 :: v_dual_mul_f32 v32, v49, v85
	s_delay_alu instid0(VALU_DEP_4) | instskip(SKIP_2) | instid1(VALU_DEP_4)
	v_fmac_f32_e32 v66, v27, v43
	v_add_f32_e32 v36, v42, v36
	v_mul_f32_e32 v42, v41, v88
	v_dual_fmac_f32 v32, v25, v33 :: v_dual_mul_f32 v37, v74, v82
	s_delay_alu instid0(VALU_DEP_2) | instskip(SKIP_2) | instid1(VALU_DEP_4)
	v_fmac_f32_e32 v42, v27, v39
	v_and_b32_e32 v39, 0xffff0000, v23
	v_lshlrev_b32_e32 v23, 16, v23
	v_dual_fmac_f32 v37, v26, v38 :: v_dual_add_f32 v38, v65, v67
	v_mul_f32_e32 v33, v74, v87
	s_waitcnt vmcnt(0)
	v_and_b32_e32 v65, 0xffff0000, v4
	v_and_b32_e32 v67, 0xffff0000, v5
	v_dual_add_f32 v36, v36, v37 :: v_dual_mul_f32 v37, v70, v75
	v_add_f32_e32 v32, v38, v32
	v_fmac_f32_e32 v33, v26, v34
	v_dual_mul_f32 v34, v41, v86 :: v_dual_lshlrev_b32 v5, 16, v5
	s_delay_alu instid0(VALU_DEP_4) | instskip(SKIP_1) | instid1(VALU_DEP_1)
	v_fmac_f32_e32 v37, v24, v28
	v_dual_mul_f32 v24, v49, v84 :: v_dual_and_b32 v49, 0xffff0000, v15
	v_dual_fmac_f32 v24, v25, v29 :: v_dual_lshlrev_b32 v15, 16, v15
	v_add_f32_e32 v29, v36, v42
	v_dual_add_f32 v28, v32, v33 :: v_dual_mul_f32 v33, v74, v90
	v_dual_fmac_f32 v34, v27, v35 :: v_dual_and_b32 v35, 0xffff0000, v17
	v_add_f32_e32 v32, v64, v37
	s_delay_alu instid0(VALU_DEP_3) | instskip(SKIP_1) | instid1(VALU_DEP_4)
	v_dual_fmac_f32 v33, v26, v30 :: v_dual_and_b32 v42, 0xffff0000, v19
	v_mul_f32_e32 v26, v41, v46
	v_dual_add_f32 v28, v28, v34 :: v_dual_lshlrev_b32 v17, 16, v17
	s_delay_alu instid0(VALU_DEP_3) | instskip(SKIP_1) | instid1(VALU_DEP_4)
	v_mul_f32_e32 v46, v39, v42
	v_mul_f32_e32 v64, v39, v49
	v_dual_fmac_f32 v26, v27, v31 :: v_dual_and_b32 v31, 0xffff0000, v18
	v_add_f32_e32 v24, v32, v24
	v_and_b32_e32 v34, 0xffff0000, v16
	s_delay_alu instid0(VALU_DEP_4) | instskip(SKIP_1) | instid1(VALU_DEP_4)
	v_fmac_f32_e32 v64, v23, v15
	v_lshlrev_b32_e32 v18, 16, v18
	v_dual_add_f32 v24, v24, v33 :: v_dual_lshlrev_b32 v19, 16, v19
	v_and_b32_e32 v33, 0xffff0000, v21
	v_lshlrev_b32_e32 v21, 16, v21
	v_and_b32_e32 v41, 0xffff0000, v14
	v_lshlrev_b32_e32 v16, 16, v16
	s_delay_alu instid0(VALU_DEP_4) | instskip(SKIP_2) | instid1(VALU_DEP_3)
	v_dual_add_f32 v24, v24, v26 :: v_dual_mul_f32 v27, v33, v35
	v_and_b32_e32 v32, 0xffff0000, v20
	v_dual_add_f32 v25, v40, v66 :: v_dual_lshlrev_b32 v20, 16, v20
	v_dual_fmac_f32 v27, v21, v17 :: v_dual_lshlrev_b32 v14, 16, v14
	s_delay_alu instid0(VALU_DEP_3) | instskip(SKIP_2) | instid1(VALU_DEP_3)
	v_mul_f32_e32 v30, v32, v34
	v_fmac_f32_e32 v46, v23, v19
	v_lshlrev_b32_e32 v4, 16, v4
	v_fmac_f32_e32 v30, v20, v16
	s_delay_alu instid0(VALU_DEP_1) | instskip(SKIP_2) | instid1(VALU_DEP_3)
	v_add_f32_e32 v26, v71, v30
	v_and_b32_e32 v30, 0xffff0000, v22
	v_lshlrev_b32_e32 v22, 16, v22
	v_dual_add_f32 v26, v26, v27 :: v_dual_and_b32 v27, 0xffff0000, v13
	v_lshlrev_b32_e32 v13, 16, v13
	s_delay_alu instid0(VALU_DEP_4) | instskip(NEXT) | instid1(VALU_DEP_1)
	v_mul_f32_e32 v37, v30, v31
	v_dual_mul_f32 v40, v33, v27 :: v_dual_fmac_f32 v37, v22, v18
	s_delay_alu instid0(VALU_DEP_1) | instskip(SKIP_2) | instid1(VALU_DEP_4)
	v_fmac_f32_e32 v40, v21, v13
	v_dual_mul_f32 v43, v30, v41 :: v_dual_and_b32 v36, 0xffff0000, v12
	v_lshlrev_b32_e32 v12, 16, v12
	v_add_f32_e32 v26, v26, v37
	v_and_b32_e32 v37, 0xffff0000, v9
	s_delay_alu instid0(VALU_DEP_4) | instskip(NEXT) | instid1(VALU_DEP_1)
	v_dual_fmac_f32 v43, v22, v14 :: v_dual_mul_f32 v38, v32, v36
	v_dual_fmac_f32 v38, v20, v12 :: v_dual_lshlrev_b32 v9, 16, v9
	s_delay_alu instid0(VALU_DEP_1) | instskip(SKIP_1) | instid1(VALU_DEP_2)
	v_dual_add_f32 v38, v45, v38 :: v_dual_and_b32 v45, 0xffff0000, v8
	v_lshlrev_b32_e32 v8, 16, v8
	v_add_f32_e32 v38, v38, v40
	s_delay_alu instid0(VALU_DEP_3) | instskip(SKIP_1) | instid1(VALU_DEP_3)
	v_mul_f32_e32 v40, v32, v45
	v_mul_f32_e32 v32, v32, v65
	v_add_f32_e32 v38, v38, v43
	s_delay_alu instid0(VALU_DEP_3) | instskip(NEXT) | instid1(VALU_DEP_3)
	v_dual_fmac_f32 v40, v20, v8 :: v_dual_mul_f32 v43, v33, v37
	v_fmac_f32_e32 v32, v20, v4
	s_delay_alu instid0(VALU_DEP_3) | instskip(NEXT) | instid1(VALU_DEP_3)
	v_dual_mul_f32 v20, v33, v67 :: v_dual_add_f32 v69, v38, v64
	v_dual_add_f32 v40, v47, v40 :: v_dual_fmac_f32 v43, v21, v9
	s_delay_alu instid0(VALU_DEP_3) | instskip(NEXT) | instid1(VALU_DEP_3)
	v_dual_add_f32 v32, v44, v32 :: v_dual_and_b32 v47, 0xffff0000, v10
	v_dual_fmac_f32 v20, v21, v5 :: v_dual_and_b32 v21, 0xffff0000, v0
	s_delay_alu instid0(VALU_DEP_3)
	v_add_f32_e32 v40, v40, v43
	v_and_b32_e32 v43, 0xffff0000, v11
	v_add_f32_e32 v71, v26, v46
	v_and_b32_e32 v26, 0xffff0000, v6
	v_lshlrev_b32_e32 v10, 16, v10
	v_mul_f32_e32 v66, v30, v47
	v_dual_add_f32 v20, v32, v20 :: v_dual_lshlrev_b32 v11, 16, v11
	v_mul_f32_e32 v32, v21, v34
	v_lshlrev_b32_e32 v6, 16, v6
	v_mul_f32_e32 v30, v30, v26
	v_and_b32_e32 v34, 0xffff0000, v7
	v_mul_f32_e32 v68, v39, v43
	v_lshlrev_b32_e32 v0, 16, v0
	v_fmac_f32_e32 v66, v22, v10
	v_dual_fmac_f32 v30, v22, v6 :: v_dual_lshlrev_b32 v7, 16, v7
	v_mul_f32_e32 v22, v39, v34
	v_fmac_f32_e32 v68, v23, v11
	v_fmac_f32_e32 v32, v0, v16
	s_delay_alu instid0(VALU_DEP_3) | instskip(SKIP_1) | instid1(VALU_DEP_3)
	v_dual_fmac_f32 v22, v23, v7 :: v_dual_and_b32 v23, 0xffff0000, v2
	v_add_f32_e32 v33, v40, v66
	v_dual_add_f32 v25, v25, v32 :: v_dual_lshlrev_b32 v2, 16, v2
	s_delay_alu instid0(VALU_DEP_2) | instskip(NEXT) | instid1(VALU_DEP_1)
	v_dual_add_f32 v68, v33, v68 :: v_dual_and_b32 v33, 0xffff0000, v1
	v_dual_mul_f32 v16, v33, v35 :: v_dual_lshlrev_b32 v1, 16, v1
	s_delay_alu instid0(VALU_DEP_1) | instskip(SKIP_1) | instid1(VALU_DEP_2)
	v_fmac_f32_e32 v16, v1, v17
	v_mul_f32_e32 v17, v21, v36
	v_add_f32_e32 v16, v25, v16
	s_delay_alu instid0(VALU_DEP_2) | instskip(SKIP_3) | instid1(VALU_DEP_4)
	v_dual_fmac_f32 v17, v0, v12 :: v_dual_mul_f32 v12, v33, v27
	v_mul_f32_e32 v25, v23, v31
	v_and_b32_e32 v27, 0xffff0000, v3
	v_lshlrev_b32_e32 v3, 16, v3
	v_add_f32_e32 v17, v29, v17
	v_fmac_f32_e32 v12, v1, v13
	v_mul_f32_e32 v13, v23, v41
	v_fmac_f32_e32 v25, v2, v18
	v_mul_f32_e32 v18, v27, v42
	s_delay_alu instid0(VALU_DEP_3)
	v_dual_add_f32 v12, v17, v12 :: v_dual_fmac_f32 v13, v2, v14
	v_mul_f32_e32 v14, v21, v45
	v_mul_f32_e32 v17, v21, v65
	v_add_f32_e32 v16, v16, v25
	v_fmac_f32_e32 v18, v3, v19
	v_add_f32_e32 v12, v12, v13
	v_dual_mul_f32 v13, v27, v49 :: v_dual_fmac_f32 v14, v0, v8
	s_delay_alu instid0(VALU_DEP_1) | instskip(NEXT) | instid1(VALU_DEP_1)
	v_dual_mul_f32 v8, v33, v37 :: v_dual_fmac_f32 v13, v3, v15
	v_dual_fmac_f32 v8, v1, v9 :: v_dual_mul_f32 v9, v23, v47
	s_delay_alu instid0(VALU_DEP_1) | instskip(SKIP_3) | instid1(VALU_DEP_3)
	v_dual_add_f32 v66, v12, v13 :: v_dual_fmac_f32 v9, v2, v10
	v_dual_fmac_f32 v17, v0, v4 :: v_dual_mul_f32 v0, v33, v67
	v_add_f32_e32 v4, v28, v14
	v_add_f32_e32 v67, v16, v18
	;; [unrolled: 1-line block ×3, first 2 shown]
	s_delay_alu instid0(VALU_DEP_4) | instskip(NEXT) | instid1(VALU_DEP_4)
	v_dual_fmac_f32 v0, v1, v5 :: v_dual_mul_f32 v5, v27, v43
	v_dual_mul_f32 v1, v23, v26 :: v_dual_add_f32 v4, v4, v8
	v_add_f32_e32 v20, v20, v30
	s_delay_alu instid0(VALU_DEP_3) | instskip(NEXT) | instid1(VALU_DEP_3)
	v_dual_add_f32 v0, v14, v0 :: v_dual_fmac_f32 v5, v3, v11
	v_fmac_f32_e32 v1, v2, v6
	v_mul_f32_e32 v2, v27, v34
	v_add_f32_e32 v4, v4, v9
	v_add_f32_e32 v70, v20, v22
	s_delay_alu instid0(VALU_DEP_4) | instskip(NEXT) | instid1(VALU_DEP_3)
	v_add_f32_e32 v0, v0, v1
	v_dual_fmac_f32 v2, v3, v7 :: v_dual_add_f32 v65, v4, v5
	s_delay_alu instid0(VALU_DEP_1)
	v_add_f32_e32 v64, v0, v2
	s_cbranch_scc1 .LBB200_21
.LBB200_18:                             ;   Parent Loop BB200_14 Depth=1
                                        ; =>  This Inner Loop Header: Depth=2
	v_add_nc_u32_e32 v22, s19, v59
	v_dual_mov_b32 v26, 0 :: v_dual_mov_b32 v47, 0
	v_dual_mov_b32 v24, 0 :: v_dual_mov_b32 v45, 0
	s_delay_alu instid0(VALU_DEP_3) | instskip(SKIP_3) | instid1(VALU_DEP_4)
	v_min_u32_e32 v49, s14, v22
	v_add_nc_u32_e32 v72, 0x100, v22
	v_mov_b32_e32 v46, 0
	v_dual_mov_b32 v44, 0 :: v_dual_mov_b32 v23, 0
	v_lshlrev_b64 v[0:1], 1, v[49:50]
	s_delay_alu instid0(VALU_DEP_4) | instskip(SKIP_2) | instid1(VALU_DEP_4)
	v_min_u32_e32 v49, s14, v72
	v_mov_b32_e32 v25, 0
	v_mov_b32_e32 v27, 0
	v_add_co_u32 v8, vcc_lo, s12, v0
	v_add_co_ci_u32_e32 v9, vcc_lo, s13, v1, vcc_lo
	v_lshlrev_b64 v[0:1], 1, v[49:50]
	s_delay_alu instid0(VALU_DEP_3) | instskip(NEXT) | instid1(VALU_DEP_3)
	v_add_co_u32 v2, vcc_lo, v8, v51
	v_add_co_ci_u32_e32 v3, vcc_lo, v9, v52, vcc_lo
	v_add_co_u32 v4, vcc_lo, v8, v53
	v_add_co_ci_u32_e32 v5, vcc_lo, v9, v54, vcc_lo
	;; [unrolled: 2-line block ×5, first 2 shown]
	s_clause 0x1
	global_load_b128 v[40:43], v[2:3], off slc dlc
	global_load_b128 v[36:39], v[4:5], off slc dlc
	v_add_co_u32 v2, vcc_lo, v10, v51
	v_add_co_ci_u32_e32 v3, vcc_lo, v11, v52, vcc_lo
	v_add_co_u32 v4, vcc_lo, v10, v53
	v_add_co_ci_u32_e32 v5, vcc_lo, v11, v54, vcc_lo
	;; [unrolled: 2-line block ×4, first 2 shown]
	s_clause 0x5
	global_load_b128 v[32:35], v[6:7], off slc dlc
	global_load_b128 v[28:31], v[0:1], off slc dlc
	global_load_b128 v[16:19], v[2:3], off slc dlc
	global_load_b128 v[12:15], v[4:5], off slc dlc
	global_load_b128 v[8:11], v[8:9], off slc dlc
	global_load_b128 v[4:7], v[20:21], off slc dlc
	v_mov_b32_e32 v1, 0
	v_mov_b32_e32 v3, 0
	v_cmp_gt_u32_e32 vcc_lo, s4, v22
	v_mov_b32_e32 v2, 0
	v_dual_mov_b32 v0, 0 :: v_dual_mov_b32 v21, 0
	v_mov_b32_e32 v22, 0
	v_mov_b32_e32 v20, 0
	s_and_saveexec_b32 s20, vcc_lo
	s_cbranch_execz .LBB200_17
; %bb.19:                               ;   in Loop: Header=BB200_18 Depth=2
	v_dual_mov_b32 v20, 0 :: v_dual_add_nc_u32 v49, s6, v63
	v_dual_mov_b32 v21, 0 :: v_dual_mov_b32 v22, 0
	ds_load_b128 v[44:47], v63
	ds_load_b128 v[24:27], v49
	v_dual_mov_b32 v23, 0 :: v_dual_mov_b32 v0, 0
	v_dual_mov_b32 v1, 0 :: v_dual_mov_b32 v2, 0
	v_mov_b32_e32 v3, 0
	s_mov_b32 s21, exec_lo
	v_cmpx_gt_u32_e64 s4, v72
	s_cbranch_execz .LBB200_16
; %bb.20:                               ;   in Loop: Header=BB200_18 Depth=2
	ds_load_b128 v[20:23], v63 offset:512
	ds_load_b128 v[0:3], v49 offset:512
	s_branch .LBB200_16
.LBB200_21:                             ;   in Loop: Header=BB200_14 Depth=1
	; sched_barrier mask(0x00000000)
	s_delay_alu instid0(VALU_DEP_1)
	v_cvt_i32_f32_e32 v0, v71
	s_waitcnt lgkmcnt(5)
	v_cvt_i32_f32_e32 v1, v69
	v_cvt_i32_f32_e32 v2, v68
	s_waitcnt lgkmcnt(0)
	v_cvt_i32_f32_e32 v5, v66
	v_cvt_i32_f32_e32 v10, v64
	v_cvt_f32_i32_dpp v0, v0 row_shr:8 row_mask:0xf bank_mask:0xf bound_ctrl:1
	v_cvt_f32_i32_dpp v1, v1 row_shr:8 row_mask:0xf bank_mask:0xf bound_ctrl:1
	;; [unrolled: 1-line block ×4, first 2 shown]
	v_cvt_i32_f32_e32 v3, v70
	s_delay_alu instid0(VALU_DEP_4) | instskip(SKIP_2) | instid1(VALU_DEP_4)
	v_dual_add_f32 v0, v71, v0 :: v_dual_add_f32 v1, v69, v1
	v_cvt_i32_f32_e32 v4, v67
	v_cvt_i32_f32_e32 v6, v65
	v_cvt_f32_i32_dpp v3, v3 row_shr:8 row_mask:0xf bank_mask:0xf bound_ctrl:1
	s_delay_alu instid0(VALU_DEP_4)
	v_cvt_i32_f32_e32 v7, v0
	v_cvt_i32_f32_e32 v8, v1
	v_cvt_f32_i32_dpp v4, v4 row_shr:8 row_mask:0xf bank_mask:0xf bound_ctrl:1
	v_cvt_f32_i32_dpp v6, v6 row_shr:8 row_mask:0xf bank_mask:0xf bound_ctrl:1
	v_add_f32_e32 v3, v70, v3
	v_cvt_f32_i32_dpp v7, v7 row_shr:4 row_mask:0xf bank_mask:0xf bound_ctrl:1
	v_cvt_f32_i32_dpp v8, v8 row_shr:4 row_mask:0xf bank_mask:0xf bound_ctrl:1
	v_add_f32_e32 v4, v67, v4
	v_dual_add_f32 v2, v68, v2 :: v_dual_add_f32 v5, v66, v5
	s_delay_alu instid0(VALU_DEP_3) | instskip(SKIP_1) | instid1(VALU_DEP_3)
	v_dual_add_f32 v0, v0, v7 :: v_dual_add_f32 v1, v1, v8
	v_cvt_f32_i32_dpp v7, v10 row_shr:8 row_mask:0xf bank_mask:0xf bound_ctrl:1
	v_cvt_i32_f32_e32 v9, v2
	v_cvt_i32_f32_e32 v12, v4
	s_delay_alu instid0(VALU_DEP_4) | instskip(SKIP_3) | instid1(VALU_DEP_4)
	v_cvt_i32_f32_e32 v8, v0
	v_cvt_i32_f32_e32 v14, v5
	v_add_f32_e32 v7, v64, v7
	v_cvt_f32_i32_dpp v9, v9 row_shr:4 row_mask:0xf bank_mask:0xf bound_ctrl:1
	v_cvt_f32_i32_dpp v8, v8 row_shr:2 row_mask:0xf bank_mask:0xf bound_ctrl:1
	s_delay_alu instid0(VALU_DEP_3) | instskip(NEXT) | instid1(VALU_DEP_3)
	v_cvt_i32_f32_e32 v18, v7
	v_add_f32_e32 v2, v2, v9
	v_cvt_i32_f32_e32 v9, v1
	s_delay_alu instid0(VALU_DEP_2) | instskip(NEXT) | instid1(VALU_DEP_2)
	v_cvt_i32_f32_e32 v10, v2
	v_cvt_f32_i32_dpp v9, v9 row_shr:2 row_mask:0xf bank_mask:0xf bound_ctrl:1
	v_add_f32_e32 v0, v0, v8
	v_cvt_i32_f32_e32 v8, v3
	s_delay_alu instid0(VALU_DEP_4) | instskip(NEXT) | instid1(VALU_DEP_4)
	v_cvt_f32_i32_dpp v10, v10 row_shr:2 row_mask:0xf bank_mask:0xf bound_ctrl:1
	v_add_f32_e32 v1, v1, v9
	s_delay_alu instid0(VALU_DEP_4) | instskip(NEXT) | instid1(VALU_DEP_3)
	v_cvt_i32_f32_e32 v9, v0
	v_add_f32_e32 v2, v2, v10
	s_delay_alu instid0(VALU_DEP_3) | instskip(NEXT) | instid1(VALU_DEP_3)
	v_cvt_i32_f32_e32 v10, v1
	v_cvt_f32_i32_dpp v9, v9 row_shr:1 row_mask:0xf bank_mask:0xf bound_ctrl:1
	s_delay_alu instid0(VALU_DEP_3) | instskip(NEXT) | instid1(VALU_DEP_3)
	v_cvt_i32_f32_e32 v11, v2
	v_cvt_f32_i32_dpp v10, v10 row_shr:1 row_mask:0xf bank_mask:0xf bound_ctrl:1
	s_delay_alu instid0(VALU_DEP_3) | instskip(SKIP_1) | instid1(VALU_DEP_4)
	v_add_f32_e32 v16, v0, v9
	v_cvt_f32_i32_dpp v9, v14 row_shr:4 row_mask:0xf bank_mask:0xf bound_ctrl:1
	v_cvt_f32_i32_dpp v11, v11 row_shr:1 row_mask:0xf bank_mask:0xf bound_ctrl:1
	s_delay_alu instid0(VALU_DEP_4) | instskip(NEXT) | instid1(VALU_DEP_2)
	v_add_f32_e32 v0, v1, v10
	v_add_f32_e32 v10, v2, v11
	v_cvt_f32_i32_dpp v2, v8 row_shr:4 row_mask:0xf bank_mask:0xf bound_ctrl:1
	v_cvt_f32_i32_dpp v8, v12 row_shr:4 row_mask:0xf bank_mask:0xf bound_ctrl:1
	v_add_f32_e32 v6, v65, v6
	v_cvt_f32_i32_dpp v12, v18 row_shr:4 row_mask:0xf bank_mask:0xf bound_ctrl:1
	ds_bpermute_b32 v13, v61, v10
	v_dual_add_f32 v2, v3, v2 :: v_dual_add_f32 v3, v4, v8
	v_cvt_i32_f32_e32 v15, v6
	v_add_f32_e32 v4, v5, v9
	s_delay_alu instid0(VALU_DEP_3) | instskip(NEXT) | instid1(VALU_DEP_3)
	v_cvt_i32_f32_e32 v8, v3
	v_cvt_f32_i32_dpp v11, v15 row_shr:4 row_mask:0xf bank_mask:0xf bound_ctrl:1
	s_delay_alu instid0(VALU_DEP_2) | instskip(NEXT) | instid1(VALU_DEP_2)
	v_cvt_f32_i32_dpp v8, v8 row_shr:2 row_mask:0xf bank_mask:0xf bound_ctrl:1
	v_dual_add_f32 v5, v6, v11 :: v_dual_add_f32 v6, v7, v12
	ds_bpermute_b32 v17, v61, v16
	v_add_f32_e32 v3, v3, v8
	v_cvt_i32_f32_e32 v11, v5
	v_cvt_i32_f32_e32 v12, v6
	s_delay_alu instid0(VALU_DEP_3) | instskip(NEXT) | instid1(VALU_DEP_3)
	v_cvt_i32_f32_e32 v8, v3
	v_cvt_f32_i32_dpp v11, v11 row_shr:2 row_mask:0xf bank_mask:0xf bound_ctrl:1
	s_delay_alu instid0(VALU_DEP_3) | instskip(NEXT) | instid1(VALU_DEP_3)
	v_cvt_f32_i32_dpp v12, v12 row_shr:2 row_mask:0xf bank_mask:0xf bound_ctrl:1
	v_cvt_f32_i32_dpp v8, v8 row_shr:1 row_mask:0xf bank_mask:0xf bound_ctrl:1
	s_delay_alu instid0(VALU_DEP_3) | instskip(SKIP_1) | instid1(VALU_DEP_3)
	v_add_f32_e32 v5, v5, v11
	v_cvt_i32_f32_e32 v7, v2
	v_add_f32_e32 v8, v3, v8
	s_delay_alu instid0(VALU_DEP_3) | instskip(NEXT) | instid1(VALU_DEP_3)
	v_cvt_i32_f32_e32 v11, v5
	v_cvt_f32_i32_dpp v7, v7 row_shr:2 row_mask:0xf bank_mask:0xf bound_ctrl:1
	s_delay_alu instid0(VALU_DEP_2) | instskip(NEXT) | instid1(VALU_DEP_2)
	v_cvt_f32_i32_dpp v14, v11 row_shr:1 row_mask:0xf bank_mask:0xf bound_ctrl:1
	v_add_f32_e32 v2, v2, v7
	v_add_f32_e32 v7, v6, v12
	ds_bpermute_b32 v1, v61, v0
	v_cvt_i32_f32_e32 v6, v2
	v_cvt_i32_f32_e32 v12, v7
	s_delay_alu instid0(VALU_DEP_2) | instskip(NEXT) | instid1(VALU_DEP_2)
	v_cvt_f32_i32_dpp v6, v6 row_shr:1 row_mask:0xf bank_mask:0xf bound_ctrl:1
	v_cvt_f32_i32_dpp v12, v12 row_shr:1 row_mask:0xf bank_mask:0xf bound_ctrl:1
	s_delay_alu instid0(VALU_DEP_2) | instskip(SKIP_1) | instid1(VALU_DEP_3)
	v_add_f32_e32 v11, v2, v6
	v_cvt_i32_f32_e32 v9, v4
	v_add_f32_e32 v2, v7, v12
	s_delay_alu instid0(VALU_DEP_2) | instskip(SKIP_2) | instid1(VALU_DEP_1)
	v_cvt_f32_i32_dpp v9, v9 row_shr:2 row_mask:0xf bank_mask:0xf bound_ctrl:1
	ds_bpermute_b32 v3, v61, v2
	v_add_f32_e32 v4, v4, v9
	v_cvt_i32_f32_e32 v9, v4
	s_delay_alu instid0(VALU_DEP_1) | instskip(NEXT) | instid1(VALU_DEP_1)
	v_cvt_f32_i32_dpp v9, v9 row_shr:1 row_mask:0xf bank_mask:0xf bound_ctrl:1
	v_add_f32_e32 v6, v4, v9
	v_add_f32_e32 v4, v5, v14
	ds_bpermute_b32 v14, v61, v11
	ds_bpermute_b32 v9, v61, v8
	;; [unrolled: 1-line block ×4, first 2 shown]
	s_and_saveexec_b32 s19, s0
	s_cbranch_execz .LBB200_13
; %bb.22:                               ;   in Loop: Header=BB200_14 Depth=1
	v_dual_mov_b32 v23, 0 :: v_dual_mov_b32 v22, 0
	v_dual_mov_b32 v21, 0 :: v_dual_mov_b32 v20, 0
	;; [unrolled: 1-line block ×4, first 2 shown]
	s_and_not1_b32 vcc_lo, exec_lo, s18
	s_cbranch_vccnz .LBB200_24
; %bb.23:                               ;   in Loop: Header=BB200_14 Depth=1
	v_mul_hi_u32 v12, v48, v62
	v_or_b32_e32 v15, 1, v48
	v_or_b32_e32 v18, 2, v48
	v_or_b32_e32 v20, 3, v48
	s_delay_alu instid0(VALU_DEP_3) | instskip(NEXT) | instid1(VALU_DEP_3)
	v_mul_hi_u32 v19, v15, v62
	v_mul_hi_u32 v21, v18, v62
	v_mul_lo_u32 v12, v12, s2
	s_delay_alu instid0(VALU_DEP_4) | instskip(NEXT) | instid1(VALU_DEP_4)
	v_mul_hi_u32 v22, v20, v62
	v_mul_lo_u32 v23, v19, s2
	s_delay_alu instid0(VALU_DEP_4) | instskip(NEXT) | instid1(VALU_DEP_4)
	v_mul_lo_u32 v24, v21, s2
	v_sub_nc_u32_e32 v12, v48, v12
	s_delay_alu instid0(VALU_DEP_4) | instskip(NEXT) | instid1(VALU_DEP_2)
	v_mul_lo_u32 v22, v22, s2
	v_subrev_nc_u32_e32 v25, s2, v12
	v_sub_nc_u32_e32 v15, v15, v23
	v_cmp_le_u32_e32 vcc_lo, s2, v12
	v_mov_b32_e32 v19, v50
	v_sub_nc_u32_e32 v18, v18, v24
	v_sub_nc_u32_e32 v20, v20, v22
	v_subrev_nc_u32_e32 v22, s2, v15
	v_cndmask_b32_e32 v12, v12, v25, vcc_lo
	v_cmp_le_u32_e32 vcc_lo, s2, v15
	v_subrev_nc_u32_e32 v24, s2, v18
	v_subrev_nc_u32_e32 v25, s2, v20
	s_delay_alu instid0(VALU_DEP_4) | instskip(SKIP_4) | instid1(VALU_DEP_4)
	v_subrev_nc_u32_e32 v26, s2, v12
	v_cndmask_b32_e32 v15, v15, v22, vcc_lo
	v_cmp_le_u32_e32 vcc_lo, s2, v18
	v_cndmask_b32_e32 v22, v18, v24, vcc_lo
	v_cmp_le_u32_e32 vcc_lo, s2, v20
	v_subrev_nc_u32_e32 v18, s2, v15
	v_cndmask_b32_e32 v27, v20, v25, vcc_lo
	v_cmp_le_u32_e32 vcc_lo, s2, v12
	v_cndmask_b32_e32 v49, v12, v26, vcc_lo
	v_cmp_le_u32_e32 vcc_lo, s2, v15
	v_mov_b32_e32 v21, v50
	v_subrev_nc_u32_e32 v12, s2, v22
	s_delay_alu instid0(VALU_DEP_4) | instskip(SKIP_2) | instid1(VALU_DEP_4)
	v_lshlrev_b64 v[24:25], 1, v[49:50]
	v_cndmask_b32_e32 v18, v15, v18, vcc_lo
	v_cmp_le_u32_e32 vcc_lo, s2, v22
	v_dual_cndmask_b32 v20, v22, v12 :: v_dual_add_nc_u32 v49, s17, v49
	v_subrev_nc_u32_e32 v26, s2, v27
	v_cmp_le_u32_e32 vcc_lo, s2, v27
	v_mov_b32_e32 v23, v50
	s_delay_alu instid0(VALU_DEP_4)
	v_lshlrev_b64 v[32:33], 1, v[49:50]
	v_lshlrev_b64 v[28:29], 1, v[20:21]
	v_add_nc_u32_e32 v49, s17, v18
	v_cndmask_b32_e32 v22, v27, v26, vcc_lo
	v_lshlrev_b64 v[26:27], 1, v[18:19]
	v_add_co_u32 v24, vcc_lo, s8, v24
	v_add_co_ci_u32_e32 v25, vcc_lo, s9, v25, vcc_lo
	s_delay_alu instid0(VALU_DEP_4) | instskip(NEXT) | instid1(VALU_DEP_4)
	v_lshlrev_b64 v[30:31], 1, v[22:23]
	v_add_co_u32 v26, vcc_lo, s8, v26
	v_add_co_ci_u32_e32 v27, vcc_lo, s9, v27, vcc_lo
	v_add_co_u32 v28, vcc_lo, s8, v28
	v_add_co_ci_u32_e32 v29, vcc_lo, s9, v29, vcc_lo
	;; [unrolled: 2-line block ×3, first 2 shown]
	v_lshlrev_b64 v[30:31], 1, v[49:50]
	v_add_nc_u32_e32 v49, s17, v20
	v_add_co_u32 v32, vcc_lo, s8, v32
	v_add_co_ci_u32_e32 v33, vcc_lo, s9, v33, vcc_lo
	s_delay_alu instid0(VALU_DEP_3) | instskip(SKIP_3) | instid1(VALU_DEP_3)
	v_lshlrev_b64 v[20:21], 1, v[49:50]
	v_add_nc_u32_e32 v49, s17, v22
	v_add_co_u32 v30, vcc_lo, s8, v30
	v_add_co_ci_u32_e32 v31, vcc_lo, s9, v31, vcc_lo
	v_lshlrev_b64 v[22:23], 1, v[49:50]
	v_add_co_u32 v34, vcc_lo, s8, v20
	v_add_co_ci_u32_e32 v35, vcc_lo, s9, v21, vcc_lo
	s_delay_alu instid0(VALU_DEP_3) | instskip(NEXT) | instid1(VALU_DEP_4)
	v_add_co_u32 v36, vcc_lo, s8, v22
	v_add_co_ci_u32_e32 v37, vcc_lo, s9, v23, vcc_lo
	s_clause 0x7
	global_load_u16 v23, v[24:25], off
	global_load_u16 v22, v[26:27], off
	;; [unrolled: 1-line block ×8, first 2 shown]
.LBB200_24:                             ;   in Loop: Header=BB200_14 Depth=1
	s_waitcnt vmcnt(7) lgkmcnt(6)
	v_dual_add_f32 v16, v16, v17 :: v_dual_lshlrev_b32 v17, 16, v23
	s_delay_alu instid0(VALU_DEP_1) | instskip(NEXT) | instid1(VALU_DEP_1)
	v_add_f32_e32 v17, v16, v17
	v_and_b32_e32 v16, 0x7f800000, v17
	s_delay_alu instid0(VALU_DEP_1) | instskip(SKIP_1) | instid1(SALU_CYCLE_1)
	v_cmp_ne_u32_e32 vcc_lo, 0x7f800000, v16
                                        ; implicit-def: $vgpr16
	s_and_saveexec_b32 s20, vcc_lo
	s_xor_b32 s20, exec_lo, s20
; %bb.25:                               ;   in Loop: Header=BB200_14 Depth=1
	v_bfe_u32 v16, v17, 16, 1
	s_delay_alu instid0(VALU_DEP_1)
	v_add3_u32 v16, v17, v16, 0x7fff
                                        ; implicit-def: $vgpr17
; %bb.26:                               ;   in Loop: Header=BB200_14 Depth=1
	s_and_not1_saveexec_b32 s20, s20
; %bb.27:                               ;   in Loop: Header=BB200_14 Depth=1
	v_and_b32_e32 v16, 0xffff, v17
	v_or_b32_e32 v23, 0x10000, v17
	s_delay_alu instid0(VALU_DEP_2) | instskip(NEXT) | instid1(VALU_DEP_2)
	v_cmp_eq_u32_e32 vcc_lo, 0, v16
	v_cndmask_b32_e32 v16, v23, v17, vcc_lo
; %bb.28:                               ;   in Loop: Header=BB200_14 Depth=1
	s_or_b32 exec_lo, exec_lo, s20
	s_waitcnt vmcnt(6) lgkmcnt(5)
	v_dual_add_f32 v0, v0, v1 :: v_dual_lshlrev_b32 v1, 16, v22
	s_mov_b32 s20, exec_lo
	s_delay_alu instid0(VALU_DEP_1) | instskip(NEXT) | instid1(VALU_DEP_1)
	v_add_f32_e32 v17, v0, v1
	v_dual_mov_b32 v49, v50 :: v_dual_and_b32 v22, 0x7f800000, v17
	s_delay_alu instid0(VALU_DEP_1) | instskip(NEXT) | instid1(VALU_DEP_1)
	v_lshlrev_b64 v[0:1], 1, v[48:49]
	v_add_co_u32 v0, vcc_lo, s10, v0
	s_delay_alu instid0(VALU_DEP_2)
	v_add_co_ci_u32_e32 v1, vcc_lo, s11, v1, vcc_lo
	global_store_d16_hi_b16 v[0:1], v16, off
                                        ; implicit-def: $vgpr16
	v_cmpx_ne_u32_e32 0x7f800000, v22
	s_xor_b32 s20, exec_lo, s20
; %bb.29:                               ;   in Loop: Header=BB200_14 Depth=1
	v_bfe_u32 v16, v17, 16, 1
	s_delay_alu instid0(VALU_DEP_1)
	v_add3_u32 v16, v17, v16, 0x7fff
                                        ; implicit-def: $vgpr17
; %bb.30:                               ;   in Loop: Header=BB200_14 Depth=1
	s_and_not1_saveexec_b32 s20, s20
; %bb.31:                               ;   in Loop: Header=BB200_14 Depth=1
	v_and_b32_e32 v16, 0xffff, v17
	v_or_b32_e32 v22, 0x10000, v17
	s_delay_alu instid0(VALU_DEP_2) | instskip(NEXT) | instid1(VALU_DEP_2)
	v_cmp_eq_u32_e32 vcc_lo, 0, v16
	v_cndmask_b32_e32 v16, v22, v17, vcc_lo
; %bb.32:                               ;   in Loop: Header=BB200_14 Depth=1
	s_or_b32 exec_lo, exec_lo, s20
	v_add_f32_e32 v10, v10, v13
	s_waitcnt vmcnt(5)
	v_lshlrev_b32_e32 v13, 16, v21
	global_store_d16_hi_b16 v[0:1], v16, off offset:2
	v_add_f32_e32 v13, v10, v13
	s_delay_alu instid0(VALU_DEP_1) | instskip(NEXT) | instid1(VALU_DEP_1)
	v_and_b32_e32 v10, 0x7f800000, v13
	v_cmp_ne_u32_e32 vcc_lo, 0x7f800000, v10
                                        ; implicit-def: $vgpr10
	s_and_saveexec_b32 s20, vcc_lo
	s_delay_alu instid0(SALU_CYCLE_1)
	s_xor_b32 s20, exec_lo, s20
; %bb.33:                               ;   in Loop: Header=BB200_14 Depth=1
	v_bfe_u32 v10, v13, 16, 1
	s_delay_alu instid0(VALU_DEP_1)
	v_add3_u32 v10, v13, v10, 0x7fff
                                        ; implicit-def: $vgpr13
; %bb.34:                               ;   in Loop: Header=BB200_14 Depth=1
	s_and_not1_saveexec_b32 s20, s20
; %bb.35:                               ;   in Loop: Header=BB200_14 Depth=1
	v_and_b32_e32 v10, 0xffff, v13
	v_or_b32_e32 v16, 0x10000, v13
	s_delay_alu instid0(VALU_DEP_2) | instskip(NEXT) | instid1(VALU_DEP_2)
	v_cmp_eq_u32_e32 vcc_lo, 0, v10
	v_cndmask_b32_e32 v10, v16, v13, vcc_lo
; %bb.36:                               ;   in Loop: Header=BB200_14 Depth=1
	s_or_b32 exec_lo, exec_lo, s20
	s_waitcnt lgkmcnt(3)
	v_add_f32_e32 v11, v11, v14
	s_waitcnt vmcnt(4)
	v_lshlrev_b32_e32 v13, 16, v20
	s_mov_b32 s20, exec_lo
	global_store_d16_hi_b16 v[0:1], v10, off offset:4
                                        ; implicit-def: $vgpr10
	v_add_f32_e32 v11, v11, v13
	s_delay_alu instid0(VALU_DEP_1) | instskip(NEXT) | instid1(VALU_DEP_1)
	v_and_b32_e32 v13, 0x7f800000, v11
	v_cmpx_ne_u32_e32 0x7f800000, v13
	s_xor_b32 s20, exec_lo, s20
; %bb.37:                               ;   in Loop: Header=BB200_14 Depth=1
	v_bfe_u32 v10, v11, 16, 1
	s_delay_alu instid0(VALU_DEP_1)
	v_add3_u32 v10, v11, v10, 0x7fff
                                        ; implicit-def: $vgpr11
; %bb.38:                               ;   in Loop: Header=BB200_14 Depth=1
	s_and_not1_saveexec_b32 s20, s20
; %bb.39:                               ;   in Loop: Header=BB200_14 Depth=1
	v_and_b32_e32 v10, 0xffff, v11
	v_or_b32_e32 v13, 0x10000, v11
	s_delay_alu instid0(VALU_DEP_2) | instskip(NEXT) | instid1(VALU_DEP_2)
	v_cmp_eq_u32_e32 vcc_lo, 0, v10
	v_cndmask_b32_e32 v10, v13, v11, vcc_lo
; %bb.40:                               ;   in Loop: Header=BB200_14 Depth=1
	s_or_b32 exec_lo, exec_lo, s20
	s_waitcnt vmcnt(3) lgkmcnt(2)
	v_dual_add_f32 v8, v8, v9 :: v_dual_lshlrev_b32 v9, 16, v19
	s_mov_b32 s20, exec_lo
	global_store_d16_hi_b16 v[0:1], v10, off offset:6
                                        ; implicit-def: $vgpr0
	v_add_f32_e32 v8, v8, v9
	s_delay_alu instid0(VALU_DEP_1) | instskip(NEXT) | instid1(VALU_DEP_1)
	v_and_b32_e32 v9, 0x7f800000, v8
	v_cmpx_ne_u32_e32 0x7f800000, v9
	s_xor_b32 s20, exec_lo, s20
; %bb.41:                               ;   in Loop: Header=BB200_14 Depth=1
	v_bfe_u32 v0, v8, 16, 1
	s_delay_alu instid0(VALU_DEP_1)
	v_add3_u32 v0, v8, v0, 0x7fff
                                        ; implicit-def: $vgpr8
; %bb.42:                               ;   in Loop: Header=BB200_14 Depth=1
	s_and_not1_saveexec_b32 s20, s20
; %bb.43:                               ;   in Loop: Header=BB200_14 Depth=1
	v_and_b32_e32 v0, 0xffff, v8
	v_or_b32_e32 v1, 0x10000, v8
	s_delay_alu instid0(VALU_DEP_2) | instskip(NEXT) | instid1(VALU_DEP_2)
	v_cmp_eq_u32_e32 vcc_lo, 0, v0
	v_cndmask_b32_e32 v0, v1, v8, vcc_lo
; %bb.44:                               ;   in Loop: Header=BB200_14 Depth=1
	s_or_b32 exec_lo, exec_lo, s20
	s_waitcnt vmcnt(2) lgkmcnt(1)
	v_dual_add_f32 v1, v6, v7 :: v_dual_lshlrev_b32 v6, 16, v18
	v_add_nc_u32_e32 v49, s7, v48
	s_mov_b32 s20, exec_lo
	s_delay_alu instid0(VALU_DEP_2) | instskip(NEXT) | instid1(VALU_DEP_2)
	v_add_f32_e32 v1, v1, v6
	v_lshlrev_b64 v[6:7], 1, v[49:50]
	s_delay_alu instid0(VALU_DEP_2) | instskip(NEXT) | instid1(VALU_DEP_2)
	v_and_b32_e32 v8, 0x7f800000, v1
	v_add_co_u32 v6, vcc_lo, s10, v6
	s_delay_alu instid0(VALU_DEP_3)
	v_add_co_ci_u32_e32 v7, vcc_lo, s11, v7, vcc_lo
	global_store_d16_hi_b16 v[6:7], v0, off
                                        ; implicit-def: $vgpr0
	v_cmpx_ne_u32_e32 0x7f800000, v8
	s_xor_b32 s20, exec_lo, s20
; %bb.45:                               ;   in Loop: Header=BB200_14 Depth=1
	v_bfe_u32 v0, v1, 16, 1
	s_delay_alu instid0(VALU_DEP_1)
	v_add3_u32 v0, v1, v0, 0x7fff
                                        ; implicit-def: $vgpr1
; %bb.46:                               ;   in Loop: Header=BB200_14 Depth=1
	s_and_not1_saveexec_b32 s20, s20
; %bb.47:                               ;   in Loop: Header=BB200_14 Depth=1
	v_and_b32_e32 v0, 0xffff, v1
	v_or_b32_e32 v6, 0x10000, v1
	s_delay_alu instid0(VALU_DEP_2) | instskip(NEXT) | instid1(VALU_DEP_2)
	v_cmp_eq_u32_e32 vcc_lo, 0, v0
	v_cndmask_b32_e32 v0, v6, v1, vcc_lo
; %bb.48:                               ;   in Loop: Header=BB200_14 Depth=1
	s_or_b32 exec_lo, exec_lo, s20
	s_waitcnt vmcnt(1) lgkmcnt(0)
	v_dual_add_f32 v1, v4, v5 :: v_dual_lshlrev_b32 v6, 16, v15
	v_dual_mov_b32 v5, v50 :: v_dual_add_nc_u32 v4, 1, v49
	s_mov_b32 s20, exec_lo
	s_delay_alu instid0(VALU_DEP_2) | instskip(NEXT) | instid1(VALU_DEP_2)
	v_add_f32_e32 v1, v1, v6
	v_lshlrev_b64 v[4:5], 1, v[4:5]
	s_delay_alu instid0(VALU_DEP_2) | instskip(NEXT) | instid1(VALU_DEP_2)
	v_and_b32_e32 v6, 0x7f800000, v1
	v_add_co_u32 v4, vcc_lo, s10, v4
	s_delay_alu instid0(VALU_DEP_3)
	v_add_co_ci_u32_e32 v5, vcc_lo, s11, v5, vcc_lo
	global_store_d16_hi_b16 v[4:5], v0, off
                                        ; implicit-def: $vgpr0
	v_cmpx_ne_u32_e32 0x7f800000, v6
	s_xor_b32 s20, exec_lo, s20
; %bb.49:                               ;   in Loop: Header=BB200_14 Depth=1
	v_bfe_u32 v0, v1, 16, 1
	s_delay_alu instid0(VALU_DEP_1)
	v_add3_u32 v0, v1, v0, 0x7fff
                                        ; implicit-def: $vgpr1
; %bb.50:                               ;   in Loop: Header=BB200_14 Depth=1
	s_and_not1_saveexec_b32 s20, s20
; %bb.51:                               ;   in Loop: Header=BB200_14 Depth=1
	v_and_b32_e32 v0, 0xffff, v1
	v_or_b32_e32 v4, 0x10000, v1
	s_delay_alu instid0(VALU_DEP_2) | instskip(NEXT) | instid1(VALU_DEP_2)
	v_cmp_eq_u32_e32 vcc_lo, 0, v0
	v_cndmask_b32_e32 v0, v4, v1, vcc_lo
; %bb.52:                               ;   in Loop: Header=BB200_14 Depth=1
	s_or_b32 exec_lo, exec_lo, s20
	v_dual_add_f32 v1, v2, v3 :: v_dual_add_nc_u32 v2, 2, v49
	s_waitcnt vmcnt(0)
	v_dual_mov_b32 v3, v50 :: v_dual_lshlrev_b32 v4, 16, v12
	s_mov_b32 s20, exec_lo
	s_delay_alu instid0(VALU_DEP_1) | instskip(NEXT) | instid1(VALU_DEP_2)
	v_add_f32_e32 v1, v1, v4
	v_lshlrev_b64 v[2:3], 1, v[2:3]
	s_delay_alu instid0(VALU_DEP_2) | instskip(NEXT) | instid1(VALU_DEP_2)
	v_and_b32_e32 v4, 0x7f800000, v1
	v_add_co_u32 v2, vcc_lo, s10, v2
	s_delay_alu instid0(VALU_DEP_3)
	v_add_co_ci_u32_e32 v3, vcc_lo, s11, v3, vcc_lo
	global_store_d16_hi_b16 v[2:3], v0, off
                                        ; implicit-def: $vgpr0
	v_cmpx_ne_u32_e32 0x7f800000, v4
	s_xor_b32 s20, exec_lo, s20
; %bb.53:                               ;   in Loop: Header=BB200_14 Depth=1
	v_bfe_u32 v0, v1, 16, 1
	s_delay_alu instid0(VALU_DEP_1)
	v_add3_u32 v0, v1, v0, 0x7fff
                                        ; implicit-def: $vgpr1
; %bb.54:                               ;   in Loop: Header=BB200_14 Depth=1
	s_and_not1_saveexec_b32 s20, s20
	s_cbranch_execz .LBB200_12
; %bb.55:                               ;   in Loop: Header=BB200_14 Depth=1
	v_and_b32_e32 v0, 0xffff, v1
	v_or_b32_e32 v2, 0x10000, v1
	s_delay_alu instid0(VALU_DEP_2) | instskip(NEXT) | instid1(VALU_DEP_2)
	v_cmp_eq_u32_e32 vcc_lo, 0, v0
	v_cndmask_b32_e32 v0, v2, v1, vcc_lo
	s_branch .LBB200_12
.LBB200_56:
	s_nop 0
	s_sendmsg sendmsg(MSG_DEALLOC_VGPRS)
	s_endpgm
	.section	.rodata,"a",@progbits
	.p2align	6, 0x0
	.amdhsa_kernel _Z16wvSplitK_hf_sml_I14__hip_bfloat16Li32ELi4ELi16ELi8ELi2ELi2EEviiiiiiPKT_S3_S3_PS1_ii
		.amdhsa_group_segment_fixed_size 65536
		.amdhsa_private_segment_fixed_size 0
		.amdhsa_kernarg_size 64
		.amdhsa_user_sgpr_count 15
		.amdhsa_user_sgpr_dispatch_ptr 0
		.amdhsa_user_sgpr_queue_ptr 0
		.amdhsa_user_sgpr_kernarg_segment_ptr 1
		.amdhsa_user_sgpr_dispatch_id 0
		.amdhsa_user_sgpr_private_segment_size 0
		.amdhsa_wavefront_size32 1
		.amdhsa_uses_dynamic_stack 0
		.amdhsa_enable_private_segment 0
		.amdhsa_system_sgpr_workgroup_id_x 1
		.amdhsa_system_sgpr_workgroup_id_y 0
		.amdhsa_system_sgpr_workgroup_id_z 0
		.amdhsa_system_sgpr_workgroup_info 0
		.amdhsa_system_vgpr_workitem_id 1
		.amdhsa_next_free_vgpr 91
		.amdhsa_next_free_sgpr 22
		.amdhsa_reserve_vcc 1
		.amdhsa_float_round_mode_32 0
		.amdhsa_float_round_mode_16_64 0
		.amdhsa_float_denorm_mode_32 3
		.amdhsa_float_denorm_mode_16_64 3
		.amdhsa_dx10_clamp 1
		.amdhsa_ieee_mode 1
		.amdhsa_fp16_overflow 0
		.amdhsa_workgroup_processor_mode 1
		.amdhsa_memory_ordered 1
		.amdhsa_forward_progress 0
		.amdhsa_shared_vgpr_count 0
		.amdhsa_exception_fp_ieee_invalid_op 0
		.amdhsa_exception_fp_denorm_src 0
		.amdhsa_exception_fp_ieee_div_zero 0
		.amdhsa_exception_fp_ieee_overflow 0
		.amdhsa_exception_fp_ieee_underflow 0
		.amdhsa_exception_fp_ieee_inexact 0
		.amdhsa_exception_int_div_zero 0
	.end_amdhsa_kernel
	.section	.text._Z16wvSplitK_hf_sml_I14__hip_bfloat16Li32ELi4ELi16ELi8ELi2ELi2EEviiiiiiPKT_S3_S3_PS1_ii,"axG",@progbits,_Z16wvSplitK_hf_sml_I14__hip_bfloat16Li32ELi4ELi16ELi8ELi2ELi2EEviiiiiiPKT_S3_S3_PS1_ii,comdat
.Lfunc_end200:
	.size	_Z16wvSplitK_hf_sml_I14__hip_bfloat16Li32ELi4ELi16ELi8ELi2ELi2EEviiiiiiPKT_S3_S3_PS1_ii, .Lfunc_end200-_Z16wvSplitK_hf_sml_I14__hip_bfloat16Li32ELi4ELi16ELi8ELi2ELi2EEviiiiiiPKT_S3_S3_PS1_ii
                                        ; -- End function
	.section	.AMDGPU.csdata,"",@progbits
; Kernel info:
; codeLenInByte = 5404
; NumSgprs: 24
; NumVgprs: 91
; ScratchSize: 0
; MemoryBound: 0
; FloatMode: 240
; IeeeMode: 1
; LDSByteSize: 65536 bytes/workgroup (compile time only)
; SGPRBlocks: 2
; VGPRBlocks: 11
; NumSGPRsForWavesPerEU: 24
; NumVGPRsForWavesPerEU: 91
; Occupancy: 8
; WaveLimiterHint : 0
; COMPUTE_PGM_RSRC2:SCRATCH_EN: 0
; COMPUTE_PGM_RSRC2:USER_SGPR: 15
; COMPUTE_PGM_RSRC2:TRAP_HANDLER: 0
; COMPUTE_PGM_RSRC2:TGID_X_EN: 1
; COMPUTE_PGM_RSRC2:TGID_Y_EN: 0
; COMPUTE_PGM_RSRC2:TGID_Z_EN: 0
; COMPUTE_PGM_RSRC2:TIDIG_COMP_CNT: 1
	.section	.text._Z12wvSplitK_hf_I14__hip_bfloat16Li32ELi4ELi16ELi8ELi2ELi2EEviiiiiiPKT_S3_S3_PS1_ii,"axG",@progbits,_Z12wvSplitK_hf_I14__hip_bfloat16Li32ELi4ELi16ELi8ELi2ELi2EEviiiiiiPKT_S3_S3_PS1_ii,comdat
	.protected	_Z12wvSplitK_hf_I14__hip_bfloat16Li32ELi4ELi16ELi8ELi2ELi2EEviiiiiiPKT_S3_S3_PS1_ii ; -- Begin function _Z12wvSplitK_hf_I14__hip_bfloat16Li32ELi4ELi16ELi8ELi2ELi2EEviiiiiiPKT_S3_S3_PS1_ii
	.globl	_Z12wvSplitK_hf_I14__hip_bfloat16Li32ELi4ELi16ELi8ELi2ELi2EEviiiiiiPKT_S3_S3_PS1_ii
	.p2align	8
	.type	_Z12wvSplitK_hf_I14__hip_bfloat16Li32ELi4ELi16ELi8ELi2ELi2EEviiiiiiPKT_S3_S3_PS1_ii,@function
_Z12wvSplitK_hf_I14__hip_bfloat16Li32ELi4ELi16ELi8ELi2ELi2EEviiiiiiPKT_S3_S3_PS1_ii: ; @_Z12wvSplitK_hf_I14__hip_bfloat16Li32ELi4ELi16ELi8ELi2ELi2EEviiiiiiPKT_S3_S3_PS1_ii
; %bb.0:
	s_clause 0x1
	s_load_b64 s[20:21], s[0:1], 0x38
	s_load_b128 s[8:11], s[0:1], 0x0
	v_bfe_u32 v5, v0, 10, 10
	s_clause 0x1
	s_load_b64 s[16:17], s[0:1], 0x20
	s_load_b64 s[18:19], s[0:1], 0x10
	s_mov_b32 s4, 1
	s_delay_alu instid0(SALU_CYCLE_1) | instskip(SKIP_4) | instid1(SALU_CYCLE_1)
	s_mov_b32 s5, s4
	s_mov_b32 s6, s4
	;; [unrolled: 1-line block ×3, first 2 shown]
	s_waitcnt lgkmcnt(0)
	s_mul_i32 s15, s15, s20
	v_add_lshl_u32 v53, s15, v5, 2
	s_delay_alu instid0(VALU_DEP_1) | instskip(SKIP_1) | instid1(VALU_DEP_2)
	v_add_nc_u32_e32 v1, 4, v53
	v_cmp_gt_u32_e32 vcc_lo, s11, v53
	v_cmp_le_u32_e64 s2, s11, v1
	v_dual_mov_b32 v1, s4 :: v_dual_mov_b32 v4, s7
	v_dual_mov_b32 v2, s5 :: v_dual_mov_b32 v3, s6
	s_delay_alu instid0(VALU_DEP_3) | instskip(NEXT) | instid1(SALU_CYCLE_1)
	s_and_b32 s2, vcc_lo, s2
	s_and_saveexec_b32 s12, s2
	s_cbranch_execz .LBB201_6
; %bb.1:
	v_dual_mov_b32 v1, s4 :: v_dual_mov_b32 v2, s5
	v_dual_mov_b32 v3, s6 :: v_dual_mov_b32 v4, s7
	s_add_i32 s13, s11, -4
	s_mov_b32 s14, exec_lo
	v_cmpx_ne_u32_e64 s13, v53
	s_cbranch_execz .LBB201_5
; %bb.2:
	v_subrev_nc_u32_e32 v1, s13, v53
	s_mov_b32 s15, 0
	s_mov_b64 s[2:3], 0
	s_mov_b32 s5, s4
	s_mov_b32 s6, s4
	v_cmp_lt_u32_e32 vcc_lo, 1, v1
	s_mov_b32 s7, s4
	v_cndmask_b32_e32 v6, 1, v1, vcc_lo
	.p2align	6
.LBB201_3:                              ; =>This Inner Loop Header: Depth=1
	s_cmp_lg_u32 s2, 3
	s_cselect_b32 s7, s7, 0
	s_cmp_lg_u32 s2, 2
	s_cselect_b32 s6, s6, 0
	;; [unrolled: 2-line block ×4, first 2 shown]
	s_add_u32 s2, s2, 1
	v_dual_mov_b32 v1, s4 :: v_dual_mov_b32 v2, s5
	v_cmp_eq_u32_e32 vcc_lo, s2, v6
	v_dual_mov_b32 v3, s6 :: v_dual_mov_b32 v4, s7
	s_addc_u32 s3, s3, 0
	s_or_b32 s15, vcc_lo, s15
	s_delay_alu instid0(SALU_CYCLE_1)
	s_and_not1_b32 exec_lo, exec_lo, s15
	s_cbranch_execnz .LBB201_3
; %bb.4:
	s_or_b32 exec_lo, exec_lo, s15
	v_mov_b32_e32 v53, s13
.LBB201_5:
	s_or_b32 exec_lo, exec_lo, s14
.LBB201_6:
	s_delay_alu instid0(SALU_CYCLE_1) | instskip(SKIP_2) | instid1(SALU_CYCLE_1)
	s_or_b32 exec_lo, exec_lo, s12
	v_and_b32_e32 v6, 0x3ff, v0
	s_lshl_b32 s2, s10, 1
	s_min_u32 s3, s2, 0x8000
	s_mov_b32 s2, exec_lo
	s_delay_alu instid0(VALU_DEP_1) | instskip(NEXT) | instid1(VALU_DEP_1)
	v_lshlrev_b32_e32 v0, 3, v6
	v_lshl_add_u32 v8, v5, 8, v0
	s_delay_alu instid0(VALU_DEP_1)
	v_cmpx_gt_u32_e64 s3, v8
	s_cbranch_execz .LBB201_15
; %bb.7:
	v_lshlrev_b32_e32 v7, 1, v8
	v_add_nc_u32_e32 v13, 0x1000, v8
	s_mov_b32 s4, exec_lo
	global_load_b128 v[9:12], v7, s[16:17]
	s_waitcnt vmcnt(0)
	ds_store_b128 v7, v[9:12]
	v_cmpx_gt_u32_e64 s3, v13
	s_xor_b32 s4, exec_lo, s4
	s_cbranch_execz .LBB201_15
; %bb.8:
	v_add_co_u32 v9, s4, s16, v7
	s_delay_alu instid0(VALU_DEP_1) | instskip(SKIP_1) | instid1(VALU_DEP_3)
	v_add_co_ci_u32_e64 v10, null, s17, 0, s4
	v_add_nc_u32_e32 v15, 0x2000, v8
	v_add_co_u32 v11, vcc_lo, 0x2000, v9
	s_delay_alu instid0(VALU_DEP_3)
	v_add_co_ci_u32_e32 v12, vcc_lo, 0, v10, vcc_lo
	s_mov_b32 s4, exec_lo
	global_load_b128 v[11:14], v[11:12], off
	s_waitcnt vmcnt(0)
	ds_store_b128 v7, v[11:14] offset:8192
	v_cmpx_gt_u32_e64 s3, v15
	s_xor_b32 s4, exec_lo, s4
	s_cbranch_execz .LBB201_15
; %bb.9:
	v_add_co_u32 v11, vcc_lo, 0x4000, v9
	v_add_co_ci_u32_e32 v12, vcc_lo, 0, v10, vcc_lo
	v_add_nc_u32_e32 v15, 0x3000, v8
	s_mov_b32 s4, exec_lo
	global_load_b128 v[11:14], v[11:12], off
	s_waitcnt vmcnt(0)
	ds_store_b128 v7, v[11:14] offset:16384
	v_cmpx_gt_u32_e64 s3, v15
	s_xor_b32 s4, exec_lo, s4
	s_cbranch_execz .LBB201_15
; %bb.10:
	v_add_co_u32 v11, vcc_lo, 0x6000, v9
	v_add_co_ci_u32_e32 v12, vcc_lo, 0, v10, vcc_lo
	v_add_nc_u32_e32 v15, 0x4000, v8
	;; [unrolled: 11-line block ×5, first 2 shown]
	global_load_b128 v[11:14], v[11:12], off
	v_cmp_gt_u32_e32 vcc_lo, s3, v8
	s_waitcnt vmcnt(0)
	ds_store_b128 v7, v[11:14] offset:49152
	s_and_saveexec_b32 s3, vcc_lo
	s_delay_alu instid0(SALU_CYCLE_1)
	s_xor_b32 s3, exec_lo, s3
	s_cbranch_execz .LBB201_15
; %bb.14:
	v_add_co_u32 v8, vcc_lo, 0xe000, v9
	v_add_co_ci_u32_e32 v9, vcc_lo, 0, v10, vcc_lo
	global_load_b128 v[8:11], v[8:9], off
	s_waitcnt vmcnt(0)
	ds_store_b128 v7, v[8:11] offset:57344
.LBB201_15:
	s_or_b32 exec_lo, exec_lo, s2
	v_cmp_gt_u32_e32 vcc_lo, s20, v5
	v_cmp_gt_u32_e64 s2, s11, v53
	s_waitcnt lgkmcnt(0)
	s_barrier
	buffer_gl0_inv
	s_and_b32 s2, vcc_lo, s2
	s_delay_alu instid0(SALU_CYCLE_1)
	s_and_saveexec_b32 s3, s2
	s_cbranch_execz .LBB201_98
; %bb.16:
	v_cvt_f32_u32_e32 v5, s18
	s_clause 0x1
	s_load_b128 s[12:15], s[0:1], 0x28
	s_load_b64 s[6:7], s[0:1], 0x18
	v_mbcnt_lo_u32_b32 v7, -1, 0
	s_cmp_lg_u32 s8, 0
	v_rcp_iflag_f32_e32 v5, v5
	s_cselect_b32 s22, -1, 0
	s_add_i32 s23, s8, -8
	v_xor_b32_e32 v8, 16, v7
	s_add_i32 s24, s11, -1
	s_mul_i32 s1, s20, s21
	s_delay_alu instid0(VALU_DEP_1) | instskip(SKIP_2) | instid1(VALU_DEP_1)
	v_cmp_gt_i32_e32 vcc_lo, 32, v8
	s_waitcnt_depctr 0xfff
	v_mul_f32_e32 v5, 0x4f7ffffe, v5
	v_cvt_u32_f32_e32 v5, v5
	s_waitcnt lgkmcnt(0)
	s_cmp_lg_u64 s[12:13], 0
	s_cselect_b32 s25, -1, 0
	s_sub_i32 s0, 0, s18
	s_lshl_b32 s20, s1, 2
	v_mul_lo_u32 v9, s0, v5
	s_abs_i32 s1, s19
	v_cmp_eq_u32_e64 s0, 31, v6
	v_cndmask_b32_e32 v6, v7, v8, vcc_lo
	s_add_i32 s21, s11, -4
	s_sub_i32 s2, 1, s1
	s_cmp_lt_u32 s1, 2
	s_delay_alu instid0(VALU_DEP_1)
	v_dual_mov_b32 v55, 0 :: v_dual_lshlrev_b32 v70, 2, v6
	v_mul_hi_u32 v7, v5, v9
	s_cselect_b32 s2, s2, 1
	s_mov_b32 s19, 0
	s_sub_i32 s3, s2, s1
	s_cmp_ge_u32 s2, s1
	s_cselect_b32 s26, s3, s2
	s_delay_alu instid0(VALU_DEP_1)
	v_add_nc_u32_e32 v71, v5, v7
	s_mul_i32 s26, s26, s18
	s_branch .LBB201_19
.LBB201_17:                             ;   in Loop: Header=BB201_19 Depth=1
	s_or_b32 exec_lo, exec_lo, s28
	v_mov_b32_e32 v53, s21
.LBB201_18:                             ;   in Loop: Header=BB201_19 Depth=1
	s_or_b32 exec_lo, exec_lo, s27
	s_delay_alu instid0(VALU_DEP_1) | instskip(SKIP_1) | instid1(SALU_CYCLE_1)
	v_cmp_le_u32_e32 vcc_lo, s11, v53
	s_or_b32 s19, vcc_lo, s19
	s_and_not1_b32 exec_lo, exec_lo, s19
	s_cbranch_execz .LBB201_98
.LBB201_19:                             ; =>This Loop Header: Depth=1
                                        ;     Child Loop BB201_24 Depth 2
                                        ;     Child Loop BB201_96 Depth 2
	v_dual_mov_b32 v73, v55 :: v_dual_add_nc_u32 v58, 1, v53
	v_dual_mov_b32 v72, v55 :: v_dual_add_nc_u32 v57, 2, v53
	;; [unrolled: 1-line block ×3, first 2 shown]
	v_mov_b32_e32 v74, v55
	v_mov_b32_e32 v79, v55
	;; [unrolled: 1-line block ×5, first 2 shown]
	s_and_not1_b32 vcc_lo, exec_lo, s22
	s_cbranch_vccnz .LBB201_42
; %bb.20:                               ;   in Loop: Header=BB201_19 Depth=1
	v_min_u32_e32 v5, s24, v53
	s_waitcnt lgkmcnt(3)
	v_min_u32_e32 v6, s24, v58
	v_min_u32_e32 v7, s24, v57
	s_waitcnt lgkmcnt(0)
	v_min_u32_e32 v8, s24, v56
	v_dual_mov_b32 v10, v55 :: v_dual_mov_b32 v75, 0
	v_mul_lo_u32 v54, v5, s9
	v_mul_lo_u32 v5, v6, s9
	;; [unrolled: 1-line block ×4, first 2 shown]
	v_dual_mov_b32 v6, v55 :: v_dual_mov_b32 v77, 0
	v_dual_mov_b32 v8, v55 :: v_dual_mov_b32 v79, 0
	v_lshlrev_b64 v[59:60], 1, v[54:55]
	s_delay_alu instid0(VALU_DEP_3) | instskip(SKIP_1) | instid1(VALU_DEP_4)
	v_lshlrev_b64 v[61:62], 1, v[5:6]
	v_dual_mov_b32 v78, 0 :: v_dual_mov_b32 v73, 0
	v_lshlrev_b64 v[63:64], 1, v[7:8]
	v_lshlrev_b64 v[65:66], 1, v[9:10]
	v_mov_b32_e32 v76, 0
	v_mov_b32_e32 v74, 0
	;; [unrolled: 1-line block ×3, first 2 shown]
	s_mov_b32 s1, 0
	s_branch .LBB201_24
.LBB201_21:                             ;   in Loop: Header=BB201_24 Depth=2
	s_or_b32 exec_lo, exec_lo, s4
.LBB201_22:                             ;   in Loop: Header=BB201_24 Depth=2
	s_delay_alu instid0(SALU_CYCLE_1)
	s_or_b32 exec_lo, exec_lo, s3
.LBB201_23:                             ;   in Loop: Header=BB201_24 Depth=2
	s_delay_alu instid0(SALU_CYCLE_1)
	s_or_b32 exec_lo, exec_lo, s2
	s_waitcnt vmcnt(0) lgkmcnt(0)
	v_and_b32_e32 v82, 0xffff0000, v51
	v_and_b32_e32 v83, 0xffff0000, v43
	;; [unrolled: 1-line block ×3, first 2 shown]
	v_lshlrev_b32_e32 v43, 16, v43
	v_and_b32_e32 v85, 0xffff0000, v44
	v_lshlrev_b32_e32 v51, 16, v51
	v_mul_f32_e32 v84, v82, v83
	v_and_b32_e32 v68, 0xffff0000, v50
	v_lshlrev_b32_e32 v41, 16, v41
	v_and_b32_e32 v87, 0xffff0000, v38
	v_and_b32_e32 v102, 0xffff0000, v23
	v_dual_fmac_f32 v84, v51, v43 :: v_dual_and_b32 v69, 0xffff0000, v42
	v_lshlrev_b32_e32 v50, 16, v50
	v_lshlrev_b32_e32 v42, 16, v42
	s_addk_i32 s1, 0x200
	v_lshlrev_b32_e32 v23, 16, v23
	v_mul_f32_e32 v81, v68, v69
	v_and_b32_e32 v54, 0xffff0000, v49
	s_cmp_ge_u32 s1, s8
	s_delay_alu instid0(VALU_DEP_2) | instskip(NEXT) | instid1(VALU_DEP_2)
	v_fmac_f32_e32 v81, v50, v42
	v_dual_mul_f32 v80, v54, v67 :: v_dual_lshlrev_b32 v49, 16, v49
	s_delay_alu instid0(VALU_DEP_1) | instskip(NEXT) | instid1(VALU_DEP_1)
	v_fmac_f32_e32 v80, v49, v41
	v_add_f32_e32 v77, v77, v80
	s_delay_alu instid0(VALU_DEP_1) | instskip(SKIP_3) | instid1(VALU_DEP_4)
	v_add_f32_e32 v77, v77, v81
	v_and_b32_e32 v81, 0xffff0000, v52
	v_and_b32_e32 v106, 0xffff0000, v5
	v_lshlrev_b32_e32 v5, 16, v5
	v_add_f32_e32 v77, v77, v84
	v_lshlrev_b32_e32 v52, 16, v52
	v_mul_f32_e32 v84, v68, v87
	v_mul_f32_e32 v88, v81, v85
	v_lshlrev_b32_e32 v44, 16, v44
	v_and_b32_e32 v91, 0xffff0000, v34
	v_lshlrev_b32_e32 v38, 16, v38
	v_lshlrev_b32_e32 v34, 16, v34
	s_delay_alu instid0(VALU_DEP_4) | instskip(NEXT) | instid1(VALU_DEP_4)
	v_fmac_f32_e32 v88, v52, v44
	v_dual_mul_f32 v93, v68, v91 :: v_dual_and_b32 v80, 0xffff0000, v37
	s_delay_alu instid0(VALU_DEP_4) | instskip(NEXT) | instid1(VALU_DEP_3)
	v_dual_fmac_f32 v84, v50, v38 :: v_dual_lshlrev_b32 v37, 16, v37
	v_add_f32_e32 v77, v77, v88
	s_delay_alu instid0(VALU_DEP_3) | instskip(NEXT) | instid1(VALU_DEP_4)
	v_mul_f32_e32 v86, v54, v80
	v_dual_fmac_f32 v93, v50, v34 :: v_dual_and_b32 v88, 0xffff0000, v33
	v_lshlrev_b32_e32 v33, 16, v33
	s_delay_alu instid0(VALU_DEP_3) | instskip(NEXT) | instid1(VALU_DEP_3)
	v_dual_fmac_f32 v86, v49, v37 :: v_dual_and_b32 v97, 0xffff0000, v27
	v_dual_mul_f32 v90, v54, v88 :: v_dual_lshlrev_b32 v27, 16, v27
	s_delay_alu instid0(VALU_DEP_2) | instskip(SKIP_1) | instid1(VALU_DEP_3)
	v_add_f32_e32 v78, v78, v86
	v_and_b32_e32 v86, 0xffff0000, v39
	v_dual_fmac_f32 v90, v49, v33 :: v_dual_lshlrev_b32 v39, 16, v39
	s_delay_alu instid0(VALU_DEP_3) | instskip(NEXT) | instid1(VALU_DEP_3)
	v_add_f32_e32 v78, v78, v84
	v_mul_f32_e32 v89, v82, v86
	s_delay_alu instid0(VALU_DEP_1) | instskip(NEXT) | instid1(VALU_DEP_1)
	v_dual_add_f32 v76, v76, v90 :: v_dual_fmac_f32 v89, v51, v39
	v_dual_add_f32 v76, v76, v93 :: v_dual_and_b32 v93, 0xffff0000, v36
	v_lshlrev_b32_e32 v36, 16, v36
	s_delay_alu instid0(VALU_DEP_3)
	v_add_f32_e32 v78, v78, v89
	v_and_b32_e32 v89, 0xffff0000, v29
	v_lshlrev_b32_e32 v29, 16, v29
	v_and_b32_e32 v94, 0xffff0000, v30
	v_and_b32_e32 v84, 0xffff0000, v40
	v_lshlrev_b32_e32 v30, 16, v30
	v_mul_f32_e32 v54, v54, v89
	s_delay_alu instid0(VALU_DEP_1) | instskip(NEXT) | instid1(VALU_DEP_4)
	v_dual_fmac_f32 v54, v49, v29 :: v_dual_mul_f32 v49, v68, v94
	v_mul_f32_e32 v92, v81, v84
	v_and_b32_e32 v68, 0xffff0000, v31
	s_delay_alu instid0(VALU_DEP_3) | instskip(SKIP_4) | instid1(VALU_DEP_4)
	v_dual_add_f32 v54, v79, v54 :: v_dual_lshlrev_b32 v31, 16, v31
	v_and_b32_e32 v90, 0xffff0000, v35
	v_lshlrev_b32_e32 v35, 16, v35
	v_fmac_f32_e32 v49, v50, v30
	v_dual_mul_f32 v50, v82, v68 :: v_dual_mul_f32 v79, v81, v93
	v_dual_mul_f32 v95, v82, v90 :: v_dual_lshlrev_b32 v40, 16, v40
	s_delay_alu instid0(VALU_DEP_3) | instskip(NEXT) | instid1(VALU_DEP_3)
	v_add_f32_e32 v49, v54, v49
	v_fmac_f32_e32 v79, v52, v36
	s_delay_alu instid0(VALU_DEP_3) | instskip(SKIP_2) | instid1(VALU_DEP_3)
	v_dual_fmac_f32 v95, v51, v35 :: v_dual_fmac_f32 v92, v52, v40
	v_and_b32_e32 v54, 0xffff0000, v45
	v_dual_fmac_f32 v50, v51, v31 :: v_dual_lshlrev_b32 v45, 16, v45
	v_dual_add_f32 v78, v78, v92 :: v_dual_and_b32 v99, 0xffff0000, v22
	v_and_b32_e32 v92, 0xffff0000, v46
	v_lshlrev_b32_e32 v22, 16, v22
	s_delay_alu instid0(VALU_DEP_4) | instskip(NEXT) | instid1(VALU_DEP_3)
	v_dual_add_f32 v49, v49, v50 :: v_dual_and_b32 v50, 0xffff0000, v32
	v_dual_mul_f32 v101, v92, v99 :: v_dual_lshlrev_b32 v32, 16, v32
	v_add_f32_e32 v51, v76, v95
	v_and_b32_e32 v95, 0xffff0000, v26
	s_delay_alu instid0(VALU_DEP_4) | instskip(NEXT) | instid1(VALU_DEP_3)
	v_mul_f32_e32 v81, v81, v50
	v_add_f32_e32 v51, v51, v79
	v_and_b32_e32 v79, 0xffff0000, v21
	s_delay_alu instid0(VALU_DEP_3) | instskip(SKIP_3) | instid1(VALU_DEP_4)
	v_dual_fmac_f32 v81, v52, v32 :: v_dual_and_b32 v52, 0xffff0000, v47
	v_lshlrev_b32_e32 v47, 16, v47
	v_and_b32_e32 v82, 0xffff0000, v25
	v_dual_mul_f32 v96, v92, v95 :: v_dual_lshlrev_b32 v21, 16, v21
	v_dual_mul_f32 v98, v54, v79 :: v_dual_mul_f32 v103, v52, v102
	s_delay_alu instid0(VALU_DEP_3) | instskip(SKIP_1) | instid1(VALU_DEP_3)
	v_dual_mul_f32 v76, v54, v82 :: v_dual_lshlrev_b32 v25, 16, v25
	v_lshlrev_b32_e32 v46, 16, v46
	v_dual_fmac_f32 v98, v45, v21 :: v_dual_fmac_f32 v103, v47, v23
	v_add_f32_e32 v49, v49, v81
	s_delay_alu instid0(VALU_DEP_4) | instskip(SKIP_1) | instid1(VALU_DEP_4)
	v_dual_fmac_f32 v76, v45, v25 :: v_dual_and_b32 v81, 0xffff0000, v48
	v_lshlrev_b32_e32 v26, 16, v26
	v_add_f32_e32 v78, v78, v98
	s_delay_alu instid0(VALU_DEP_3) | instskip(NEXT) | instid1(VALU_DEP_3)
	v_dual_fmac_f32 v101, v46, v22 :: v_dual_add_f32 v76, v77, v76
	v_dual_mul_f32 v77, v52, v97 :: v_dual_fmac_f32 v96, v46, v26
	v_and_b32_e32 v98, 0xffff0000, v9
	v_lshlrev_b32_e32 v9, 16, v9
	v_and_b32_e32 v107, 0xffff0000, v6
	v_lshlrev_b32_e32 v48, 16, v48
	v_add_f32_e32 v76, v76, v96
	v_and_b32_e32 v96, 0xffff0000, v28
	v_lshlrev_b32_e32 v28, 16, v28
	v_lshlrev_b32_e32 v6, 16, v6
	s_delay_alu instid0(VALU_DEP_3) | instskip(NEXT) | instid1(VALU_DEP_1)
	v_dual_mul_f32 v100, v81, v96 :: v_dual_fmac_f32 v77, v47, v27
	v_fmac_f32_e32 v100, v48, v28
	s_delay_alu instid0(VALU_DEP_2) | instskip(NEXT) | instid1(VALU_DEP_1)
	v_add_f32_e32 v76, v76, v77
	v_dual_add_f32 v77, v76, v100 :: v_dual_add_f32 v76, v78, v101
	v_mul_f32_e32 v78, v54, v98
	v_dual_mul_f32 v54, v54, v106 :: v_dual_and_b32 v101, 0xffff0000, v24
	s_delay_alu instid0(VALU_DEP_3) | instskip(NEXT) | instid1(VALU_DEP_3)
	v_add_f32_e32 v76, v76, v103
	v_fmac_f32_e32 v78, v45, v9
	s_delay_alu instid0(VALU_DEP_3) | instskip(SKIP_3) | instid1(VALU_DEP_4)
	v_dual_fmac_f32 v54, v45, v5 :: v_dual_mul_f32 v45, v92, v107
	v_lshlrev_b32_e32 v24, 16, v24
	v_and_b32_e32 v103, 0xffff0000, v11
	v_lshlrev_b32_e32 v11, 16, v11
	v_add_f32_e32 v49, v49, v54
	v_fmac_f32_e32 v45, v46, v6
	v_and_b32_e32 v100, 0xffff0000, v10
	v_and_b32_e32 v54, 0xffff0000, v13
	v_lshlrev_b32_e32 v13, 16, v13
	v_mul_f32_e32 v105, v81, v101
	s_delay_alu instid0(VALU_DEP_4) | instskip(SKIP_4) | instid1(VALU_DEP_3)
	v_dual_add_f32 v45, v49, v45 :: v_dual_mul_f32 v104, v92, v100
	v_and_b32_e32 v49, 0xffff0000, v14
	v_lshlrev_b32_e32 v10, 16, v10
	v_lshlrev_b32_e32 v14, 16, v14
	v_add_f32_e32 v51, v51, v78
	v_dual_fmac_f32 v105, v48, v24 :: v_dual_fmac_f32 v104, v46, v10
	v_mul_f32_e32 v46, v54, v67
	v_and_b32_e32 v67, 0xffff0000, v15
	v_lshlrev_b32_e32 v15, 16, v15
	s_delay_alu instid0(VALU_DEP_3) | instskip(SKIP_3) | instid1(VALU_DEP_4)
	v_dual_add_f32 v51, v51, v104 :: v_dual_fmac_f32 v46, v13, v41
	v_mul_f32_e32 v41, v49, v69
	v_dual_mul_f32 v78, v52, v103 :: v_dual_and_b32 v69, 0xffff0000, v8
	v_lshlrev_b32_e32 v8, 16, v8
	v_add_f32_e32 v46, v75, v46
	s_delay_alu instid0(VALU_DEP_4) | instskip(NEXT) | instid1(VALU_DEP_1)
	v_dual_fmac_f32 v41, v14, v42 :: v_dual_and_b32 v104, 0xffff0000, v12
	v_dual_fmac_f32 v78, v47, v11 :: v_dual_add_f32 v41, v46, v41
	v_and_b32_e32 v46, 0xffff0000, v16
	v_mul_f32_e32 v42, v67, v83
	s_delay_alu instid0(VALU_DEP_4) | instskip(SKIP_1) | instid1(VALU_DEP_3)
	v_mul_f32_e32 v108, v81, v104
	v_lshlrev_b32_e32 v16, 16, v16
	v_fmac_f32_e32 v42, v15, v43
	v_lshlrev_b32_e32 v12, 16, v12
	v_mul_f32_e32 v43, v54, v80
	v_dual_add_f32 v51, v51, v78 :: v_dual_add_f32 v78, v76, v105
	s_delay_alu instid0(VALU_DEP_3) | instskip(NEXT) | instid1(VALU_DEP_3)
	v_dual_add_f32 v41, v41, v42 :: v_dual_fmac_f32 v108, v48, v12
	v_fmac_f32_e32 v43, v13, v37
	s_delay_alu instid0(VALU_DEP_2) | instskip(NEXT) | instid1(VALU_DEP_2)
	v_dual_mul_f32 v37, v49, v87 :: v_dual_add_f32 v76, v51, v108
	v_add_f32_e32 v43, v74, v43
	v_and_b32_e32 v51, 0xffff0000, v7
	v_lshlrev_b32_e32 v7, 16, v7
	s_delay_alu instid0(VALU_DEP_2) | instskip(NEXT) | instid1(VALU_DEP_1)
	v_mul_f32_e32 v52, v52, v51
	v_dual_fmac_f32 v52, v47, v7 :: v_dual_mul_f32 v47, v81, v69
	s_delay_alu instid0(VALU_DEP_1) | instskip(SKIP_1) | instid1(VALU_DEP_1)
	v_fmac_f32_e32 v47, v48, v8
	v_mul_f32_e32 v48, v54, v88
	v_fmac_f32_e32 v48, v13, v33
	v_mul_f32_e32 v33, v49, v91
	;; [unrolled: 2-line block ×3, first 2 shown]
	s_delay_alu instid0(VALU_DEP_3) | instskip(NEXT) | instid1(VALU_DEP_3)
	v_fmac_f32_e32 v33, v14, v34
	v_add_f32_e32 v37, v43, v37
	v_dual_add_f32 v43, v73, v48 :: v_dual_mul_f32 v34, v67, v90
	s_delay_alu instid0(VALU_DEP_4) | instskip(NEXT) | instid1(VALU_DEP_2)
	v_dual_fmac_f32 v38, v15, v39 :: v_dual_add_f32 v45, v45, v52
	v_add_f32_e32 v33, v43, v33
	v_mul_f32_e32 v42, v46, v85
	s_delay_alu instid0(VALU_DEP_4) | instskip(NEXT) | instid1(VALU_DEP_2)
	v_dual_fmac_f32 v34, v15, v35 :: v_dual_mul_f32 v39, v46, v84
	v_dual_add_f32 v37, v37, v38 :: v_dual_fmac_f32 v42, v16, v44
	v_mul_f32_e32 v44, v54, v89
	s_delay_alu instid0(VALU_DEP_1) | instskip(SKIP_1) | instid1(VALU_DEP_1)
	v_fmac_f32_e32 v44, v13, v29
	v_mul_f32_e32 v29, v49, v94
	v_dual_fmac_f32 v29, v14, v30 :: v_dual_mul_f32 v30, v67, v68
	s_delay_alu instid0(VALU_DEP_1) | instskip(SKIP_3) | instid1(VALU_DEP_4)
	v_dual_fmac_f32 v30, v15, v31 :: v_dual_mul_f32 v15, v46, v50
	v_add_f32_e32 v33, v33, v34
	v_add_f32_e32 v13, v41, v42
	v_fmac_f32_e32 v39, v16, v40
	v_fmac_f32_e32 v15, v16, v32
	s_delay_alu instid0(VALU_DEP_2) | instskip(SKIP_1) | instid1(VALU_DEP_1)
	v_add_f32_e32 v35, v37, v39
	v_and_b32_e32 v37, 0xffff0000, v17
	v_dual_mul_f32 v38, v37, v82 :: v_dual_lshlrev_b32 v17, 16, v17
	s_delay_alu instid0(VALU_DEP_1) | instskip(NEXT) | instid1(VALU_DEP_1)
	v_fmac_f32_e32 v38, v17, v25
	v_dual_add_f32 v34, v72, v44 :: v_dual_add_f32 v13, v13, v38
	s_delay_alu instid0(VALU_DEP_1) | instskip(NEXT) | instid1(VALU_DEP_1)
	v_dual_add_f32 v29, v34, v29 :: v_dual_and_b32 v34, 0xffff0000, v18
	v_dual_mul_f32 v25, v34, v95 :: v_dual_lshlrev_b32 v18, 16, v18
	s_delay_alu instid0(VALU_DEP_1) | instskip(NEXT) | instid1(VALU_DEP_3)
	v_fmac_f32_e32 v25, v18, v26
	v_dual_add_f32 v29, v29, v30 :: v_dual_mul_f32 v14, v46, v93
	v_and_b32_e32 v26, 0xffff0000, v19
	v_lshlrev_b32_e32 v19, 16, v19
	s_delay_alu instid0(VALU_DEP_4) | instskip(NEXT) | instid1(VALU_DEP_4)
	v_add_f32_e32 v13, v13, v25
	v_add_f32_e32 v15, v29, v15
	v_and_b32_e32 v29, 0xffff0000, v20
	v_dual_mul_f32 v25, v26, v97 :: v_dual_fmac_f32 v14, v16, v36
	v_mul_f32_e32 v16, v37, v79
	v_dual_add_f32 v79, v45, v47 :: v_dual_lshlrev_b32 v20, 16, v20
	s_delay_alu instid0(VALU_DEP_3) | instskip(SKIP_1) | instid1(VALU_DEP_4)
	v_fmac_f32_e32 v25, v19, v27
	v_mul_f32_e32 v27, v29, v96
	v_dual_fmac_f32 v16, v17, v21 :: v_dual_mul_f32 v21, v34, v99
	s_delay_alu instid0(VALU_DEP_3) | instskip(NEXT) | instid1(VALU_DEP_2)
	v_add_f32_e32 v13, v13, v25
	v_fmac_f32_e32 v21, v18, v22
	v_add_f32_e32 v14, v33, v14
	v_mul_f32_e32 v22, v26, v102
	s_delay_alu instid0(VALU_DEP_1) | instskip(SKIP_1) | instid1(VALU_DEP_2)
	v_dual_fmac_f32 v22, v19, v23 :: v_dual_mul_f32 v23, v37, v106
	v_fmac_f32_e32 v27, v20, v28
	v_dual_add_f32 v16, v35, v16 :: v_dual_fmac_f32 v23, v17, v5
	s_delay_alu instid0(VALU_DEP_1) | instskip(SKIP_1) | instid1(VALU_DEP_4)
	v_dual_mul_f32 v5, v34, v107 :: v_dual_add_f32 v16, v16, v21
	v_mul_f32_e32 v21, v37, v98
	v_add_f32_e32 v75, v13, v27
	s_delay_alu instid0(VALU_DEP_4) | instskip(NEXT) | instid1(VALU_DEP_4)
	v_add_f32_e32 v15, v15, v23
	v_fmac_f32_e32 v5, v18, v6
	s_delay_alu instid0(VALU_DEP_4) | instskip(SKIP_2) | instid1(VALU_DEP_3)
	v_dual_mul_f32 v6, v26, v51 :: v_dual_fmac_f32 v21, v17, v9
	v_dual_mul_f32 v9, v34, v100 :: v_dual_add_f32 v16, v16, v22
	v_mul_f32_e32 v22, v29, v101
	v_fmac_f32_e32 v6, v19, v7
	s_delay_alu instid0(VALU_DEP_4) | instskip(NEXT) | instid1(VALU_DEP_4)
	v_add_f32_e32 v14, v14, v21
	v_fmac_f32_e32 v9, v18, v10
	v_dual_mul_f32 v10, v26, v103 :: v_dual_add_f32 v5, v15, v5
	v_dual_fmac_f32 v22, v20, v24 :: v_dual_mul_f32 v7, v29, v69
	s_delay_alu instid0(VALU_DEP_2) | instskip(SKIP_1) | instid1(VALU_DEP_4)
	v_dual_fmac_f32 v10, v19, v11 :: v_dual_add_f32 v9, v14, v9
	v_mul_f32_e32 v11, v29, v104
	v_add_f32_e32 v5, v5, v6
	s_delay_alu instid0(VALU_DEP_4) | instskip(SKIP_2) | instid1(VALU_DEP_2)
	v_add_f32_e32 v74, v16, v22
	v_fmac_f32_e32 v7, v20, v8
	v_add_f32_e32 v9, v9, v10
	v_dual_fmac_f32 v11, v20, v12 :: v_dual_add_f32 v72, v5, v7
	s_delay_alu instid0(VALU_DEP_1)
	v_add_f32_e32 v73, v9, v11
	s_cbranch_scc1 .LBB201_42
.LBB201_24:                             ;   Parent Loop BB201_19 Depth=1
                                        ; =>  This Inner Loop Header: Depth=2
	s_waitcnt vmcnt(2)
	v_dual_mov_b32 v19, 0 :: v_dual_add_nc_u32 v68, s1, v0
	v_dual_mov_b32 v18, 0 :: v_dual_mov_b32 v17, 0
	v_dual_mov_b32 v48, 0 :: v_dual_mov_b32 v47, 0
	s_delay_alu instid0(VALU_DEP_3) | instskip(SKIP_2) | instid1(VALU_DEP_3)
	v_min_u32_e32 v54, s23, v68
	v_dual_mov_b32 v20, 0 :: v_dual_add_nc_u32 v67, 0x100, v68
	v_dual_mov_b32 v46, 0 :: v_dual_mov_b32 v45, 0
	v_lshlrev_b64 v[5:6], 1, v[54:55]
	s_delay_alu instid0(VALU_DEP_3) | instskip(SKIP_3) | instid1(VALU_DEP_4)
	v_min_u32_e32 v54, s23, v67
	v_dual_mov_b32 v52, 0 :: v_dual_mov_b32 v51, 0
	v_dual_mov_b32 v50, 0 :: v_dual_mov_b32 v49, 0
	s_waitcnt vmcnt(0)
	v_add_co_u32 v13, vcc_lo, s6, v5
	v_add_co_ci_u32_e32 v14, vcc_lo, s7, v6, vcc_lo
	v_lshlrev_b64 v[5:6], 1, v[54:55]
	s_delay_alu instid0(VALU_DEP_3) | instskip(NEXT) | instid1(VALU_DEP_3)
	v_add_co_u32 v7, vcc_lo, v13, v59
	v_add_co_ci_u32_e32 v8, vcc_lo, v14, v60, vcc_lo
	v_add_co_u32 v9, vcc_lo, v13, v61
	v_add_co_ci_u32_e32 v10, vcc_lo, v14, v62, vcc_lo
	v_add_co_u32 v11, vcc_lo, v13, v63
	v_add_co_ci_u32_e32 v12, vcc_lo, v14, v64, vcc_lo
	v_add_co_u32 v15, vcc_lo, s6, v5
	v_add_co_ci_u32_e32 v16, vcc_lo, s7, v6, vcc_lo
	v_add_co_u32 v5, vcc_lo, v13, v65
	v_add_co_ci_u32_e32 v6, vcc_lo, v14, v66, vcc_lo
	s_clause 0x1
	global_load_b128 v[41:44], v[7:8], off slc dlc
	global_load_b128 v[37:40], v[9:10], off slc dlc
	v_add_co_u32 v7, vcc_lo, v15, v59
	v_add_co_ci_u32_e32 v8, vcc_lo, v16, v60, vcc_lo
	v_add_co_u32 v9, vcc_lo, v15, v61
	v_add_co_ci_u32_e32 v10, vcc_lo, v16, v62, vcc_lo
	;; [unrolled: 2-line block ×4, first 2 shown]
	s_clause 0x5
	global_load_b128 v[33:36], v[11:12], off slc dlc
	global_load_b128 v[29:32], v[5:6], off slc dlc
	;; [unrolled: 1-line block ×6, first 2 shown]
	v_dual_mov_b32 v16, 0 :: v_dual_mov_b32 v15, 0
	v_dual_mov_b32 v14, 0 :: v_dual_mov_b32 v13, 0
	s_mov_b32 s2, exec_lo
	v_cmpx_gt_u32_e64 s8, v68
	s_cbranch_execz .LBB201_23
; %bb.25:                               ;   in Loop: Header=BB201_24 Depth=2
	s_mov_b32 s3, exec_lo
                                        ; implicit-def: $vgpr52
	v_cmpx_lt_u32_e32 0x7fff, v68
	s_xor_b32 s3, exec_lo, s3
	s_cbranch_execz .LBB201_27
; %bb.26:                               ;   in Loop: Header=BB201_24 Depth=2
	v_mov_b32_e32 v69, v55
	s_delay_alu instid0(VALU_DEP_1) | instskip(NEXT) | instid1(VALU_DEP_1)
	v_lshlrev_b64 v[13:14], 1, v[68:69]
	v_add_co_u32 v13, vcc_lo, s16, v13
	s_delay_alu instid0(VALU_DEP_2)
	v_add_co_ci_u32_e32 v14, vcc_lo, s17, v14, vcc_lo
	global_load_b128 v[49:52], v[13:14], off
.LBB201_27:                             ;   in Loop: Header=BB201_24 Depth=2
	s_and_not1_saveexec_b32 s3, s3
	s_cbranch_execz .LBB201_29
; %bb.28:                               ;   in Loop: Header=BB201_24 Depth=2
	v_lshlrev_b32_e32 v13, 1, v68
	s_waitcnt vmcnt(0)
	ds_load_b128 v[49:52], v13
.LBB201_29:                             ;   in Loop: Header=BB201_24 Depth=2
	s_or_b32 exec_lo, exec_lo, s3
	v_add_nc_u32_e32 v54, s10, v68
	s_mov_b32 s3, exec_lo
                                        ; implicit-def: $vgpr16
	s_delay_alu instid0(VALU_DEP_1)
	v_cmpx_lt_u32_e32 0x7fff, v54
	s_xor_b32 s3, exec_lo, s3
	s_cbranch_execz .LBB201_31
; %bb.30:                               ;   in Loop: Header=BB201_24 Depth=2
	v_lshlrev_b64 v[13:14], 1, v[54:55]
	s_delay_alu instid0(VALU_DEP_1) | instskip(NEXT) | instid1(VALU_DEP_2)
	v_add_co_u32 v13, vcc_lo, s16, v13
	v_add_co_ci_u32_e32 v14, vcc_lo, s17, v14, vcc_lo
	global_load_b128 v[13:16], v[13:14], off
.LBB201_31:                             ;   in Loop: Header=BB201_24 Depth=2
	s_and_not1_saveexec_b32 s3, s3
	s_cbranch_execz .LBB201_33
; %bb.32:                               ;   in Loop: Header=BB201_24 Depth=2
	s_waitcnt vmcnt(0)
	v_lshlrev_b32_e32 v13, 1, v54
	ds_load_b128 v[13:16], v13
.LBB201_33:                             ;   in Loop: Header=BB201_24 Depth=2
	s_or_b32 exec_lo, exec_lo, s3
	v_dual_mov_b32 v20, 0 :: v_dual_mov_b32 v19, 0
	v_dual_mov_b32 v18, 0 :: v_dual_mov_b32 v17, 0
	;; [unrolled: 1-line block ×4, first 2 shown]
	s_mov_b32 s3, exec_lo
	v_cmpx_gt_u32_e64 s8, v67
	s_cbranch_execz .LBB201_22
; %bb.34:                               ;   in Loop: Header=BB201_24 Depth=2
	s_mov_b32 s4, exec_lo
                                        ; implicit-def: $vgpr48
	v_cmpx_lt_u32_e32 0x7fff, v67
	s_xor_b32 s4, exec_lo, s4
	s_cbranch_execz .LBB201_36
; %bb.35:                               ;   in Loop: Header=BB201_24 Depth=2
	v_mov_b32_e32 v68, v55
	s_delay_alu instid0(VALU_DEP_1) | instskip(NEXT) | instid1(VALU_DEP_1)
	v_lshlrev_b64 v[17:18], 1, v[67:68]
                                        ; implicit-def: $vgpr68
	v_add_co_u32 v17, vcc_lo, s16, v17
	s_delay_alu instid0(VALU_DEP_2)
	v_add_co_ci_u32_e32 v18, vcc_lo, s17, v18, vcc_lo
	global_load_b128 v[45:48], v[17:18], off
.LBB201_36:                             ;   in Loop: Header=BB201_24 Depth=2
	s_and_not1_saveexec_b32 s4, s4
	s_cbranch_execz .LBB201_38
; %bb.37:                               ;   in Loop: Header=BB201_24 Depth=2
	v_lshlrev_b32_e32 v17, 1, v68
	s_waitcnt vmcnt(0)
	ds_load_b128 v[45:48], v17 offset:512
.LBB201_38:                             ;   in Loop: Header=BB201_24 Depth=2
	s_or_b32 exec_lo, exec_lo, s4
	v_add_nc_u32_e32 v17, s10, v67
	s_mov_b32 s4, exec_lo
                                        ; implicit-def: $vgpr20
	s_delay_alu instid0(VALU_DEP_1)
	v_cmpx_lt_u32_e32 0x7fff, v17
	s_xor_b32 s4, exec_lo, s4
	s_cbranch_execz .LBB201_40
; %bb.39:                               ;   in Loop: Header=BB201_24 Depth=2
	v_mov_b32_e32 v18, v55
	s_delay_alu instid0(VALU_DEP_1) | instskip(NEXT) | instid1(VALU_DEP_1)
	v_lshlrev_b64 v[17:18], 1, v[17:18]
	v_add_co_u32 v17, vcc_lo, s16, v17
	s_delay_alu instid0(VALU_DEP_2)
	v_add_co_ci_u32_e32 v18, vcc_lo, s17, v18, vcc_lo
	global_load_b128 v[17:20], v[17:18], off
.LBB201_40:                             ;   in Loop: Header=BB201_24 Depth=2
	s_and_not1_saveexec_b32 s4, s4
	s_cbranch_execz .LBB201_21
; %bb.41:                               ;   in Loop: Header=BB201_24 Depth=2
	s_waitcnt vmcnt(0)
	v_lshlrev_b32_e32 v17, 1, v54
	ds_load_b128 v[17:20], v17 offset:512
	s_branch .LBB201_21
.LBB201_42:                             ;   in Loop: Header=BB201_19 Depth=1
	s_delay_alu instid0(VALU_DEP_1)
	v_cvt_i32_f32_e32 v5, v77
	s_waitcnt lgkmcnt(3)
	v_cvt_i32_f32_e32 v6, v78
	v_cvt_i32_f32_e32 v7, v76
	s_waitcnt lgkmcnt(1)
	v_cvt_i32_f32_e32 v10, v74
	v_cvt_i32_f32_e32 v15, v72
	v_cvt_f32_i32_dpp v5, v5 row_shr:8 row_mask:0xf bank_mask:0xf bound_ctrl:1
	v_cvt_f32_i32_dpp v6, v6 row_shr:8 row_mask:0xf bank_mask:0xf bound_ctrl:1
	;; [unrolled: 1-line block ×3, first 2 shown]
	v_cvt_i32_f32_e32 v9, v75
	v_cvt_f32_i32_dpp v10, v10 row_shr:8 row_mask:0xf bank_mask:0xf bound_ctrl:1
	s_delay_alu instid0(VALU_DEP_4)
	v_dual_add_f32 v5, v77, v5 :: v_dual_add_f32 v6, v78, v6
	s_waitcnt lgkmcnt(0)
	v_cvt_i32_f32_e32 v8, v79
	v_cvt_f32_i32_dpp v9, v9 row_shr:8 row_mask:0xf bank_mask:0xf bound_ctrl:1
	v_cvt_i32_f32_e32 v11, v73
	v_cvt_i32_f32_e32 v12, v5
	s_waitcnt vmcnt(0)
	v_cvt_i32_f32_e32 v13, v6
	v_cvt_f32_i32_dpp v8, v8 row_shr:8 row_mask:0xf bank_mask:0xf bound_ctrl:1
	v_add_f32_e32 v10, v74, v10
	v_cvt_f32_i32_dpp v11, v11 row_shr:8 row_mask:0xf bank_mask:0xf bound_ctrl:1
	v_cvt_f32_i32_dpp v12, v12 row_shr:4 row_mask:0xf bank_mask:0xf bound_ctrl:1
	;; [unrolled: 1-line block ×3, first 2 shown]
	v_dual_add_f32 v7, v76, v7 :: v_dual_add_f32 v8, v79, v8
	s_delay_alu instid0(VALU_DEP_4) | instskip(NEXT) | instid1(VALU_DEP_3)
	v_add_f32_e32 v11, v73, v11
	v_dual_add_f32 v5, v5, v12 :: v_dual_add_f32 v6, v6, v13
	s_delay_alu instid0(VALU_DEP_3) | instskip(SKIP_1) | instid1(VALU_DEP_4)
	v_cvt_i32_f32_e32 v14, v7
	v_cvt_f32_i32_dpp v12, v15 row_shr:8 row_mask:0xf bank_mask:0xf bound_ctrl:1
	v_cvt_i32_f32_e32 v22, v11
	s_delay_alu instid0(VALU_DEP_4) | instskip(SKIP_3) | instid1(VALU_DEP_4)
	v_cvt_i32_f32_e32 v13, v5
	v_cvt_i32_f32_e32 v19, v10
	v_cvt_f32_i32_dpp v14, v14 row_shr:4 row_mask:0xf bank_mask:0xf bound_ctrl:1
	v_add_f32_e32 v12, v72, v12
	v_cvt_f32_i32_dpp v13, v13 row_shr:2 row_mask:0xf bank_mask:0xf bound_ctrl:1
	s_delay_alu instid0(VALU_DEP_3) | instskip(SKIP_1) | instid1(VALU_DEP_4)
	v_add_f32_e32 v7, v7, v14
	v_cvt_i32_f32_e32 v14, v6
	v_cvt_i32_f32_e32 v25, v12
	s_delay_alu instid0(VALU_DEP_3) | instskip(NEXT) | instid1(VALU_DEP_3)
	v_cvt_i32_f32_e32 v15, v7
	v_cvt_f32_i32_dpp v14, v14 row_shr:2 row_mask:0xf bank_mask:0xf bound_ctrl:1
	v_add_f32_e32 v9, v75, v9
	s_delay_alu instid0(VALU_DEP_3) | instskip(NEXT) | instid1(VALU_DEP_3)
	v_cvt_f32_i32_dpp v15, v15 row_shr:2 row_mask:0xf bank_mask:0xf bound_ctrl:1
	v_add_f32_e32 v6, v6, v14
	s_delay_alu instid0(VALU_DEP_3) | instskip(NEXT) | instid1(VALU_DEP_3)
	v_cvt_i32_f32_e32 v18, v9
	v_add_f32_e32 v7, v7, v15
	s_delay_alu instid0(VALU_DEP_3) | instskip(NEXT) | instid1(VALU_DEP_1)
	v_cvt_i32_f32_e32 v15, v6
	v_cvt_f32_i32_dpp v15, v15 row_shr:1 row_mask:0xf bank_mask:0xf bound_ctrl:1
	v_add_f32_e32 v5, v5, v13
	v_cvt_i32_f32_e32 v13, v8
	s_delay_alu instid0(VALU_DEP_3) | instskip(NEXT) | instid1(VALU_DEP_3)
	v_add_f32_e32 v20, v6, v15
	v_cvt_i32_f32_e32 v14, v5
	v_cvt_f32_i32_dpp v6, v18 row_shr:4 row_mask:0xf bank_mask:0xf bound_ctrl:1
	ds_bpermute_b32 v21, v70, v20
	v_cvt_f32_i32_dpp v14, v14 row_shr:1 row_mask:0xf bank_mask:0xf bound_ctrl:1
	v_add_f32_e32 v6, v9, v6
	v_cvt_i32_f32_e32 v16, v7
	s_delay_alu instid0(VALU_DEP_3) | instskip(SKIP_4) | instid1(VALU_DEP_4)
	v_add_f32_e32 v23, v5, v14
	v_cvt_f32_i32_dpp v14, v25 row_shr:4 row_mask:0xf bank_mask:0xf bound_ctrl:1
	v_cvt_f32_i32_dpp v5, v13 row_shr:4 row_mask:0xf bank_mask:0xf bound_ctrl:1
	;; [unrolled: 1-line block ×4, first 2 shown]
	v_add_f32_e32 v9, v12, v14
	s_delay_alu instid0(VALU_DEP_1) | instskip(NEXT) | instid1(VALU_DEP_1)
	v_cvt_i32_f32_e32 v14, v9
	v_cvt_f32_i32_dpp v14, v14 row_shr:2 row_mask:0xf bank_mask:0xf bound_ctrl:1
	v_add_f32_e32 v5, v8, v5
	v_add_f32_e32 v8, v11, v13
	v_cvt_i32_f32_e32 v11, v6
	ds_bpermute_b32 v24, v70, v23
	v_cvt_i32_f32_e32 v13, v8
	v_cvt_f32_i32_dpp v11, v11 row_shr:2 row_mask:0xf bank_mask:0xf bound_ctrl:1
	v_add_f32_e32 v17, v7, v16
	v_cvt_f32_i32_dpp v7, v19 row_shr:4 row_mask:0xf bank_mask:0xf bound_ctrl:1
	s_delay_alu instid0(VALU_DEP_4) | instskip(NEXT) | instid1(VALU_DEP_4)
	v_cvt_f32_i32_dpp v13, v13 row_shr:2 row_mask:0xf bank_mask:0xf bound_ctrl:1
	v_add_f32_e32 v6, v6, v11
	ds_bpermute_b32 v18, v70, v17
	v_add_f32_e32 v7, v10, v7
	v_cvt_i32_f32_e32 v10, v5
	v_add_f32_e32 v8, v8, v13
	v_cvt_i32_f32_e32 v11, v6
	s_delay_alu instid0(VALU_DEP_4) | instskip(NEXT) | instid1(VALU_DEP_4)
	v_cvt_i32_f32_e32 v12, v7
	v_cvt_f32_i32_dpp v10, v10 row_shr:2 row_mask:0xf bank_mask:0xf bound_ctrl:1
	s_delay_alu instid0(VALU_DEP_4) | instskip(NEXT) | instid1(VALU_DEP_4)
	v_cvt_i32_f32_e32 v13, v8
	v_cvt_f32_i32_dpp v11, v11 row_shr:1 row_mask:0xf bank_mask:0xf bound_ctrl:1
	s_delay_alu instid0(VALU_DEP_4) | instskip(NEXT) | instid1(VALU_DEP_4)
	v_cvt_f32_i32_dpp v12, v12 row_shr:2 row_mask:0xf bank_mask:0xf bound_ctrl:1
	v_add_f32_e32 v5, v5, v10
	v_add_f32_e32 v10, v9, v14
	v_cvt_f32_i32_dpp v13, v13 row_shr:1 row_mask:0xf bank_mask:0xf bound_ctrl:1
	v_add_f32_e32 v11, v6, v11
	s_delay_alu instid0(VALU_DEP_4) | instskip(NEXT) | instid1(VALU_DEP_4)
	v_cvt_i32_f32_e32 v9, v5
	v_cvt_i32_f32_e32 v14, v10
	s_delay_alu instid0(VALU_DEP_2) | instskip(SKIP_1) | instid1(VALU_DEP_3)
	v_cvt_f32_i32_dpp v9, v9 row_shr:1 row_mask:0xf bank_mask:0xf bound_ctrl:1
	v_add_f32_e32 v7, v7, v12
	v_cvt_f32_i32_dpp v15, v14 row_shr:1 row_mask:0xf bank_mask:0xf bound_ctrl:1
	s_delay_alu instid0(VALU_DEP_3) | instskip(NEXT) | instid1(VALU_DEP_3)
	v_add_f32_e32 v14, v5, v9
	v_cvt_i32_f32_e32 v12, v7
	s_delay_alu instid0(VALU_DEP_3)
	v_add_f32_e32 v5, v10, v15
	ds_bpermute_b32 v15, v70, v14
	v_cvt_f32_i32_dpp v12, v12 row_shr:1 row_mask:0xf bank_mask:0xf bound_ctrl:1
	ds_bpermute_b32 v6, v70, v5
	v_add_f32_e32 v9, v7, v12
	v_add_f32_e32 v7, v8, v13
	ds_bpermute_b32 v12, v70, v11
	ds_bpermute_b32 v10, v70, v9
	;; [unrolled: 1-line block ×3, first 2 shown]
	s_and_saveexec_b32 s5, s0
	s_cbranch_execz .LBB201_93
; %bb.43:                               ;   in Loop: Header=BB201_19 Depth=1
	v_dual_mov_b32 v28, 0 :: v_dual_mov_b32 v27, 0
	v_dual_mov_b32 v26, 0 :: v_dual_mov_b32 v25, 0
	;; [unrolled: 1-line block ×4, first 2 shown]
	s_and_not1_b32 vcc_lo, exec_lo, s25
	s_cbranch_vccnz .LBB201_45
; %bb.44:                               ;   in Loop: Header=BB201_19 Depth=1
	v_mul_hi_u32 v13, v53, v71
	v_mul_hi_u32 v16, v58, v71
	;; [unrolled: 1-line block ×4, first 2 shown]
	s_delay_alu instid0(VALU_DEP_4) | instskip(NEXT) | instid1(VALU_DEP_4)
	v_mul_lo_u32 v13, v13, s18
	v_mul_lo_u32 v16, v16, s18
	s_delay_alu instid0(VALU_DEP_4) | instskip(NEXT) | instid1(VALU_DEP_4)
	v_mul_lo_u32 v19, v19, s18
	v_mul_lo_u32 v22, v22, s18
	s_delay_alu instid0(VALU_DEP_4) | instskip(NEXT) | instid1(VALU_DEP_4)
	v_sub_nc_u32_e32 v13, v53, v13
	v_sub_nc_u32_e32 v16, v58, v16
	s_delay_alu instid0(VALU_DEP_4) | instskip(NEXT) | instid1(VALU_DEP_4)
	v_sub_nc_u32_e32 v19, v57, v19
	v_sub_nc_u32_e32 v22, v56, v22
	s_delay_alu instid0(VALU_DEP_4)
	v_subrev_nc_u32_e32 v25, s18, v13
	v_cmp_le_u32_e32 vcc_lo, s18, v13
	v_mov_b32_e32 v26, v55
	v_subrev_nc_u32_e32 v27, s18, v16
	v_subrev_nc_u32_e32 v29, s18, v19
	;; [unrolled: 1-line block ×3, first 2 shown]
	v_cndmask_b32_e32 v13, v13, v25, vcc_lo
	v_cmp_le_u32_e32 vcc_lo, s18, v16
	s_delay_alu instid0(VALU_DEP_2) | instskip(SKIP_4) | instid1(VALU_DEP_4)
	v_subrev_nc_u32_e32 v25, s18, v13
	v_cndmask_b32_e32 v16, v16, v27, vcc_lo
	v_cmp_le_u32_e32 vcc_lo, s18, v19
	v_cndmask_b32_e32 v19, v19, v29, vcc_lo
	v_cmp_le_u32_e32 vcc_lo, s18, v22
	v_subrev_nc_u32_e32 v27, s18, v16
	s_delay_alu instid0(VALU_DEP_3)
	v_subrev_nc_u32_e32 v29, s18, v19
	v_cndmask_b32_e32 v22, v22, v30, vcc_lo
	v_cmp_le_u32_e32 vcc_lo, s18, v13
	v_cndmask_b32_e32 v54, v13, v25, vcc_lo
	v_cmp_le_u32_e32 vcc_lo, s18, v16
	v_mov_b32_e32 v28, v55
	s_delay_alu instid0(VALU_DEP_3)
	v_lshlrev_b64 v[31:32], 1, v[54:55]
	v_cndmask_b32_e32 v25, v16, v27, vcc_lo
	v_cmp_le_u32_e32 vcc_lo, s18, v19
	v_dual_cndmask_b32 v27, v19, v29 :: v_dual_add_nc_u32 v54, s26, v54
	v_subrev_nc_u32_e32 v33, s18, v22
	v_cmp_le_u32_e32 vcc_lo, s18, v22
	v_mov_b32_e32 v30, v55
	s_delay_alu instid0(VALU_DEP_4)
	v_lshlrev_b64 v[39:40], 1, v[54:55]
	v_lshlrev_b64 v[35:36], 1, v[27:28]
	v_add_nc_u32_e32 v54, s26, v25
	v_cndmask_b32_e32 v29, v22, v33, vcc_lo
	v_lshlrev_b64 v[33:34], 1, v[25:26]
	v_add_co_u32 v31, vcc_lo, s12, v31
	v_add_co_ci_u32_e32 v32, vcc_lo, s13, v32, vcc_lo
	s_delay_alu instid0(VALU_DEP_4) | instskip(NEXT) | instid1(VALU_DEP_4)
	v_lshlrev_b64 v[37:38], 1, v[29:30]
	v_add_co_u32 v33, vcc_lo, s12, v33
	v_add_co_ci_u32_e32 v34, vcc_lo, s13, v34, vcc_lo
	v_add_co_u32 v35, vcc_lo, s12, v35
	v_lshlrev_b64 v[25:26], 1, v[54:55]
	v_add_nc_u32_e32 v54, s26, v27
	v_add_co_ci_u32_e32 v36, vcc_lo, s13, v36, vcc_lo
	v_add_co_u32 v37, vcc_lo, s12, v37
	v_add_co_ci_u32_e32 v38, vcc_lo, s13, v38, vcc_lo
	v_add_co_u32 v39, vcc_lo, s12, v39
	v_lshlrev_b64 v[27:28], 1, v[54:55]
	v_add_nc_u32_e32 v54, s26, v29
	v_add_co_ci_u32_e32 v40, vcc_lo, s13, v40, vcc_lo
	v_add_co_u32 v29, vcc_lo, s12, v25
	v_add_co_ci_u32_e32 v30, vcc_lo, s13, v26, vcc_lo
	s_delay_alu instid0(VALU_DEP_4) | instskip(SKIP_2) | instid1(VALU_DEP_3)
	v_lshlrev_b64 v[25:26], 1, v[54:55]
	v_add_co_u32 v41, vcc_lo, s12, v27
	v_add_co_ci_u32_e32 v42, vcc_lo, s13, v28, vcc_lo
	v_add_co_u32 v43, vcc_lo, s12, v25
	s_delay_alu instid0(VALU_DEP_4)
	v_add_co_ci_u32_e32 v44, vcc_lo, s13, v26, vcc_lo
	s_clause 0x7
	global_load_u16 v28, v[31:32], off
	global_load_u16 v27, v[33:34], off
	;; [unrolled: 1-line block ×8, first 2 shown]
.LBB201_45:                             ;   in Loop: Header=BB201_19 Depth=1
	v_cmp_ne_u32_e32 vcc_lo, 0, v1
	s_and_saveexec_b32 s2, vcc_lo
	s_cbranch_execnz .LBB201_53
; %bb.46:                               ;   in Loop: Header=BB201_19 Depth=1
	s_or_b32 exec_lo, exec_lo, s2
	v_cmp_ne_u32_e64 s1, 0, v2
	s_delay_alu instid0(VALU_DEP_1)
	s_and_saveexec_b32 s3, s1
	s_cbranch_execnz .LBB201_58
.LBB201_47:                             ;   in Loop: Header=BB201_19 Depth=1
	s_or_b32 exec_lo, exec_lo, s3
	v_cmp_ne_u32_e64 s2, 0, v3
	s_delay_alu instid0(VALU_DEP_1)
	s_and_saveexec_b32 s4, s2
	s_cbranch_execnz .LBB201_63
.LBB201_48:                             ;   in Loop: Header=BB201_19 Depth=1
	s_or_b32 exec_lo, exec_lo, s4
	v_cmp_ne_u32_e64 s3, 0, v4
	s_delay_alu instid0(VALU_DEP_1)
	s_and_saveexec_b32 s27, s3
	s_cbranch_execnz .LBB201_68
.LBB201_49:                             ;   in Loop: Header=BB201_19 Depth=1
	s_or_b32 exec_lo, exec_lo, s27
	v_add_nc_u32_e32 v54, s11, v53
	s_and_saveexec_b32 s4, vcc_lo
	s_cbranch_execnz .LBB201_73
.LBB201_50:                             ;   in Loop: Header=BB201_19 Depth=1
	s_or_b32 exec_lo, exec_lo, s4
	s_and_saveexec_b32 s4, s1
	s_cbranch_execnz .LBB201_78
.LBB201_51:                             ;   in Loop: Header=BB201_19 Depth=1
	s_or_b32 exec_lo, exec_lo, s4
	s_and_saveexec_b32 s1, s2
	s_cbranch_execnz .LBB201_83
.LBB201_52:                             ;   in Loop: Header=BB201_19 Depth=1
	s_or_b32 exec_lo, exec_lo, s1
	s_delay_alu instid0(SALU_CYCLE_1)
	s_and_b32 exec_lo, exec_lo, s3
	s_cbranch_execnz .LBB201_88
	s_branch .LBB201_93
.LBB201_53:                             ;   in Loop: Header=BB201_19 Depth=1
	s_waitcnt lgkmcnt(6)
	v_add_f32_e32 v23, v23, v24
	s_waitcnt vmcnt(7)
	v_lshlrev_b32_e32 v24, 16, v28
	s_delay_alu instid0(VALU_DEP_1) | instskip(NEXT) | instid1(VALU_DEP_1)
	v_add_f32_e32 v24, v23, v24
	v_and_b32_e32 v23, 0x7f800000, v24
	s_delay_alu instid0(VALU_DEP_1) | instskip(NEXT) | instid1(VALU_DEP_1)
	v_cmp_ne_u32_e64 s1, 0x7f800000, v23
                                        ; implicit-def: $vgpr23
	s_and_saveexec_b32 s3, s1
	s_delay_alu instid0(SALU_CYCLE_1)
	s_xor_b32 s1, exec_lo, s3
; %bb.54:                               ;   in Loop: Header=BB201_19 Depth=1
	v_bfe_u32 v23, v24, 16, 1
	s_delay_alu instid0(VALU_DEP_1)
	v_add3_u32 v23, v24, v23, 0x7fff
                                        ; implicit-def: $vgpr24
; %bb.55:                               ;   in Loop: Header=BB201_19 Depth=1
	s_and_not1_saveexec_b32 s3, s1
; %bb.56:                               ;   in Loop: Header=BB201_19 Depth=1
	v_and_b32_e32 v23, 0xffff, v24
	v_or_b32_e32 v28, 0x10000, v24
	s_delay_alu instid0(VALU_DEP_2) | instskip(NEXT) | instid1(VALU_DEP_1)
	v_cmp_eq_u32_e64 s1, 0, v23
	v_cndmask_b32_e64 v23, v28, v24, s1
; %bb.57:                               ;   in Loop: Header=BB201_19 Depth=1
	s_or_b32 exec_lo, exec_lo, s3
	v_mov_b32_e32 v54, v55
	s_delay_alu instid0(VALU_DEP_1) | instskip(NEXT) | instid1(VALU_DEP_1)
	v_lshlrev_b64 v[28:29], 1, v[53:54]
	v_add_co_u32 v28, s1, s14, v28
	s_delay_alu instid0(VALU_DEP_1) | instskip(SKIP_3) | instid1(VALU_DEP_1)
	v_add_co_ci_u32_e64 v29, s1, s15, v29, s1
	global_store_d16_hi_b16 v[28:29], v23, off
	s_or_b32 exec_lo, exec_lo, s2
	v_cmp_ne_u32_e64 s1, 0, v2
	s_and_saveexec_b32 s3, s1
	s_cbranch_execz .LBB201_47
.LBB201_58:                             ;   in Loop: Header=BB201_19 Depth=1
	s_waitcnt vmcnt(6) lgkmcnt(7)
	v_dual_add_f32 v20, v20, v21 :: v_dual_lshlrev_b32 v21, 16, v27
	s_delay_alu instid0(VALU_DEP_1) | instskip(NEXT) | instid1(VALU_DEP_1)
	v_add_f32_e32 v21, v20, v21
	v_and_b32_e32 v20, 0x7f800000, v21
	s_delay_alu instid0(VALU_DEP_1) | instskip(NEXT) | instid1(VALU_DEP_1)
	v_cmp_ne_u32_e64 s2, 0x7f800000, v20
                                        ; implicit-def: $vgpr20
	s_and_saveexec_b32 s4, s2
	s_delay_alu instid0(SALU_CYCLE_1)
	s_xor_b32 s2, exec_lo, s4
; %bb.59:                               ;   in Loop: Header=BB201_19 Depth=1
	v_bfe_u32 v20, v21, 16, 1
	s_delay_alu instid0(VALU_DEP_1)
	v_add3_u32 v20, v21, v20, 0x7fff
                                        ; implicit-def: $vgpr21
; %bb.60:                               ;   in Loop: Header=BB201_19 Depth=1
	s_and_not1_saveexec_b32 s4, s2
; %bb.61:                               ;   in Loop: Header=BB201_19 Depth=1
	v_and_b32_e32 v20, 0xffff, v21
	v_or_b32_e32 v23, 0x10000, v21
	s_delay_alu instid0(VALU_DEP_2) | instskip(NEXT) | instid1(VALU_DEP_1)
	v_cmp_eq_u32_e64 s2, 0, v20
	v_cndmask_b32_e64 v20, v23, v21, s2
; %bb.62:                               ;   in Loop: Header=BB201_19 Depth=1
	s_or_b32 exec_lo, exec_lo, s4
	v_mov_b32_e32 v59, v55
	s_waitcnt lgkmcnt(6)
	s_delay_alu instid0(VALU_DEP_1) | instskip(NEXT) | instid1(VALU_DEP_1)
	v_lshlrev_b64 v[23:24], 1, v[58:59]
	v_add_co_u32 v23, s2, s14, v23
	s_delay_alu instid0(VALU_DEP_1) | instskip(SKIP_3) | instid1(VALU_DEP_1)
	v_add_co_ci_u32_e64 v24, s2, s15, v24, s2
	global_store_d16_hi_b16 v[23:24], v20, off
	s_or_b32 exec_lo, exec_lo, s3
	v_cmp_ne_u32_e64 s2, 0, v3
	s_and_saveexec_b32 s4, s2
	s_cbranch_execz .LBB201_48
.LBB201_63:                             ;   in Loop: Header=BB201_19 Depth=1
	s_waitcnt lgkmcnt(5)
	v_add_f32_e32 v17, v17, v18
	s_waitcnt vmcnt(5)
	v_lshlrev_b32_e32 v18, 16, v26
	s_delay_alu instid0(VALU_DEP_1) | instskip(NEXT) | instid1(VALU_DEP_1)
	v_add_f32_e32 v18, v17, v18
	v_and_b32_e32 v17, 0x7f800000, v18
	s_delay_alu instid0(VALU_DEP_1) | instskip(NEXT) | instid1(VALU_DEP_1)
	v_cmp_ne_u32_e64 s3, 0x7f800000, v17
                                        ; implicit-def: $vgpr17
	s_and_saveexec_b32 s27, s3
	s_delay_alu instid0(SALU_CYCLE_1)
	s_xor_b32 s3, exec_lo, s27
; %bb.64:                               ;   in Loop: Header=BB201_19 Depth=1
	v_bfe_u32 v17, v18, 16, 1
	s_delay_alu instid0(VALU_DEP_1)
	v_add3_u32 v17, v18, v17, 0x7fff
                                        ; implicit-def: $vgpr18
; %bb.65:                               ;   in Loop: Header=BB201_19 Depth=1
	s_and_not1_saveexec_b32 s27, s3
; %bb.66:                               ;   in Loop: Header=BB201_19 Depth=1
	v_and_b32_e32 v17, 0xffff, v18
	v_or_b32_e32 v20, 0x10000, v18
	s_delay_alu instid0(VALU_DEP_2) | instskip(NEXT) | instid1(VALU_DEP_1)
	v_cmp_eq_u32_e64 s3, 0, v17
	v_cndmask_b32_e64 v17, v20, v18, s3
; %bb.67:                               ;   in Loop: Header=BB201_19 Depth=1
	s_or_b32 exec_lo, exec_lo, s27
	v_mov_b32_e32 v58, v55
	s_delay_alu instid0(VALU_DEP_1) | instskip(NEXT) | instid1(VALU_DEP_1)
	v_lshlrev_b64 v[20:21], 1, v[57:58]
	v_add_co_u32 v20, s3, s14, v20
	s_delay_alu instid0(VALU_DEP_1) | instskip(SKIP_3) | instid1(VALU_DEP_1)
	v_add_co_ci_u32_e64 v21, s3, s15, v21, s3
	global_store_d16_hi_b16 v[20:21], v17, off
	s_or_b32 exec_lo, exec_lo, s4
	v_cmp_ne_u32_e64 s3, 0, v4
	s_and_saveexec_b32 s27, s3
	s_cbranch_execz .LBB201_49
.LBB201_68:                             ;   in Loop: Header=BB201_19 Depth=1
	s_waitcnt vmcnt(4) lgkmcnt(4)
	v_dual_add_f32 v14, v14, v15 :: v_dual_lshlrev_b32 v15, 16, v25
	s_delay_alu instid0(VALU_DEP_1) | instskip(NEXT) | instid1(VALU_DEP_1)
	v_add_f32_e32 v15, v14, v15
	v_and_b32_e32 v14, 0x7f800000, v15
	s_delay_alu instid0(VALU_DEP_1) | instskip(NEXT) | instid1(VALU_DEP_1)
	v_cmp_ne_u32_e64 s4, 0x7f800000, v14
                                        ; implicit-def: $vgpr14
	s_and_saveexec_b32 s28, s4
	s_delay_alu instid0(SALU_CYCLE_1)
	s_xor_b32 s4, exec_lo, s28
; %bb.69:                               ;   in Loop: Header=BB201_19 Depth=1
	v_bfe_u32 v14, v15, 16, 1
	s_delay_alu instid0(VALU_DEP_1)
	v_add3_u32 v14, v15, v14, 0x7fff
                                        ; implicit-def: $vgpr15
; %bb.70:                               ;   in Loop: Header=BB201_19 Depth=1
	s_and_not1_saveexec_b32 s28, s4
; %bb.71:                               ;   in Loop: Header=BB201_19 Depth=1
	v_and_b32_e32 v14, 0xffff, v15
	v_or_b32_e32 v17, 0x10000, v15
	s_delay_alu instid0(VALU_DEP_2) | instskip(NEXT) | instid1(VALU_DEP_1)
	v_cmp_eq_u32_e64 s4, 0, v14
	v_cndmask_b32_e64 v14, v17, v15, s4
; %bb.72:                               ;   in Loop: Header=BB201_19 Depth=1
	s_or_b32 exec_lo, exec_lo, s28
	v_mov_b32_e32 v57, v55
	s_delay_alu instid0(VALU_DEP_1) | instskip(NEXT) | instid1(VALU_DEP_1)
	v_lshlrev_b64 v[17:18], 1, v[56:57]
	v_add_co_u32 v17, s4, s14, v17
	s_delay_alu instid0(VALU_DEP_1)
	v_add_co_ci_u32_e64 v18, s4, s15, v18, s4
	global_store_d16_hi_b16 v[17:18], v14, off
	s_or_b32 exec_lo, exec_lo, s27
	v_add_nc_u32_e32 v54, s11, v53
	s_and_saveexec_b32 s4, vcc_lo
	s_cbranch_execz .LBB201_50
.LBB201_73:                             ;   in Loop: Header=BB201_19 Depth=1
	s_waitcnt vmcnt(3) lgkmcnt(2)
	v_dual_add_f32 v11, v11, v12 :: v_dual_lshlrev_b32 v12, 16, v22
	s_delay_alu instid0(VALU_DEP_1) | instskip(NEXT) | instid1(VALU_DEP_1)
	v_add_f32_e32 v12, v11, v12
	v_and_b32_e32 v11, 0x7f800000, v12
	s_delay_alu instid0(VALU_DEP_1) | instskip(SKIP_1) | instid1(SALU_CYCLE_1)
	v_cmp_ne_u32_e32 vcc_lo, 0x7f800000, v11
                                        ; implicit-def: $vgpr11
	s_and_saveexec_b32 s27, vcc_lo
	s_xor_b32 s27, exec_lo, s27
; %bb.74:                               ;   in Loop: Header=BB201_19 Depth=1
	v_bfe_u32 v11, v12, 16, 1
	s_delay_alu instid0(VALU_DEP_1)
	v_add3_u32 v11, v12, v11, 0x7fff
                                        ; implicit-def: $vgpr12
; %bb.75:                               ;   in Loop: Header=BB201_19 Depth=1
	s_and_not1_saveexec_b32 s27, s27
; %bb.76:                               ;   in Loop: Header=BB201_19 Depth=1
	v_and_b32_e32 v11, 0xffff, v12
	v_or_b32_e32 v14, 0x10000, v12
	s_delay_alu instid0(VALU_DEP_2) | instskip(NEXT) | instid1(VALU_DEP_2)
	v_cmp_eq_u32_e32 vcc_lo, 0, v11
	v_cndmask_b32_e32 v11, v14, v12, vcc_lo
; %bb.77:                               ;   in Loop: Header=BB201_19 Depth=1
	s_or_b32 exec_lo, exec_lo, s27
	v_lshlrev_b64 v[14:15], 1, v[54:55]
	s_delay_alu instid0(VALU_DEP_1) | instskip(NEXT) | instid1(VALU_DEP_2)
	v_add_co_u32 v14, vcc_lo, s14, v14
	v_add_co_ci_u32_e32 v15, vcc_lo, s15, v15, vcc_lo
	global_store_d16_hi_b16 v[14:15], v11, off
	s_or_b32 exec_lo, exec_lo, s4
	s_and_saveexec_b32 s4, s1
	s_cbranch_execz .LBB201_51
.LBB201_78:                             ;   in Loop: Header=BB201_19 Depth=1
	s_waitcnt vmcnt(2) lgkmcnt(1)
	v_dual_add_f32 v9, v9, v10 :: v_dual_lshlrev_b32 v10, 16, v19
	s_delay_alu instid0(VALU_DEP_1) | instskip(NEXT) | instid1(VALU_DEP_1)
	v_add_f32_e32 v10, v9, v10
	v_and_b32_e32 v9, 0x7f800000, v10
	s_delay_alu instid0(VALU_DEP_1) | instskip(SKIP_1) | instid1(SALU_CYCLE_1)
	v_cmp_ne_u32_e32 vcc_lo, 0x7f800000, v9
                                        ; implicit-def: $vgpr9
	s_and_saveexec_b32 s1, vcc_lo
	s_xor_b32 s1, exec_lo, s1
; %bb.79:                               ;   in Loop: Header=BB201_19 Depth=1
	v_bfe_u32 v9, v10, 16, 1
	s_delay_alu instid0(VALU_DEP_1)
	v_add3_u32 v9, v10, v9, 0x7fff
                                        ; implicit-def: $vgpr10
; %bb.80:                               ;   in Loop: Header=BB201_19 Depth=1
	s_and_not1_saveexec_b32 s1, s1
; %bb.81:                               ;   in Loop: Header=BB201_19 Depth=1
	v_and_b32_e32 v9, 0xffff, v10
	v_or_b32_e32 v11, 0x10000, v10
	s_delay_alu instid0(VALU_DEP_2) | instskip(NEXT) | instid1(VALU_DEP_2)
	v_cmp_eq_u32_e32 vcc_lo, 0, v9
	v_cndmask_b32_e32 v9, v11, v10, vcc_lo
; %bb.82:                               ;   in Loop: Header=BB201_19 Depth=1
	s_or_b32 exec_lo, exec_lo, s1
	v_dual_mov_b32 v11, v55 :: v_dual_add_nc_u32 v10, 1, v54
	s_delay_alu instid0(VALU_DEP_1) | instskip(NEXT) | instid1(VALU_DEP_1)
	v_lshlrev_b64 v[10:11], 1, v[10:11]
	v_add_co_u32 v10, vcc_lo, s14, v10
	s_delay_alu instid0(VALU_DEP_2)
	v_add_co_ci_u32_e32 v11, vcc_lo, s15, v11, vcc_lo
	global_store_d16_hi_b16 v[10:11], v9, off
	s_or_b32 exec_lo, exec_lo, s4
	s_and_saveexec_b32 s1, s2
	s_cbranch_execz .LBB201_52
.LBB201_83:                             ;   in Loop: Header=BB201_19 Depth=1
	s_waitcnt lgkmcnt(0)
	v_add_f32_e32 v7, v7, v8
	s_waitcnt vmcnt(1)
	v_lshlrev_b32_e32 v8, 16, v16
	s_delay_alu instid0(VALU_DEP_1) | instskip(NEXT) | instid1(VALU_DEP_1)
	v_add_f32_e32 v8, v7, v8
	v_and_b32_e32 v7, 0x7f800000, v8
	s_delay_alu instid0(VALU_DEP_1) | instskip(SKIP_1) | instid1(SALU_CYCLE_1)
	v_cmp_ne_u32_e32 vcc_lo, 0x7f800000, v7
                                        ; implicit-def: $vgpr7
	s_and_saveexec_b32 s2, vcc_lo
	s_xor_b32 s2, exec_lo, s2
; %bb.84:                               ;   in Loop: Header=BB201_19 Depth=1
	v_bfe_u32 v7, v8, 16, 1
	s_delay_alu instid0(VALU_DEP_1)
	v_add3_u32 v7, v8, v7, 0x7fff
                                        ; implicit-def: $vgpr8
; %bb.85:                               ;   in Loop: Header=BB201_19 Depth=1
	s_and_not1_saveexec_b32 s2, s2
; %bb.86:                               ;   in Loop: Header=BB201_19 Depth=1
	v_and_b32_e32 v7, 0xffff, v8
	v_or_b32_e32 v9, 0x10000, v8
	s_delay_alu instid0(VALU_DEP_2) | instskip(NEXT) | instid1(VALU_DEP_2)
	v_cmp_eq_u32_e32 vcc_lo, 0, v7
	v_cndmask_b32_e32 v7, v9, v8, vcc_lo
; %bb.87:                               ;   in Loop: Header=BB201_19 Depth=1
	s_or_b32 exec_lo, exec_lo, s2
	v_dual_mov_b32 v9, v55 :: v_dual_add_nc_u32 v8, 2, v54
	s_delay_alu instid0(VALU_DEP_1) | instskip(NEXT) | instid1(VALU_DEP_1)
	v_lshlrev_b64 v[8:9], 1, v[8:9]
	v_add_co_u32 v8, vcc_lo, s14, v8
	s_delay_alu instid0(VALU_DEP_2) | instskip(SKIP_2) | instid1(SALU_CYCLE_1)
	v_add_co_ci_u32_e32 v9, vcc_lo, s15, v9, vcc_lo
	global_store_d16_hi_b16 v[8:9], v7, off
	s_or_b32 exec_lo, exec_lo, s1
	s_and_b32 exec_lo, exec_lo, s3
	s_cbranch_execz .LBB201_93
.LBB201_88:                             ;   in Loop: Header=BB201_19 Depth=1
	s_waitcnt vmcnt(0) lgkmcnt(3)
	v_dual_add_f32 v5, v5, v6 :: v_dual_lshlrev_b32 v6, 16, v13
	s_delay_alu instid0(VALU_DEP_1) | instskip(NEXT) | instid1(VALU_DEP_1)
	v_add_f32_e32 v6, v5, v6
	v_and_b32_e32 v5, 0x7f800000, v6
	s_delay_alu instid0(VALU_DEP_1) | instskip(SKIP_1) | instid1(SALU_CYCLE_1)
	v_cmp_ne_u32_e32 vcc_lo, 0x7f800000, v5
                                        ; implicit-def: $vgpr5
	s_and_saveexec_b32 s1, vcc_lo
	s_xor_b32 s1, exec_lo, s1
; %bb.89:                               ;   in Loop: Header=BB201_19 Depth=1
	v_bfe_u32 v5, v6, 16, 1
	s_delay_alu instid0(VALU_DEP_1)
	v_add3_u32 v5, v6, v5, 0x7fff
                                        ; implicit-def: $vgpr6
; %bb.90:                               ;   in Loop: Header=BB201_19 Depth=1
	s_and_not1_saveexec_b32 s1, s1
; %bb.91:                               ;   in Loop: Header=BB201_19 Depth=1
	v_and_b32_e32 v5, 0xffff, v6
	v_or_b32_e32 v7, 0x10000, v6
	s_delay_alu instid0(VALU_DEP_2) | instskip(NEXT) | instid1(VALU_DEP_2)
	v_cmp_eq_u32_e32 vcc_lo, 0, v5
	v_cndmask_b32_e32 v5, v7, v6, vcc_lo
; %bb.92:                               ;   in Loop: Header=BB201_19 Depth=1
	s_or_b32 exec_lo, exec_lo, s1
	v_add_nc_u32_e32 v54, 3, v54
	s_delay_alu instid0(VALU_DEP_1) | instskip(NEXT) | instid1(VALU_DEP_1)
	v_lshlrev_b64 v[6:7], 1, v[54:55]
	v_add_co_u32 v6, vcc_lo, s14, v6
	s_delay_alu instid0(VALU_DEP_2)
	v_add_co_ci_u32_e32 v7, vcc_lo, s15, v7, vcc_lo
	global_store_d16_hi_b16 v[6:7], v5, off
.LBB201_93:                             ;   in Loop: Header=BB201_19 Depth=1
	s_or_b32 exec_lo, exec_lo, s5
	v_add_nc_u32_e32 v53, s20, v53
	s_delay_alu instid0(VALU_DEP_1) | instskip(SKIP_1) | instid1(VALU_DEP_2)
	v_add_nc_u32_e32 v5, 4, v53
	v_cmp_gt_u32_e32 vcc_lo, s11, v53
	v_cmp_le_u32_e64 s1, s11, v5
	s_delay_alu instid0(VALU_DEP_1) | instskip(NEXT) | instid1(SALU_CYCLE_1)
	s_and_b32 s1, vcc_lo, s1
	s_and_saveexec_b32 s27, s1
	s_cbranch_execz .LBB201_18
; %bb.94:                               ;   in Loop: Header=BB201_19 Depth=1
	s_mov_b32 s28, exec_lo
	v_cmpx_ne_u32_e64 s21, v53
	s_cbranch_execz .LBB201_17
; %bb.95:                               ;   in Loop: Header=BB201_19 Depth=1
	v_subrev_nc_u32_e32 v5, s21, v53
	s_mov_b32 s29, 0
	s_mov_b64 s[4:5], 0
	s_delay_alu instid0(VALU_DEP_1)
	v_cmp_lt_u32_e32 vcc_lo, 1, v5
	v_cndmask_b32_e32 v5, 1, v5, vcc_lo
	.p2align	6
.LBB201_96:                             ;   Parent Loop BB201_19 Depth=1
                                        ; =>  This Inner Loop Header: Depth=2
	s_cmp_lg_u32 s4, 3
	s_cselect_b32 vcc_lo, -1, 0
	s_cmp_lg_u32 s4, 2
	v_cndmask_b32_e32 v4, 0, v4, vcc_lo
	s_cselect_b32 s1, -1, 0
	s_cmp_lg_u32 s4, 1
	v_cndmask_b32_e64 v3, 0, v3, s1
	s_cselect_b32 s2, -1, 0
	s_cmp_lg_u32 s4, 0
	v_cndmask_b32_e64 v2, 0, v2, s2
	s_cselect_b32 s3, -1, 0
	s_add_u32 s4, s4, 1
	v_cndmask_b32_e64 v1, 0, v1, s3
	v_cmp_eq_u32_e32 vcc_lo, s4, v5
	s_addc_u32 s5, s5, 0
	s_or_b32 s29, vcc_lo, s29
	s_delay_alu instid0(SALU_CYCLE_1)
	s_and_not1_b32 exec_lo, exec_lo, s29
	s_cbranch_execnz .LBB201_96
; %bb.97:                               ;   in Loop: Header=BB201_19 Depth=1
	s_or_b32 exec_lo, exec_lo, s29
	s_branch .LBB201_17
.LBB201_98:
	s_nop 0
	s_sendmsg sendmsg(MSG_DEALLOC_VGPRS)
	s_endpgm
	.section	.rodata,"a",@progbits
	.p2align	6, 0x0
	.amdhsa_kernel _Z12wvSplitK_hf_I14__hip_bfloat16Li32ELi4ELi16ELi8ELi2ELi2EEviiiiiiPKT_S3_S3_PS1_ii
		.amdhsa_group_segment_fixed_size 65536
		.amdhsa_private_segment_fixed_size 0
		.amdhsa_kernarg_size 64
		.amdhsa_user_sgpr_count 15
		.amdhsa_user_sgpr_dispatch_ptr 0
		.amdhsa_user_sgpr_queue_ptr 0
		.amdhsa_user_sgpr_kernarg_segment_ptr 1
		.amdhsa_user_sgpr_dispatch_id 0
		.amdhsa_user_sgpr_private_segment_size 0
		.amdhsa_wavefront_size32 1
		.amdhsa_uses_dynamic_stack 0
		.amdhsa_enable_private_segment 0
		.amdhsa_system_sgpr_workgroup_id_x 1
		.amdhsa_system_sgpr_workgroup_id_y 0
		.amdhsa_system_sgpr_workgroup_id_z 0
		.amdhsa_system_sgpr_workgroup_info 0
		.amdhsa_system_vgpr_workitem_id 1
		.amdhsa_next_free_vgpr 109
		.amdhsa_next_free_sgpr 30
		.amdhsa_reserve_vcc 1
		.amdhsa_float_round_mode_32 0
		.amdhsa_float_round_mode_16_64 0
		.amdhsa_float_denorm_mode_32 3
		.amdhsa_float_denorm_mode_16_64 3
		.amdhsa_dx10_clamp 1
		.amdhsa_ieee_mode 1
		.amdhsa_fp16_overflow 0
		.amdhsa_workgroup_processor_mode 1
		.amdhsa_memory_ordered 1
		.amdhsa_forward_progress 0
		.amdhsa_shared_vgpr_count 0
		.amdhsa_exception_fp_ieee_invalid_op 0
		.amdhsa_exception_fp_denorm_src 0
		.amdhsa_exception_fp_ieee_div_zero 0
		.amdhsa_exception_fp_ieee_overflow 0
		.amdhsa_exception_fp_ieee_underflow 0
		.amdhsa_exception_fp_ieee_inexact 0
		.amdhsa_exception_int_div_zero 0
	.end_amdhsa_kernel
	.section	.text._Z12wvSplitK_hf_I14__hip_bfloat16Li32ELi4ELi16ELi8ELi2ELi2EEviiiiiiPKT_S3_S3_PS1_ii,"axG",@progbits,_Z12wvSplitK_hf_I14__hip_bfloat16Li32ELi4ELi16ELi8ELi2ELi2EEviiiiiiPKT_S3_S3_PS1_ii,comdat
.Lfunc_end201:
	.size	_Z12wvSplitK_hf_I14__hip_bfloat16Li32ELi4ELi16ELi8ELi2ELi2EEviiiiiiPKT_S3_S3_PS1_ii, .Lfunc_end201-_Z12wvSplitK_hf_I14__hip_bfloat16Li32ELi4ELi16ELi8ELi2ELi2EEviiiiiiPKT_S3_S3_PS1_ii
                                        ; -- End function
	.section	.AMDGPU.csdata,"",@progbits
; Kernel info:
; codeLenInByte = 6584
; NumSgprs: 32
; NumVgprs: 109
; ScratchSize: 0
; MemoryBound: 0
; FloatMode: 240
; IeeeMode: 1
; LDSByteSize: 65536 bytes/workgroup (compile time only)
; SGPRBlocks: 3
; VGPRBlocks: 13
; NumSGPRsForWavesPerEU: 32
; NumVGPRsForWavesPerEU: 109
; Occupancy: 8
; WaveLimiterHint : 0
; COMPUTE_PGM_RSRC2:SCRATCH_EN: 0
; COMPUTE_PGM_RSRC2:USER_SGPR: 15
; COMPUTE_PGM_RSRC2:TRAP_HANDLER: 0
; COMPUTE_PGM_RSRC2:TGID_X_EN: 1
; COMPUTE_PGM_RSRC2:TGID_Y_EN: 0
; COMPUTE_PGM_RSRC2:TGID_Z_EN: 0
; COMPUTE_PGM_RSRC2:TIDIG_COMP_CNT: 1
	.section	.text._Z16wvSplitK_hf_big_I14__hip_bfloat16Li32ELi4ELi16ELi8ELi2ELi2EEviiiiiiPKT_S3_S3_PS1_ii,"axG",@progbits,_Z16wvSplitK_hf_big_I14__hip_bfloat16Li32ELi4ELi16ELi8ELi2ELi2EEviiiiiiPKT_S3_S3_PS1_ii,comdat
	.protected	_Z16wvSplitK_hf_big_I14__hip_bfloat16Li32ELi4ELi16ELi8ELi2ELi2EEviiiiiiPKT_S3_S3_PS1_ii ; -- Begin function _Z16wvSplitK_hf_big_I14__hip_bfloat16Li32ELi4ELi16ELi8ELi2ELi2EEviiiiiiPKT_S3_S3_PS1_ii
	.globl	_Z16wvSplitK_hf_big_I14__hip_bfloat16Li32ELi4ELi16ELi8ELi2ELi2EEviiiiiiPKT_S3_S3_PS1_ii
	.p2align	8
	.type	_Z16wvSplitK_hf_big_I14__hip_bfloat16Li32ELi4ELi16ELi8ELi2ELi2EEviiiiiiPKT_S3_S3_PS1_ii,@function
_Z16wvSplitK_hf_big_I14__hip_bfloat16Li32ELi4ELi16ELi8ELi2ELi2EEviiiiiiPKT_S3_S3_PS1_ii: ; @_Z16wvSplitK_hf_big_I14__hip_bfloat16Li32ELi4ELi16ELi8ELi2ELi2EEviiiiiiPKT_S3_S3_PS1_ii
; %bb.0:
	s_load_b64 s[20:21], s[0:1], 0x38
	v_bfe_u32 v5, v0, 10, 10
	s_mov_b32 s2, exec_lo
	s_waitcnt lgkmcnt(0)
	s_delay_alu instid0(VALU_DEP_1)
	v_cmpx_gt_u32_e64 s20, v5
	s_cbranch_execz .LBB202_88
; %bb.1:
	s_load_b128 s[16:19], s[0:1], 0x0
	s_mul_i32 s15, s15, s20
	s_mov_b32 s4, 1
	v_add_lshl_u32 v53, s15, v5, 2
	s_mov_b32 s5, s4
	s_mov_b32 s6, s4
	;; [unrolled: 1-line block ×3, first 2 shown]
	s_delay_alu instid0(VALU_DEP_1) | instskip(SKIP_2) | instid1(VALU_DEP_2)
	v_add_nc_u32_e32 v1, 4, v53
	s_waitcnt lgkmcnt(0)
	v_cmp_gt_u32_e32 vcc_lo, s19, v53
	v_cmp_le_u32_e64 s2, s19, v1
	v_dual_mov_b32 v1, s4 :: v_dual_mov_b32 v4, s7
	v_dual_mov_b32 v2, s5 :: v_dual_mov_b32 v3, s6
	s_delay_alu instid0(VALU_DEP_3) | instskip(NEXT) | instid1(SALU_CYCLE_1)
	s_and_b32 s2, vcc_lo, s2
	s_and_saveexec_b32 s8, s2
	s_cbranch_execz .LBB202_7
; %bb.2:
	v_dual_mov_b32 v1, s4 :: v_dual_mov_b32 v2, s5
	v_dual_mov_b32 v3, s6 :: v_dual_mov_b32 v4, s7
	s_add_i32 s9, s19, -4
	s_mov_b32 s10, exec_lo
	v_cmpx_ne_u32_e64 s9, v53
	s_cbranch_execz .LBB202_6
; %bb.3:
	v_subrev_nc_u32_e32 v1, s9, v53
	s_mov_b32 s11, 0
	s_mov_b64 s[2:3], 0
	s_mov_b32 s5, s4
	s_mov_b32 s6, s4
	v_cmp_lt_u32_e32 vcc_lo, 1, v1
	s_mov_b32 s7, s4
	v_cndmask_b32_e32 v6, 1, v1, vcc_lo
	.p2align	6
.LBB202_4:                              ; =>This Inner Loop Header: Depth=1
	s_cmp_lg_u32 s2, 3
	s_cselect_b32 s7, s7, 0
	s_cmp_lg_u32 s2, 2
	s_cselect_b32 s6, s6, 0
	;; [unrolled: 2-line block ×4, first 2 shown]
	s_add_u32 s2, s2, 1
	v_dual_mov_b32 v1, s4 :: v_dual_mov_b32 v2, s5
	v_cmp_eq_u32_e32 vcc_lo, s2, v6
	v_dual_mov_b32 v3, s6 :: v_dual_mov_b32 v4, s7
	s_addc_u32 s3, s3, 0
	s_or_b32 s11, vcc_lo, s11
	s_delay_alu instid0(SALU_CYCLE_1)
	s_and_not1_b32 exec_lo, exec_lo, s11
	s_cbranch_execnz .LBB202_4
; %bb.5:
	s_or_b32 exec_lo, exec_lo, s11
	v_mov_b32_e32 v53, s9
.LBB202_6:
	s_or_b32 exec_lo, exec_lo, s10
.LBB202_7:
	s_delay_alu instid0(SALU_CYCLE_1)
	s_or_b32 exec_lo, exec_lo, s8
	s_lshl_b32 s2, s20, 2
	s_abs_i32 s6, s19
	s_abs_i32 s3, s2
	s_mov_b32 s23, 0
	v_cvt_f32_u32_e32 v6, s3
	s_sub_i32 s5, 0, s3
	s_delay_alu instid0(VALU_DEP_1) | instskip(SKIP_2) | instid1(VALU_DEP_1)
	v_rcp_iflag_f32_e32 v6, v6
	s_waitcnt_depctr 0xfff
	v_mul_f32_e32 v6, 0x4f7ffffe, v6
	v_cvt_u32_f32_e32 v6, v6
	s_delay_alu instid0(VALU_DEP_1) | instskip(NEXT) | instid1(VALU_DEP_1)
	v_readfirstlane_b32 s4, v6
	s_mul_i32 s5, s5, s4
	s_delay_alu instid0(SALU_CYCLE_1) | instskip(NEXT) | instid1(SALU_CYCLE_1)
	s_mul_hi_u32 s5, s4, s5
	s_add_i32 s4, s4, s5
	s_ashr_i32 s5, s19, 31
	s_mul_hi_u32 s4, s6, s4
	s_delay_alu instid0(SALU_CYCLE_1) | instskip(NEXT) | instid1(SALU_CYCLE_1)
	s_mul_i32 s4, s4, s3
	s_sub_i32 s4, s6, s4
	s_delay_alu instid0(SALU_CYCLE_1) | instskip(SKIP_2) | instid1(SALU_CYCLE_1)
	s_sub_i32 s6, s4, s3
	s_cmp_ge_u32 s4, s3
	s_cselect_b32 s4, s6, s4
	s_sub_i32 s6, s4, s3
	s_cmp_ge_u32 s4, s3
	s_cselect_b32 s3, s6, s4
	s_add_i32 s2, s2, s19
	s_xor_b32 s3, s3, s5
	s_delay_alu instid0(SALU_CYCLE_1) | instskip(NEXT) | instid1(SALU_CYCLE_1)
	s_sub_i32 s3, s3, s5
	s_sub_i32 s2, s2, s3
	s_cmp_eq_u32 s3, 0
	s_cselect_b32 s22, s19, s2
	s_delay_alu instid0(SALU_CYCLE_1)
	v_cmp_gt_u32_e32 vcc_lo, s22, v53
	s_and_b32 exec_lo, exec_lo, vcc_lo
	s_cbranch_execz .LBB202_88
; %bb.8:
	s_load_b256 s[8:15], s[0:1], 0x10
	s_min_u32 s24, s18, 0x4000
	v_dual_mov_b32 v56, 0 :: v_dual_and_b32 v7, 0x3ff, v0
	s_cmp_lg_u32 s16, 0
	s_load_b64 s[6:7], s[0:1], 0x30
	s_mul_i32 s0, s21, s20
	s_cselect_b32 s21, -1, 0
	s_cmp_lg_u32 s18, 0
	v_lshlrev_b32_e32 v0, 3, v7
	s_cselect_b32 s25, -1, 0
	s_lshl_b32 s26, s20, 8
	s_add_i32 s27, s16, -8
	s_add_i32 s28, s19, -1
	s_lshl_b32 s29, s0, 2
	v_cmp_eq_u32_e64 s0, 31, v7
	v_lshl_add_u32 v65, v5, 8, v0
	v_mbcnt_lo_u32_b32 v69, -1, 0
	v_lshlrev_b32_e32 v7, 4, v7
	s_waitcnt lgkmcnt(0)
	v_cvt_f32_u32_e32 v6, s8
	s_cmp_lg_u64 s[14:15], 0
	v_add_nc_u32_e32 v67, s18, v65
	s_cselect_b32 s30, -1, 0
	s_sub_i32 s1, 0, s8
	v_rcp_iflag_f32_e32 v6, v6
	v_lshl_add_u32 v66, v5, 9, v7
	s_waitcnt_depctr 0xfff
	v_mul_f32_e32 v6, 0x4f7ffffe, v6
	s_delay_alu instid0(VALU_DEP_1) | instskip(NEXT) | instid1(VALU_DEP_1)
	v_cvt_u32_f32_e32 v6, v6
	v_mul_lo_u32 v8, s1, v6
	s_abs_i32 s1, s9
	s_add_i32 s9, s19, -4
	s_sub_i32 s2, 1, s1
	s_cmp_lt_u32 s1, 2
	s_cselect_b32 s2, s2, 1
	s_delay_alu instid0(SALU_CYCLE_1) | instskip(NEXT) | instid1(VALU_DEP_1)
	s_sub_i32 s3, s2, s1
	v_mul_hi_u32 v8, v6, v8
	s_cmp_ge_u32 s2, s1
	s_cselect_b32 s33, s3, s2
	s_add_u32 s31, s6, 2
	s_mul_i32 s33, s33, s8
	s_addc_u32 s34, s7, 0
	s_lshl_b32 s35, s24, 1
	s_delay_alu instid0(VALU_DEP_1)
	v_add_nc_u32_e32 v68, v6, v8
	s_lshl_b32 s20, s20, 9
	s_branch .LBB202_12
.LBB202_9:                              ;   in Loop: Header=BB202_12 Depth=1
	s_or_b32 exec_lo, exec_lo, s38
	v_mov_b32_e32 v53, s9
.LBB202_10:                             ;   in Loop: Header=BB202_12 Depth=1
	s_or_b32 exec_lo, exec_lo, s37
.LBB202_11:                             ;   in Loop: Header=BB202_12 Depth=1
	s_delay_alu instid0(SALU_CYCLE_1) | instskip(NEXT) | instid1(VALU_DEP_1)
	s_or_b32 exec_lo, exec_lo, s36
	v_cmp_le_u32_e32 vcc_lo, s22, v53
	s_or_b32 s23, vcc_lo, s23
	s_delay_alu instid0(SALU_CYCLE_1)
	s_and_not1_b32 exec_lo, exec_lo, s23
	s_cbranch_execz .LBB202_88
.LBB202_12:                             ; =>This Loop Header: Depth=1
                                        ;     Child Loop BB202_17 Depth 2
                                        ;       Child Loop BB202_22 Depth 3
                                        ;     Child Loop BB202_86 Depth 2
	v_mov_b32_e32 v54, v56
	v_mov_b32_e32 v70, v56
	;; [unrolled: 1-line block ×8, first 2 shown]
	s_and_not1_b32 vcc_lo, exec_lo, s21
	s_mov_b32 s3, 0
	s_cbranch_vccnz .LBB202_29
; %bb.13:                               ;   in Loop: Header=BB202_12 Depth=1
	v_dual_mov_b32 v75, 0 :: v_dual_add_nc_u32 v6, 2, v53
	v_add_nc_u32_e32 v5, 1, v53
	v_add_nc_u32_e32 v7, 3, v53
	s_waitcnt lgkmcnt(0)
	v_min_u32_e32 v8, s28, v53
	v_min_u32_e32 v6, s28, v6
	v_dual_mov_b32 v10, v56 :: v_dual_mov_b32 v73, 0
	v_cmp_gt_u32_e64 s1, s19, v53
	s_delay_alu instid0(VALU_DEP_4)
	v_mul_lo_u32 v55, v8, s17
	v_mov_b32_e32 v8, v56
	v_min_u32_e32 v9, s28, v7
	v_mul_lo_u32 v7, v6, s17
	v_mov_b32_e32 v6, v56
	v_min_u32_e32 v5, s28, v5
	v_dual_mov_b32 v76, 0 :: v_dual_mov_b32 v71, 0
	v_mul_lo_u32 v9, v9, s17
	v_lshlrev_b64 v[57:58], 1, v[55:56]
	s_delay_alu instid0(VALU_DEP_4)
	v_mul_lo_u32 v5, v5, s17
	v_lshlrev_b64 v[61:62], 1, v[7:8]
	v_mov_b32_e32 v74, 0
	v_mov_b32_e32 v72, 0
	;; [unrolled: 1-line block ×4, first 2 shown]
	v_lshlrev_b64 v[63:64], 1, v[9:10]
	s_mov_b32 s4, 0
	v_lshlrev_b64 v[59:60], 1, v[5:6]
	s_branch .LBB202_17
.LBB202_14:                             ;   in Loop: Header=BB202_17 Depth=2
	s_or_b32 exec_lo, exec_lo, s36
.LBB202_15:                             ;   in Loop: Header=BB202_17 Depth=2
	s_delay_alu instid0(SALU_CYCLE_1)
	s_or_b32 exec_lo, exec_lo, s5
	s_waitcnt lgkmcnt(1)
	v_and_b32_e32 v84, 0xffff0000, v52
	s_waitcnt vmcnt(7)
	v_and_b32_e32 v85, 0xffff0000, v48
	v_and_b32_e32 v55, 0xffff0000, v49
	;; [unrolled: 1-line block ×5, first 2 shown]
	v_dual_mul_f32 v86, v84, v85 :: v_dual_lshlrev_b32 v51, 16, v51
	v_lshlrev_b32_e32 v52, 16, v52
	v_lshlrev_b32_e32 v48, 16, v48
	;; [unrolled: 1-line block ×3, first 2 shown]
	v_dual_mul_f32 v80, v55, v77 :: v_dual_and_b32 v79, 0xffff0000, v46
	s_delay_alu instid0(VALU_DEP_3)
	v_dual_fmac_f32 v86, v52, v48 :: v_dual_lshlrev_b32 v47, 16, v47
	v_lshlrev_b32_e32 v49, 16, v49
	s_waitcnt vmcnt(6)
	v_and_b32_e32 v88, 0xffff0000, v42
	v_lshlrev_b32_e32 v42, 16, v42
	s_waitcnt vmcnt(4)
	v_dual_fmac_f32 v80, v49, v45 :: v_dual_and_b32 v95, 0xffff0000, v35
	s_delay_alu instid0(VALU_DEP_1) | instskip(SKIP_4) | instid1(VALU_DEP_4)
	v_add_f32_e32 v76, v76, v80
	v_and_b32_e32 v78, 0xffff0000, v50
	v_mul_f32_e32 v80, v82, v83
	v_lshlrev_b32_e32 v50, 16, v50
	v_and_b32_e32 v92, 0xffff0000, v39
	v_mul_f32_e32 v81, v78, v79
	s_delay_alu instid0(VALU_DEP_4) | instskip(SKIP_1) | instid1(VALU_DEP_1)
	v_fmac_f32_e32 v80, v51, v47
	v_lshlrev_b32_e32 v46, 16, v46
	v_fmac_f32_e32 v81, v50, v46
	s_delay_alu instid0(VALU_DEP_1) | instskip(NEXT) | instid1(VALU_DEP_1)
	v_add_f32_e32 v76, v76, v81
	v_dual_add_f32 v76, v76, v80 :: v_dual_and_b32 v81, 0xffff0000, v41
	s_delay_alu instid0(VALU_DEP_1) | instskip(NEXT) | instid1(VALU_DEP_2)
	v_dual_mul_f32 v87, v55, v81 :: v_dual_mul_f32 v80, v78, v88
	v_dual_add_f32 v76, v76, v86 :: v_dual_lshlrev_b32 v41, 16, v41
	v_and_b32_e32 v86, 0xffff0000, v37
	s_delay_alu instid0(VALU_DEP_2) | instskip(NEXT) | instid1(VALU_DEP_2)
	v_dual_fmac_f32 v80, v50, v42 :: v_dual_fmac_f32 v87, v49, v41
	v_mul_f32_e32 v89, v55, v86
	s_delay_alu instid0(VALU_DEP_2) | instskip(SKIP_3) | instid1(VALU_DEP_4)
	v_add_f32_e32 v75, v75, v87
	v_lshlrev_b32_e32 v39, 16, v39
	v_and_b32_e32 v90, 0xffff0000, v38
	v_and_b32_e32 v87, 0xffff0000, v43
	v_dual_add_f32 v75, v75, v80 :: v_dual_lshlrev_b32 v38, 16, v38
	s_delay_alu instid0(VALU_DEP_3) | instskip(NEXT) | instid1(VALU_DEP_3)
	v_dual_mul_f32 v80, v78, v90 :: v_dual_lshlrev_b32 v37, 16, v37
	v_mul_f32_e32 v91, v82, v87
	s_delay_alu instid0(VALU_DEP_2) | instskip(NEXT) | instid1(VALU_DEP_1)
	v_dual_fmac_f32 v80, v50, v38 :: v_dual_fmac_f32 v89, v49, v37
	v_dual_add_f32 v74, v74, v89 :: v_dual_lshlrev_b32 v43, 16, v43
	s_delay_alu instid0(VALU_DEP_1) | instskip(SKIP_2) | instid1(VALU_DEP_3)
	v_dual_fmac_f32 v91, v51, v43 :: v_dual_add_f32 v74, v74, v80
	v_and_b32_e32 v80, 0xffff0000, v33
	v_lshlrev_b32_e32 v33, 16, v33
	v_add_f32_e32 v75, v75, v91
	v_and_b32_e32 v91, 0xffff0000, v40
	s_delay_alu instid0(VALU_DEP_4) | instskip(SKIP_1) | instid1(VALU_DEP_2)
	v_mul_f32_e32 v55, v55, v80
	v_mul_f32_e32 v89, v82, v92
	v_fmac_f32_e32 v55, v49, v33
	s_delay_alu instid0(VALU_DEP_2) | instskip(SKIP_1) | instid1(VALU_DEP_3)
	v_fmac_f32_e32 v89, v51, v39
	v_and_b32_e32 v93, 0xffff0000, v44
	v_dual_add_f32 v55, v73, v55 :: v_dual_lshlrev_b32 v44, 16, v44
	s_delay_alu instid0(VALU_DEP_3) | instskip(NEXT) | instid1(VALU_DEP_3)
	v_add_f32_e32 v74, v74, v89
	v_dual_mul_f32 v94, v84, v93 :: v_dual_and_b32 v89, 0xffff0000, v34
	v_lshlrev_b32_e32 v40, 16, v40
	s_delay_alu instid0(VALU_DEP_2)
	v_dual_fmac_f32 v94, v52, v44 :: v_dual_mul_f32 v49, v78, v89
	v_lshlrev_b32_e32 v35, 16, v35
	s_waitcnt lgkmcnt(0)
	v_and_b32_e32 v73, 0xffff0000, v29
	v_lshlrev_b32_e32 v34, 16, v34
	v_lshlrev_b32_e32 v29, 16, v29
	s_delay_alu instid0(VALU_DEP_3) | instskip(NEXT) | instid1(VALU_DEP_3)
	v_mul_f32_e32 v77, v73, v77
	v_fmac_f32_e32 v49, v50, v34
	v_mul_f32_e32 v50, v82, v95
	v_mul_f32_e32 v78, v84, v91
	s_delay_alu instid0(VALU_DEP_1) | instskip(NEXT) | instid1(VALU_DEP_3)
	v_fmac_f32_e32 v78, v52, v40
	v_dual_fmac_f32 v50, v51, v35 :: v_dual_and_b32 v51, 0xffff0000, v36
	v_dual_add_f32 v49, v55, v49 :: v_dual_lshlrev_b32 v36, 16, v36
	v_and_b32_e32 v55, 0xffff0000, v30
	v_lshlrev_b32_e32 v30, 16, v30
	s_delay_alu instid0(VALU_DEP_4) | instskip(NEXT) | instid1(VALU_DEP_4)
	v_dual_mul_f32 v82, v84, v51 :: v_dual_fmac_f32 v77, v29, v45
	v_add_f32_e32 v49, v49, v50
	s_delay_alu instid0(VALU_DEP_4) | instskip(SKIP_1) | instid1(VALU_DEP_4)
	v_mul_f32_e32 v45, v55, v79
	v_dual_add_f32 v50, v75, v94 :: v_dual_and_b32 v79, 0xffff0000, v31
	v_dual_fmac_f32 v82, v52, v36 :: v_dual_lshlrev_b32 v31, 16, v31
	v_add_f32_e32 v72, v72, v77
	v_add_f32_e32 v52, v74, v78
	s_delay_alu instid0(VALU_DEP_4) | instskip(NEXT) | instid1(VALU_DEP_1)
	v_dual_fmac_f32 v45, v30, v46 :: v_dual_mul_f32 v46, v79, v83
	v_dual_fmac_f32 v46, v31, v47 :: v_dual_add_f32 v45, v72, v45
	v_mul_f32_e32 v72, v73, v86
	v_mul_f32_e32 v47, v73, v81
	s_delay_alu instid0(VALU_DEP_3) | instskip(NEXT) | instid1(VALU_DEP_3)
	v_add_f32_e32 v45, v45, v46
	v_dual_fmac_f32 v72, v29, v37 :: v_dual_mul_f32 v37, v55, v90
	v_and_b32_e32 v46, 0xffff0000, v32
	s_delay_alu instid0(VALU_DEP_2) | instskip(SKIP_2) | instid1(VALU_DEP_2)
	v_dual_fmac_f32 v37, v30, v38 :: v_dual_lshlrev_b32 v32, 16, v32
	v_dual_mul_f32 v38, v79, v92 :: v_dual_fmac_f32 v47, v29, v41
	v_mul_f32_e32 v41, v55, v88
	v_fmac_f32_e32 v38, v31, v39
	s_delay_alu instid0(VALU_DEP_3) | instskip(SKIP_2) | instid1(VALU_DEP_2)
	v_add_f32_e32 v47, v71, v47
	v_mul_f32_e32 v71, v46, v85
	v_mul_f32_e32 v39, v46, v91
	v_fmac_f32_e32 v71, v32, v48
	v_dual_fmac_f32 v41, v30, v42 :: v_dual_mul_f32 v42, v79, v87
	v_add_f32_e32 v49, v49, v82
	s_waitcnt vmcnt(3)
	v_dual_fmac_f32 v39, v32, v40 :: v_dual_and_b32 v40, 0xffff0000, v22
	s_delay_alu instid0(VALU_DEP_3) | instskip(SKIP_3) | instid1(VALU_DEP_2)
	v_add_f32_e32 v41, v47, v41
	v_dual_fmac_f32 v42, v31, v43 :: v_dual_add_f32 v43, v70, v72
	v_dual_mul_f32 v47, v46, v93 :: v_dual_lshlrev_b32 v22, 16, v22
	s_waitcnt vmcnt(0)
	v_dual_add_f32 v41, v41, v42 :: v_dual_and_b32 v70, 0xffff0000, v9
	s_delay_alu instid0(VALU_DEP_3) | instskip(NEXT) | instid1(VALU_DEP_3)
	v_dual_mul_f32 v42, v73, v80 :: v_dual_add_f32 v37, v43, v37
	v_fmac_f32_e32 v47, v32, v44
	v_and_b32_e32 v44, 0xffff0000, v28
	v_lshlrev_b32_e32 v28, 16, v28
	s_delay_alu instid0(VALU_DEP_4) | instskip(SKIP_3) | instid1(VALU_DEP_4)
	v_fmac_f32_e32 v42, v29, v33
	v_mul_f32_e32 v29, v55, v89
	v_dual_add_f32 v33, v37, v38 :: v_dual_mul_f32 v38, v79, v95
	v_and_b32_e32 v72, 0xffff0000, v10
	v_add_f32_e32 v37, v54, v42
	s_delay_alu instid0(VALU_DEP_4) | instskip(NEXT) | instid1(VALU_DEP_4)
	v_fmac_f32_e32 v29, v30, v34
	v_add_f32_e32 v33, v33, v39
	v_fmac_f32_e32 v38, v31, v35
	v_mul_f32_e32 v31, v46, v51
	s_delay_alu instid0(VALU_DEP_4) | instskip(SKIP_2) | instid1(VALU_DEP_4)
	v_dual_add_f32 v29, v37, v29 :: v_dual_and_b32 v46, 0xffff0000, v19
	v_and_b32_e32 v37, 0xffff0000, v25
	v_and_b32_e32 v54, 0xffff0000, v20
	v_dual_fmac_f32 v31, v32, v36 :: v_dual_and_b32 v36, 0xffff0000, v23
	v_lshlrev_b32_e32 v19, 16, v19
	v_and_b32_e32 v39, 0xffff0000, v21
	v_add_f32_e32 v29, v29, v38
	v_and_b32_e32 v38, 0xffff0000, v26
	v_lshlrev_b32_e32 v25, 16, v25
	v_lshlrev_b32_e32 v26, 16, v26
	;; [unrolled: 1-line block ×3, first 2 shown]
	s_delay_alu instid0(VALU_DEP_4) | instskip(SKIP_2) | instid1(VALU_DEP_3)
	v_dual_mul_f32 v35, v37, v39 :: v_dual_mul_f32 v32, v38, v40
	v_dual_add_f32 v29, v29, v31 :: v_dual_lshlrev_b32 v20, 16, v20
	v_add_f32_e32 v30, v45, v71
	v_dual_fmac_f32 v35, v25, v21 :: v_dual_fmac_f32 v32, v26, v22
	v_lshlrev_b32_e32 v10, 16, v10
	v_mul_f32_e32 v55, v44, v54
	s_delay_alu instid0(VALU_DEP_3) | instskip(SKIP_2) | instid1(VALU_DEP_4)
	v_add_f32_e32 v31, v76, v35
	v_and_b32_e32 v35, 0xffff0000, v27
	v_lshlrev_b32_e32 v27, 16, v27
	v_fmac_f32_e32 v55, v28, v20
	s_delay_alu instid0(VALU_DEP_4) | instskip(NEXT) | instid1(VALU_DEP_4)
	v_add_f32_e32 v31, v31, v32
	v_mul_f32_e32 v42, v35, v36
	v_and_b32_e32 v32, 0xffff0000, v18
	v_dual_add_f32 v34, v41, v47 :: v_dual_and_b32 v41, 0xffff0000, v17
	v_lshlrev_b32_e32 v23, 16, v23
	v_and_b32_e32 v47, 0xffff0000, v24
	v_lshlrev_b32_e32 v24, 16, v24
	s_delay_alu instid0(VALU_DEP_4) | instskip(NEXT) | instid1(VALU_DEP_4)
	v_dual_mul_f32 v48, v35, v46 :: v_dual_mul_f32 v43, v37, v41
	v_fmac_f32_e32 v42, v27, v23
	s_delay_alu instid0(VALU_DEP_4) | instskip(NEXT) | instid1(VALU_DEP_3)
	v_dual_mul_f32 v51, v44, v47 :: v_dual_lshlrev_b32 v18, 16, v18
	v_dual_mul_f32 v45, v38, v32 :: v_dual_fmac_f32 v48, v27, v19
	s_delay_alu instid0(VALU_DEP_3) | instskip(NEXT) | instid1(VALU_DEP_3)
	v_add_f32_e32 v31, v31, v42
	v_fmac_f32_e32 v51, v28, v24
	v_lshlrev_b32_e32 v17, 16, v17
	s_delay_alu instid0(VALU_DEP_4) | instskip(SKIP_2) | instid1(VALU_DEP_4)
	v_fmac_f32_e32 v45, v26, v18
	v_and_b32_e32 v42, 0xffff0000, v14
	v_lshlrev_b32_e32 v14, 16, v14
	v_dual_add_f32 v76, v31, v51 :: v_dual_fmac_f32 v43, v25, v17
	v_and_b32_e32 v31, 0xffff0000, v11
	v_lshlrev_b32_e32 v11, 16, v11
	s_delay_alu instid0(VALU_DEP_3) | instskip(SKIP_1) | instid1(VALU_DEP_2)
	v_dual_add_f32 v43, v50, v43 :: v_dual_and_b32 v50, 0xffff0000, v13
	v_lshlrev_b32_e32 v13, 16, v13
	v_add_f32_e32 v43, v43, v45
	s_delay_alu instid0(VALU_DEP_3) | instskip(SKIP_1) | instid1(VALU_DEP_3)
	v_mul_f32_e32 v45, v37, v50
	v_mul_f32_e32 v37, v37, v70
	v_dual_add_f32 v43, v43, v48 :: v_dual_mul_f32 v48, v38, v42
	s_delay_alu instid0(VALU_DEP_1) | instskip(NEXT) | instid1(VALU_DEP_1)
	v_dual_fmac_f32 v45, v25, v13 :: v_dual_fmac_f32 v48, v26, v14
	v_dual_add_f32 v45, v52, v45 :: v_dual_and_b32 v52, 0xffff0000, v15
	v_lshlrev_b32_e32 v9, 16, v9
	s_delay_alu instid0(VALU_DEP_2) | instskip(NEXT) | instid1(VALU_DEP_2)
	v_add_f32_e32 v45, v45, v48
	v_dual_fmac_f32 v37, v25, v9 :: v_dual_and_b32 v48, 0xffff0000, v16
	v_mul_f32_e32 v25, v38, v72
	v_lshlrev_b32_e32 v16, 16, v16
	v_mul_f32_e32 v71, v35, v52
	s_delay_alu instid0(VALU_DEP_4)
	v_mul_f32_e32 v73, v44, v48
	v_add_f32_e32 v37, v49, v37
	v_dual_fmac_f32 v25, v26, v10 :: v_dual_and_b32 v26, 0xffff0000, v5
	v_lshlrev_b32_e32 v5, 16, v5
	v_lshlrev_b32_e32 v15, 16, v15
	v_fmac_f32_e32 v73, v28, v16
	s_delay_alu instid0(VALU_DEP_4) | instskip(SKIP_2) | instid1(VALU_DEP_2)
	v_add_f32_e32 v25, v37, v25
	v_mul_f32_e32 v37, v26, v39
	v_and_b32_e32 v39, 0xffff0000, v12
	v_dual_fmac_f32 v37, v5, v21 :: v_dual_lshlrev_b32 v12, 16, v12
	s_delay_alu instid0(VALU_DEP_1) | instskip(NEXT) | instid1(VALU_DEP_1)
	v_dual_add_f32 v30, v30, v37 :: v_dual_fmac_f32 v71, v27, v15
	v_add_f32_e32 v38, v45, v71
	s_delay_alu instid0(VALU_DEP_1) | instskip(SKIP_1) | instid1(VALU_DEP_1)
	v_add_f32_e32 v74, v38, v73
	v_dual_mul_f32 v35, v35, v31 :: v_dual_and_b32 v38, 0xffff0000, v6
	v_dual_mul_f32 v21, v38, v40 :: v_dual_lshlrev_b32 v6, 16, v6
	s_delay_alu instid0(VALU_DEP_2) | instskip(SKIP_1) | instid1(VALU_DEP_3)
	v_fmac_f32_e32 v35, v27, v11
	v_mul_f32_e32 v27, v44, v39
	v_fmac_f32_e32 v21, v6, v22
	s_delay_alu instid0(VALU_DEP_2) | instskip(SKIP_2) | instid1(VALU_DEP_4)
	v_dual_mul_f32 v22, v26, v41 :: v_dual_fmac_f32 v27, v28, v12
	v_and_b32_e32 v28, 0xffff0000, v7
	v_lshlrev_b32_e32 v7, 16, v7
	v_add_f32_e32 v21, v30, v21
	s_delay_alu instid0(VALU_DEP_4) | instskip(NEXT) | instid1(VALU_DEP_4)
	v_dual_fmac_f32 v22, v5, v17 :: v_dual_mul_f32 v17, v38, v32
	v_mul_f32_e32 v30, v28, v36
	v_and_b32_e32 v32, 0xffff0000, v8
	v_lshlrev_b32_e32 v8, 16, v8
	s_delay_alu instid0(VALU_DEP_4)
	v_add_f32_e32 v22, v34, v22
	v_fmac_f32_e32 v17, v6, v18
	v_mul_f32_e32 v18, v28, v46
	v_fmac_f32_e32 v30, v7, v23
	v_mul_f32_e32 v23, v32, v47
	v_add_f32_e32 v25, v25, v35
	s_delay_alu instid0(VALU_DEP_4)
	v_dual_add_f32 v17, v22, v17 :: v_dual_fmac_f32 v18, v7, v19
	v_mul_f32_e32 v19, v26, v50
	v_mul_f32_e32 v22, v26, v70
	v_add_f32_e32 v21, v21, v30
	v_fmac_f32_e32 v23, v8, v24
	v_add_f32_e32 v17, v17, v18
	v_fmac_f32_e32 v19, v5, v13
	v_mul_f32_e32 v13, v38, v42
	v_dual_mul_f32 v18, v32, v54 :: v_dual_add_f32 v73, v25, v27
	s_delay_alu instid0(VALU_DEP_2) | instskip(SKIP_1) | instid1(VALU_DEP_3)
	v_dual_fmac_f32 v13, v6, v14 :: v_dual_mul_f32 v14, v28, v52
	v_dual_fmac_f32 v22, v5, v9 :: v_dual_mul_f32 v5, v38, v72
	v_dual_add_f32 v9, v33, v19 :: v_dual_fmac_f32 v18, v8, v20
	s_delay_alu instid0(VALU_DEP_2) | instskip(NEXT) | instid1(VALU_DEP_3)
	v_dual_fmac_f32 v14, v7, v15 :: v_dual_add_f32 v19, v29, v22
	v_dual_fmac_f32 v5, v6, v10 :: v_dual_mul_f32 v6, v28, v31
	s_delay_alu instid0(VALU_DEP_3) | instskip(NEXT) | instid1(VALU_DEP_2)
	v_dual_add_f32 v9, v9, v13 :: v_dual_mul_f32 v10, v32, v48
	v_dual_add_f32 v72, v21, v23 :: v_dual_add_f32 v5, v19, v5
	s_delay_alu instid0(VALU_DEP_3) | instskip(SKIP_1) | instid1(VALU_DEP_4)
	v_fmac_f32_e32 v6, v7, v11
	v_mul_f32_e32 v7, v32, v39
	v_dual_add_f32 v9, v9, v14 :: v_dual_fmac_f32 v10, v8, v16
	v_add_f32_e32 v71, v17, v18
	s_delay_alu instid0(VALU_DEP_4) | instskip(NEXT) | instid1(VALU_DEP_3)
	v_add_f32_e32 v5, v5, v6
	v_dual_fmac_f32 v7, v8, v12 :: v_dual_add_f32 v70, v9, v10
	v_add_f32_e32 v75, v43, v55
	s_delay_alu instid0(VALU_DEP_2)
	v_add_f32_e32 v54, v5, v7
.LBB202_16:                             ;   in Loop: Header=BB202_17 Depth=2
	s_or_b32 exec_lo, exec_lo, s2
	s_addk_i32 s4, 0x200
	s_delay_alu instid0(SALU_CYCLE_1)
	s_cmp_ge_u32 s4, s16
	s_cbranch_scc1 .LBB202_29
.LBB202_17:                             ;   Parent Loop BB202_12 Depth=1
                                        ; =>  This Loop Header: Depth=2
                                        ;       Child Loop BB202_22 Depth 3
	s_cmp_eq_u32 s4, 0
	s_cselect_b32 s5, -1, 0
	s_add_i32 s2, s3, s24
	s_delay_alu instid0(SALU_CYCLE_1) | instskip(SKIP_1) | instid1(SALU_CYCLE_1)
	s_cmp_eq_u32 s4, s2
	s_cselect_b32 s36, -1, 0
	s_or_b32 s36, s5, s36
	s_delay_alu instid0(SALU_CYCLE_1)
	s_and_not1_b32 vcc_lo, exec_lo, s36
	s_cbranch_vccz .LBB202_19
; %bb.18:                               ;   in Loop: Header=BB202_17 Depth=2
	s_and_saveexec_b32 s2, s1
	s_cbranch_execz .LBB202_16
	s_branch .LBB202_26
.LBB202_19:                             ;   in Loop: Header=BB202_17 Depth=2
	s_and_b32 s5, s5, exec_lo
	s_cselect_b32 s3, s3, s2
	s_and_not1_b32 vcc_lo, exec_lo, s25
	s_waitcnt vmcnt(0)
	s_waitcnt_vscnt null, 0x0
	s_barrier
	buffer_gl0_inv
	s_cbranch_vccnz .LBB202_25
; %bb.20:                               ;   in Loop: Header=BB202_17 Depth=2
	v_add_nc_u32_e32 v5, s3, v67
	v_dual_mov_b32 v7, v66 :: v_dual_add_nc_u32 v6, s3, v65
	s_mov_b32 s5, 0
	s_mov_b32 s36, 0
                                        ; implicit-def: $sgpr37
	s_set_inst_prefetch_distance 0x1
	s_branch .LBB202_22
	.p2align	6
.LBB202_21:                             ;   in Loop: Header=BB202_22 Depth=3
	s_or_b32 exec_lo, exec_lo, s2
	s_delay_alu instid0(SALU_CYCLE_1) | instskip(NEXT) | instid1(SALU_CYCLE_1)
	s_and_b32 s2, exec_lo, s37
	s_or_b32 s5, s2, s5
	s_delay_alu instid0(SALU_CYCLE_1)
	s_and_not1_b32 exec_lo, exec_lo, s5
	s_cbranch_execz .LBB202_24
.LBB202_22:                             ;   Parent Loop BB202_12 Depth=1
                                        ;     Parent Loop BB202_17 Depth=2
                                        ; =>    This Inner Loop Header: Depth=3
	v_add_nc_u32_e32 v55, s36, v6
	v_add_nc_u32_e32 v8, s36, v65
	s_or_b32 s37, s37, exec_lo
	s_delay_alu instid0(VALU_DEP_2) | instskip(NEXT) | instid1(VALU_DEP_2)
	v_cmp_gt_u32_e32 vcc_lo, s18, v55
	v_cmp_gt_u32_e64 s2, s24, v8
	s_delay_alu instid0(VALU_DEP_1) | instskip(NEXT) | instid1(SALU_CYCLE_1)
	s_and_b32 s38, s2, vcc_lo
	s_and_saveexec_b32 s2, s38
	s_cbranch_execz .LBB202_21
; %bb.23:                               ;   in Loop: Header=BB202_22 Depth=3
	v_lshlrev_b64 v[8:9], 1, v[55:56]
	v_add_nc_u32_e32 v55, s36, v5
	s_add_i32 s36, s36, s26
	v_add_nc_u32_e32 v16, s35, v7
	s_cmp_ge_u32 s36, s24
	s_delay_alu instid0(VALU_DEP_2) | instskip(SKIP_3) | instid1(VALU_DEP_3)
	v_lshlrev_b64 v[12:13], 1, v[55:56]
	v_add_co_u32 v8, vcc_lo, s12, v8
	v_add_co_ci_u32_e32 v9, vcc_lo, s13, v9, vcc_lo
	s_cselect_b32 s38, -1, 0
	v_add_co_u32 v12, vcc_lo, s12, v12
	global_load_b128 v[8:11], v[8:9], off
	v_add_co_ci_u32_e32 v13, vcc_lo, s13, v13, vcc_lo
	s_and_not1_b32 s37, s37, exec_lo
	s_and_b32 s38, s38, exec_lo
	global_load_b128 v[12:15], v[12:13], off
	s_or_b32 s37, s37, s38
	s_waitcnt vmcnt(1)
	ds_store_b128 v7, v[8:11]
	v_add_nc_u32_e32 v7, s20, v7
	s_waitcnt vmcnt(0)
	ds_store_2addr_b64 v16, v[12:13], v[14:15] offset1:1
	s_branch .LBB202_21
.LBB202_24:                             ;   in Loop: Header=BB202_17 Depth=2
	s_set_inst_prefetch_distance 0x2
	s_or_b32 exec_lo, exec_lo, s5
.LBB202_25:                             ;   in Loop: Header=BB202_17 Depth=2
	s_waitcnt lgkmcnt(0)
	s_barrier
	buffer_gl0_inv
	s_and_saveexec_b32 s2, s1
	s_cbranch_execz .LBB202_16
.LBB202_26:                             ;   in Loop: Header=BB202_17 Depth=2
	s_waitcnt vmcnt(6)
	v_dual_mov_b32 v28, 0 :: v_dual_add_nc_u32 v77, s4, v0
	s_waitcnt vmcnt(5)
	v_dual_mov_b32 v27, 0 :: v_dual_mov_b32 v32, 0
	v_mov_b32_e32 v31, 0
	s_delay_alu instid0(VALU_DEP_3) | instskip(SKIP_3) | instid1(VALU_DEP_4)
	v_min_u32_e32 v55, s27, v77
	v_add_nc_u32_e32 v78, 0x100, v77
	v_dual_mov_b32 v30, 0 :: v_dual_mov_b32 v29, 0
	v_dual_mov_b32 v52, 0 :: v_dual_mov_b32 v51, 0
	v_lshlrev_b64 v[5:6], 1, v[55:56]
	s_delay_alu instid0(VALU_DEP_4) | instskip(SKIP_2) | instid1(VALU_DEP_3)
	v_min_u32_e32 v55, s27, v78
	v_dual_mov_b32 v50, 0 :: v_dual_mov_b32 v49, 0
	s_mov_b32 s5, exec_lo
	v_add_co_u32 v13, vcc_lo, s10, v5
	s_delay_alu instid0(VALU_DEP_4) | instskip(SKIP_1) | instid1(VALU_DEP_3)
	v_add_co_ci_u32_e32 v14, vcc_lo, s11, v6, vcc_lo
	v_lshlrev_b64 v[5:6], 1, v[55:56]
	v_add_co_u32 v7, vcc_lo, v13, v57
	s_delay_alu instid0(VALU_DEP_3)
	v_add_co_ci_u32_e32 v8, vcc_lo, v14, v58, vcc_lo
	v_add_co_u32 v9, vcc_lo, v13, v59
	v_add_co_ci_u32_e32 v10, vcc_lo, v14, v60, vcc_lo
	v_add_co_u32 v11, vcc_lo, v13, v61
	v_add_co_ci_u32_e32 v12, vcc_lo, v14, v62, vcc_lo
	s_waitcnt vmcnt(0)
	v_add_co_u32 v15, vcc_lo, s10, v5
	v_add_co_ci_u32_e32 v16, vcc_lo, s11, v6, vcc_lo
	v_add_co_u32 v5, vcc_lo, v13, v63
	v_add_co_ci_u32_e32 v6, vcc_lo, v14, v64, vcc_lo
	s_clause 0x1
	global_load_b128 v[45:48], v[7:8], off slc dlc
	global_load_b128 v[41:44], v[9:10], off slc dlc
	v_add_co_u32 v7, vcc_lo, v15, v57
	v_add_co_ci_u32_e32 v8, vcc_lo, v16, v58, vcc_lo
	v_add_co_u32 v9, vcc_lo, v15, v59
	v_add_co_ci_u32_e32 v10, vcc_lo, v16, v60, vcc_lo
	;; [unrolled: 2-line block ×4, first 2 shown]
	s_clause 0x5
	global_load_b128 v[37:40], v[11:12], off slc dlc
	global_load_b128 v[33:36], v[5:6], off slc dlc
	;; [unrolled: 1-line block ×6, first 2 shown]
	v_dual_mov_b32 v8, 0 :: v_dual_mov_b32 v7, 0
	v_dual_mov_b32 v6, 0 :: v_dual_mov_b32 v5, 0
	;; [unrolled: 1-line block ×3, first 2 shown]
	v_cmpx_gt_u32_e64 s16, v77
	s_cbranch_execz .LBB202_15
; %bb.27:                               ;   in Loop: Header=BB202_17 Depth=2
	v_subrev_nc_u32_e32 v5, s3, v77
	v_dual_mov_b32 v25, 0 :: v_dual_mov_b32 v28, 0
	v_dual_mov_b32 v27, 0 :: v_dual_mov_b32 v6, 0
	s_delay_alu instid0(VALU_DEP_3) | instskip(SKIP_2) | instid1(VALU_DEP_3)
	v_dual_mov_b32 v26, 0 :: v_dual_lshlrev_b32 v77, 1, v5
	v_dual_mov_b32 v5, 0 :: v_dual_mov_b32 v8, 0
	v_mov_b32_e32 v7, 0
	v_lshl_add_u32 v55, s24, 1, v77
	s_mov_b32 s36, exec_lo
	ds_load_b128 v[49:52], v77
	ds_load_b128 v[29:32], v55
	v_cmpx_gt_u32_e64 s16, v78
	s_cbranch_execz .LBB202_14
; %bb.28:                               ;   in Loop: Header=BB202_17 Depth=2
	ds_load_b128 v[25:28], v77 offset:512
	ds_load_b128 v[5:8], v55 offset:512
	s_branch .LBB202_14
.LBB202_29:                             ;   in Loop: Header=BB202_12 Depth=1
	s_mov_b32 s1, exec_lo
	v_cmpx_le_u32_e64 s19, v53
	s_xor_b32 s1, exec_lo, s1
; %bb.30:                               ;   in Loop: Header=BB202_12 Depth=1
	v_add_nc_u32_e32 v53, s29, v53
                                        ; implicit-def: $vgpr54
                                        ; implicit-def: $vgpr70
                                        ; implicit-def: $vgpr71
                                        ; implicit-def: $vgpr72
                                        ; implicit-def: $vgpr73
                                        ; implicit-def: $vgpr74
                                        ; implicit-def: $vgpr75
                                        ; implicit-def: $vgpr76
; %bb.31:                               ;   in Loop: Header=BB202_12 Depth=1
	s_and_not1_saveexec_b32 s36, s1
	s_cbranch_execz .LBB202_11
; %bb.32:                               ;   in Loop: Header=BB202_12 Depth=1
	v_cvt_i32_f32_e32 v5, v76
	v_cvt_i32_f32_e32 v6, v75
	;; [unrolled: 1-line block ×3, first 2 shown]
	s_waitcnt lgkmcnt(0)
	v_xor_b32_e32 v8, 16, v69
	v_cvt_i32_f32_e32 v9, v73
	v_cvt_f32_i32_dpp v5, v5 row_shr:8 row_mask:0xf bank_mask:0xf bound_ctrl:1
	v_cvt_f32_i32_dpp v6, v6 row_shr:8 row_mask:0xf bank_mask:0xf bound_ctrl:1
	;; [unrolled: 1-line block ×3, first 2 shown]
	v_cmp_gt_i32_e32 vcc_lo, 32, v8
	v_cvt_i32_f32_e32 v16, v54
	s_delay_alu instid0(VALU_DEP_4) | instskip(NEXT) | instid1(VALU_DEP_4)
	v_dual_add_f32 v5, v76, v5 :: v_dual_add_f32 v6, v75, v6
	v_dual_add_f32 v7, v74, v7 :: v_dual_cndmask_b32 v8, v69, v8
	v_cvt_i32_f32_e32 v10, v72
	s_delay_alu instid0(VALU_DEP_3) | instskip(NEXT) | instid1(VALU_DEP_4)
	v_cvt_i32_f32_e32 v12, v5
	v_cvt_i32_f32_e32 v13, v6
	s_delay_alu instid0(VALU_DEP_4)
	v_cvt_i32_f32_e32 v14, v7
	v_cvt_i32_f32_e32 v11, v71
	v_cvt_f32_i32_dpp v9, v9 row_shr:8 row_mask:0xf bank_mask:0xf bound_ctrl:1
	v_cvt_f32_i32_dpp v12, v12 row_shr:4 row_mask:0xf bank_mask:0xf bound_ctrl:1
	;; [unrolled: 1-line block ×6, first 2 shown]
	s_delay_alu instid0(VALU_DEP_4) | instskip(NEXT) | instid1(VALU_DEP_4)
	v_dual_add_f32 v5, v5, v12 :: v_dual_add_f32 v6, v6, v13
	v_dual_add_f32 v7, v7, v14 :: v_dual_lshlrev_b32 v8, 2, v8
	v_cvt_f32_i32_dpp v11, v11 row_shr:8 row_mask:0xf bank_mask:0xf bound_ctrl:1
	s_delay_alu instid0(VALU_DEP_3) | instskip(NEXT) | instid1(VALU_DEP_4)
	v_cvt_i32_f32_e32 v12, v5
	v_cvt_i32_f32_e32 v13, v6
	s_delay_alu instid0(VALU_DEP_4) | instskip(SKIP_1) | instid1(VALU_DEP_4)
	v_cvt_i32_f32_e32 v14, v7
	v_dual_add_f32 v9, v73, v9 :: v_dual_add_f32 v10, v72, v10
	v_cvt_f32_i32_dpp v12, v12 row_shr:2 row_mask:0xf bank_mask:0xf bound_ctrl:1
	s_delay_alu instid0(VALU_DEP_4) | instskip(NEXT) | instid1(VALU_DEP_4)
	v_cvt_f32_i32_dpp v13, v13 row_shr:2 row_mask:0xf bank_mask:0xf bound_ctrl:1
	v_cvt_f32_i32_dpp v14, v14 row_shr:2 row_mask:0xf bank_mask:0xf bound_ctrl:1
	s_waitcnt vmcnt(1)
	v_cvt_i32_f32_e32 v18, v9
	s_waitcnt vmcnt(0)
	v_cvt_i32_f32_e32 v15, v70
	v_dual_add_f32 v5, v5, v12 :: v_dual_add_f32 v6, v6, v13
	v_dual_add_f32 v7, v7, v14 :: v_dual_add_f32 v16, v54, v16
	s_delay_alu instid0(VALU_DEP_3) | instskip(NEXT) | instid1(VALU_DEP_3)
	v_cvt_f32_i32_dpp v15, v15 row_shr:8 row_mask:0xf bank_mask:0xf bound_ctrl:1
	v_cvt_i32_f32_e32 v12, v5
	s_delay_alu instid0(VALU_DEP_4) | instskip(NEXT) | instid1(VALU_DEP_4)
	v_cvt_i32_f32_e32 v13, v6
	v_cvt_i32_f32_e32 v14, v7
	s_delay_alu instid0(VALU_DEP_3) | instskip(SKIP_1) | instid1(VALU_DEP_4)
	v_cvt_f32_i32_dpp v12, v12 row_shr:1 row_mask:0xf bank_mask:0xf bound_ctrl:1
	v_add_f32_e32 v11, v71, v11
	v_cvt_f32_i32_dpp v13, v13 row_shr:1 row_mask:0xf bank_mask:0xf bound_ctrl:1
	s_delay_alu instid0(VALU_DEP_4) | instskip(NEXT) | instid1(VALU_DEP_4)
	v_cvt_f32_i32_dpp v14, v14 row_shr:1 row_mask:0xf bank_mask:0xf bound_ctrl:1
	v_add_f32_e32 v24, v5, v12
	v_cvt_i32_f32_e32 v12, v16
	v_cvt_i32_f32_e32 v5, v10
	ds_bpermute_b32 v25, v8, v24
	v_cvt_f32_i32_dpp v12, v12 row_shr:4 row_mask:0xf bank_mask:0xf bound_ctrl:1
	v_add_f32_e32 v21, v6, v13
	v_cvt_i32_f32_e32 v6, v11
	v_cvt_f32_i32_dpp v13, v18 row_shr:4 row_mask:0xf bank_mask:0xf bound_ctrl:1
	v_cvt_f32_i32_dpp v5, v5 row_shr:4 row_mask:0xf bank_mask:0xf bound_ctrl:1
	s_delay_alu instid0(VALU_DEP_3) | instskip(NEXT) | instid1(VALU_DEP_3)
	v_cvt_f32_i32_dpp v6, v6 row_shr:4 row_mask:0xf bank_mask:0xf bound_ctrl:1
	v_add_f32_e32 v9, v9, v13
	s_delay_alu instid0(VALU_DEP_2) | instskip(NEXT) | instid1(VALU_DEP_2)
	v_dual_add_f32 v15, v70, v15 :: v_dual_add_f32 v6, v11, v6
	v_cvt_i32_f32_e32 v11, v9
	s_delay_alu instid0(VALU_DEP_2) | instskip(NEXT) | instid1(VALU_DEP_2)
	v_cvt_i32_f32_e32 v13, v6
	v_cvt_f32_i32_dpp v11, v11 row_shr:2 row_mask:0xf bank_mask:0xf bound_ctrl:1
	s_delay_alu instid0(VALU_DEP_2) | instskip(NEXT) | instid1(VALU_DEP_2)
	v_cvt_f32_i32_dpp v13, v13 row_shr:2 row_mask:0xf bank_mask:0xf bound_ctrl:1
	v_add_f32_e32 v9, v9, v11
	s_delay_alu instid0(VALU_DEP_2) | instskip(NEXT) | instid1(VALU_DEP_2)
	v_add_f32_e32 v11, v6, v13
	v_cvt_i32_f32_e32 v6, v9
	s_delay_alu instid0(VALU_DEP_2) | instskip(NEXT) | instid1(VALU_DEP_2)
	v_cvt_i32_f32_e32 v13, v11
	v_cvt_f32_i32_dpp v6, v6 row_shr:1 row_mask:0xf bank_mask:0xf bound_ctrl:1
	v_dual_add_f32 v5, v10, v5 :: v_dual_add_f32 v10, v16, v12
	v_add_f32_e32 v17, v7, v14
	v_cvt_i32_f32_e32 v7, v15
	s_delay_alu instid0(VALU_DEP_4) | instskip(NEXT) | instid1(VALU_DEP_4)
	v_add_f32_e32 v6, v9, v6
	v_cvt_i32_f32_e32 v12, v5
	v_cvt_f32_i32_dpp v16, v13 row_shr:1 row_mask:0xf bank_mask:0xf bound_ctrl:1
	ds_bpermute_b32 v22, v8, v21
	v_cvt_f32_i32_dpp v7, v7 row_shr:4 row_mask:0xf bank_mask:0xf bound_ctrl:1
	v_cvt_f32_i32_dpp v12, v12 row_shr:2 row_mask:0xf bank_mask:0xf bound_ctrl:1
	v_add_f32_e32 v11, v11, v16
	ds_bpermute_b32 v16, v8, v6
	v_add_f32_e32 v7, v15, v7
	v_cvt_i32_f32_e32 v15, v10
	v_add_f32_e32 v5, v5, v12
	s_delay_alu instid0(VALU_DEP_3) | instskip(NEXT) | instid1(VALU_DEP_3)
	v_cvt_i32_f32_e32 v14, v7
	v_cvt_f32_i32_dpp v15, v15 row_shr:2 row_mask:0xf bank_mask:0xf bound_ctrl:1
	s_delay_alu instid0(VALU_DEP_3) | instskip(NEXT) | instid1(VALU_DEP_3)
	v_cvt_i32_f32_e32 v12, v5
	v_cvt_f32_i32_dpp v14, v14 row_shr:2 row_mask:0xf bank_mask:0xf bound_ctrl:1
	s_delay_alu instid0(VALU_DEP_3) | instskip(NEXT) | instid1(VALU_DEP_3)
	v_add_f32_e32 v10, v10, v15
	v_cvt_f32_i32_dpp v12, v12 row_shr:1 row_mask:0xf bank_mask:0xf bound_ctrl:1
	ds_bpermute_b32 v19, v8, v17
	v_add_f32_e32 v7, v7, v14
	v_cvt_i32_f32_e32 v15, v10
	v_add_f32_e32 v13, v5, v12
	ds_bpermute_b32 v12, v8, v11
	v_cvt_i32_f32_e32 v14, v7
	v_cvt_f32_i32_dpp v15, v15 row_shr:1 row_mask:0xf bank_mask:0xf bound_ctrl:1
	s_delay_alu instid0(VALU_DEP_2) | instskip(NEXT) | instid1(VALU_DEP_1)
	v_cvt_f32_i32_dpp v14, v14 row_shr:1 row_mask:0xf bank_mask:0xf bound_ctrl:1
	v_add_f32_e32 v9, v7, v14
	s_delay_alu instid0(VALU_DEP_3)
	v_add_f32_e32 v7, v10, v15
	ds_bpermute_b32 v14, v8, v13
	ds_bpermute_b32 v10, v8, v9
	;; [unrolled: 1-line block ×3, first 2 shown]
	s_and_saveexec_b32 s5, s0
	s_cbranch_execz .LBB202_83
; %bb.33:                               ;   in Loop: Header=BB202_12 Depth=1
	v_dual_mov_b32 v29, 0 :: v_dual_mov_b32 v28, 0
	v_dual_mov_b32 v26, 0 :: v_dual_add_nc_u32 v55, 2, v53
	v_dual_mov_b32 v20, 0 :: v_dual_add_nc_u32 v5, 3, v53
	v_dual_mov_b32 v27, 0 :: v_dual_mov_b32 v18, 0
	v_mov_b32_e32 v23, 0
	v_mov_b32_e32 v15, 0
	s_and_not1_b32 vcc_lo, exec_lo, s30
	s_cbranch_vccnz .LBB202_35
; %bb.34:                               ;   in Loop: Header=BB202_12 Depth=1
	v_mul_hi_u32 v15, v53, v68
	v_dual_mov_b32 v27, v56 :: v_dual_add_nc_u32 v18, 1, v53
	v_mul_hi_u32 v20, v55, v68
	v_mul_hi_u32 v23, v5, v68
	s_delay_alu instid0(VALU_DEP_3) | instskip(SKIP_1) | instid1(VALU_DEP_4)
	v_mul_hi_u32 v26, v18, v68
	v_mul_lo_u32 v15, v15, s8
	v_mul_lo_u32 v20, v20, s8
	s_delay_alu instid0(VALU_DEP_4) | instskip(NEXT) | instid1(VALU_DEP_4)
	v_mul_lo_u32 v23, v23, s8
	v_mul_lo_u32 v26, v26, s8
	s_delay_alu instid0(VALU_DEP_4) | instskip(NEXT) | instid1(VALU_DEP_4)
	v_sub_nc_u32_e32 v15, v53, v15
	v_sub_nc_u32_e32 v20, v55, v20
	s_delay_alu instid0(VALU_DEP_4) | instskip(NEXT) | instid1(VALU_DEP_3)
	v_sub_nc_u32_e32 v23, v5, v23
	v_subrev_nc_u32_e32 v28, s8, v15
	v_cmp_le_u32_e32 vcc_lo, s8, v15
	v_sub_nc_u32_e32 v18, v18, v26
	v_subrev_nc_u32_e32 v26, s8, v20
	v_subrev_nc_u32_e32 v30, s8, v23
	v_cndmask_b32_e32 v15, v15, v28, vcc_lo
	v_cmp_le_u32_e32 vcc_lo, s8, v20
	v_subrev_nc_u32_e32 v28, s8, v18
	v_cndmask_b32_e32 v20, v20, v26, vcc_lo
	v_cmp_le_u32_e32 vcc_lo, s8, v23
	;; [unrolled: 3-line block ×3, first 2 shown]
	v_dual_mov_b32 v29, v56 :: v_dual_cndmask_b32 v18, v18, v28
	v_cmp_le_u32_e32 vcc_lo, s8, v15
	v_mov_b32_e32 v31, v56
	v_subrev_nc_u32_e32 v28, s8, v20
	v_cndmask_b32_e32 v26, v15, v26, vcc_lo
	v_cmp_le_u32_e32 vcc_lo, s8, v20
	v_subrev_nc_u32_e32 v15, s8, v18
	s_delay_alu instid0(VALU_DEP_3) | instskip(SKIP_4) | instid1(VALU_DEP_4)
	v_lshlrev_b64 v[34:35], 1, v[26:27]
	v_cndmask_b32_e32 v30, v20, v28, vcc_lo
	v_subrev_nc_u32_e32 v32, s8, v23
	v_cmp_le_u32_e32 vcc_lo, s8, v23
	v_dual_mov_b32 v33, v56 :: v_dual_add_nc_u32 v26, s33, v26
	v_lshlrev_b64 v[36:37], 1, v[30:31]
	v_add_nc_u32_e32 v30, s33, v30
	v_cndmask_b32_e32 v32, v23, v32, vcc_lo
	v_cmp_le_u32_e32 vcc_lo, s8, v18
	v_lshlrev_b64 v[26:27], 1, v[26:27]
	s_delay_alu instid0(VALU_DEP_3) | instskip(SKIP_3) | instid1(VALU_DEP_3)
	v_lshlrev_b64 v[38:39], 1, v[32:33]
	v_cndmask_b32_e32 v28, v18, v15, vcc_lo
	v_add_co_u32 v33, vcc_lo, s14, v34
	v_add_co_ci_u32_e32 v34, vcc_lo, s15, v35, vcc_lo
	v_lshlrev_b64 v[40:41], 1, v[28:29]
	v_add_nc_u32_e32 v28, s33, v28
	s_delay_alu instid0(VALU_DEP_2) | instskip(NEXT) | instid1(VALU_DEP_3)
	v_add_co_u32 v40, vcc_lo, s14, v40
	v_add_co_ci_u32_e32 v41, vcc_lo, s15, v41, vcc_lo
	v_add_co_u32 v35, vcc_lo, s14, v36
	v_add_co_ci_u32_e32 v36, vcc_lo, s15, v37, vcc_lo
	;; [unrolled: 2-line block ×3, first 2 shown]
	v_lshlrev_b64 v[28:29], 1, v[28:29]
	v_add_co_u32 v42, vcc_lo, s14, v26
	v_add_co_ci_u32_e32 v43, vcc_lo, s15, v27, vcc_lo
	v_lshlrev_b64 v[26:27], 1, v[30:31]
	v_add_nc_u32_e32 v30, s33, v32
	v_add_co_u32 v44, vcc_lo, s14, v28
	v_add_co_ci_u32_e32 v45, vcc_lo, s15, v29, vcc_lo
	s_delay_alu instid0(VALU_DEP_3) | instskip(SKIP_2) | instid1(VALU_DEP_3)
	v_lshlrev_b64 v[28:29], 1, v[30:31]
	v_add_co_u32 v30, vcc_lo, s14, v26
	v_add_co_ci_u32_e32 v31, vcc_lo, s15, v27, vcc_lo
	v_add_co_u32 v46, vcc_lo, s14, v28
	s_delay_alu instid0(VALU_DEP_4)
	v_add_co_ci_u32_e32 v47, vcc_lo, s15, v29, vcc_lo
	s_clause 0x7
	global_load_u16 v29, v[33:34], off
	global_load_u16 v28, v[40:41], off
	;; [unrolled: 1-line block ×8, first 2 shown]
.LBB202_35:                             ;   in Loop: Header=BB202_12 Depth=1
	v_cmp_ne_u32_e32 vcc_lo, 0, v1
	s_and_saveexec_b32 s2, vcc_lo
	s_cbranch_execnz .LBB202_43
; %bb.36:                               ;   in Loop: Header=BB202_12 Depth=1
	s_or_b32 exec_lo, exec_lo, s2
	v_cmp_ne_u32_e64 s1, 0, v2
	s_delay_alu instid0(VALU_DEP_1)
	s_and_saveexec_b32 s3, s1
	s_cbranch_execnz .LBB202_48
.LBB202_37:                             ;   in Loop: Header=BB202_12 Depth=1
	s_or_b32 exec_lo, exec_lo, s3
	v_cmp_ne_u32_e64 s2, 0, v3
	s_delay_alu instid0(VALU_DEP_1)
	s_and_saveexec_b32 s4, s2
	s_cbranch_execnz .LBB202_53
.LBB202_38:                             ;   in Loop: Header=BB202_12 Depth=1
	s_or_b32 exec_lo, exec_lo, s4
	v_cmp_ne_u32_e64 s3, 0, v4
	s_delay_alu instid0(VALU_DEP_1)
	s_and_saveexec_b32 s37, s3
	s_cbranch_execnz .LBB202_58
.LBB202_39:                             ;   in Loop: Header=BB202_12 Depth=1
	s_or_b32 exec_lo, exec_lo, s37
	v_add_nc_u32_e32 v55, s19, v53
	s_and_saveexec_b32 s4, vcc_lo
	s_cbranch_execnz .LBB202_63
.LBB202_40:                             ;   in Loop: Header=BB202_12 Depth=1
	s_or_b32 exec_lo, exec_lo, s4
	s_and_saveexec_b32 s4, s1
	s_cbranch_execnz .LBB202_68
.LBB202_41:                             ;   in Loop: Header=BB202_12 Depth=1
	s_or_b32 exec_lo, exec_lo, s4
	s_and_saveexec_b32 s1, s2
	s_cbranch_execnz .LBB202_73
.LBB202_42:                             ;   in Loop: Header=BB202_12 Depth=1
	s_or_b32 exec_lo, exec_lo, s1
	s_delay_alu instid0(SALU_CYCLE_1)
	s_and_b32 exec_lo, exec_lo, s3
	s_cbranch_execnz .LBB202_78
	s_branch .LBB202_83
.LBB202_43:                             ;   in Loop: Header=BB202_12 Depth=1
	s_waitcnt lgkmcnt(7)
	v_add_f32_e32 v24, v24, v25
	s_waitcnt vmcnt(7)
	v_lshlrev_b32_e32 v25, 16, v29
	s_delay_alu instid0(VALU_DEP_1) | instskip(NEXT) | instid1(VALU_DEP_1)
	v_add_f32_e32 v25, v24, v25
	v_and_b32_e32 v24, 0x7f800000, v25
	s_delay_alu instid0(VALU_DEP_1) | instskip(NEXT) | instid1(VALU_DEP_1)
	v_cmp_ne_u32_e64 s1, 0x7f800000, v24
                                        ; implicit-def: $vgpr24
	s_and_saveexec_b32 s3, s1
	s_delay_alu instid0(SALU_CYCLE_1)
	s_xor_b32 s1, exec_lo, s3
; %bb.44:                               ;   in Loop: Header=BB202_12 Depth=1
	v_bfe_u32 v24, v25, 16, 1
	s_delay_alu instid0(VALU_DEP_1)
	v_add3_u32 v24, v25, v24, 0x7fff
                                        ; implicit-def: $vgpr25
; %bb.45:                               ;   in Loop: Header=BB202_12 Depth=1
	s_and_not1_saveexec_b32 s3, s1
; %bb.46:                               ;   in Loop: Header=BB202_12 Depth=1
	v_and_b32_e32 v24, 0xffff, v25
	v_or_b32_e32 v29, 0x10000, v25
	s_delay_alu instid0(VALU_DEP_2) | instskip(NEXT) | instid1(VALU_DEP_1)
	v_cmp_eq_u32_e64 s1, 0, v24
	v_cndmask_b32_e64 v24, v29, v25, s1
; %bb.47:                               ;   in Loop: Header=BB202_12 Depth=1
	s_or_b32 exec_lo, exec_lo, s3
	v_mov_b32_e32 v54, v56
	s_delay_alu instid0(VALU_DEP_1) | instskip(NEXT) | instid1(VALU_DEP_1)
	v_lshlrev_b64 v[29:30], 1, v[53:54]
	v_add_co_u32 v29, s1, s6, v29
	s_delay_alu instid0(VALU_DEP_1) | instskip(SKIP_3) | instid1(VALU_DEP_1)
	v_add_co_ci_u32_e64 v30, s1, s7, v30, s1
	global_store_d16_hi_b16 v[29:30], v24, off
	s_or_b32 exec_lo, exec_lo, s2
	v_cmp_ne_u32_e64 s1, 0, v2
	s_and_saveexec_b32 s3, s1
	s_cbranch_execz .LBB202_37
.LBB202_48:                             ;   in Loop: Header=BB202_12 Depth=1
	s_waitcnt vmcnt(6) lgkmcnt(6)
	v_dual_add_f32 v21, v21, v22 :: v_dual_lshlrev_b32 v22, 16, v28
	s_delay_alu instid0(VALU_DEP_1) | instskip(NEXT) | instid1(VALU_DEP_1)
	v_add_f32_e32 v22, v21, v22
	v_and_b32_e32 v21, 0x7f800000, v22
	s_delay_alu instid0(VALU_DEP_1) | instskip(NEXT) | instid1(VALU_DEP_1)
	v_cmp_ne_u32_e64 s2, 0x7f800000, v21
                                        ; implicit-def: $vgpr21
	s_and_saveexec_b32 s4, s2
	s_delay_alu instid0(SALU_CYCLE_1)
	s_xor_b32 s2, exec_lo, s4
; %bb.49:                               ;   in Loop: Header=BB202_12 Depth=1
	v_bfe_u32 v21, v22, 16, 1
	s_delay_alu instid0(VALU_DEP_1)
	v_add3_u32 v21, v22, v21, 0x7fff
                                        ; implicit-def: $vgpr22
; %bb.50:                               ;   in Loop: Header=BB202_12 Depth=1
	s_and_not1_saveexec_b32 s4, s2
; %bb.51:                               ;   in Loop: Header=BB202_12 Depth=1
	v_and_b32_e32 v21, 0xffff, v22
	v_or_b32_e32 v24, 0x10000, v22
	s_delay_alu instid0(VALU_DEP_2) | instskip(NEXT) | instid1(VALU_DEP_1)
	v_cmp_eq_u32_e64 s2, 0, v21
	v_cndmask_b32_e64 v21, v24, v22, s2
; %bb.52:                               ;   in Loop: Header=BB202_12 Depth=1
	s_or_b32 exec_lo, exec_lo, s4
	v_mov_b32_e32 v54, v56
	s_delay_alu instid0(VALU_DEP_1) | instskip(NEXT) | instid1(VALU_DEP_1)
	v_lshlrev_b64 v[24:25], 1, v[53:54]
	v_add_co_u32 v24, s2, s31, v24
	s_delay_alu instid0(VALU_DEP_1) | instskip(SKIP_3) | instid1(VALU_DEP_1)
	v_add_co_ci_u32_e64 v25, s2, s34, v25, s2
	global_store_d16_hi_b16 v[24:25], v21, off
	s_or_b32 exec_lo, exec_lo, s3
	v_cmp_ne_u32_e64 s2, 0, v3
	s_and_saveexec_b32 s4, s2
	s_cbranch_execz .LBB202_38
.LBB202_53:                             ;   in Loop: Header=BB202_12 Depth=1
	s_waitcnt lgkmcnt(4)
	v_add_f32_e32 v17, v17, v19
	s_waitcnt vmcnt(5)
	v_lshlrev_b32_e32 v19, 16, v27
	s_delay_alu instid0(VALU_DEP_1) | instskip(NEXT) | instid1(VALU_DEP_1)
	v_add_f32_e32 v19, v17, v19
	v_and_b32_e32 v17, 0x7f800000, v19
	s_delay_alu instid0(VALU_DEP_1) | instskip(NEXT) | instid1(VALU_DEP_1)
	v_cmp_ne_u32_e64 s3, 0x7f800000, v17
                                        ; implicit-def: $vgpr17
	s_and_saveexec_b32 s37, s3
	s_delay_alu instid0(SALU_CYCLE_1)
	s_xor_b32 s3, exec_lo, s37
; %bb.54:                               ;   in Loop: Header=BB202_12 Depth=1
	v_bfe_u32 v17, v19, 16, 1
	s_delay_alu instid0(VALU_DEP_1)
	v_add3_u32 v17, v19, v17, 0x7fff
                                        ; implicit-def: $vgpr19
; %bb.55:                               ;   in Loop: Header=BB202_12 Depth=1
	s_and_not1_saveexec_b32 s37, s3
; %bb.56:                               ;   in Loop: Header=BB202_12 Depth=1
	v_and_b32_e32 v17, 0xffff, v19
	v_or_b32_e32 v21, 0x10000, v19
	s_delay_alu instid0(VALU_DEP_2) | instskip(NEXT) | instid1(VALU_DEP_1)
	v_cmp_eq_u32_e64 s3, 0, v17
	v_cndmask_b32_e64 v17, v21, v19, s3
; %bb.57:                               ;   in Loop: Header=BB202_12 Depth=1
	s_or_b32 exec_lo, exec_lo, s37
	v_lshlrev_b64 v[21:22], 1, v[55:56]
	s_delay_alu instid0(VALU_DEP_1) | instskip(NEXT) | instid1(VALU_DEP_1)
	v_add_co_u32 v21, s3, s6, v21
	v_add_co_ci_u32_e64 v22, s3, s7, v22, s3
	global_store_d16_hi_b16 v[21:22], v17, off
	s_or_b32 exec_lo, exec_lo, s4
	v_cmp_ne_u32_e64 s3, 0, v4
	s_delay_alu instid0(VALU_DEP_1)
	s_and_saveexec_b32 s37, s3
	s_cbranch_execz .LBB202_39
.LBB202_58:                             ;   in Loop: Header=BB202_12 Depth=1
	s_waitcnt lgkmcnt(5)
	v_add_f32_e32 v6, v6, v16
	s_waitcnt vmcnt(4)
	v_lshlrev_b32_e32 v16, 16, v26
	s_delay_alu instid0(VALU_DEP_1) | instskip(NEXT) | instid1(VALU_DEP_1)
	v_add_f32_e32 v6, v6, v16
	v_and_b32_e32 v16, 0x7f800000, v6
	s_delay_alu instid0(VALU_DEP_1) | instskip(NEXT) | instid1(VALU_DEP_1)
	v_cmp_ne_u32_e64 s4, 0x7f800000, v16
                                        ; implicit-def: $vgpr16
	s_and_saveexec_b32 s38, s4
	s_delay_alu instid0(SALU_CYCLE_1)
	s_xor_b32 s4, exec_lo, s38
; %bb.59:                               ;   in Loop: Header=BB202_12 Depth=1
	v_bfe_u32 v16, v6, 16, 1
	s_delay_alu instid0(VALU_DEP_1)
	v_add3_u32 v16, v6, v16, 0x7fff
                                        ; implicit-def: $vgpr6
; %bb.60:                               ;   in Loop: Header=BB202_12 Depth=1
	s_and_not1_saveexec_b32 s38, s4
; %bb.61:                               ;   in Loop: Header=BB202_12 Depth=1
	v_and_b32_e32 v16, 0xffff, v6
	v_or_b32_e32 v17, 0x10000, v6
	s_delay_alu instid0(VALU_DEP_2) | instskip(NEXT) | instid1(VALU_DEP_1)
	v_cmp_eq_u32_e64 s4, 0, v16
	v_cndmask_b32_e64 v16, v17, v6, s4
; %bb.62:                               ;   in Loop: Header=BB202_12 Depth=1
	s_or_b32 exec_lo, exec_lo, s38
	v_mov_b32_e32 v6, v56
	s_delay_alu instid0(VALU_DEP_1) | instskip(NEXT) | instid1(VALU_DEP_1)
	v_lshlrev_b64 v[5:6], 1, v[5:6]
	v_add_co_u32 v5, s4, s6, v5
	s_delay_alu instid0(VALU_DEP_1)
	v_add_co_ci_u32_e64 v6, s4, s7, v6, s4
	global_store_d16_hi_b16 v[5:6], v16, off
	s_or_b32 exec_lo, exec_lo, s37
	v_add_nc_u32_e32 v55, s19, v53
	s_and_saveexec_b32 s4, vcc_lo
	s_cbranch_execz .LBB202_40
.LBB202_63:                             ;   in Loop: Header=BB202_12 Depth=1
	s_waitcnt vmcnt(3) lgkmcnt(2)
	v_dual_add_f32 v5, v13, v14 :: v_dual_lshlrev_b32 v6, 16, v23
	s_delay_alu instid0(VALU_DEP_1) | instskip(NEXT) | instid1(VALU_DEP_1)
	v_add_f32_e32 v6, v5, v6
	v_and_b32_e32 v5, 0x7f800000, v6
	s_delay_alu instid0(VALU_DEP_1) | instskip(SKIP_1) | instid1(SALU_CYCLE_1)
	v_cmp_ne_u32_e32 vcc_lo, 0x7f800000, v5
                                        ; implicit-def: $vgpr5
	s_and_saveexec_b32 s37, vcc_lo
	s_xor_b32 s37, exec_lo, s37
; %bb.64:                               ;   in Loop: Header=BB202_12 Depth=1
	v_bfe_u32 v5, v6, 16, 1
	s_delay_alu instid0(VALU_DEP_1)
	v_add3_u32 v5, v6, v5, 0x7fff
                                        ; implicit-def: $vgpr6
; %bb.65:                               ;   in Loop: Header=BB202_12 Depth=1
	s_and_not1_saveexec_b32 s37, s37
; %bb.66:                               ;   in Loop: Header=BB202_12 Depth=1
	v_and_b32_e32 v5, 0xffff, v6
	v_or_b32_e32 v13, 0x10000, v6
	s_delay_alu instid0(VALU_DEP_2) | instskip(NEXT) | instid1(VALU_DEP_2)
	v_cmp_eq_u32_e32 vcc_lo, 0, v5
	v_cndmask_b32_e32 v5, v13, v6, vcc_lo
; %bb.67:                               ;   in Loop: Header=BB202_12 Depth=1
	s_or_b32 exec_lo, exec_lo, s37
	v_lshlrev_b64 v[13:14], 1, v[55:56]
	s_delay_alu instid0(VALU_DEP_1) | instskip(NEXT) | instid1(VALU_DEP_2)
	v_add_co_u32 v13, vcc_lo, s6, v13
	v_add_co_ci_u32_e32 v14, vcc_lo, s7, v14, vcc_lo
	global_store_d16_hi_b16 v[13:14], v5, off
	s_or_b32 exec_lo, exec_lo, s4
	s_and_saveexec_b32 s4, s1
	s_cbranch_execz .LBB202_41
.LBB202_68:                             ;   in Loop: Header=BB202_12 Depth=1
	s_waitcnt lgkmcnt(3)
	v_add_f32_e32 v5, v11, v12
	s_waitcnt vmcnt(2)
	v_lshlrev_b32_e32 v6, 16, v20
	s_delay_alu instid0(VALU_DEP_1) | instskip(NEXT) | instid1(VALU_DEP_1)
	v_add_f32_e32 v6, v5, v6
	v_and_b32_e32 v5, 0x7f800000, v6
	s_delay_alu instid0(VALU_DEP_1) | instskip(SKIP_1) | instid1(SALU_CYCLE_1)
	v_cmp_ne_u32_e32 vcc_lo, 0x7f800000, v5
                                        ; implicit-def: $vgpr5
	s_and_saveexec_b32 s1, vcc_lo
	s_xor_b32 s1, exec_lo, s1
; %bb.69:                               ;   in Loop: Header=BB202_12 Depth=1
	v_bfe_u32 v5, v6, 16, 1
	s_delay_alu instid0(VALU_DEP_1)
	v_add3_u32 v5, v6, v5, 0x7fff
                                        ; implicit-def: $vgpr6
; %bb.70:                               ;   in Loop: Header=BB202_12 Depth=1
	s_and_not1_saveexec_b32 s1, s1
; %bb.71:                               ;   in Loop: Header=BB202_12 Depth=1
	v_and_b32_e32 v5, 0xffff, v6
	v_or_b32_e32 v11, 0x10000, v6
	s_delay_alu instid0(VALU_DEP_2) | instskip(NEXT) | instid1(VALU_DEP_2)
	v_cmp_eq_u32_e32 vcc_lo, 0, v5
	v_cndmask_b32_e32 v5, v11, v6, vcc_lo
; %bb.72:                               ;   in Loop: Header=BB202_12 Depth=1
	s_or_b32 exec_lo, exec_lo, s1
	v_dual_mov_b32 v12, v56 :: v_dual_add_nc_u32 v11, 1, v55
	s_delay_alu instid0(VALU_DEP_1) | instskip(NEXT) | instid1(VALU_DEP_1)
	v_lshlrev_b64 v[11:12], 1, v[11:12]
	v_add_co_u32 v11, vcc_lo, s6, v11
	s_delay_alu instid0(VALU_DEP_2)
	v_add_co_ci_u32_e32 v12, vcc_lo, s7, v12, vcc_lo
	global_store_d16_hi_b16 v[11:12], v5, off
	s_or_b32 exec_lo, exec_lo, s4
	s_and_saveexec_b32 s1, s2
	s_cbranch_execz .LBB202_42
.LBB202_73:                             ;   in Loop: Header=BB202_12 Depth=1
	s_waitcnt lgkmcnt(1)
	v_add_f32_e32 v5, v9, v10
	s_waitcnt vmcnt(1)
	v_lshlrev_b32_e32 v6, 16, v18
	s_delay_alu instid0(VALU_DEP_1) | instskip(NEXT) | instid1(VALU_DEP_1)
	v_add_f32_e32 v6, v5, v6
	v_and_b32_e32 v5, 0x7f800000, v6
	s_delay_alu instid0(VALU_DEP_1) | instskip(SKIP_1) | instid1(SALU_CYCLE_1)
	v_cmp_ne_u32_e32 vcc_lo, 0x7f800000, v5
                                        ; implicit-def: $vgpr5
	s_and_saveexec_b32 s2, vcc_lo
	s_xor_b32 s2, exec_lo, s2
; %bb.74:                               ;   in Loop: Header=BB202_12 Depth=1
	v_bfe_u32 v5, v6, 16, 1
	s_delay_alu instid0(VALU_DEP_1)
	v_add3_u32 v5, v6, v5, 0x7fff
                                        ; implicit-def: $vgpr6
; %bb.75:                               ;   in Loop: Header=BB202_12 Depth=1
	s_and_not1_saveexec_b32 s2, s2
; %bb.76:                               ;   in Loop: Header=BB202_12 Depth=1
	v_and_b32_e32 v5, 0xffff, v6
	v_or_b32_e32 v9, 0x10000, v6
	s_delay_alu instid0(VALU_DEP_2) | instskip(NEXT) | instid1(VALU_DEP_2)
	v_cmp_eq_u32_e32 vcc_lo, 0, v5
	v_cndmask_b32_e32 v5, v9, v6, vcc_lo
; %bb.77:                               ;   in Loop: Header=BB202_12 Depth=1
	s_or_b32 exec_lo, exec_lo, s2
	v_dual_mov_b32 v10, v56 :: v_dual_add_nc_u32 v9, 2, v55
	s_delay_alu instid0(VALU_DEP_1) | instskip(NEXT) | instid1(VALU_DEP_1)
	v_lshlrev_b64 v[9:10], 1, v[9:10]
	v_add_co_u32 v9, vcc_lo, s6, v9
	s_delay_alu instid0(VALU_DEP_2) | instskip(SKIP_2) | instid1(SALU_CYCLE_1)
	v_add_co_ci_u32_e32 v10, vcc_lo, s7, v10, vcc_lo
	global_store_d16_hi_b16 v[9:10], v5, off
	s_or_b32 exec_lo, exec_lo, s1
	s_and_b32 exec_lo, exec_lo, s3
	s_cbranch_execz .LBB202_83
.LBB202_78:                             ;   in Loop: Header=BB202_12 Depth=1
	s_waitcnt vmcnt(0) lgkmcnt(0)
	v_dual_add_f32 v5, v7, v8 :: v_dual_lshlrev_b32 v6, 16, v15
	s_delay_alu instid0(VALU_DEP_1) | instskip(NEXT) | instid1(VALU_DEP_1)
	v_add_f32_e32 v6, v5, v6
	v_and_b32_e32 v5, 0x7f800000, v6
	s_delay_alu instid0(VALU_DEP_1) | instskip(SKIP_1) | instid1(SALU_CYCLE_1)
	v_cmp_ne_u32_e32 vcc_lo, 0x7f800000, v5
                                        ; implicit-def: $vgpr5
	s_and_saveexec_b32 s1, vcc_lo
	s_xor_b32 s1, exec_lo, s1
; %bb.79:                               ;   in Loop: Header=BB202_12 Depth=1
	v_bfe_u32 v5, v6, 16, 1
	s_delay_alu instid0(VALU_DEP_1)
	v_add3_u32 v5, v6, v5, 0x7fff
                                        ; implicit-def: $vgpr6
; %bb.80:                               ;   in Loop: Header=BB202_12 Depth=1
	s_and_not1_saveexec_b32 s1, s1
; %bb.81:                               ;   in Loop: Header=BB202_12 Depth=1
	v_and_b32_e32 v5, 0xffff, v6
	v_or_b32_e32 v7, 0x10000, v6
	s_delay_alu instid0(VALU_DEP_2) | instskip(NEXT) | instid1(VALU_DEP_2)
	v_cmp_eq_u32_e32 vcc_lo, 0, v5
	v_cndmask_b32_e32 v5, v7, v6, vcc_lo
; %bb.82:                               ;   in Loop: Header=BB202_12 Depth=1
	s_or_b32 exec_lo, exec_lo, s1
	v_add_nc_u32_e32 v55, 3, v55
	s_delay_alu instid0(VALU_DEP_1) | instskip(NEXT) | instid1(VALU_DEP_1)
	v_lshlrev_b64 v[6:7], 1, v[55:56]
	v_add_co_u32 v6, vcc_lo, s6, v6
	s_delay_alu instid0(VALU_DEP_2)
	v_add_co_ci_u32_e32 v7, vcc_lo, s7, v7, vcc_lo
	global_store_d16_hi_b16 v[6:7], v5, off
.LBB202_83:                             ;   in Loop: Header=BB202_12 Depth=1
	s_or_b32 exec_lo, exec_lo, s5
	v_add_nc_u32_e32 v53, s29, v53
	s_delay_alu instid0(VALU_DEP_1) | instskip(SKIP_1) | instid1(VALU_DEP_2)
	v_add_nc_u32_e32 v5, 4, v53
	v_cmp_gt_u32_e32 vcc_lo, s19, v53
	v_cmp_le_u32_e64 s1, s19, v5
	s_delay_alu instid0(VALU_DEP_1) | instskip(NEXT) | instid1(SALU_CYCLE_1)
	s_and_b32 s1, vcc_lo, s1
	s_and_saveexec_b32 s37, s1
	s_cbranch_execz .LBB202_10
; %bb.84:                               ;   in Loop: Header=BB202_12 Depth=1
	s_mov_b32 s38, exec_lo
	v_cmpx_ne_u32_e64 s9, v53
	s_cbranch_execz .LBB202_9
; %bb.85:                               ;   in Loop: Header=BB202_12 Depth=1
	v_subrev_nc_u32_e32 v5, s9, v53
	s_mov_b32 s39, 0
	s_mov_b64 s[4:5], 0
	s_delay_alu instid0(VALU_DEP_1)
	v_cmp_lt_u32_e32 vcc_lo, 1, v5
	v_cndmask_b32_e32 v5, 1, v5, vcc_lo
	.p2align	6
.LBB202_86:                             ;   Parent Loop BB202_12 Depth=1
                                        ; =>  This Inner Loop Header: Depth=2
	s_cmp_lg_u32 s4, 3
	s_cselect_b32 vcc_lo, -1, 0
	s_cmp_lg_u32 s4, 2
	v_cndmask_b32_e32 v4, 0, v4, vcc_lo
	s_cselect_b32 s1, -1, 0
	s_cmp_lg_u32 s4, 1
	v_cndmask_b32_e64 v3, 0, v3, s1
	s_cselect_b32 s2, -1, 0
	s_cmp_lg_u32 s4, 0
	v_cndmask_b32_e64 v2, 0, v2, s2
	s_cselect_b32 s3, -1, 0
	s_add_u32 s4, s4, 1
	v_cndmask_b32_e64 v1, 0, v1, s3
	v_cmp_eq_u32_e32 vcc_lo, s4, v5
	s_addc_u32 s5, s5, 0
	s_or_b32 s39, vcc_lo, s39
	s_delay_alu instid0(SALU_CYCLE_1)
	s_and_not1_b32 exec_lo, exec_lo, s39
	s_cbranch_execnz .LBB202_86
; %bb.87:                               ;   in Loop: Header=BB202_12 Depth=1
	s_or_b32 exec_lo, exec_lo, s39
	s_branch .LBB202_9
.LBB202_88:
	s_nop 0
	s_sendmsg sendmsg(MSG_DEALLOC_VGPRS)
	s_endpgm
	.section	.rodata,"a",@progbits
	.p2align	6, 0x0
	.amdhsa_kernel _Z16wvSplitK_hf_big_I14__hip_bfloat16Li32ELi4ELi16ELi8ELi2ELi2EEviiiiiiPKT_S3_S3_PS1_ii
		.amdhsa_group_segment_fixed_size 65536
		.amdhsa_private_segment_fixed_size 0
		.amdhsa_kernarg_size 64
		.amdhsa_user_sgpr_count 15
		.amdhsa_user_sgpr_dispatch_ptr 0
		.amdhsa_user_sgpr_queue_ptr 0
		.amdhsa_user_sgpr_kernarg_segment_ptr 1
		.amdhsa_user_sgpr_dispatch_id 0
		.amdhsa_user_sgpr_private_segment_size 0
		.amdhsa_wavefront_size32 1
		.amdhsa_uses_dynamic_stack 0
		.amdhsa_enable_private_segment 0
		.amdhsa_system_sgpr_workgroup_id_x 1
		.amdhsa_system_sgpr_workgroup_id_y 0
		.amdhsa_system_sgpr_workgroup_id_z 0
		.amdhsa_system_sgpr_workgroup_info 0
		.amdhsa_system_vgpr_workitem_id 1
		.amdhsa_next_free_vgpr 96
		.amdhsa_next_free_sgpr 40
		.amdhsa_reserve_vcc 1
		.amdhsa_float_round_mode_32 0
		.amdhsa_float_round_mode_16_64 0
		.amdhsa_float_denorm_mode_32 3
		.amdhsa_float_denorm_mode_16_64 3
		.amdhsa_dx10_clamp 1
		.amdhsa_ieee_mode 1
		.amdhsa_fp16_overflow 0
		.amdhsa_workgroup_processor_mode 1
		.amdhsa_memory_ordered 1
		.amdhsa_forward_progress 0
		.amdhsa_shared_vgpr_count 0
		.amdhsa_exception_fp_ieee_invalid_op 0
		.amdhsa_exception_fp_denorm_src 0
		.amdhsa_exception_fp_ieee_div_zero 0
		.amdhsa_exception_fp_ieee_overflow 0
		.amdhsa_exception_fp_ieee_underflow 0
		.amdhsa_exception_fp_ieee_inexact 0
		.amdhsa_exception_int_div_zero 0
	.end_amdhsa_kernel
	.section	.text._Z16wvSplitK_hf_big_I14__hip_bfloat16Li32ELi4ELi16ELi8ELi2ELi2EEviiiiiiPKT_S3_S3_PS1_ii,"axG",@progbits,_Z16wvSplitK_hf_big_I14__hip_bfloat16Li32ELi4ELi16ELi8ELi2ELi2EEviiiiiiPKT_S3_S3_PS1_ii,comdat
.Lfunc_end202:
	.size	_Z16wvSplitK_hf_big_I14__hip_bfloat16Li32ELi4ELi16ELi8ELi2ELi2EEviiiiiiPKT_S3_S3_PS1_ii, .Lfunc_end202-_Z16wvSplitK_hf_big_I14__hip_bfloat16Li32ELi4ELi16ELi8ELi2ELi2EEviiiiiiPKT_S3_S3_PS1_ii
                                        ; -- End function
	.section	.AMDGPU.csdata,"",@progbits
; Kernel info:
; codeLenInByte = 6336
; NumSgprs: 42
; NumVgprs: 96
; ScratchSize: 0
; MemoryBound: 0
; FloatMode: 240
; IeeeMode: 1
; LDSByteSize: 65536 bytes/workgroup (compile time only)
; SGPRBlocks: 5
; VGPRBlocks: 11
; NumSGPRsForWavesPerEU: 42
; NumVGPRsForWavesPerEU: 96
; Occupancy: 8
; WaveLimiterHint : 0
; COMPUTE_PGM_RSRC2:SCRATCH_EN: 0
; COMPUTE_PGM_RSRC2:USER_SGPR: 15
; COMPUTE_PGM_RSRC2:TRAP_HANDLER: 0
; COMPUTE_PGM_RSRC2:TGID_X_EN: 1
; COMPUTE_PGM_RSRC2:TGID_Y_EN: 0
; COMPUTE_PGM_RSRC2:TGID_Z_EN: 0
; COMPUTE_PGM_RSRC2:TIDIG_COMP_CNT: 1
	.section	.text._Z16wvSplitK_hf_sml_I14__hip_bfloat16Li64ELi1ELi16ELi8ELi4ELi2EEviiiiiiPKT_S3_S3_PS1_ii,"axG",@progbits,_Z16wvSplitK_hf_sml_I14__hip_bfloat16Li64ELi1ELi16ELi8ELi4ELi2EEviiiiiiPKT_S3_S3_PS1_ii,comdat
	.protected	_Z16wvSplitK_hf_sml_I14__hip_bfloat16Li64ELi1ELi16ELi8ELi4ELi2EEviiiiiiPKT_S3_S3_PS1_ii ; -- Begin function _Z16wvSplitK_hf_sml_I14__hip_bfloat16Li64ELi1ELi16ELi8ELi4ELi2EEviiiiiiPKT_S3_S3_PS1_ii
	.globl	_Z16wvSplitK_hf_sml_I14__hip_bfloat16Li64ELi1ELi16ELi8ELi4ELi2EEviiiiiiPKT_S3_S3_PS1_ii
	.p2align	8
	.type	_Z16wvSplitK_hf_sml_I14__hip_bfloat16Li64ELi1ELi16ELi8ELi4ELi2EEviiiiiiPKT_S3_S3_PS1_ii,@function
_Z16wvSplitK_hf_sml_I14__hip_bfloat16Li64ELi1ELi16ELi8ELi4ELi2EEviiiiiiPKT_S3_S3_PS1_ii: ; @_Z16wvSplitK_hf_sml_I14__hip_bfloat16Li64ELi1ELi16ELi8ELi4ELi2EEviiiiiiPKT_S3_S3_PS1_ii
; %bb.0:
	s_clause 0x2
	s_load_b128 s[4:7], s[0:1], 0x0
	s_load_b64 s[8:9], s[0:1], 0x10
	s_load_b64 s[10:11], s[0:1], 0x28
	v_and_b32_e32 v3, 0x3ff, v0
	v_bfe_u32 v0, v0, 10, 10
	s_mov_b32 s12, exec_lo
	s_delay_alu instid0(VALU_DEP_2) | instskip(NEXT) | instid1(VALU_DEP_1)
	v_lshlrev_b32_e32 v51, 3, v3
	v_lshl_add_u32 v4, v0, 9, v51
	s_waitcnt lgkmcnt(0)
	s_lshl_b32 s6, s6, 1
	s_delay_alu instid0(SALU_CYCLE_1)
	s_min_u32 s3, s6, 0x8000
	s_delay_alu instid0(VALU_DEP_1) | instid1(SALU_CYCLE_1)
	v_cmpx_gt_u32_e64 s3, v4
	s_cbranch_execz .LBB203_3
; %bb.1:
	s_load_b64 s[16:17], s[0:1], 0x20
	v_lshlrev_b32_e32 v5, 10, v0
	v_lshlrev_b32_e32 v6, 4, v3
	s_mov_b32 s13, 0
	s_delay_alu instid0(VALU_DEP_1) | instskip(NEXT) | instid1(VALU_DEP_1)
	v_add_co_u32 v1, s2, v5, v6
	v_add_co_ci_u32_e64 v2, null, 0, 0, s2
	v_add_nc_u32_e32 v5, v5, v6
	s_waitcnt lgkmcnt(0)
	s_delay_alu instid0(VALU_DEP_3) | instskip(NEXT) | instid1(VALU_DEP_3)
	v_add_co_u32 v1, vcc_lo, s16, v1
	v_add_co_ci_u32_e32 v2, vcc_lo, s17, v2, vcc_lo
	.p2align	6
.LBB203_2:                              ; =>This Inner Loop Header: Depth=1
	global_load_b128 v[6:9], v[1:2], off
	v_add_nc_u32_e32 v4, 0x2000, v4
	v_add_co_u32 v1, vcc_lo, 0x4000, v1
	v_add_co_ci_u32_e32 v2, vcc_lo, 0, v2, vcc_lo
	s_delay_alu instid0(VALU_DEP_3) | instskip(NEXT) | instid1(VALU_DEP_1)
	v_cmp_le_u32_e64 s2, s3, v4
	s_or_b32 s13, s2, s13
	s_waitcnt vmcnt(0)
	ds_store_b128 v5, v[6:9]
	v_add_nc_u32_e32 v5, 0x4000, v5
	s_and_not1_b32 exec_lo, exec_lo, s13
	s_cbranch_execnz .LBB203_2
.LBB203_3:
	s_or_b32 exec_lo, exec_lo, s12
	s_load_b64 s[16:17], s[0:1], 0x38
	s_waitcnt lgkmcnt(0)
	s_barrier
	buffer_gl0_inv
	s_mov_b32 s2, exec_lo
	v_cmpx_gt_u32_e64 s16, v0
	s_cbranch_execz .LBB203_30
; %bb.4:
	v_mad_u64_u32 v[48:49], null, s15, s16, v[0:1]
	s_delay_alu instid0(VALU_DEP_1)
	v_cmp_gt_u32_e32 vcc_lo, s7, v48
	s_and_b32 exec_lo, exec_lo, vcc_lo
	s_cbranch_execz .LBB203_30
; %bb.5:
	v_cvt_f32_u32_e32 v0, s8
	v_mbcnt_lo_u32_b32 v1, -1, 0
	s_cmp_lg_u32 s4, 0
	s_clause 0x1
	s_load_b64 s[2:3], s[0:1], 0x18
	s_load_b64 s[12:13], s[0:1], 0x30
	s_cselect_b32 s14, -1, 0
	v_rcp_iflag_f32_e32 v0, v0
	v_xor_b32_e32 v4, 16, v1
	s_add_i32 s15, s4, -8
	s_add_i32 s18, s7, -1
	s_cmp_lg_u64 s[10:11], 0
	v_cmp_eq_u32_e64 s0, 63, v3
	v_cmp_gt_i32_e32 vcc_lo, 32, v4
	v_mov_b32_e32 v50, 0
	s_cselect_b32 s19, -1, 0
	s_sub_i32 s20, 0, s8
	s_abs_i32 s9, s9
	v_cndmask_b32_e32 v1, v1, v4, vcc_lo
	s_waitcnt_depctr 0xfff
	v_mul_f32_e32 v0, 0x4f7ffffe, v0
	v_lshlrev_b32_e32 v52, 4, v3
	s_mov_b32 s1, 0
	v_lshlrev_b32_e32 v53, 2, v1
	s_delay_alu instid0(VALU_DEP_3) | instskip(NEXT) | instid1(VALU_DEP_1)
	v_cvt_u32_f32_e32 v0, v0
	v_mul_lo_u32 v2, s20, v0
	s_sub_i32 s20, 1, s9
	s_cmp_lt_u32 s9, 2
	s_cselect_b32 s20, s20, 1
	s_delay_alu instid0(SALU_CYCLE_1) | instskip(SKIP_1) | instid1(VALU_DEP_1)
	s_sub_i32 s21, s20, s9
	s_cmp_ge_u32 s20, s9
	v_mul_hi_u32 v2, v0, v2
	s_cselect_b32 s20, s21, s20
	s_mul_i32 s9, s17, s16
	s_mul_i32 s16, s20, s8
	s_delay_alu instid0(VALU_DEP_1)
	v_add_nc_u32_e32 v54, v0, v2
	s_branch .LBB203_8
.LBB203_6:                              ;   in Loop: Header=BB203_8 Depth=1
	s_or_b32 exec_lo, exec_lo, s20
	v_add_nc_u32_e32 v49, s7, v48
	s_delay_alu instid0(VALU_DEP_1) | instskip(NEXT) | instid1(VALU_DEP_1)
	v_lshlrev_b64 v[1:2], 1, v[49:50]
	v_add_co_u32 v1, vcc_lo, s12, v1
	s_delay_alu instid0(VALU_DEP_2)
	v_add_co_ci_u32_e32 v2, vcc_lo, s13, v2, vcc_lo
	global_store_d16_hi_b16 v[1:2], v0, off
.LBB203_7:                              ;   in Loop: Header=BB203_8 Depth=1
	s_or_b32 exec_lo, exec_lo, s17
	v_add_nc_u32_e32 v48, s9, v48
	s_delay_alu instid0(VALU_DEP_1) | instskip(SKIP_1) | instid1(SALU_CYCLE_1)
	v_cmp_le_u32_e32 vcc_lo, s7, v48
	s_or_b32 s1, vcc_lo, s1
	s_and_not1_b32 exec_lo, exec_lo, s1
	s_cbranch_execz .LBB203_30
.LBB203_8:                              ; =>This Loop Header: Depth=1
                                        ;     Child Loop BB203_14 Depth 2
	v_mov_b32_e32 v59, v50
	v_mov_b32_e32 v58, v50
	s_and_not1_b32 vcc_lo, exec_lo, s14
	s_cbranch_vccnz .LBB203_19
; %bb.9:                                ;   in Loop: Header=BB203_8 Depth=1
	v_min_u32_e32 v0, s18, v48
	v_dual_mov_b32 v58, 0 :: v_dual_mov_b32 v55, v52
	v_mov_b32_e32 v59, 0
	s_mov_b32 s17, 0
	s_delay_alu instid0(VALU_DEP_3) | instskip(SKIP_1) | instid1(VALU_DEP_1)
	v_mul_lo_u32 v49, v0, s5
	s_waitcnt lgkmcnt(0)
	v_lshlrev_b64 v[0:1], 1, v[49:50]
	s_waitcnt lgkmcnt(0)
	s_delay_alu instid0(VALU_DEP_1) | instskip(NEXT) | instid1(VALU_DEP_2)
	v_add_co_u32 v56, vcc_lo, s2, v0
	v_add_co_ci_u32_e32 v57, vcc_lo, s3, v1, vcc_lo
	s_branch .LBB203_14
.LBB203_10:                             ;   in Loop: Header=BB203_14 Depth=2
	s_or_b32 exec_lo, exec_lo, s23
.LBB203_11:                             ;   in Loop: Header=BB203_14 Depth=2
	s_delay_alu instid0(SALU_CYCLE_1)
	s_or_b32 exec_lo, exec_lo, s22
.LBB203_12:                             ;   in Loop: Header=BB203_14 Depth=2
	s_delay_alu instid0(SALU_CYCLE_1)
	s_or_b32 exec_lo, exec_lo, s21
.LBB203_13:                             ;   in Loop: Header=BB203_14 Depth=2
	s_delay_alu instid0(SALU_CYCLE_1)
	s_or_b32 exec_lo, exec_lo, s20
	s_waitcnt lgkmcnt(1)
	v_and_b32_e32 v61, 0xffff0000, v45
	s_waitcnt vmcnt(3)
	v_and_b32_e32 v62, 0xffff0000, v37
	v_and_b32_e32 v49, 0xffff0000, v44
	;; [unrolled: 1-line block ×3, first 2 shown]
	v_lshlrev_b32_e32 v44, 16, v44
	v_lshlrev_b32_e32 v45, 16, v45
	;; [unrolled: 1-line block ×3, first 2 shown]
	v_dual_mul_f32 v61, v61, v62 :: v_dual_lshlrev_b32 v36, 16, v36
	v_mul_f32_e32 v49, v49, v60
	s_addk_i32 s17, 0x800
	v_add_nc_u32_e32 v55, 0x1000, v55
	s_delay_alu instid0(VALU_DEP_3)
	v_fmac_f32_e32 v61, v45, v37
	s_waitcnt lgkmcnt(0)
	v_and_b32_e32 v45, 0xffff0000, v40
	v_dual_fmac_f32 v49, v44, v36 :: v_dual_and_b32 v44, 0xffff0000, v38
	v_lshlrev_b32_e32 v38, 16, v38
	v_lshlrev_b32_e32 v40, 16, v40
	s_delay_alu instid0(VALU_DEP_4) | instskip(NEXT) | instid1(VALU_DEP_4)
	v_mul_f32_e32 v45, v45, v60
	v_add_f32_e32 v49, v59, v49
	v_and_b32_e32 v63, 0xffff0000, v46
	v_lshlrev_b32_e32 v46, 16, v46
	s_delay_alu instid0(VALU_DEP_4) | instskip(NEXT) | instid1(VALU_DEP_3)
	v_dual_fmac_f32 v45, v40, v36 :: v_dual_and_b32 v60, 0xffff0000, v41
	v_dual_mul_f32 v59, v63, v44 :: v_dual_lshlrev_b32 v36, 16, v41
	v_and_b32_e32 v41, 0xffff0000, v42
	s_delay_alu instid0(VALU_DEP_3) | instskip(SKIP_1) | instid1(VALU_DEP_3)
	v_dual_mul_f32 v40, v60, v62 :: v_dual_add_f32 v45, v58, v45
	s_cmp_ge_u32 s17, s4
	v_dual_fmac_f32 v59, v46, v38 :: v_dual_add_f32 v46, v49, v61
	s_delay_alu instid0(VALU_DEP_2) | instskip(SKIP_2) | instid1(VALU_DEP_3)
	v_fmac_f32_e32 v40, v36, v37
	v_dual_mul_f32 v37, v41, v44 :: v_dual_lshlrev_b32 v36, 16, v42
	v_and_b32_e32 v61, 0xffff0000, v39
	v_dual_add_f32 v41, v46, v59 :: v_dual_add_f32 v40, v45, v40
	s_delay_alu instid0(VALU_DEP_3) | instskip(SKIP_3) | instid1(VALU_DEP_4)
	v_dual_fmac_f32 v37, v36, v38 :: v_dual_lshlrev_b32 v42, 16, v43
	v_and_b32_e32 v38, 0xffff0000, v32
	v_and_b32_e32 v49, 0xffff0000, v47
	v_lshlrev_b32_e32 v47, 16, v47
	v_dual_add_f32 v37, v40, v37 :: v_dual_lshlrev_b32 v32, 16, v32
	v_and_b32_e32 v40, 0xffff0000, v43
	v_lshlrev_b32_e32 v39, 16, v39
	v_mul_f32_e32 v49, v49, v61
	s_delay_alu instid0(VALU_DEP_1) | instskip(SKIP_1) | instid1(VALU_DEP_1)
	v_fmac_f32_e32 v49, v47, v39
	s_waitcnt vmcnt(2)
	v_dual_add_f32 v36, v41, v49 :: v_dual_and_b32 v41, 0xffff0000, v24
	v_lshlrev_b32_e32 v24, 16, v24
	s_delay_alu instid0(VALU_DEP_2) | instskip(NEXT) | instid1(VALU_DEP_1)
	v_mul_f32_e32 v38, v38, v41
	v_fmac_f32_e32 v38, v32, v24
	s_delay_alu instid0(VALU_DEP_1) | instskip(SKIP_1) | instid1(VALU_DEP_1)
	v_add_f32_e32 v36, v36, v38
	v_mul_f32_e32 v40, v40, v61
	v_fmac_f32_e32 v40, v42, v39
	s_delay_alu instid0(VALU_DEP_1)
	v_dual_add_f32 v37, v37, v40 :: v_dual_and_b32 v44, 0xffff0000, v25
	v_lshlrev_b32_e32 v25, 16, v25
	v_and_b32_e32 v42, 0xffff0000, v26
	v_lshlrev_b32_e32 v26, 16, v26
	v_and_b32_e32 v43, 0xffff0000, v33
	;; [unrolled: 2-line block ×3, first 2 shown]
	v_and_b32_e32 v39, 0xffff0000, v34
	s_delay_alu instid0(VALU_DEP_4) | instskip(NEXT) | instid1(VALU_DEP_1)
	v_mul_f32_e32 v33, v43, v44
	v_dual_fmac_f32 v33, v32, v25 :: v_dual_lshlrev_b32 v32, 16, v34
	s_delay_alu instid0(VALU_DEP_1) | instskip(NEXT) | instid1(VALU_DEP_1)
	v_dual_mul_f32 v34, v39, v42 :: v_dual_add_f32 v33, v36, v33
	v_fmac_f32_e32 v34, v32, v26
	v_lshlrev_b32_e32 v28, 16, v28
	v_mul_f32_e32 v32, v38, v41
	v_and_b32_e32 v38, 0xffff0000, v29
	s_delay_alu instid0(VALU_DEP_2) | instskip(SKIP_1) | instid1(VALU_DEP_3)
	v_fmac_f32_e32 v32, v28, v24
	v_lshlrev_b32_e32 v24, 16, v29
	v_dual_mul_f32 v28, v38, v44 :: v_dual_and_b32 v39, 0xffff0000, v27
	s_delay_alu instid0(VALU_DEP_3) | instskip(NEXT) | instid1(VALU_DEP_2)
	v_add_f32_e32 v32, v37, v32
	v_dual_fmac_f32 v28, v24, v25 :: v_dual_and_b32 v29, 0xffff0000, v30
	v_lshlrev_b32_e32 v24, 16, v30
	v_lshlrev_b32_e32 v27, 16, v27
	;; [unrolled: 1-line block ×3, first 2 shown]
	s_delay_alu instid0(VALU_DEP_4) | instskip(SKIP_3) | instid1(VALU_DEP_4)
	v_dual_add_f32 v28, v32, v28 :: v_dual_mul_f32 v25, v29, v42
	v_and_b32_e32 v36, 0xffff0000, v35
	v_lshlrev_b32_e32 v35, 16, v35
	v_add_f32_e32 v29, v33, v34
	v_fmac_f32_e32 v25, v24, v26
	s_delay_alu instid0(VALU_DEP_4) | instskip(NEXT) | instid1(VALU_DEP_2)
	v_mul_f32_e32 v36, v36, v39
	v_dual_add_f32 v25, v28, v25 :: v_dual_and_b32 v26, 0xffff0000, v20
	s_delay_alu instid0(VALU_DEP_2) | instskip(SKIP_1) | instid1(VALU_DEP_2)
	v_fmac_f32_e32 v36, v35, v27
	v_and_b32_e32 v28, 0xffff0000, v31
	v_dual_add_f32 v24, v29, v36 :: v_dual_and_b32 v31, 0xffff0000, v21
	s_waitcnt vmcnt(1)
	s_delay_alu instid0(VALU_DEP_2) | instskip(SKIP_1) | instid1(VALU_DEP_2)
	v_dual_mul_f32 v28, v28, v39 :: v_dual_and_b32 v29, 0xffff0000, v12
	v_lshlrev_b32_e32 v12, 16, v12
	v_mul_f32_e32 v26, v26, v29
	s_delay_alu instid0(VALU_DEP_3)
	v_fmac_f32_e32 v28, v30, v27
	v_and_b32_e32 v30, 0xffff0000, v14
	v_lshlrev_b32_e32 v20, 16, v20
	v_lshlrev_b32_e32 v14, 16, v14
	v_and_b32_e32 v32, 0xffff0000, v13
	v_lshlrev_b32_e32 v13, 16, v13
	s_delay_alu instid0(VALU_DEP_4) | instskip(NEXT) | instid1(VALU_DEP_3)
	v_dual_fmac_f32 v26, v20, v12 :: v_dual_and_b32 v27, 0xffff0000, v22
	v_dual_mul_f32 v21, v31, v32 :: v_dual_lshlrev_b32 v20, 16, v21
	s_delay_alu instid0(VALU_DEP_1) | instskip(NEXT) | instid1(VALU_DEP_3)
	v_dual_fmac_f32 v21, v20, v13 :: v_dual_lshlrev_b32 v20, 16, v22
	v_dual_mul_f32 v22, v27, v30 :: v_dual_and_b32 v27, 0xffff0000, v17
	s_delay_alu instid0(VALU_DEP_1) | instskip(SKIP_4) | instid1(VALU_DEP_3)
	v_dual_add_f32 v25, v25, v28 :: v_dual_fmac_f32 v22, v20, v14
	v_and_b32_e32 v20, 0xffff0000, v23
	v_dual_add_f32 v24, v24, v26 :: v_dual_lshlrev_b32 v23, 16, v23
	v_and_b32_e32 v26, 0xffff0000, v15
	v_lshlrev_b32_e32 v15, 16, v15
	v_dual_add_f32 v21, v24, v21 :: v_dual_and_b32 v24, 0xffff0000, v16
	v_lshlrev_b32_e32 v16, 16, v16
	s_delay_alu instid0(VALU_DEP_4) | instskip(NEXT) | instid1(VALU_DEP_3)
	v_mul_f32_e32 v20, v20, v26
	v_mul_f32_e32 v24, v24, v29
	s_delay_alu instid0(VALU_DEP_2) | instskip(NEXT) | instid1(VALU_DEP_2)
	v_fmac_f32_e32 v20, v23, v15
	v_fmac_f32_e32 v24, v16, v12
	v_lshlrev_b32_e32 v12, 16, v17
	v_dual_mul_f32 v16, v27, v32 :: v_dual_add_f32 v17, v21, v22
	s_delay_alu instid0(VALU_DEP_1) | instskip(SKIP_3) | instid1(VALU_DEP_4)
	v_dual_fmac_f32 v16, v12, v13 :: v_dual_and_b32 v21, 0xffff0000, v18
	v_lshlrev_b32_e32 v12, 16, v18
	v_and_b32_e32 v18, 0xffff0000, v19
	v_lshlrev_b32_e32 v19, 16, v19
	v_mul_f32_e32 v13, v21, v30
	s_waitcnt vmcnt(0)
	v_dual_add_f32 v17, v17, v20 :: v_dual_and_b32 v20, 0xffff0000, v1
	v_dual_mul_f32 v18, v18, v26 :: v_dual_lshlrev_b32 v1, 16, v1
	s_delay_alu instid0(VALU_DEP_3) | instskip(SKIP_1) | instid1(VALU_DEP_3)
	v_dual_fmac_f32 v13, v12, v14 :: v_dual_and_b32 v12, 0xffff0000, v8
	v_and_b32_e32 v14, 0xffff0000, v0
	v_dual_fmac_f32 v18, v19, v15 :: v_dual_and_b32 v15, 0xffff0000, v10
	v_add_f32_e32 v22, v25, v24
	v_lshlrev_b32_e32 v8, 16, v8
	v_lshlrev_b32_e32 v0, 16, v0
	v_mul_f32_e32 v12, v12, v14
	v_lshlrev_b32_e32 v10, 16, v10
	v_add_f32_e32 v16, v22, v16
	s_delay_alu instid0(VALU_DEP_3) | instskip(SKIP_1) | instid1(VALU_DEP_3)
	v_fmac_f32_e32 v12, v8, v0
	v_lshlrev_b32_e32 v8, 16, v9
	v_add_f32_e32 v13, v16, v13
	v_and_b32_e32 v16, 0xffff0000, v9
	s_delay_alu instid0(VALU_DEP_4) | instskip(NEXT) | instid1(VALU_DEP_3)
	v_add_f32_e32 v12, v17, v12
	v_add_f32_e32 v13, v13, v18
	s_delay_alu instid0(VALU_DEP_3) | instskip(NEXT) | instid1(VALU_DEP_1)
	v_dual_mul_f32 v9, v16, v20 :: v_dual_and_b32 v16, 0xffff0000, v2
	v_dual_fmac_f32 v9, v8, v1 :: v_dual_lshlrev_b32 v2, 16, v2
	v_and_b32_e32 v8, 0xffff0000, v4
	s_delay_alu instid0(VALU_DEP_3) | instskip(NEXT) | instid1(VALU_DEP_3)
	v_mul_f32_e32 v15, v15, v16
	v_dual_add_f32 v9, v12, v9 :: v_dual_lshlrev_b32 v4, 16, v4
	s_delay_alu instid0(VALU_DEP_3) | instskip(NEXT) | instid1(VALU_DEP_3)
	v_mul_f32_e32 v8, v8, v14
	v_dual_fmac_f32 v15, v10, v2 :: v_dual_and_b32 v12, 0xffff0000, v5
	v_and_b32_e32 v10, 0xffff0000, v11
	s_delay_alu instid0(VALU_DEP_3) | instskip(SKIP_1) | instid1(VALU_DEP_4)
	v_fmac_f32_e32 v8, v4, v0
	v_lshlrev_b32_e32 v0, 16, v5
	v_dual_mul_f32 v4, v12, v20 :: v_dual_lshlrev_b32 v5, 16, v11
	v_and_b32_e32 v11, 0xffff0000, v6
	v_and_b32_e32 v12, 0xffff0000, v3
	v_dual_add_f32 v8, v13, v8 :: v_dual_lshlrev_b32 v3, 16, v3
	s_delay_alu instid0(VALU_DEP_4) | instskip(NEXT) | instid1(VALU_DEP_4)
	v_fmac_f32_e32 v4, v0, v1
	v_dual_mul_f32 v1, v11, v16 :: v_dual_lshlrev_b32 v0, 16, v6
	v_and_b32_e32 v6, 0xffff0000, v7
	v_mul_f32_e32 v10, v10, v12
	s_delay_alu instid0(VALU_DEP_4) | instskip(NEXT) | instid1(VALU_DEP_4)
	v_add_f32_e32 v4, v8, v4
	v_dual_fmac_f32 v1, v0, v2 :: v_dual_lshlrev_b32 v0, 16, v7
	s_delay_alu instid0(VALU_DEP_4) | instskip(SKIP_1) | instid1(VALU_DEP_3)
	v_mul_f32_e32 v2, v6, v12
	v_add_f32_e32 v6, v9, v15
	v_dual_fmac_f32 v10, v5, v3 :: v_dual_add_f32 v1, v4, v1
	s_delay_alu instid0(VALU_DEP_1) | instskip(NEXT) | instid1(VALU_DEP_1)
	v_dual_fmac_f32 v2, v0, v3 :: v_dual_add_f32 v59, v6, v10
	v_add_f32_e32 v58, v1, v2
	s_cbranch_scc1 .LBB203_19
.LBB203_14:                             ;   Parent Loop BB203_8 Depth=1
                                        ; =>  This Inner Loop Header: Depth=2
	v_add_nc_u32_e32 v8, s17, v51
	v_dual_mov_b32 v10, 0 :: v_dual_mov_b32 v19, 0
	v_dual_mov_b32 v18, 0 :: v_dual_mov_b32 v23, 0
	s_delay_alu instid0(VALU_DEP_3) | instskip(SKIP_3) | instid1(VALU_DEP_4)
	v_min_u32_e32 v49, s15, v8
	v_add_nc_u32_e32 v62, 0x200, v8
	v_add_nc_u32_e32 v61, 0x400, v8
	v_dual_mov_b32 v11, 0 :: v_dual_add_nc_u32 v60, 0x600, v8
	v_lshlrev_b64 v[0:1], 1, v[49:50]
	s_delay_alu instid0(VALU_DEP_4) | instskip(SKIP_2) | instid1(VALU_DEP_3)
	v_min_u32_e32 v49, s15, v62
	v_dual_mov_b32 v16, 0 :: v_dual_mov_b32 v21, 0
	v_dual_mov_b32 v22, 0 :: v_dual_mov_b32 v31, 0
	v_lshlrev_b64 v[2:3], 1, v[49:50]
	v_min_u32_e32 v49, s15, v61
	v_add_co_u32 v0, vcc_lo, v56, v0
	v_add_co_ci_u32_e32 v1, vcc_lo, v57, v1, vcc_lo
	s_delay_alu instid0(VALU_DEP_3) | instskip(SKIP_3) | instid1(VALU_DEP_3)
	v_lshlrev_b64 v[4:5], 1, v[49:50]
	v_min_u32_e32 v49, s15, v60
	v_add_co_u32 v2, vcc_lo, v56, v2
	v_add_co_ci_u32_e32 v3, vcc_lo, v57, v3, vcc_lo
	v_lshlrev_b64 v[6:7], 1, v[49:50]
	v_add_co_u32 v4, vcc_lo, v56, v4
	v_add_co_ci_u32_e32 v5, vcc_lo, v57, v5, vcc_lo
	v_dual_mov_b32 v20, 0 :: v_dual_mov_b32 v29, 0
	s_delay_alu instid0(VALU_DEP_4)
	v_add_co_u32 v6, vcc_lo, v56, v6
	v_add_co_ci_u32_e32 v7, vcc_lo, v57, v7, vcc_lo
	s_clause 0x3
	global_load_b128 v[36:39], v[0:1], off slc dlc
	global_load_b128 v[24:27], v[2:3], off slc dlc
	;; [unrolled: 1-line block ×4, first 2 shown]
	v_mov_b32_e32 v7, 0
	v_cmp_gt_u32_e32 vcc_lo, s4, v8
	v_dual_mov_b32 v6, 0 :: v_dual_mov_b32 v5, 0
	v_dual_mov_b32 v4, 0 :: v_dual_mov_b32 v9, 0
	;; [unrolled: 1-line block ×9, first 2 shown]
	v_mov_b32_e32 v46, 0
	v_mov_b32_e32 v44, 0
	s_and_saveexec_b32 s20, vcc_lo
	s_cbranch_execz .LBB203_13
; %bb.15:                               ;   in Loop: Header=BB203_14 Depth=2
	v_dual_mov_b32 v32, 0 :: v_dual_add_nc_u32 v49, s6, v55
	v_cmp_gt_u32_e32 vcc_lo, s4, v62
	v_dual_mov_b32 v33, 0 :: v_dual_mov_b32 v34, 0
	ds_load_b128 v[44:47], v55
	ds_load_b128 v[40:43], v49
	v_dual_mov_b32 v35, 0 :: v_dual_mov_b32 v28, 0
	v_dual_mov_b32 v29, 0 :: v_dual_mov_b32 v30, 0
	;; [unrolled: 1-line block ×10, first 2 shown]
	v_mov_b32_e32 v7, 0
	s_and_saveexec_b32 s21, vcc_lo
	s_cbranch_execz .LBB203_12
; %bb.16:                               ;   in Loop: Header=BB203_14 Depth=2
	ds_load_b128 v[32:35], v55 offset:1024
	ds_load_b128 v[28:31], v49 offset:1024
	v_dual_mov_b32 v20, 0 :: v_dual_mov_b32 v21, 0
	v_dual_mov_b32 v22, 0 :: v_dual_mov_b32 v23, 0
	v_dual_mov_b32 v16, 0 :: v_dual_mov_b32 v17, 0
	v_dual_mov_b32 v18, 0 :: v_dual_mov_b32 v19, 0
	v_dual_mov_b32 v8, 0 :: v_dual_mov_b32 v9, 0
	v_dual_mov_b32 v10, 0 :: v_dual_mov_b32 v11, 0
	v_dual_mov_b32 v4, 0 :: v_dual_mov_b32 v5, 0
	v_dual_mov_b32 v6, 0 :: v_dual_mov_b32 v7, 0
	s_mov_b32 s22, exec_lo
	v_cmpx_gt_u32_e64 s4, v61
	s_cbranch_execz .LBB203_11
; %bb.17:                               ;   in Loop: Header=BB203_14 Depth=2
	ds_load_b128 v[20:23], v55 offset:2048
	ds_load_b128 v[16:19], v49 offset:2048
	v_dual_mov_b32 v8, 0 :: v_dual_mov_b32 v9, 0
	v_dual_mov_b32 v10, 0 :: v_dual_mov_b32 v11, 0
	;; [unrolled: 1-line block ×4, first 2 shown]
	s_mov_b32 s23, exec_lo
	v_cmpx_gt_u32_e64 s4, v60
	s_cbranch_execz .LBB203_10
; %bb.18:                               ;   in Loop: Header=BB203_14 Depth=2
	ds_load_b128 v[8:11], v55 offset:3072
	ds_load_b128 v[4:7], v49 offset:3072
	s_branch .LBB203_10
.LBB203_19:                             ;   in Loop: Header=BB203_8 Depth=1
	; sched_barrier mask(0x00000000)
	s_delay_alu instid0(VALU_DEP_2) | instskip(SKIP_1) | instid1(VALU_DEP_2)
	v_cvt_i32_f32_e32 v0, v59
	s_waitcnt lgkmcnt(0)
	v_cvt_i32_f32_e32 v1, v58
	s_delay_alu instid0(VALU_DEP_2) | instskip(NEXT) | instid1(VALU_DEP_2)
	v_cvt_f32_i32_dpp v0, v0 row_shr:8 row_mask:0xf bank_mask:0xf bound_ctrl:1
	v_cvt_f32_i32_dpp v1, v1 row_shr:8 row_mask:0xf bank_mask:0xf bound_ctrl:1
	s_delay_alu instid0(VALU_DEP_1) | instskip(NEXT) | instid1(VALU_DEP_1)
	v_dual_add_f32 v0, v59, v0 :: v_dual_add_f32 v1, v58, v1
	v_cvt_i32_f32_e32 v2, v0
	s_delay_alu instid0(VALU_DEP_2) | instskip(NEXT) | instid1(VALU_DEP_2)
	v_cvt_i32_f32_e32 v3, v1
	v_cvt_f32_i32_dpp v2, v2 row_shr:4 row_mask:0xf bank_mask:0xf bound_ctrl:1
	s_delay_alu instid0(VALU_DEP_2) | instskip(NEXT) | instid1(VALU_DEP_1)
	v_cvt_f32_i32_dpp v3, v3 row_shr:4 row_mask:0xf bank_mask:0xf bound_ctrl:1
	v_dual_add_f32 v0, v0, v2 :: v_dual_add_f32 v1, v1, v3
	s_delay_alu instid0(VALU_DEP_1) | instskip(NEXT) | instid1(VALU_DEP_2)
	v_cvt_i32_f32_e32 v2, v0
	v_cvt_i32_f32_e32 v3, v1
	s_delay_alu instid0(VALU_DEP_2) | instskip(NEXT) | instid1(VALU_DEP_2)
	v_cvt_f32_i32_dpp v2, v2 row_shr:2 row_mask:0xf bank_mask:0xf bound_ctrl:1
	v_cvt_f32_i32_dpp v3, v3 row_shr:2 row_mask:0xf bank_mask:0xf bound_ctrl:1
	s_delay_alu instid0(VALU_DEP_1) | instskip(NEXT) | instid1(VALU_DEP_1)
	v_dual_add_f32 v0, v0, v2 :: v_dual_add_f32 v1, v1, v3
	v_cvt_i32_f32_e32 v2, v0
	s_delay_alu instid0(VALU_DEP_2) | instskip(NEXT) | instid1(VALU_DEP_2)
	v_cvt_i32_f32_e32 v3, v1
	v_cvt_f32_i32_dpp v2, v2 row_shr:1 row_mask:0xf bank_mask:0xf bound_ctrl:1
	s_delay_alu instid0(VALU_DEP_2) | instskip(NEXT) | instid1(VALU_DEP_1)
	v_cvt_f32_i32_dpp v4, v3 row_shr:1 row_mask:0xf bank_mask:0xf bound_ctrl:1
	v_dual_add_f32 v3, v0, v2 :: v_dual_add_f32 v0, v1, v4
	ds_bpermute_b32 v4, v53, v3
	ds_bpermute_b32 v1, v53, v0
	s_and_saveexec_b32 s17, s0
	s_cbranch_execz .LBB203_7
; %bb.20:                               ;   in Loop: Header=BB203_8 Depth=1
	v_dual_mov_b32 v2, 0 :: v_dual_mov_b32 v5, 0
	s_and_not1_b32 vcc_lo, exec_lo, s19
	s_cbranch_vccnz .LBB203_22
; %bb.21:                               ;   in Loop: Header=BB203_8 Depth=1
	v_mul_hi_u32 v2, v48, v54
	s_delay_alu instid0(VALU_DEP_1) | instskip(NEXT) | instid1(VALU_DEP_1)
	v_mul_lo_u32 v2, v2, s8
	v_sub_nc_u32_e32 v2, v48, v2
	s_delay_alu instid0(VALU_DEP_1) | instskip(SKIP_1) | instid1(VALU_DEP_2)
	v_subrev_nc_u32_e32 v5, s8, v2
	v_cmp_le_u32_e32 vcc_lo, s8, v2
	v_cndmask_b32_e32 v2, v2, v5, vcc_lo
	s_delay_alu instid0(VALU_DEP_1) | instskip(SKIP_1) | instid1(VALU_DEP_2)
	v_subrev_nc_u32_e32 v5, s8, v2
	v_cmp_le_u32_e32 vcc_lo, s8, v2
	v_cndmask_b32_e32 v49, v2, v5, vcc_lo
	s_delay_alu instid0(VALU_DEP_1) | instskip(SKIP_1) | instid1(VALU_DEP_1)
	v_lshlrev_b64 v[5:6], 1, v[49:50]
	v_add_nc_u32_e32 v49, s16, v49
	v_lshlrev_b64 v[7:8], 1, v[49:50]
	s_delay_alu instid0(VALU_DEP_3) | instskip(NEXT) | instid1(VALU_DEP_4)
	v_add_co_u32 v5, vcc_lo, s10, v5
	v_add_co_ci_u32_e32 v6, vcc_lo, s11, v6, vcc_lo
	s_delay_alu instid0(VALU_DEP_3) | instskip(NEXT) | instid1(VALU_DEP_4)
	v_add_co_u32 v7, vcc_lo, s10, v7
	v_add_co_ci_u32_e32 v8, vcc_lo, s11, v8, vcc_lo
	s_clause 0x1
	global_load_u16 v5, v[5:6], off
	global_load_u16 v2, v[7:8], off
.LBB203_22:                             ;   in Loop: Header=BB203_8 Depth=1
	s_waitcnt vmcnt(1) lgkmcnt(0)
	s_delay_alu instid0(VALU_DEP_1) | instskip(NEXT) | instid1(VALU_DEP_1)
	v_dual_add_f32 v3, v3, v4 :: v_dual_lshlrev_b32 v4, 16, v5
	v_add_f32_e32 v4, v3, v4
	s_delay_alu instid0(VALU_DEP_1) | instskip(NEXT) | instid1(VALU_DEP_1)
	v_and_b32_e32 v3, 0x7f800000, v4
	v_cmp_ne_u32_e32 vcc_lo, 0x7f800000, v3
                                        ; implicit-def: $vgpr3
	s_and_saveexec_b32 s20, vcc_lo
	s_delay_alu instid0(SALU_CYCLE_1)
	s_xor_b32 s20, exec_lo, s20
; %bb.23:                               ;   in Loop: Header=BB203_8 Depth=1
	v_bfe_u32 v3, v4, 16, 1
	s_delay_alu instid0(VALU_DEP_1)
	v_add3_u32 v3, v4, v3, 0x7fff
                                        ; implicit-def: $vgpr4
; %bb.24:                               ;   in Loop: Header=BB203_8 Depth=1
	s_and_not1_saveexec_b32 s20, s20
; %bb.25:                               ;   in Loop: Header=BB203_8 Depth=1
	v_and_b32_e32 v3, 0xffff, v4
	v_or_b32_e32 v5, 0x10000, v4
	s_delay_alu instid0(VALU_DEP_2) | instskip(NEXT) | instid1(VALU_DEP_2)
	v_cmp_eq_u32_e32 vcc_lo, 0, v3
	v_cndmask_b32_e32 v3, v5, v4, vcc_lo
; %bb.26:                               ;   in Loop: Header=BB203_8 Depth=1
	s_or_b32 exec_lo, exec_lo, s20
	s_waitcnt vmcnt(0)
	v_dual_add_f32 v0, v0, v1 :: v_dual_lshlrev_b32 v1, 16, v2
	s_delay_alu instid0(VALU_DEP_1) | instskip(NEXT) | instid1(VALU_DEP_1)
	v_add_f32_e32 v1, v0, v1
	v_dual_mov_b32 v49, v50 :: v_dual_and_b32 v0, 0x7f800000, v1
	s_delay_alu instid0(VALU_DEP_1) | instskip(NEXT) | instid1(VALU_DEP_1)
	v_lshlrev_b64 v[4:5], 1, v[48:49]
	v_add_co_u32 v4, vcc_lo, s12, v4
	s_delay_alu instid0(VALU_DEP_2) | instskip(NEXT) | instid1(VALU_DEP_4)
	v_add_co_ci_u32_e32 v5, vcc_lo, s13, v5, vcc_lo
	v_cmp_ne_u32_e32 vcc_lo, 0x7f800000, v0
                                        ; implicit-def: $vgpr0
	global_store_d16_hi_b16 v[4:5], v3, off
	s_and_saveexec_b32 s20, vcc_lo
	s_delay_alu instid0(SALU_CYCLE_1)
	s_xor_b32 s20, exec_lo, s20
; %bb.27:                               ;   in Loop: Header=BB203_8 Depth=1
	v_bfe_u32 v0, v1, 16, 1
	s_delay_alu instid0(VALU_DEP_1)
	v_add3_u32 v0, v1, v0, 0x7fff
                                        ; implicit-def: $vgpr1
; %bb.28:                               ;   in Loop: Header=BB203_8 Depth=1
	s_and_not1_saveexec_b32 s20, s20
	s_cbranch_execz .LBB203_6
; %bb.29:                               ;   in Loop: Header=BB203_8 Depth=1
	v_and_b32_e32 v0, 0xffff, v1
	v_or_b32_e32 v2, 0x10000, v1
	s_delay_alu instid0(VALU_DEP_2) | instskip(NEXT) | instid1(VALU_DEP_2)
	v_cmp_eq_u32_e32 vcc_lo, 0, v0
	v_cndmask_b32_e32 v0, v2, v1, vcc_lo
	s_branch .LBB203_6
.LBB203_30:
	s_nop 0
	s_sendmsg sendmsg(MSG_DEALLOC_VGPRS)
	s_endpgm
	.section	.rodata,"a",@progbits
	.p2align	6, 0x0
	.amdhsa_kernel _Z16wvSplitK_hf_sml_I14__hip_bfloat16Li64ELi1ELi16ELi8ELi4ELi2EEviiiiiiPKT_S3_S3_PS1_ii
		.amdhsa_group_segment_fixed_size 65536
		.amdhsa_private_segment_fixed_size 0
		.amdhsa_kernarg_size 64
		.amdhsa_user_sgpr_count 15
		.amdhsa_user_sgpr_dispatch_ptr 0
		.amdhsa_user_sgpr_queue_ptr 0
		.amdhsa_user_sgpr_kernarg_segment_ptr 1
		.amdhsa_user_sgpr_dispatch_id 0
		.amdhsa_user_sgpr_private_segment_size 0
		.amdhsa_wavefront_size32 1
		.amdhsa_uses_dynamic_stack 0
		.amdhsa_enable_private_segment 0
		.amdhsa_system_sgpr_workgroup_id_x 1
		.amdhsa_system_sgpr_workgroup_id_y 0
		.amdhsa_system_sgpr_workgroup_id_z 0
		.amdhsa_system_sgpr_workgroup_info 0
		.amdhsa_system_vgpr_workitem_id 1
		.amdhsa_next_free_vgpr 64
		.amdhsa_next_free_sgpr 24
		.amdhsa_reserve_vcc 1
		.amdhsa_float_round_mode_32 0
		.amdhsa_float_round_mode_16_64 0
		.amdhsa_float_denorm_mode_32 3
		.amdhsa_float_denorm_mode_16_64 3
		.amdhsa_dx10_clamp 1
		.amdhsa_ieee_mode 1
		.amdhsa_fp16_overflow 0
		.amdhsa_workgroup_processor_mode 1
		.amdhsa_memory_ordered 1
		.amdhsa_forward_progress 0
		.amdhsa_shared_vgpr_count 0
		.amdhsa_exception_fp_ieee_invalid_op 0
		.amdhsa_exception_fp_denorm_src 0
		.amdhsa_exception_fp_ieee_div_zero 0
		.amdhsa_exception_fp_ieee_overflow 0
		.amdhsa_exception_fp_ieee_underflow 0
		.amdhsa_exception_fp_ieee_inexact 0
		.amdhsa_exception_int_div_zero 0
	.end_amdhsa_kernel
	.section	.text._Z16wvSplitK_hf_sml_I14__hip_bfloat16Li64ELi1ELi16ELi8ELi4ELi2EEviiiiiiPKT_S3_S3_PS1_ii,"axG",@progbits,_Z16wvSplitK_hf_sml_I14__hip_bfloat16Li64ELi1ELi16ELi8ELi4ELi2EEviiiiiiPKT_S3_S3_PS1_ii,comdat
.Lfunc_end203:
	.size	_Z16wvSplitK_hf_sml_I14__hip_bfloat16Li64ELi1ELi16ELi8ELi4ELi2EEviiiiiiPKT_S3_S3_PS1_ii, .Lfunc_end203-_Z16wvSplitK_hf_sml_I14__hip_bfloat16Li64ELi1ELi16ELi8ELi4ELi2EEviiiiiiPKT_S3_S3_PS1_ii
                                        ; -- End function
	.section	.AMDGPU.csdata,"",@progbits
; Kernel info:
; codeLenInByte = 3072
; NumSgprs: 26
; NumVgprs: 64
; ScratchSize: 0
; MemoryBound: 0
; FloatMode: 240
; IeeeMode: 1
; LDSByteSize: 65536 bytes/workgroup (compile time only)
; SGPRBlocks: 3
; VGPRBlocks: 7
; NumSGPRsForWavesPerEU: 26
; NumVGPRsForWavesPerEU: 64
; Occupancy: 16
; WaveLimiterHint : 0
; COMPUTE_PGM_RSRC2:SCRATCH_EN: 0
; COMPUTE_PGM_RSRC2:USER_SGPR: 15
; COMPUTE_PGM_RSRC2:TRAP_HANDLER: 0
; COMPUTE_PGM_RSRC2:TGID_X_EN: 1
; COMPUTE_PGM_RSRC2:TGID_Y_EN: 0
; COMPUTE_PGM_RSRC2:TGID_Z_EN: 0
; COMPUTE_PGM_RSRC2:TIDIG_COMP_CNT: 1
	.section	.text._Z12wvSplitK_hf_I14__hip_bfloat16Li64ELi1ELi16ELi8ELi4ELi2EEviiiiiiPKT_S3_S3_PS1_ii,"axG",@progbits,_Z12wvSplitK_hf_I14__hip_bfloat16Li64ELi1ELi16ELi8ELi4ELi2EEviiiiiiPKT_S3_S3_PS1_ii,comdat
	.protected	_Z12wvSplitK_hf_I14__hip_bfloat16Li64ELi1ELi16ELi8ELi4ELi2EEviiiiiiPKT_S3_S3_PS1_ii ; -- Begin function _Z12wvSplitK_hf_I14__hip_bfloat16Li64ELi1ELi16ELi8ELi4ELi2EEviiiiiiPKT_S3_S3_PS1_ii
	.globl	_Z12wvSplitK_hf_I14__hip_bfloat16Li64ELi1ELi16ELi8ELi4ELi2EEviiiiiiPKT_S3_S3_PS1_ii
	.p2align	8
	.type	_Z12wvSplitK_hf_I14__hip_bfloat16Li64ELi1ELi16ELi8ELi4ELi2EEviiiiiiPKT_S3_S3_PS1_ii,@function
_Z12wvSplitK_hf_I14__hip_bfloat16Li64ELi1ELi16ELi8ELi4ELi2EEviiiiiiPKT_S3_S3_PS1_ii: ; @_Z12wvSplitK_hf_I14__hip_bfloat16Li64ELi1ELi16ELi8ELi4ELi2EEviiiiiiPKT_S3_S3_PS1_ii
; %bb.0:
	s_clause 0x1
	s_load_b64 s[18:19], s[0:1], 0x38
	s_load_b128 s[4:7], s[0:1], 0x0
	v_bfe_u32 v1, v0, 10, 10
	s_clause 0x1
	s_load_b64 s[8:9], s[0:1], 0x20
	s_load_b64 s[10:11], s[0:1], 0x10
	v_mov_b32_e32 v56, 1
	s_waitcnt lgkmcnt(0)
	v_mad_u64_u32 v[48:49], null, s15, s18, v[1:2]
	s_delay_alu instid0(VALU_DEP_1) | instskip(SKIP_1) | instid1(VALU_DEP_2)
	v_add_nc_u32_e32 v2, 1, v48
	v_cmp_gt_u32_e32 vcc_lo, s7, v48
	v_cmp_le_u32_e64 s2, s7, v2
	s_delay_alu instid0(VALU_DEP_1) | instskip(NEXT) | instid1(SALU_CYCLE_1)
	s_and_b32 s3, vcc_lo, s2
	s_and_saveexec_b32 s2, s3
; %bb.1:
	v_subrev_nc_u32_e32 v2, s7, v48
	s_add_i32 s3, s7, -1
	s_delay_alu instid0(SALU_CYCLE_1) | instskip(NEXT) | instid1(VALU_DEP_2)
	v_mov_b32_e32 v48, s3
	v_cmp_eq_u32_e32 vcc_lo, -1, v2
	v_cndmask_b32_e64 v56, 0, 1, vcc_lo
; %bb.2:
	s_or_b32 exec_lo, exec_lo, s2
	s_load_b64 s[12:13], s[0:1], 0x28
	v_and_b32_e32 v0, 0x3ff, v0
	s_lshl_b32 s3, s6, 1
	s_mov_b32 s15, exec_lo
	s_min_u32 s14, s3, 0x8000
	s_delay_alu instid0(VALU_DEP_1) | instskip(NEXT) | instid1(VALU_DEP_1)
	v_lshlrev_b32_e32 v57, 3, v0
	v_lshl_add_u32 v4, v1, 9, v57
	s_delay_alu instid0(VALU_DEP_1)
	v_cmpx_gt_u32_e64 s14, v4
	s_cbranch_execz .LBB204_5
; %bb.3:
	v_lshlrev_b32_e32 v5, 10, v1
	v_lshlrev_b32_e32 v6, 4, v0
	s_mov_b32 s16, 0
	s_delay_alu instid0(VALU_DEP_1) | instskip(NEXT) | instid1(VALU_DEP_1)
	v_add_co_u32 v2, s2, v5, v6
	v_add_co_ci_u32_e64 v3, null, 0, 0, s2
	v_add_nc_u32_e32 v5, v5, v6
	s_delay_alu instid0(VALU_DEP_3) | instskip(NEXT) | instid1(VALU_DEP_3)
	v_add_co_u32 v2, vcc_lo, s8, v2
	v_add_co_ci_u32_e32 v3, vcc_lo, s9, v3, vcc_lo
	.p2align	6
.LBB204_4:                              ; =>This Inner Loop Header: Depth=1
	global_load_b128 v[6:9], v[2:3], off
	v_add_nc_u32_e32 v4, 0x2000, v4
	v_add_co_u32 v2, vcc_lo, 0x4000, v2
	v_add_co_ci_u32_e32 v3, vcc_lo, 0, v3, vcc_lo
	s_delay_alu instid0(VALU_DEP_3) | instskip(NEXT) | instid1(VALU_DEP_1)
	v_cmp_le_u32_e64 s2, s14, v4
	s_or_b32 s16, s2, s16
	s_waitcnt vmcnt(0)
	ds_store_b128 v5, v[6:9]
	v_add_nc_u32_e32 v5, 0x4000, v5
	s_and_not1_b32 exec_lo, exec_lo, s16
	s_cbranch_execnz .LBB204_4
.LBB204_5:
	s_or_b32 exec_lo, exec_lo, s15
	v_cmp_gt_u32_e32 vcc_lo, s18, v1
	v_cmp_gt_u32_e64 s2, s7, v48
	s_waitcnt lgkmcnt(0)
	s_barrier
	buffer_gl0_inv
	s_and_b32 s2, vcc_lo, s2
	s_delay_alu instid0(SALU_CYCLE_1)
	s_and_saveexec_b32 s14, s2
	s_cbranch_execz .LBB204_64
; %bb.6:
	v_cvt_f32_u32_e32 v1, s10
	s_cmp_lg_u32 s4, 0
	v_mbcnt_lo_u32_b32 v2, -1, 0
	s_cselect_b32 s20, -1, 0
	s_add_i32 s21, s4, -8
	v_rcp_iflag_f32_e32 v1, v1
	s_add_i32 s22, s7, -1
	s_cmp_lg_u64 s[12:13], 0
	s_clause 0x1
	s_load_b64 s[14:15], s[0:1], 0x18
	s_load_b64 s[16:17], s[0:1], 0x30
	s_mul_i32 s18, s19, s18
	s_cselect_b32 s19, -1, 0
	s_sub_i32 s1, 0, s10
	v_cmp_eq_u32_e64 s0, 63, v0
	v_lshlrev_b32_e32 v58, 4, v0
	v_xor_b32_e32 v0, 16, v2
	s_waitcnt_depctr 0xfff
	v_dual_mul_f32 v1, 0x4f7ffffe, v1 :: v_dual_mov_b32 v50, 0
	s_abs_i32 s2, s11
	v_add_nc_u32_e32 v59, s6, v57
	v_cmp_gt_i32_e32 vcc_lo, 32, v0
	s_delay_alu instid0(VALU_DEP_3) | instskip(SKIP_1) | instid1(VALU_DEP_2)
	v_cvt_u32_f32_e32 v1, v1
	v_cndmask_b32_e32 v0, v2, v0, vcc_lo
	v_mul_lo_u32 v3, s1, v1
	s_sub_i32 s1, s18, s7
	s_delay_alu instid0(SALU_CYCLE_1) | instskip(SKIP_4) | instid1(VALU_DEP_2)
	s_add_i32 s11, s1, 2
	s_sub_i32 s1, 1, s2
	s_cmp_lt_u32 s2, 2
	v_lshlrev_b32_e32 v60, 2, v0
	s_cselect_b32 s1, s1, 1
	v_mul_hi_u32 v3, v1, v3
	s_sub_i32 s6, s1, s2
	s_cmp_ge_u32 s1, s2
	s_cselect_b32 s23, s6, s1
	s_mov_b32 s6, 0
	s_mul_i32 s23, s23, s10
	s_delay_alu instid0(VALU_DEP_1)
	v_add_nc_u32_e32 v61, v1, v3
	s_branch .LBB204_9
.LBB204_7:                              ;   in Loop: Header=BB204_9 Depth=1
	s_or_b32 exec_lo, exec_lo, s2
	v_add_nc_u32_e32 v49, s7, v48
	s_delay_alu instid0(VALU_DEP_1) | instskip(NEXT) | instid1(VALU_DEP_1)
	v_lshlrev_b64 v[1:2], 1, v[49:50]
	v_add_co_u32 v1, vcc_lo, s16, v1
	s_delay_alu instid0(VALU_DEP_2)
	v_add_co_ci_u32_e32 v2, vcc_lo, s17, v2, vcc_lo
	global_store_d16_hi_b16 v[1:2], v0, off
.LBB204_8:                              ;   in Loop: Header=BB204_9 Depth=1
	s_or_b32 exec_lo, exec_lo, s1
	v_add_nc_u32_e32 v0, s18, v48
	s_waitcnt lgkmcnt(0)
	s_delay_alu instid0(VALU_DEP_1) | instskip(SKIP_1) | instid1(VALU_DEP_2)
	v_add_nc_u32_e32 v1, 1, v0
	v_cmp_le_u32_e32 vcc_lo, s7, v0
	v_cmp_gt_u32_e64 s1, s7, v1
	v_add_nc_u32_e32 v1, s11, v48
	s_delay_alu instid0(VALU_DEP_2) | instskip(NEXT) | instid1(VALU_DEP_1)
	s_or_b32 vcc_lo, vcc_lo, s1
	v_cmp_eq_u32_e64 s1, 1, v1
	v_cndmask_b32_e32 v48, s22, v0, vcc_lo
	s_delay_alu instid0(VALU_DEP_2) | instskip(NEXT) | instid1(VALU_DEP_1)
	s_or_b32 vcc_lo, vcc_lo, s1
	v_cmp_le_u32_e64 s2, s7, v48
	v_cndmask_b32_e32 v56, 0, v56, vcc_lo
	s_delay_alu instid0(VALU_DEP_2) | instskip(NEXT) | instid1(SALU_CYCLE_1)
	s_or_b32 s6, s2, s6
	s_and_not1_b32 exec_lo, exec_lo, s6
	s_cbranch_execz .LBB204_64
.LBB204_9:                              ; =>This Loop Header: Depth=1
                                        ;     Child Loop BB204_16 Depth 2
	v_mov_b32_e32 v66, v50
	v_mov_b32_e32 v65, v50
	s_and_not1_b32 vcc_lo, exec_lo, s20
	s_cbranch_vccnz .LBB204_52
; %bb.10:                               ;   in Loop: Header=BB204_9 Depth=1
	v_min_u32_e32 v0, s22, v48
	v_dual_mov_b32 v65, 0 :: v_dual_mov_b32 v62, v58
	v_mov_b32_e32 v66, 0
	s_mov_b32 s1, 0
	s_delay_alu instid0(VALU_DEP_3) | instskip(NEXT) | instid1(VALU_DEP_1)
	v_mul_lo_u32 v49, v0, s5
	v_lshlrev_b64 v[0:1], 1, v[49:50]
	s_waitcnt lgkmcnt(0)
	s_delay_alu instid0(VALU_DEP_1) | instskip(NEXT) | instid1(VALU_DEP_2)
	v_add_co_u32 v63, vcc_lo, s14, v0
	v_add_co_ci_u32_e32 v64, vcc_lo, s15, v1, vcc_lo
	s_branch .LBB204_16
.LBB204_11:                             ;   in Loop: Header=BB204_16 Depth=2
	s_or_b32 exec_lo, exec_lo, s27
.LBB204_12:                             ;   in Loop: Header=BB204_16 Depth=2
	s_delay_alu instid0(SALU_CYCLE_1)
	s_or_b32 exec_lo, exec_lo, s26
.LBB204_13:                             ;   in Loop: Header=BB204_16 Depth=2
	s_delay_alu instid0(SALU_CYCLE_1)
	s_or_b32 exec_lo, exec_lo, s25
.LBB204_14:                             ;   in Loop: Header=BB204_16 Depth=2
	s_delay_alu instid0(SALU_CYCLE_1)
	s_or_b32 exec_lo, exec_lo, s24
.LBB204_15:                             ;   in Loop: Header=BB204_16 Depth=2
	s_delay_alu instid0(SALU_CYCLE_1)
	s_or_b32 exec_lo, exec_lo, s2
	s_waitcnt vmcnt(0) lgkmcnt(0)
	v_and_b32_e32 v52, 0xffff0000, v25
	v_and_b32_e32 v55, 0xffff0000, v19
	;; [unrolled: 1-line block ×5, first 2 shown]
	v_lshlrev_b32_e32 v17, 16, v17
	v_lshlrev_b32_e32 v19, 16, v19
	;; [unrolled: 1-line block ×4, first 2 shown]
	v_dual_mul_f32 v52, v52, v53 :: v_dual_and_b32 v51, 0xffff0000, v16
	v_lshlrev_b32_e32 v16, 16, v16
	v_add_nc_u32_e32 v62, 0x1000, v62
	s_addk_i32 s1, 0x800
	s_delay_alu instid0(VALU_DEP_3) | instskip(SKIP_2) | instid1(VALU_DEP_1)
	v_fmac_f32_e32 v52, v25, v17
	v_dual_mul_f32 v49, v49, v51 :: v_dual_lshlrev_b32 v24, 16, v24
	s_cmp_ge_u32 s1, s4
	v_fmac_f32_e32 v49, v24, v16
	s_delay_alu instid0(VALU_DEP_1) | instskip(NEXT) | instid1(VALU_DEP_1)
	v_dual_add_f32 v25, v66, v49 :: v_dual_and_b32 v24, 0xffff0000, v26
	v_dual_add_f32 v25, v25, v52 :: v_dual_lshlrev_b32 v26, 16, v26
	s_delay_alu instid0(VALU_DEP_2) | instskip(SKIP_2) | instid1(VALU_DEP_3)
	v_mul_f32_e32 v24, v24, v54
	v_and_b32_e32 v52, 0xffff0000, v12
	v_lshlrev_b32_e32 v12, 16, v12
	v_fmac_f32_e32 v24, v26, v18
	v_lshlrev_b32_e32 v26, 16, v27
	s_delay_alu instid0(VALU_DEP_2) | instskip(SKIP_2) | instid1(VALU_DEP_1)
	v_add_f32_e32 v24, v25, v24
	v_lshlrev_b32_e32 v25, 16, v32
	v_and_b32_e32 v49, 0xffff0000, v27
	v_mul_f32_e32 v27, v49, v55
	s_delay_alu instid0(VALU_DEP_1) | instskip(SKIP_2) | instid1(VALU_DEP_3)
	v_fmac_f32_e32 v27, v26, v19
	v_and_b32_e32 v49, 0xffff0000, v32
	v_and_b32_e32 v32, 0xffff0000, v33
	v_add_f32_e32 v24, v24, v27
	s_delay_alu instid0(VALU_DEP_3) | instskip(NEXT) | instid1(VALU_DEP_1)
	v_mul_f32_e32 v26, v49, v52
	v_dual_fmac_f32 v26, v25, v12 :: v_dual_lshlrev_b32 v25, 16, v33
	v_and_b32_e32 v33, 0xffff0000, v14
	v_lshlrev_b32_e32 v14, 16, v14
	s_delay_alu instid0(VALU_DEP_3) | instskip(NEXT) | instid1(VALU_DEP_1)
	v_dual_add_f32 v24, v24, v26 :: v_dual_and_b32 v49, 0xffff0000, v13
	v_dual_mul_f32 v27, v32, v49 :: v_dual_and_b32 v32, 0xffff0000, v34
	s_delay_alu instid0(VALU_DEP_1) | instskip(SKIP_1) | instid1(VALU_DEP_1)
	v_mul_f32_e32 v26, v32, v33
	v_lshlrev_b32_e32 v13, 16, v13
	v_dual_fmac_f32 v27, v25, v13 :: v_dual_and_b32 v32, 0xffff0000, v35
	v_lshlrev_b32_e32 v25, 16, v34
	v_and_b32_e32 v34, 0xffff0000, v15
	s_delay_alu instid0(VALU_DEP_3) | instskip(NEXT) | instid1(VALU_DEP_3)
	v_add_f32_e32 v24, v24, v27
	v_dual_fmac_f32 v26, v25, v14 :: v_dual_lshlrev_b32 v25, 16, v35
	s_delay_alu instid0(VALU_DEP_3) | instskip(NEXT) | instid1(VALU_DEP_2)
	v_dual_mul_f32 v27, v32, v34 :: v_dual_and_b32 v32, 0xffff0000, v44
	v_dual_add_f32 v24, v24, v26 :: v_dual_and_b32 v35, 0xffff0000, v4
	v_lshlrev_b32_e32 v4, 16, v4
	s_delay_alu instid0(VALU_DEP_2) | instskip(SKIP_1) | instid1(VALU_DEP_1)
	v_mul_f32_e32 v26, v32, v35
	v_lshlrev_b32_e32 v15, 16, v15
	v_dual_fmac_f32 v27, v25, v15 :: v_dual_and_b32 v32, 0xffff0000, v45
	v_lshlrev_b32_e32 v25, 16, v44
	v_and_b32_e32 v44, 0xffff0000, v5
	s_delay_alu instid0(VALU_DEP_3) | instskip(NEXT) | instid1(VALU_DEP_3)
	v_add_f32_e32 v24, v24, v27
	v_dual_fmac_f32 v26, v25, v4 :: v_dual_lshlrev_b32 v25, 16, v45
	s_delay_alu instid0(VALU_DEP_3) | instskip(SKIP_1) | instid1(VALU_DEP_3)
	v_dual_mul_f32 v27, v32, v44 :: v_dual_and_b32 v32, 0xffff0000, v46
	v_and_b32_e32 v45, 0xffff0000, v6
	v_add_f32_e32 v24, v24, v26
	v_lshlrev_b32_e32 v6, 16, v6
	s_delay_alu instid0(VALU_DEP_3) | instskip(SKIP_1) | instid1(VALU_DEP_1)
	v_mul_f32_e32 v26, v32, v45
	v_lshlrev_b32_e32 v5, 16, v5
	v_fmac_f32_e32 v27, v25, v5
	v_lshlrev_b32_e32 v25, 16, v46
	v_lshlrev_b32_e32 v46, 16, v47
	s_delay_alu instid0(VALU_DEP_3) | instskip(NEXT) | instid1(VALU_DEP_3)
	v_dual_add_f32 v24, v24, v27 :: v_dual_and_b32 v27, 0xffff0000, v8
	v_dual_fmac_f32 v26, v25, v6 :: v_dual_and_b32 v25, 0xffff0000, v47
	v_lshlrev_b32_e32 v8, 16, v8
	v_and_b32_e32 v47, 0xffff0000, v9
	s_delay_alu instid0(VALU_DEP_4) | instskip(NEXT) | instid1(VALU_DEP_1)
	v_mul_f32_e32 v27, v27, v51
	v_dual_fmac_f32 v27, v8, v16 :: v_dual_lshlrev_b32 v8, 16, v9
	s_delay_alu instid0(VALU_DEP_3) | instskip(SKIP_1) | instid1(VALU_DEP_2)
	v_dual_mul_f32 v9, v47, v53 :: v_dual_add_f32 v16, v24, v26
	v_and_b32_e32 v24, 0xffff0000, v10
	v_dual_add_f32 v26, v65, v27 :: v_dual_fmac_f32 v9, v8, v17
	v_lshlrev_b32_e32 v8, 16, v10
	s_delay_alu instid0(VALU_DEP_3) | instskip(NEXT) | instid1(VALU_DEP_1)
	v_dual_mul_f32 v10, v24, v54 :: v_dual_and_b32 v17, 0xffff0000, v11
	v_dual_add_f32 v9, v26, v9 :: v_dual_fmac_f32 v10, v8, v18
	v_lshlrev_b32_e32 v8, 16, v11
	s_delay_alu instid0(VALU_DEP_3) | instskip(NEXT) | instid1(VALU_DEP_3)
	v_dual_mul_f32 v11, v17, v55 :: v_dual_and_b32 v18, 0xffff0000, v20
	v_add_f32_e32 v9, v9, v10
	s_delay_alu instid0(VALU_DEP_2) | instskip(NEXT) | instid1(VALU_DEP_3)
	v_dual_fmac_f32 v11, v8, v19 :: v_dual_lshlrev_b32 v8, 16, v20
	v_mul_f32_e32 v10, v18, v52
	s_delay_alu instid0(VALU_DEP_2) | instskip(NEXT) | instid1(VALU_DEP_2)
	v_dual_add_f32 v9, v9, v11 :: v_dual_and_b32 v18, 0xffff0000, v21
	v_fmac_f32_e32 v10, v8, v12
	v_and_b32_e32 v24, 0xffff0000, v36
	v_lshlrev_b32_e32 v8, 16, v21
	s_delay_alu instid0(VALU_DEP_4) | instskip(NEXT) | instid1(VALU_DEP_4)
	v_dual_mul_f32 v11, v18, v49 :: v_dual_and_b32 v12, 0xffff0000, v22
	v_dual_add_f32 v9, v9, v10 :: v_dual_and_b32 v32, 0xffff0000, v7
	v_lshlrev_b32_e32 v7, 16, v7
	s_delay_alu instid0(VALU_DEP_3) | instskip(NEXT) | instid1(VALU_DEP_3)
	v_dual_fmac_f32 v11, v8, v13 :: v_dual_lshlrev_b32 v8, 16, v22
	v_dual_mul_f32 v10, v12, v33 :: v_dual_mul_f32 v25, v25, v32
	v_and_b32_e32 v18, 0xffff0000, v1
	v_lshlrev_b32_e32 v17, 16, v36
	s_delay_alu instid0(VALU_DEP_3) | instskip(NEXT) | instid1(VALU_DEP_4)
	v_dual_add_f32 v9, v9, v11 :: v_dual_fmac_f32 v10, v8, v14
	v_fmac_f32_e32 v25, v46, v7
	v_lshlrev_b32_e32 v1, 16, v1
	v_and_b32_e32 v13, 0xffff0000, v23
	s_delay_alu instid0(VALU_DEP_4) | instskip(NEXT) | instid1(VALU_DEP_4)
	v_dual_add_f32 v9, v9, v10 :: v_dual_lshlrev_b32 v8, 16, v23
	v_dual_add_f32 v16, v16, v25 :: v_dual_and_b32 v25, 0xffff0000, v0
	s_delay_alu instid0(VALU_DEP_3) | instskip(SKIP_1) | instid1(VALU_DEP_3)
	v_dual_mul_f32 v11, v13, v34 :: v_dual_lshlrev_b32 v0, 16, v0
	v_and_b32_e32 v13, 0xffff0000, v28
	v_mul_f32_e32 v19, v24, v25
	s_delay_alu instid0(VALU_DEP_3) | instskip(NEXT) | instid1(VALU_DEP_3)
	v_dual_fmac_f32 v11, v8, v15 :: v_dual_lshlrev_b32 v8, 16, v28
	v_mul_f32_e32 v10, v13, v35
	s_delay_alu instid0(VALU_DEP_3) | instskip(SKIP_1) | instid1(VALU_DEP_3)
	v_fmac_f32_e32 v19, v17, v0
	v_and_b32_e32 v17, 0xffff0000, v37
	v_dual_add_f32 v9, v9, v11 :: v_dual_fmac_f32 v10, v8, v4
	s_delay_alu instid0(VALU_DEP_3) | instskip(NEXT) | instid1(VALU_DEP_2)
	v_dual_add_f32 v13, v16, v19 :: v_dual_lshlrev_b32 v4, 16, v29
	v_dual_add_f32 v9, v9, v10 :: v_dual_lshlrev_b32 v12, 16, v37
	s_delay_alu instid0(VALU_DEP_4) | instskip(NEXT) | instid1(VALU_DEP_1)
	v_dual_mul_f32 v14, v17, v18 :: v_dual_and_b32 v15, 0xffff0000, v29
	v_fmac_f32_e32 v14, v12, v1
	s_delay_alu instid0(VALU_DEP_2) | instskip(SKIP_1) | instid1(VALU_DEP_3)
	v_mul_f32_e32 v8, v15, v44
	v_and_b32_e32 v12, 0xffff0000, v30
	v_add_f32_e32 v11, v13, v14
	s_delay_alu instid0(VALU_DEP_3) | instskip(NEXT) | instid1(VALU_DEP_3)
	v_dual_fmac_f32 v8, v4, v5 :: v_dual_and_b32 v13, 0xffff0000, v38
	v_dual_mul_f32 v5, v12, v45 :: v_dual_lshlrev_b32 v4, 16, v30
	v_and_b32_e32 v14, 0xffff0000, v2
	v_and_b32_e32 v12, 0xffff0000, v31
	s_delay_alu instid0(VALU_DEP_4) | instskip(SKIP_2) | instid1(VALU_DEP_4)
	v_add_f32_e32 v8, v9, v8
	v_lshlrev_b32_e32 v2, 16, v2
	v_dual_fmac_f32 v5, v4, v6 :: v_dual_lshlrev_b32 v4, 16, v31
	v_mul_f32_e32 v6, v12, v32
	v_and_b32_e32 v9, 0xffff0000, v40
	s_delay_alu instid0(VALU_DEP_3) | instskip(SKIP_1) | instid1(VALU_DEP_4)
	v_dual_add_f32 v5, v8, v5 :: v_dual_lshlrev_b32 v10, 16, v38
	v_and_b32_e32 v8, 0xffff0000, v41
	v_fmac_f32_e32 v6, v4, v7
	s_delay_alu instid0(VALU_DEP_4) | instskip(SKIP_1) | instid1(VALU_DEP_3)
	v_dual_mul_f32 v7, v9, v25 :: v_dual_lshlrev_b32 v4, 16, v40
	v_and_b32_e32 v9, 0xffff0000, v39
	v_dual_add_f32 v5, v5, v6 :: v_dual_lshlrev_b32 v6, 16, v39
	s_delay_alu instid0(VALU_DEP_3) | instskip(SKIP_1) | instid1(VALU_DEP_2)
	v_dual_fmac_f32 v7, v4, v0 :: v_dual_lshlrev_b32 v0, 16, v41
	v_mul_f32_e32 v4, v8, v18
	v_dual_add_f32 v5, v5, v7 :: v_dual_and_b32 v8, 0xffff0000, v42
	s_delay_alu instid0(VALU_DEP_2) | instskip(SKIP_1) | instid1(VALU_DEP_2)
	v_dual_fmac_f32 v4, v0, v1 :: v_dual_and_b32 v7, 0xffff0000, v43
	v_lshlrev_b32_e32 v0, 16, v42
	v_dual_mul_f32 v1, v8, v14 :: v_dual_add_f32 v4, v5, v4
	s_delay_alu instid0(VALU_DEP_1) | instskip(NEXT) | instid1(VALU_DEP_1)
	v_dual_fmac_f32 v1, v0, v2 :: v_dual_lshlrev_b32 v0, 16, v43
	v_dual_add_f32 v1, v4, v1 :: v_dual_mul_f32 v12, v13, v14
	s_delay_alu instid0(VALU_DEP_1) | instskip(SKIP_2) | instid1(VALU_DEP_2)
	v_fmac_f32_e32 v12, v10, v2
	v_and_b32_e32 v10, 0xffff0000, v3
	v_lshlrev_b32_e32 v3, 16, v3
	v_dual_add_f32 v5, v11, v12 :: v_dual_mul_f32 v8, v9, v10
	v_mul_f32_e32 v2, v7, v10
	s_delay_alu instid0(VALU_DEP_2) | instskip(NEXT) | instid1(VALU_DEP_2)
	v_fmac_f32_e32 v8, v6, v3
	v_fmac_f32_e32 v2, v0, v3
	s_delay_alu instid0(VALU_DEP_2) | instskip(NEXT) | instid1(VALU_DEP_2)
	v_add_f32_e32 v66, v5, v8
	v_add_f32_e32 v65, v1, v2
	s_cbranch_scc1 .LBB204_52
.LBB204_16:                             ;   Parent Loop BB204_9 Depth=1
                                        ; =>  This Inner Loop Header: Depth=2
	v_dual_mov_b32 v43, 0 :: v_dual_add_nc_u32 v54, s1, v57
	v_dual_mov_b32 v39, 0 :: v_dual_mov_b32 v38, 0
	v_dual_mov_b32 v37, 0 :: v_dual_mov_b32 v36, 0
	s_delay_alu instid0(VALU_DEP_3) | instskip(SKIP_2) | instid1(VALU_DEP_3)
	v_min_u32_e32 v49, s21, v54
	v_dual_mov_b32 v42, 0 :: v_dual_add_nc_u32 v53, 0x200, v54
	v_dual_mov_b32 v41, 0 :: v_dual_add_nc_u32 v52, 0x400, v54
	v_lshlrev_b64 v[0:1], 1, v[49:50]
	s_delay_alu instid0(VALU_DEP_3) | instskip(SKIP_3) | instid1(VALU_DEP_3)
	v_min_u32_e32 v49, s21, v53
	v_dual_mov_b32 v40, 0 :: v_dual_add_nc_u32 v51, 0x600, v54
	v_dual_mov_b32 v31, 0 :: v_dual_mov_b32 v30, 0
	s_waitcnt vmcnt(0)
	v_lshlrev_b64 v[2:3], 1, v[49:50]
	v_min_u32_e32 v49, s21, v52
	v_add_co_u32 v0, vcc_lo, v63, v0
	v_add_co_ci_u32_e32 v1, vcc_lo, v64, v1, vcc_lo
	s_delay_alu instid0(VALU_DEP_3) | instskip(SKIP_3) | instid1(VALU_DEP_3)
	v_lshlrev_b64 v[4:5], 1, v[49:50]
	v_min_u32_e32 v49, s21, v51
	v_add_co_u32 v2, vcc_lo, v63, v2
	v_add_co_ci_u32_e32 v3, vcc_lo, v64, v3, vcc_lo
	v_lshlrev_b64 v[6:7], 1, v[49:50]
	v_add_co_u32 v4, vcc_lo, v63, v4
	v_add_co_ci_u32_e32 v5, vcc_lo, v64, v5, vcc_lo
	v_dual_mov_b32 v29, 0 :: v_dual_mov_b32 v28, 0
	s_delay_alu instid0(VALU_DEP_4)
	v_add_co_u32 v8, vcc_lo, v63, v6
	v_add_co_ci_u32_e32 v9, vcc_lo, v64, v7, vcc_lo
	s_clause 0x3
	global_load_b128 v[16:19], v[0:1], off slc dlc
	global_load_b128 v[12:15], v[2:3], off slc dlc
	;; [unrolled: 1-line block ×4, first 2 shown]
	v_cmp_gt_u32_e32 vcc_lo, s4, v54
	v_dual_mov_b32 v47, 0 :: v_dual_mov_b32 v46, 0
	v_dual_mov_b32 v45, 0 :: v_dual_mov_b32 v44, 0
	;; [unrolled: 1-line block ×10, first 2 shown]
	s_and_saveexec_b32 s2, vcc_lo
	s_cbranch_execz .LBB204_15
; %bb.17:                               ;   in Loop: Header=BB204_16 Depth=2
	s_mov_b32 s24, exec_lo
                                        ; implicit-def: $vgpr27
	v_cmpx_lt_u32_e32 0x7fff, v54
	s_xor_b32 s24, exec_lo, s24
	s_cbranch_execz .LBB204_19
; %bb.18:                               ;   in Loop: Header=BB204_16 Depth=2
	v_mov_b32_e32 v55, v50
	s_delay_alu instid0(VALU_DEP_1) | instskip(NEXT) | instid1(VALU_DEP_1)
	v_lshlrev_b64 v[8:9], 1, v[54:55]
	v_add_co_u32 v8, vcc_lo, s8, v8
	s_delay_alu instid0(VALU_DEP_2)
	v_add_co_ci_u32_e32 v9, vcc_lo, s9, v9, vcc_lo
	global_load_b128 v[24:27], v[8:9], off
.LBB204_19:                             ;   in Loop: Header=BB204_16 Depth=2
	s_and_not1_saveexec_b32 s24, s24
	s_cbranch_execz .LBB204_21
; %bb.20:                               ;   in Loop: Header=BB204_16 Depth=2
	s_waitcnt vmcnt(0)
	ds_load_b128 v[24:27], v62
.LBB204_21:                             ;   in Loop: Header=BB204_16 Depth=2
	s_or_b32 exec_lo, exec_lo, s24
	v_add_nc_u32_e32 v49, s1, v59
	s_mov_b32 s24, exec_lo
                                        ; implicit-def: $vgpr11
	s_delay_alu instid0(VALU_DEP_1)
	v_cmpx_lt_u32_e32 0x7fff, v49
	s_xor_b32 s24, exec_lo, s24
	s_cbranch_execz .LBB204_23
; %bb.22:                               ;   in Loop: Header=BB204_16 Depth=2
	v_lshlrev_b64 v[8:9], 1, v[49:50]
	s_delay_alu instid0(VALU_DEP_1) | instskip(NEXT) | instid1(VALU_DEP_2)
	v_add_co_u32 v8, vcc_lo, s8, v8
	v_add_co_ci_u32_e32 v9, vcc_lo, s9, v9, vcc_lo
	global_load_b128 v[8:11], v[8:9], off
.LBB204_23:                             ;   in Loop: Header=BB204_16 Depth=2
	s_and_not1_saveexec_b32 s24, s24
	s_cbranch_execz .LBB204_25
; %bb.24:                               ;   in Loop: Header=BB204_16 Depth=2
	s_waitcnt vmcnt(0)
	v_add_nc_u32_e32 v8, s3, v62
	ds_load_b128 v[8:11], v8
.LBB204_25:                             ;   in Loop: Header=BB204_16 Depth=2
	s_or_b32 exec_lo, exec_lo, s24
	v_cmp_gt_u32_e32 vcc_lo, s4, v53
	v_dual_mov_b32 v43, 0 :: v_dual_mov_b32 v42, 0
	v_dual_mov_b32 v41, 0 :: v_dual_mov_b32 v40, 0
	;; [unrolled: 1-line block ×12, first 2 shown]
	s_and_saveexec_b32 s24, vcc_lo
	s_cbranch_execz .LBB204_14
; %bb.26:                               ;   in Loop: Header=BB204_16 Depth=2
	s_mov_b32 s25, exec_lo
                                        ; implicit-def: $vgpr35
	v_cmpx_lt_u32_e32 0x7fff, v53
	s_xor_b32 s25, exec_lo, s25
	s_cbranch_execz .LBB204_28
; %bb.27:                               ;   in Loop: Header=BB204_16 Depth=2
	v_mov_b32_e32 v54, v50
	s_delay_alu instid0(VALU_DEP_1) | instskip(NEXT) | instid1(VALU_DEP_1)
	v_lshlrev_b64 v[20:21], 1, v[53:54]
	v_add_co_u32 v20, vcc_lo, s8, v20
	s_delay_alu instid0(VALU_DEP_2)
	v_add_co_ci_u32_e32 v21, vcc_lo, s9, v21, vcc_lo
	global_load_b128 v[32:35], v[20:21], off
.LBB204_28:                             ;   in Loop: Header=BB204_16 Depth=2
	s_and_not1_saveexec_b32 s25, s25
	s_cbranch_execz .LBB204_30
; %bb.29:                               ;   in Loop: Header=BB204_16 Depth=2
	s_waitcnt vmcnt(0)
	ds_load_b128 v[32:35], v62 offset:1024
.LBB204_30:                             ;   in Loop: Header=BB204_16 Depth=2
	s_or_b32 exec_lo, exec_lo, s25
	v_add_nc_u32_e32 v20, 0x200, v49
	s_mov_b32 s25, exec_lo
                                        ; implicit-def: $vgpr23
	s_delay_alu instid0(VALU_DEP_1)
	v_cmpx_lt_u32_e32 0x7fff, v20
	s_xor_b32 s25, exec_lo, s25
	s_cbranch_execz .LBB204_32
; %bb.31:                               ;   in Loop: Header=BB204_16 Depth=2
	v_mov_b32_e32 v21, v50
	s_delay_alu instid0(VALU_DEP_1) | instskip(NEXT) | instid1(VALU_DEP_1)
	v_lshlrev_b64 v[20:21], 1, v[20:21]
	v_add_co_u32 v20, vcc_lo, s8, v20
	s_delay_alu instid0(VALU_DEP_2)
	v_add_co_ci_u32_e32 v21, vcc_lo, s9, v21, vcc_lo
	global_load_b128 v[20:23], v[20:21], off
.LBB204_32:                             ;   in Loop: Header=BB204_16 Depth=2
	s_and_not1_saveexec_b32 s25, s25
	s_cbranch_execz .LBB204_34
; %bb.33:                               ;   in Loop: Header=BB204_16 Depth=2
	s_waitcnt vmcnt(0)
	v_add_nc_u32_e32 v20, s3, v62
	ds_load_b128 v[20:23], v20 offset:1024
.LBB204_34:                             ;   in Loop: Header=BB204_16 Depth=2
	s_or_b32 exec_lo, exec_lo, s25
	v_dual_mov_b32 v43, 0 :: v_dual_mov_b32 v42, 0
	v_dual_mov_b32 v41, 0 :: v_dual_mov_b32 v40, 0
	;; [unrolled: 1-line block ×8, first 2 shown]
	s_mov_b32 s25, exec_lo
	v_cmpx_gt_u32_e64 s4, v52
	s_cbranch_execz .LBB204_13
; %bb.35:                               ;   in Loop: Header=BB204_16 Depth=2
	s_mov_b32 s26, exec_lo
                                        ; implicit-def: $vgpr47
	v_cmpx_lt_u32_e32 0x7fff, v52
	s_xor_b32 s26, exec_lo, s26
	s_cbranch_execz .LBB204_37
; %bb.36:                               ;   in Loop: Header=BB204_16 Depth=2
	v_mov_b32_e32 v53, v50
	s_delay_alu instid0(VALU_DEP_1) | instskip(NEXT) | instid1(VALU_DEP_1)
	v_lshlrev_b64 v[28:29], 1, v[52:53]
	v_add_co_u32 v28, vcc_lo, s8, v28
	s_delay_alu instid0(VALU_DEP_2)
	v_add_co_ci_u32_e32 v29, vcc_lo, s9, v29, vcc_lo
	global_load_b128 v[44:47], v[28:29], off
.LBB204_37:                             ;   in Loop: Header=BB204_16 Depth=2
	s_and_not1_saveexec_b32 s26, s26
	s_cbranch_execz .LBB204_39
; %bb.38:                               ;   in Loop: Header=BB204_16 Depth=2
	s_waitcnt vmcnt(0)
	ds_load_b128 v[44:47], v62 offset:2048
.LBB204_39:                             ;   in Loop: Header=BB204_16 Depth=2
	s_or_b32 exec_lo, exec_lo, s26
	v_add_nc_u32_e32 v28, 0x400, v49
	s_mov_b32 s26, exec_lo
                                        ; implicit-def: $vgpr31
	s_delay_alu instid0(VALU_DEP_1)
	v_cmpx_lt_u32_e32 0x7fff, v28
	s_xor_b32 s26, exec_lo, s26
	s_cbranch_execz .LBB204_41
; %bb.40:                               ;   in Loop: Header=BB204_16 Depth=2
	v_mov_b32_e32 v29, v50
	s_delay_alu instid0(VALU_DEP_1) | instskip(NEXT) | instid1(VALU_DEP_1)
	v_lshlrev_b64 v[28:29], 1, v[28:29]
	v_add_co_u32 v28, vcc_lo, s8, v28
	s_delay_alu instid0(VALU_DEP_2)
	v_add_co_ci_u32_e32 v29, vcc_lo, s9, v29, vcc_lo
	global_load_b128 v[28:31], v[28:29], off
.LBB204_41:                             ;   in Loop: Header=BB204_16 Depth=2
	s_and_not1_saveexec_b32 s26, s26
	s_cbranch_execz .LBB204_43
; %bb.42:                               ;   in Loop: Header=BB204_16 Depth=2
	s_waitcnt vmcnt(0)
	v_add_nc_u32_e32 v28, s3, v62
	ds_load_b128 v[28:31], v28 offset:2048
.LBB204_43:                             ;   in Loop: Header=BB204_16 Depth=2
	s_or_b32 exec_lo, exec_lo, s26
	v_dual_mov_b32 v43, 0 :: v_dual_mov_b32 v42, 0
	v_dual_mov_b32 v41, 0 :: v_dual_mov_b32 v40, 0
	;; [unrolled: 1-line block ×4, first 2 shown]
	s_mov_b32 s26, exec_lo
	v_cmpx_gt_u32_e64 s4, v51
	s_cbranch_execz .LBB204_12
; %bb.44:                               ;   in Loop: Header=BB204_16 Depth=2
	s_mov_b32 s27, exec_lo
                                        ; implicit-def: $vgpr39
	v_cmpx_lt_u32_e32 0x7fff, v51
	s_xor_b32 s27, exec_lo, s27
	s_cbranch_execz .LBB204_46
; %bb.45:                               ;   in Loop: Header=BB204_16 Depth=2
	v_mov_b32_e32 v52, v50
	s_delay_alu instid0(VALU_DEP_1) | instskip(NEXT) | instid1(VALU_DEP_1)
	v_lshlrev_b64 v[36:37], 1, v[51:52]
	v_add_co_u32 v36, vcc_lo, s8, v36
	s_delay_alu instid0(VALU_DEP_2)
	v_add_co_ci_u32_e32 v37, vcc_lo, s9, v37, vcc_lo
	global_load_b128 v[36:39], v[36:37], off
.LBB204_46:                             ;   in Loop: Header=BB204_16 Depth=2
	s_and_not1_saveexec_b32 s27, s27
	s_cbranch_execz .LBB204_48
; %bb.47:                               ;   in Loop: Header=BB204_16 Depth=2
	s_waitcnt vmcnt(0)
	ds_load_b128 v[36:39], v62 offset:3072
.LBB204_48:                             ;   in Loop: Header=BB204_16 Depth=2
	s_or_b32 exec_lo, exec_lo, s27
	v_add_nc_u32_e32 v49, 0x600, v49
	s_mov_b32 s27, exec_lo
                                        ; implicit-def: $vgpr43
	s_delay_alu instid0(VALU_DEP_1)
	v_cmpx_lt_u32_e32 0x7fff, v49
	s_xor_b32 s27, exec_lo, s27
	s_cbranch_execz .LBB204_50
; %bb.49:                               ;   in Loop: Header=BB204_16 Depth=2
	v_lshlrev_b64 v[40:41], 1, v[49:50]
	s_delay_alu instid0(VALU_DEP_1) | instskip(NEXT) | instid1(VALU_DEP_2)
	v_add_co_u32 v40, vcc_lo, s8, v40
	v_add_co_ci_u32_e32 v41, vcc_lo, s9, v41, vcc_lo
	global_load_b128 v[40:43], v[40:41], off
.LBB204_50:                             ;   in Loop: Header=BB204_16 Depth=2
	s_and_not1_saveexec_b32 s27, s27
	s_cbranch_execz .LBB204_11
; %bb.51:                               ;   in Loop: Header=BB204_16 Depth=2
	s_waitcnt vmcnt(0)
	v_add_nc_u32_e32 v40, s3, v62
	ds_load_b128 v[40:43], v40 offset:3072
	s_branch .LBB204_11
.LBB204_52:                             ;   in Loop: Header=BB204_9 Depth=1
	s_delay_alu instid0(VALU_DEP_2) | instskip(NEXT) | instid1(VALU_DEP_2)
	v_cvt_i32_f32_e32 v0, v66
	v_cvt_i32_f32_e32 v1, v65
	s_delay_alu instid0(VALU_DEP_2) | instskip(NEXT) | instid1(VALU_DEP_2)
	v_cvt_f32_i32_dpp v0, v0 row_shr:8 row_mask:0xf bank_mask:0xf bound_ctrl:1
	v_cvt_f32_i32_dpp v1, v1 row_shr:8 row_mask:0xf bank_mask:0xf bound_ctrl:1
	s_delay_alu instid0(VALU_DEP_1) | instskip(SKIP_1) | instid1(VALU_DEP_1)
	v_dual_add_f32 v0, v66, v0 :: v_dual_add_f32 v1, v65, v1
	s_waitcnt vmcnt(0)
	v_cvt_i32_f32_e32 v2, v0
	s_delay_alu instid0(VALU_DEP_2) | instskip(NEXT) | instid1(VALU_DEP_2)
	v_cvt_i32_f32_e32 v3, v1
	v_cvt_f32_i32_dpp v2, v2 row_shr:4 row_mask:0xf bank_mask:0xf bound_ctrl:1
	s_delay_alu instid0(VALU_DEP_2) | instskip(NEXT) | instid1(VALU_DEP_1)
	v_cvt_f32_i32_dpp v3, v3 row_shr:4 row_mask:0xf bank_mask:0xf bound_ctrl:1
	v_dual_add_f32 v0, v0, v2 :: v_dual_add_f32 v1, v1, v3
	s_delay_alu instid0(VALU_DEP_1) | instskip(NEXT) | instid1(VALU_DEP_2)
	v_cvt_i32_f32_e32 v2, v0
	v_cvt_i32_f32_e32 v3, v1
	s_delay_alu instid0(VALU_DEP_2) | instskip(NEXT) | instid1(VALU_DEP_2)
	v_cvt_f32_i32_dpp v2, v2 row_shr:2 row_mask:0xf bank_mask:0xf bound_ctrl:1
	v_cvt_f32_i32_dpp v3, v3 row_shr:2 row_mask:0xf bank_mask:0xf bound_ctrl:1
	s_delay_alu instid0(VALU_DEP_1) | instskip(NEXT) | instid1(VALU_DEP_1)
	v_dual_add_f32 v0, v0, v2 :: v_dual_add_f32 v1, v1, v3
	v_cvt_i32_f32_e32 v2, v0
	s_delay_alu instid0(VALU_DEP_2) | instskip(NEXT) | instid1(VALU_DEP_2)
	v_cvt_i32_f32_e32 v3, v1
	v_cvt_f32_i32_dpp v2, v2 row_shr:1 row_mask:0xf bank_mask:0xf bound_ctrl:1
	s_delay_alu instid0(VALU_DEP_2) | instskip(NEXT) | instid1(VALU_DEP_1)
	v_cvt_f32_i32_dpp v4, v3 row_shr:1 row_mask:0xf bank_mask:0xf bound_ctrl:1
	v_dual_add_f32 v3, v0, v2 :: v_dual_add_f32 v0, v1, v4
	ds_bpermute_b32 v4, v60, v3
	ds_bpermute_b32 v1, v60, v0
	s_and_saveexec_b32 s1, s0
	s_cbranch_execz .LBB204_8
; %bb.53:                               ;   in Loop: Header=BB204_9 Depth=1
	v_dual_mov_b32 v2, 0 :: v_dual_mov_b32 v5, 0
	s_and_not1_b32 vcc_lo, exec_lo, s19
	s_cbranch_vccnz .LBB204_55
; %bb.54:                               ;   in Loop: Header=BB204_9 Depth=1
	v_mul_hi_u32 v2, v48, v61
	s_delay_alu instid0(VALU_DEP_1) | instskip(NEXT) | instid1(VALU_DEP_1)
	v_mul_lo_u32 v2, v2, s10
	v_sub_nc_u32_e32 v2, v48, v2
	s_delay_alu instid0(VALU_DEP_1) | instskip(SKIP_1) | instid1(VALU_DEP_2)
	v_subrev_nc_u32_e32 v5, s10, v2
	v_cmp_le_u32_e32 vcc_lo, s10, v2
	v_cndmask_b32_e32 v2, v2, v5, vcc_lo
	s_delay_alu instid0(VALU_DEP_1) | instskip(SKIP_1) | instid1(VALU_DEP_2)
	v_subrev_nc_u32_e32 v5, s10, v2
	v_cmp_le_u32_e32 vcc_lo, s10, v2
	v_cndmask_b32_e32 v49, v2, v5, vcc_lo
	s_delay_alu instid0(VALU_DEP_1) | instskip(SKIP_1) | instid1(VALU_DEP_1)
	v_lshlrev_b64 v[5:6], 1, v[49:50]
	v_add_nc_u32_e32 v49, s23, v49
	v_lshlrev_b64 v[7:8], 1, v[49:50]
	s_delay_alu instid0(VALU_DEP_3) | instskip(NEXT) | instid1(VALU_DEP_4)
	v_add_co_u32 v5, vcc_lo, s12, v5
	v_add_co_ci_u32_e32 v6, vcc_lo, s13, v6, vcc_lo
	s_delay_alu instid0(VALU_DEP_3) | instskip(NEXT) | instid1(VALU_DEP_4)
	v_add_co_u32 v7, vcc_lo, s12, v7
	v_add_co_ci_u32_e32 v8, vcc_lo, s13, v8, vcc_lo
	s_clause 0x1
	global_load_u16 v5, v[5:6], off
	global_load_u16 v2, v[7:8], off
.LBB204_55:                             ;   in Loop: Header=BB204_9 Depth=1
	v_cmp_ne_u32_e32 vcc_lo, 0, v56
	s_and_b32 exec_lo, exec_lo, vcc_lo
	s_cbranch_execz .LBB204_8
; %bb.56:                               ;   in Loop: Header=BB204_9 Depth=1
	s_waitcnt vmcnt(1) lgkmcnt(0)
	v_dual_add_f32 v3, v3, v4 :: v_dual_lshlrev_b32 v4, 16, v5
	s_delay_alu instid0(VALU_DEP_1) | instskip(NEXT) | instid1(VALU_DEP_1)
	v_add_f32_e32 v4, v3, v4
	v_and_b32_e32 v3, 0x7f800000, v4
	s_delay_alu instid0(VALU_DEP_1) | instskip(SKIP_1) | instid1(SALU_CYCLE_1)
	v_cmp_ne_u32_e32 vcc_lo, 0x7f800000, v3
                                        ; implicit-def: $vgpr3
	s_and_saveexec_b32 s2, vcc_lo
	s_xor_b32 s2, exec_lo, s2
; %bb.57:                               ;   in Loop: Header=BB204_9 Depth=1
	v_bfe_u32 v3, v4, 16, 1
	s_delay_alu instid0(VALU_DEP_1)
	v_add3_u32 v3, v4, v3, 0x7fff
                                        ; implicit-def: $vgpr4
; %bb.58:                               ;   in Loop: Header=BB204_9 Depth=1
	s_and_not1_saveexec_b32 s2, s2
; %bb.59:                               ;   in Loop: Header=BB204_9 Depth=1
	v_and_b32_e32 v3, 0xffff, v4
	v_or_b32_e32 v5, 0x10000, v4
	s_delay_alu instid0(VALU_DEP_2) | instskip(NEXT) | instid1(VALU_DEP_2)
	v_cmp_eq_u32_e32 vcc_lo, 0, v3
	v_cndmask_b32_e32 v3, v5, v4, vcc_lo
; %bb.60:                               ;   in Loop: Header=BB204_9 Depth=1
	s_or_b32 exec_lo, exec_lo, s2
	s_waitcnt vmcnt(0)
	v_dual_add_f32 v0, v0, v1 :: v_dual_lshlrev_b32 v1, 16, v2
	s_delay_alu instid0(VALU_DEP_1) | instskip(NEXT) | instid1(VALU_DEP_1)
	v_add_f32_e32 v1, v0, v1
	v_dual_mov_b32 v49, v50 :: v_dual_and_b32 v0, 0x7f800000, v1
	s_delay_alu instid0(VALU_DEP_1) | instskip(NEXT) | instid1(VALU_DEP_1)
	v_lshlrev_b64 v[4:5], 1, v[48:49]
	v_add_co_u32 v4, vcc_lo, s16, v4
	s_delay_alu instid0(VALU_DEP_2) | instskip(NEXT) | instid1(VALU_DEP_4)
	v_add_co_ci_u32_e32 v5, vcc_lo, s17, v5, vcc_lo
	v_cmp_ne_u32_e32 vcc_lo, 0x7f800000, v0
                                        ; implicit-def: $vgpr0
	global_store_d16_hi_b16 v[4:5], v3, off
	s_and_saveexec_b32 s2, vcc_lo
	s_delay_alu instid0(SALU_CYCLE_1)
	s_xor_b32 s2, exec_lo, s2
; %bb.61:                               ;   in Loop: Header=BB204_9 Depth=1
	v_bfe_u32 v0, v1, 16, 1
	s_delay_alu instid0(VALU_DEP_1)
	v_add3_u32 v0, v1, v0, 0x7fff
                                        ; implicit-def: $vgpr1
; %bb.62:                               ;   in Loop: Header=BB204_9 Depth=1
	s_and_not1_saveexec_b32 s2, s2
	s_cbranch_execz .LBB204_7
; %bb.63:                               ;   in Loop: Header=BB204_9 Depth=1
	v_and_b32_e32 v0, 0xffff, v1
	v_or_b32_e32 v2, 0x10000, v1
	s_delay_alu instid0(VALU_DEP_2) | instskip(NEXT) | instid1(VALU_DEP_2)
	v_cmp_eq_u32_e32 vcc_lo, 0, v0
	v_cndmask_b32_e32 v0, v2, v1, vcc_lo
	s_branch .LBB204_7
.LBB204_64:
	s_nop 0
	s_sendmsg sendmsg(MSG_DEALLOC_VGPRS)
	s_endpgm
	.section	.rodata,"a",@progbits
	.p2align	6, 0x0
	.amdhsa_kernel _Z12wvSplitK_hf_I14__hip_bfloat16Li64ELi1ELi16ELi8ELi4ELi2EEviiiiiiPKT_S3_S3_PS1_ii
		.amdhsa_group_segment_fixed_size 65536
		.amdhsa_private_segment_fixed_size 0
		.amdhsa_kernarg_size 64
		.amdhsa_user_sgpr_count 15
		.amdhsa_user_sgpr_dispatch_ptr 0
		.amdhsa_user_sgpr_queue_ptr 0
		.amdhsa_user_sgpr_kernarg_segment_ptr 1
		.amdhsa_user_sgpr_dispatch_id 0
		.amdhsa_user_sgpr_private_segment_size 0
		.amdhsa_wavefront_size32 1
		.amdhsa_uses_dynamic_stack 0
		.amdhsa_enable_private_segment 0
		.amdhsa_system_sgpr_workgroup_id_x 1
		.amdhsa_system_sgpr_workgroup_id_y 0
		.amdhsa_system_sgpr_workgroup_id_z 0
		.amdhsa_system_sgpr_workgroup_info 0
		.amdhsa_system_vgpr_workitem_id 1
		.amdhsa_next_free_vgpr 67
		.amdhsa_next_free_sgpr 28
		.amdhsa_reserve_vcc 1
		.amdhsa_float_round_mode_32 0
		.amdhsa_float_round_mode_16_64 0
		.amdhsa_float_denorm_mode_32 3
		.amdhsa_float_denorm_mode_16_64 3
		.amdhsa_dx10_clamp 1
		.amdhsa_ieee_mode 1
		.amdhsa_fp16_overflow 0
		.amdhsa_workgroup_processor_mode 1
		.amdhsa_memory_ordered 1
		.amdhsa_forward_progress 0
		.amdhsa_shared_vgpr_count 0
		.amdhsa_exception_fp_ieee_invalid_op 0
		.amdhsa_exception_fp_denorm_src 0
		.amdhsa_exception_fp_ieee_div_zero 0
		.amdhsa_exception_fp_ieee_overflow 0
		.amdhsa_exception_fp_ieee_underflow 0
		.amdhsa_exception_fp_ieee_inexact 0
		.amdhsa_exception_int_div_zero 0
	.end_amdhsa_kernel
	.section	.text._Z12wvSplitK_hf_I14__hip_bfloat16Li64ELi1ELi16ELi8ELi4ELi2EEviiiiiiPKT_S3_S3_PS1_ii,"axG",@progbits,_Z12wvSplitK_hf_I14__hip_bfloat16Li64ELi1ELi16ELi8ELi4ELi2EEviiiiiiPKT_S3_S3_PS1_ii,comdat
.Lfunc_end204:
	.size	_Z12wvSplitK_hf_I14__hip_bfloat16Li64ELi1ELi16ELi8ELi4ELi2EEviiiiiiPKT_S3_S3_PS1_ii, .Lfunc_end204-_Z12wvSplitK_hf_I14__hip_bfloat16Li64ELi1ELi16ELi8ELi4ELi2EEviiiiiiPKT_S3_S3_PS1_ii
                                        ; -- End function
	.section	.AMDGPU.csdata,"",@progbits
; Kernel info:
; codeLenInByte = 3868
; NumSgprs: 30
; NumVgprs: 67
; ScratchSize: 0
; MemoryBound: 0
; FloatMode: 240
; IeeeMode: 1
; LDSByteSize: 65536 bytes/workgroup (compile time only)
; SGPRBlocks: 3
; VGPRBlocks: 8
; NumSGPRsForWavesPerEU: 30
; NumVGPRsForWavesPerEU: 67
; Occupancy: 16
; WaveLimiterHint : 0
; COMPUTE_PGM_RSRC2:SCRATCH_EN: 0
; COMPUTE_PGM_RSRC2:USER_SGPR: 15
; COMPUTE_PGM_RSRC2:TRAP_HANDLER: 0
; COMPUTE_PGM_RSRC2:TGID_X_EN: 1
; COMPUTE_PGM_RSRC2:TGID_Y_EN: 0
; COMPUTE_PGM_RSRC2:TGID_Z_EN: 0
; COMPUTE_PGM_RSRC2:TIDIG_COMP_CNT: 1
	.section	.text._Z16wvSplitK_hf_big_I14__hip_bfloat16Li64ELi1ELi16ELi8ELi4ELi2EEviiiiiiPKT_S3_S3_PS1_ii,"axG",@progbits,_Z16wvSplitK_hf_big_I14__hip_bfloat16Li64ELi1ELi16ELi8ELi4ELi2EEviiiiiiPKT_S3_S3_PS1_ii,comdat
	.protected	_Z16wvSplitK_hf_big_I14__hip_bfloat16Li64ELi1ELi16ELi8ELi4ELi2EEviiiiiiPKT_S3_S3_PS1_ii ; -- Begin function _Z16wvSplitK_hf_big_I14__hip_bfloat16Li64ELi1ELi16ELi8ELi4ELi2EEviiiiiiPKT_S3_S3_PS1_ii
	.globl	_Z16wvSplitK_hf_big_I14__hip_bfloat16Li64ELi1ELi16ELi8ELi4ELi2EEviiiiiiPKT_S3_S3_PS1_ii
	.p2align	8
	.type	_Z16wvSplitK_hf_big_I14__hip_bfloat16Li64ELi1ELi16ELi8ELi4ELi2EEviiiiiiPKT_S3_S3_PS1_ii,@function
_Z16wvSplitK_hf_big_I14__hip_bfloat16Li64ELi1ELi16ELi8ELi4ELi2EEviiiiiiPKT_S3_S3_PS1_ii: ; @_Z16wvSplitK_hf_big_I14__hip_bfloat16Li64ELi1ELi16ELi8ELi4ELi2EEviiiiiiPKT_S3_S3_PS1_ii
; %bb.0:
	s_load_b64 s[20:21], s[0:1], 0x38
	v_bfe_u32 v1, v0, 10, 10
	s_mov_b32 s2, exec_lo
	s_waitcnt lgkmcnt(0)
	s_delay_alu instid0(VALU_DEP_1)
	v_cmpx_gt_u32_e64 s20, v1
	s_cbranch_execz .LBB205_46
; %bb.1:
	s_load_b128 s[16:19], s[0:1], 0x0
	v_mad_u64_u32 v[48:49], null, s15, s20, v[1:2]
	s_delay_alu instid0(VALU_DEP_1) | instskip(SKIP_2) | instid1(VALU_DEP_2)
	v_dual_mov_b32 v51, 1 :: v_dual_add_nc_u32 v2, 1, v48
	s_waitcnt lgkmcnt(0)
	v_cmp_gt_u32_e32 vcc_lo, s19, v48
	v_cmp_le_u32_e64 s2, s19, v2
	s_delay_alu instid0(VALU_DEP_1) | instskip(NEXT) | instid1(SALU_CYCLE_1)
	s_and_b32 s3, vcc_lo, s2
	s_and_saveexec_b32 s2, s3
; %bb.2:
	v_subrev_nc_u32_e32 v2, s19, v48
	s_add_i32 s3, s19, -1
	s_delay_alu instid0(SALU_CYCLE_1) | instskip(NEXT) | instid1(VALU_DEP_2)
	v_mov_b32_e32 v48, s3
	v_cmp_eq_u32_e32 vcc_lo, -1, v2
	v_cndmask_b32_e64 v51, 0, 1, vcc_lo
; %bb.3:
	s_or_b32 exec_lo, exec_lo, s2
	s_abs_i32 s2, s20
	s_abs_i32 s5, s19
	v_cvt_f32_u32_e32 v2, s2
	s_sub_i32 s4, 0, s2
	s_mov_b32 s14, 0
	s_delay_alu instid0(VALU_DEP_1) | instskip(SKIP_2) | instid1(VALU_DEP_1)
	v_rcp_iflag_f32_e32 v2, v2
	s_waitcnt_depctr 0xfff
	v_mul_f32_e32 v2, 0x4f7ffffe, v2
	v_cvt_u32_f32_e32 v2, v2
	s_delay_alu instid0(VALU_DEP_1) | instskip(NEXT) | instid1(VALU_DEP_1)
	v_readfirstlane_b32 s3, v2
	s_mul_i32 s4, s4, s3
	s_delay_alu instid0(SALU_CYCLE_1) | instskip(NEXT) | instid1(SALU_CYCLE_1)
	s_mul_hi_u32 s4, s3, s4
	s_add_i32 s3, s3, s4
	s_ashr_i32 s4, s19, 31
	s_mul_hi_u32 s3, s5, s3
	s_delay_alu instid0(SALU_CYCLE_1) | instskip(NEXT) | instid1(SALU_CYCLE_1)
	s_mul_i32 s3, s3, s2
	s_sub_i32 s3, s5, s3
	s_delay_alu instid0(SALU_CYCLE_1) | instskip(SKIP_2) | instid1(SALU_CYCLE_1)
	s_sub_i32 s5, s3, s2
	s_cmp_ge_u32 s3, s2
	s_cselect_b32 s3, s5, s3
	s_sub_i32 s5, s3, s2
	s_cmp_ge_u32 s3, s2
	s_cselect_b32 s2, s5, s3
	s_add_i32 s3, s20, s19
	s_xor_b32 s2, s2, s4
	s_delay_alu instid0(SALU_CYCLE_1) | instskip(NEXT) | instid1(SALU_CYCLE_1)
	s_sub_i32 s2, s2, s4
	s_sub_i32 s3, s3, s2
	s_cmp_eq_u32 s2, 0
	s_cselect_b32 s3, s19, s3
	s_delay_alu instid0(SALU_CYCLE_1)
	v_cmp_gt_u32_e32 vcc_lo, s3, v48
	s_and_b32 exec_lo, exec_lo, vcc_lo
	s_cbranch_execz .LBB205_46
; %bb.4:
	s_load_b256 s[4:11], s[0:1], 0x10
	s_min_u32 s15, s18, 0x4000
	s_cmp_lg_u32 s16, 0
	s_load_b64 s[12:13], s[0:1], 0x30
	s_cselect_b32 s22, -1, 0
	s_cmp_lg_u32 s18, 0
	v_and_b32_e32 v0, 0x3ff, v0
	s_cselect_b32 s23, -1, 0
	s_lshl_b32 s24, s20, 9
	s_add_i32 s25, s16, -8
	s_add_i32 s26, s19, -1
	s_mul_i32 s21, s21, s20
	v_lshlrev_b32_e32 v52, 3, v0
	v_cmp_eq_u32_e64 s0, 63, v0
	v_lshlrev_b32_e32 v0, 4, v0
	v_mbcnt_lo_u32_b32 v57, -1, 0
	s_delay_alu instid0(VALU_DEP_4) | instskip(SKIP_1) | instid1(VALU_DEP_4)
	v_lshl_add_u32 v53, v1, 9, v52
	v_mov_b32_e32 v50, 0
	v_lshl_add_u32 v54, v1, 10, v0
	s_waitcnt lgkmcnt(0)
	v_cvt_f32_u32_e32 v2, s4
	s_cmp_lg_u64 s[10:11], 0
	v_add_nc_u32_e32 v55, s18, v53
	s_cselect_b32 s27, -1, 0
	s_sub_i32 s1, 0, s4
	v_rcp_iflag_f32_e32 v2, v2
	s_abs_i32 s2, s5
	s_waitcnt_depctr 0xfff
	v_mul_f32_e32 v2, 0x4f7ffffe, v2
	s_delay_alu instid0(VALU_DEP_1) | instskip(NEXT) | instid1(VALU_DEP_1)
	v_cvt_u32_f32_e32 v2, v2
	v_mul_lo_u32 v3, s1, v2
	s_sub_i32 s1, s21, s19
	s_delay_alu instid0(SALU_CYCLE_1) | instskip(SKIP_3) | instid1(VALU_DEP_1)
	s_add_i32 s5, s1, 2
	s_sub_i32 s1, 1, s2
	s_cmp_lt_u32 s2, 2
	s_cselect_b32 s1, s1, 1
	v_mul_hi_u32 v3, v2, v3
	s_sub_i32 s28, s1, s2
	s_cmp_ge_u32 s1, s2
	s_cselect_b32 s28, s28, s1
	s_lshl_b32 s29, s15, 1
	s_mul_i32 s28, s28, s4
	s_lshl_b32 s20, s20, 10
	s_delay_alu instid0(VALU_DEP_1)
	v_add_nc_u32_e32 v56, v2, v3
	s_branch .LBB205_7
.LBB205_5:                              ;   in Loop: Header=BB205_7 Depth=1
	s_or_b32 exec_lo, exec_lo, s1
.LBB205_6:                              ;   in Loop: Header=BB205_7 Depth=1
	s_delay_alu instid0(SALU_CYCLE_1) | instskip(NEXT) | instid1(VALU_DEP_1)
	s_or_b32 exec_lo, exec_lo, s2
	v_cmp_le_u32_e32 vcc_lo, s3, v0
	v_mov_b32_e32 v48, v0
	s_or_b32 s14, vcc_lo, s14
	s_delay_alu instid0(SALU_CYCLE_1)
	s_and_not1_b32 exec_lo, exec_lo, s14
	s_cbranch_execz .LBB205_46
.LBB205_7:                              ; =>This Loop Header: Depth=1
                                        ;     Child Loop BB205_14 Depth 2
                                        ;       Child Loop BB205_19 Depth 3
	v_mov_b32_e32 v61, v50
	v_mov_b32_e32 v60, v50
	s_and_not1_b32 vcc_lo, exec_lo, s22
	s_mov_b32 s30, 0
	s_cbranch_vccnz .LBB205_28
; %bb.8:                                ;   in Loop: Header=BB205_7 Depth=1
	v_min_u32_e32 v0, s26, v48
	v_cmp_gt_u32_e64 s1, s19, v48
	v_dual_mov_b32 v60, 0 :: v_dual_mov_b32 v61, 0
	s_mov_b32 s31, 0
	s_delay_alu instid0(VALU_DEP_3) | instskip(NEXT) | instid1(VALU_DEP_1)
	v_mul_lo_u32 v49, v0, s17
	v_lshlrev_b64 v[0:1], 1, v[49:50]
	s_delay_alu instid0(VALU_DEP_1) | instskip(NEXT) | instid1(VALU_DEP_2)
	v_add_co_u32 v58, vcc_lo, s6, v0
	v_add_co_ci_u32_e32 v59, vcc_lo, s7, v1, vcc_lo
	s_branch .LBB205_14
.LBB205_9:                              ;   in Loop: Header=BB205_14 Depth=2
	s_or_b32 exec_lo, exec_lo, s36
.LBB205_10:                             ;   in Loop: Header=BB205_14 Depth=2
	s_delay_alu instid0(SALU_CYCLE_1)
	s_or_b32 exec_lo, exec_lo, s35
.LBB205_11:                             ;   in Loop: Header=BB205_14 Depth=2
	s_delay_alu instid0(SALU_CYCLE_1)
	s_or_b32 exec_lo, exec_lo, s34
.LBB205_12:                             ;   in Loop: Header=BB205_14 Depth=2
	s_delay_alu instid0(SALU_CYCLE_1)
	s_or_b32 exec_lo, exec_lo, s33
	s_waitcnt vmcnt(3)
	v_and_b32_e32 v62, 0xffff0000, v36
	v_and_b32_e32 v64, 0xffff0000, v37
	s_waitcnt lgkmcnt(1)
	v_and_b32_e32 v63, 0xffff0000, v45
	v_lshlrev_b32_e32 v37, 16, v37
	v_and_b32_e32 v49, 0xffff0000, v44
	v_lshlrev_b32_e32 v44, 16, v44
	v_lshlrev_b32_e32 v45, 16, v45
	v_and_b32_e32 v65, 0xffff0000, v46
	v_dual_mul_f32 v63, v63, v64 :: v_dual_lshlrev_b32 v46, 16, v46
	v_dual_mul_f32 v49, v49, v62 :: v_dual_lshlrev_b32 v36, 16, v36
	s_delay_alu instid0(VALU_DEP_2) | instskip(SKIP_2) | instid1(VALU_DEP_3)
	v_fmac_f32_e32 v63, v45, v37
	s_waitcnt lgkmcnt(0)
	v_and_b32_e32 v45, 0xffff0000, v40
	v_fmac_f32_e32 v49, v44, v36
	s_delay_alu instid0(VALU_DEP_1) | instskip(NEXT) | instid1(VALU_DEP_3)
	v_dual_add_f32 v49, v61, v49 :: v_dual_lshlrev_b32 v40, 16, v40
	v_mul_f32_e32 v45, v45, v62
	v_and_b32_e32 v44, 0xffff0000, v38
	s_delay_alu instid0(VALU_DEP_2) | instskip(NEXT) | instid1(VALU_DEP_2)
	v_dual_fmac_f32 v45, v40, v36 :: v_dual_and_b32 v62, 0xffff0000, v41
	v_dual_mul_f32 v61, v65, v44 :: v_dual_lshlrev_b32 v38, 16, v38
	s_delay_alu instid0(VALU_DEP_2) | instskip(NEXT) | instid1(VALU_DEP_2)
	v_dual_mul_f32 v40, v62, v64 :: v_dual_add_f32 v45, v60, v45
	v_dual_fmac_f32 v61, v46, v38 :: v_dual_add_f32 v46, v49, v63
	v_and_b32_e32 v63, 0xffff0000, v39
	v_lshlrev_b32_e32 v36, 16, v41
	v_and_b32_e32 v41, 0xffff0000, v42
	s_delay_alu instid0(VALU_DEP_2) | instskip(NEXT) | instid1(VALU_DEP_2)
	v_dual_fmac_f32 v40, v36, v37 :: v_dual_lshlrev_b32 v39, 16, v39
	v_dual_mul_f32 v37, v41, v44 :: v_dual_lshlrev_b32 v36, 16, v42
	v_dual_add_f32 v41, v46, v61 :: v_dual_lshlrev_b32 v42, 16, v43
	s_delay_alu instid0(VALU_DEP_2)
	v_dual_add_f32 v40, v45, v40 :: v_dual_fmac_f32 v37, v36, v38
	v_and_b32_e32 v38, 0xffff0000, v32
	v_lshlrev_b32_e32 v32, 16, v32
	v_and_b32_e32 v49, 0xffff0000, v47
	v_lshlrev_b32_e32 v47, 16, v47
	v_dual_add_f32 v37, v40, v37 :: v_dual_and_b32 v40, 0xffff0000, v43
	s_delay_alu instid0(VALU_DEP_3) | instskip(NEXT) | instid1(VALU_DEP_2)
	v_mul_f32_e32 v49, v49, v63
	v_mul_f32_e32 v40, v40, v63
	s_delay_alu instid0(VALU_DEP_2) | instskip(NEXT) | instid1(VALU_DEP_2)
	v_fmac_f32_e32 v49, v47, v39
	v_fmac_f32_e32 v40, v42, v39
	s_waitcnt vmcnt(2)
	v_and_b32_e32 v44, 0xffff0000, v25
	s_delay_alu instid0(VALU_DEP_3) | instskip(SKIP_3) | instid1(VALU_DEP_4)
	v_dual_add_f32 v36, v41, v49 :: v_dual_and_b32 v41, 0xffff0000, v24
	v_lshlrev_b32_e32 v24, 16, v24
	v_add_f32_e32 v37, v37, v40
	v_lshlrev_b32_e32 v25, 16, v25
	v_mul_f32_e32 v38, v38, v41
	s_delay_alu instid0(VALU_DEP_1) | instskip(NEXT) | instid1(VALU_DEP_1)
	v_fmac_f32_e32 v38, v32, v24
	v_add_f32_e32 v36, v36, v38
	v_and_b32_e32 v38, 0xffff0000, v28
	v_lshlrev_b32_e32 v28, 16, v28
	v_and_b32_e32 v43, 0xffff0000, v33
	v_lshlrev_b32_e32 v32, 16, v33
	v_and_b32_e32 v39, 0xffff0000, v34
	s_delay_alu instid0(VALU_DEP_3) | instskip(NEXT) | instid1(VALU_DEP_1)
	v_dual_mul_f32 v33, v43, v44 :: v_dual_and_b32 v42, 0xffff0000, v26
	v_dual_fmac_f32 v33, v32, v25 :: v_dual_lshlrev_b32 v26, 16, v26
	v_lshlrev_b32_e32 v32, 16, v34
	s_delay_alu instid0(VALU_DEP_2) | instskip(NEXT) | instid1(VALU_DEP_1)
	v_dual_mul_f32 v34, v39, v42 :: v_dual_add_f32 v33, v36, v33
	v_fmac_f32_e32 v34, v32, v26
	v_mul_f32_e32 v32, v38, v41
	v_and_b32_e32 v38, 0xffff0000, v29
	s_delay_alu instid0(VALU_DEP_2) | instskip(SKIP_1) | instid1(VALU_DEP_3)
	v_fmac_f32_e32 v32, v28, v24
	v_lshlrev_b32_e32 v24, 16, v29
	v_dual_mul_f32 v28, v38, v44 :: v_dual_and_b32 v39, 0xffff0000, v27
	s_delay_alu instid0(VALU_DEP_3) | instskip(NEXT) | instid1(VALU_DEP_2)
	v_add_f32_e32 v32, v37, v32
	v_dual_fmac_f32 v28, v24, v25 :: v_dual_and_b32 v29, 0xffff0000, v30
	v_lshlrev_b32_e32 v24, 16, v30
	v_lshlrev_b32_e32 v27, 16, v27
	;; [unrolled: 1-line block ×3, first 2 shown]
	s_delay_alu instid0(VALU_DEP_4) | instskip(SKIP_3) | instid1(VALU_DEP_4)
	v_dual_add_f32 v28, v32, v28 :: v_dual_mul_f32 v25, v29, v42
	v_and_b32_e32 v36, 0xffff0000, v35
	v_lshlrev_b32_e32 v35, 16, v35
	v_add_f32_e32 v29, v33, v34
	v_fmac_f32_e32 v25, v24, v26
	s_delay_alu instid0(VALU_DEP_4) | instskip(NEXT) | instid1(VALU_DEP_2)
	v_mul_f32_e32 v36, v36, v39
	v_dual_add_f32 v25, v28, v25 :: v_dual_and_b32 v26, 0xffff0000, v20
	s_delay_alu instid0(VALU_DEP_2) | instskip(SKIP_1) | instid1(VALU_DEP_2)
	v_fmac_f32_e32 v36, v35, v27
	v_and_b32_e32 v28, 0xffff0000, v31
	v_dual_add_f32 v24, v29, v36 :: v_dual_and_b32 v31, 0xffff0000, v21
	s_waitcnt vmcnt(1)
	s_delay_alu instid0(VALU_DEP_2) | instskip(SKIP_1) | instid1(VALU_DEP_2)
	v_dual_mul_f32 v28, v28, v39 :: v_dual_and_b32 v29, 0xffff0000, v12
	v_lshlrev_b32_e32 v12, 16, v12
	v_mul_f32_e32 v26, v26, v29
	s_delay_alu instid0(VALU_DEP_3)
	v_fmac_f32_e32 v28, v30, v27
	v_and_b32_e32 v30, 0xffff0000, v14
	v_lshlrev_b32_e32 v20, 16, v20
	v_lshlrev_b32_e32 v14, 16, v14
	v_and_b32_e32 v32, 0xffff0000, v13
	v_lshlrev_b32_e32 v13, 16, v13
	s_delay_alu instid0(VALU_DEP_4) | instskip(NEXT) | instid1(VALU_DEP_3)
	v_dual_fmac_f32 v26, v20, v12 :: v_dual_and_b32 v27, 0xffff0000, v22
	v_dual_mul_f32 v21, v31, v32 :: v_dual_lshlrev_b32 v20, 16, v21
	s_delay_alu instid0(VALU_DEP_1) | instskip(NEXT) | instid1(VALU_DEP_3)
	v_dual_fmac_f32 v21, v20, v13 :: v_dual_lshlrev_b32 v20, 16, v22
	v_dual_mul_f32 v22, v27, v30 :: v_dual_and_b32 v27, 0xffff0000, v17
	s_delay_alu instid0(VALU_DEP_1) | instskip(SKIP_4) | instid1(VALU_DEP_3)
	v_dual_add_f32 v25, v25, v28 :: v_dual_fmac_f32 v22, v20, v14
	v_and_b32_e32 v20, 0xffff0000, v23
	v_dual_add_f32 v24, v24, v26 :: v_dual_lshlrev_b32 v23, 16, v23
	v_and_b32_e32 v26, 0xffff0000, v15
	v_lshlrev_b32_e32 v15, 16, v15
	v_dual_add_f32 v21, v24, v21 :: v_dual_and_b32 v24, 0xffff0000, v16
	v_lshlrev_b32_e32 v16, 16, v16
	s_delay_alu instid0(VALU_DEP_4) | instskip(NEXT) | instid1(VALU_DEP_3)
	v_mul_f32_e32 v20, v20, v26
	v_mul_f32_e32 v24, v24, v29
	s_delay_alu instid0(VALU_DEP_2) | instskip(NEXT) | instid1(VALU_DEP_2)
	v_fmac_f32_e32 v20, v23, v15
	v_fmac_f32_e32 v24, v16, v12
	v_lshlrev_b32_e32 v12, 16, v17
	v_dual_mul_f32 v16, v27, v32 :: v_dual_add_f32 v17, v21, v22
	s_delay_alu instid0(VALU_DEP_1) | instskip(SKIP_3) | instid1(VALU_DEP_4)
	v_dual_fmac_f32 v16, v12, v13 :: v_dual_and_b32 v21, 0xffff0000, v18
	v_lshlrev_b32_e32 v12, 16, v18
	v_and_b32_e32 v18, 0xffff0000, v19
	v_lshlrev_b32_e32 v19, 16, v19
	v_mul_f32_e32 v13, v21, v30
	s_waitcnt vmcnt(0)
	v_dual_add_f32 v17, v17, v20 :: v_dual_and_b32 v20, 0xffff0000, v1
	v_dual_mul_f32 v18, v18, v26 :: v_dual_lshlrev_b32 v1, 16, v1
	s_delay_alu instid0(VALU_DEP_3) | instskip(SKIP_1) | instid1(VALU_DEP_3)
	v_dual_fmac_f32 v13, v12, v14 :: v_dual_and_b32 v12, 0xffff0000, v8
	v_and_b32_e32 v14, 0xffff0000, v0
	v_dual_fmac_f32 v18, v19, v15 :: v_dual_and_b32 v15, 0xffff0000, v10
	v_add_f32_e32 v22, v25, v24
	v_lshlrev_b32_e32 v8, 16, v8
	v_lshlrev_b32_e32 v0, 16, v0
	v_mul_f32_e32 v12, v12, v14
	v_lshlrev_b32_e32 v10, 16, v10
	v_add_f32_e32 v16, v22, v16
	s_delay_alu instid0(VALU_DEP_3) | instskip(SKIP_1) | instid1(VALU_DEP_3)
	v_fmac_f32_e32 v12, v8, v0
	v_lshlrev_b32_e32 v8, 16, v9
	v_add_f32_e32 v13, v16, v13
	v_and_b32_e32 v16, 0xffff0000, v9
	s_delay_alu instid0(VALU_DEP_4) | instskip(NEXT) | instid1(VALU_DEP_3)
	v_add_f32_e32 v12, v17, v12
	v_add_f32_e32 v13, v13, v18
	s_delay_alu instid0(VALU_DEP_3) | instskip(NEXT) | instid1(VALU_DEP_1)
	v_dual_mul_f32 v9, v16, v20 :: v_dual_and_b32 v16, 0xffff0000, v2
	v_dual_fmac_f32 v9, v8, v1 :: v_dual_lshlrev_b32 v2, 16, v2
	v_and_b32_e32 v8, 0xffff0000, v4
	s_delay_alu instid0(VALU_DEP_3) | instskip(NEXT) | instid1(VALU_DEP_3)
	v_mul_f32_e32 v15, v15, v16
	v_dual_add_f32 v9, v12, v9 :: v_dual_lshlrev_b32 v4, 16, v4
	s_delay_alu instid0(VALU_DEP_3) | instskip(NEXT) | instid1(VALU_DEP_3)
	v_mul_f32_e32 v8, v8, v14
	v_dual_fmac_f32 v15, v10, v2 :: v_dual_and_b32 v12, 0xffff0000, v5
	v_and_b32_e32 v10, 0xffff0000, v11
	s_delay_alu instid0(VALU_DEP_3) | instskip(SKIP_1) | instid1(VALU_DEP_4)
	v_fmac_f32_e32 v8, v4, v0
	v_lshlrev_b32_e32 v0, 16, v5
	v_dual_mul_f32 v4, v12, v20 :: v_dual_lshlrev_b32 v5, 16, v11
	v_and_b32_e32 v11, 0xffff0000, v6
	v_and_b32_e32 v12, 0xffff0000, v3
	v_dual_add_f32 v8, v13, v8 :: v_dual_lshlrev_b32 v3, 16, v3
	s_delay_alu instid0(VALU_DEP_4) | instskip(NEXT) | instid1(VALU_DEP_4)
	v_fmac_f32_e32 v4, v0, v1
	v_dual_mul_f32 v1, v11, v16 :: v_dual_lshlrev_b32 v0, 16, v6
	v_and_b32_e32 v6, 0xffff0000, v7
	v_mul_f32_e32 v10, v10, v12
	s_delay_alu instid0(VALU_DEP_4) | instskip(NEXT) | instid1(VALU_DEP_4)
	v_add_f32_e32 v4, v8, v4
	v_dual_fmac_f32 v1, v0, v2 :: v_dual_lshlrev_b32 v0, 16, v7
	s_delay_alu instid0(VALU_DEP_4) | instskip(SKIP_1) | instid1(VALU_DEP_3)
	v_mul_f32_e32 v2, v6, v12
	v_add_f32_e32 v6, v9, v15
	v_dual_fmac_f32 v10, v5, v3 :: v_dual_add_f32 v1, v4, v1
	s_delay_alu instid0(VALU_DEP_1) | instskip(NEXT) | instid1(VALU_DEP_1)
	v_dual_fmac_f32 v2, v0, v3 :: v_dual_add_f32 v61, v6, v10
	v_add_f32_e32 v60, v1, v2
.LBB205_13:                             ;   in Loop: Header=BB205_14 Depth=2
	s_or_b32 exec_lo, exec_lo, s2
	s_addk_i32 s31, 0x800
	s_delay_alu instid0(SALU_CYCLE_1)
	s_cmp_ge_u32 s31, s16
	s_cbranch_scc1 .LBB205_28
.LBB205_14:                             ;   Parent Loop BB205_7 Depth=1
                                        ; =>  This Loop Header: Depth=2
                                        ;       Child Loop BB205_19 Depth 3
	s_cmp_eq_u32 s31, 0
	s_cselect_b32 s33, -1, 0
	s_add_i32 s2, s30, s15
	s_delay_alu instid0(SALU_CYCLE_1) | instskip(SKIP_1) | instid1(SALU_CYCLE_1)
	s_cmp_eq_u32 s31, s2
	s_cselect_b32 s34, -1, 0
	s_or_b32 s34, s33, s34
	s_delay_alu instid0(SALU_CYCLE_1)
	s_and_not1_b32 vcc_lo, exec_lo, s34
	s_cbranch_vccz .LBB205_16
; %bb.15:                               ;   in Loop: Header=BB205_14 Depth=2
	s_and_saveexec_b32 s2, s1
	s_cbranch_execz .LBB205_13
	s_branch .LBB205_23
.LBB205_16:                             ;   in Loop: Header=BB205_14 Depth=2
	s_and_b32 s33, s33, exec_lo
	s_cselect_b32 s30, s30, s2
	s_and_not1_b32 vcc_lo, exec_lo, s23
	s_waitcnt vmcnt(0)
	s_waitcnt_vscnt null, 0x0
	s_barrier
	buffer_gl0_inv
	s_cbranch_vccnz .LBB205_22
; %bb.17:                               ;   in Loop: Header=BB205_14 Depth=2
	v_add_nc_u32_e32 v0, s30, v55
	v_dual_mov_b32 v2, v54 :: v_dual_add_nc_u32 v1, s30, v53
	s_mov_b32 s33, 0
	s_mov_b32 s34, 0
                                        ; implicit-def: $sgpr35
	s_set_inst_prefetch_distance 0x1
	s_branch .LBB205_19
	.p2align	6
.LBB205_18:                             ;   in Loop: Header=BB205_19 Depth=3
	s_or_b32 exec_lo, exec_lo, s2
	s_delay_alu instid0(SALU_CYCLE_1) | instskip(NEXT) | instid1(SALU_CYCLE_1)
	s_and_b32 s2, exec_lo, s35
	s_or_b32 s33, s2, s33
	s_delay_alu instid0(SALU_CYCLE_1)
	s_and_not1_b32 exec_lo, exec_lo, s33
	s_cbranch_execz .LBB205_21
.LBB205_19:                             ;   Parent Loop BB205_7 Depth=1
                                        ;     Parent Loop BB205_14 Depth=2
                                        ; =>    This Inner Loop Header: Depth=3
	v_add_nc_u32_e32 v49, s34, v1
	v_add_nc_u32_e32 v3, s34, v53
	s_or_b32 s35, s35, exec_lo
	s_delay_alu instid0(VALU_DEP_2) | instskip(NEXT) | instid1(VALU_DEP_2)
	v_cmp_gt_u32_e32 vcc_lo, s18, v49
	v_cmp_gt_u32_e64 s2, s15, v3
	s_delay_alu instid0(VALU_DEP_1) | instskip(NEXT) | instid1(SALU_CYCLE_1)
	s_and_b32 s36, s2, vcc_lo
	s_and_saveexec_b32 s2, s36
	s_cbranch_execz .LBB205_18
; %bb.20:                               ;   in Loop: Header=BB205_19 Depth=3
	v_lshlrev_b64 v[3:4], 1, v[49:50]
	v_add_nc_u32_e32 v49, s34, v0
	s_add_i32 s34, s34, s24
	v_add_nc_u32_e32 v11, s29, v2
	s_cmp_ge_u32 s34, s15
	s_delay_alu instid0(VALU_DEP_2) | instskip(SKIP_3) | instid1(VALU_DEP_3)
	v_lshlrev_b64 v[7:8], 1, v[49:50]
	v_add_co_u32 v3, vcc_lo, s8, v3
	v_add_co_ci_u32_e32 v4, vcc_lo, s9, v4, vcc_lo
	s_cselect_b32 s36, -1, 0
	v_add_co_u32 v7, vcc_lo, s8, v7
	global_load_b128 v[3:6], v[3:4], off
	v_add_co_ci_u32_e32 v8, vcc_lo, s9, v8, vcc_lo
	s_and_not1_b32 s35, s35, exec_lo
	s_and_b32 s36, s36, exec_lo
	global_load_b128 v[7:10], v[7:8], off
	s_or_b32 s35, s35, s36
	s_waitcnt vmcnt(1)
	ds_store_b128 v2, v[3:6]
	v_add_nc_u32_e32 v2, s20, v2
	s_waitcnt vmcnt(0)
	ds_store_2addr_b64 v11, v[7:8], v[9:10] offset1:1
	s_branch .LBB205_18
.LBB205_21:                             ;   in Loop: Header=BB205_14 Depth=2
	s_set_inst_prefetch_distance 0x2
	s_or_b32 exec_lo, exec_lo, s33
.LBB205_22:                             ;   in Loop: Header=BB205_14 Depth=2
	s_waitcnt lgkmcnt(0)
	s_barrier
	buffer_gl0_inv
	s_and_saveexec_b32 s2, s1
	s_cbranch_execz .LBB205_13
.LBB205_23:                             ;   in Loop: Header=BB205_14 Depth=2
	v_dual_mov_b32 v11, 0 :: v_dual_add_nc_u32 v64, s31, v52
	v_dual_mov_b32 v10, 0 :: v_dual_mov_b32 v9, 0
	v_mov_b32_e32 v8, 0
	s_delay_alu instid0(VALU_DEP_3)
	v_min_u32_e32 v49, s25, v64
	v_add_nc_u32_e32 v65, 0x200, v64
	v_add_nc_u32_e32 v63, 0x400, v64
	v_dual_mov_b32 v19, 0 :: v_dual_add_nc_u32 v62, 0x600, v64
	v_mov_b32_e32 v18, 0
	v_lshlrev_b64 v[0:1], 1, v[49:50]
	v_min_u32_e32 v49, s25, v65
	v_dual_mov_b32 v17, 0 :: v_dual_mov_b32 v16, 0
	v_dual_mov_b32 v23, 0 :: v_dual_mov_b32 v22, 0
	s_waitcnt vmcnt(0)
	s_delay_alu instid0(VALU_DEP_3) | instskip(SKIP_3) | instid1(VALU_DEP_3)
	v_lshlrev_b64 v[2:3], 1, v[49:50]
	v_min_u32_e32 v49, s25, v63
	v_add_co_u32 v0, vcc_lo, v58, v0
	v_add_co_ci_u32_e32 v1, vcc_lo, v59, v1, vcc_lo
	v_lshlrev_b64 v[4:5], 1, v[49:50]
	v_min_u32_e32 v49, s25, v62
	v_add_co_u32 v2, vcc_lo, v58, v2
	v_add_co_ci_u32_e32 v3, vcc_lo, v59, v3, vcc_lo
	s_delay_alu instid0(VALU_DEP_3) | instskip(SKIP_3) | instid1(VALU_DEP_4)
	v_lshlrev_b64 v[6:7], 1, v[49:50]
	v_add_co_u32 v4, vcc_lo, v58, v4
	v_add_co_ci_u32_e32 v5, vcc_lo, v59, v5, vcc_lo
	v_dual_mov_b32 v21, 0 :: v_dual_mov_b32 v20, 0
	v_add_co_u32 v6, vcc_lo, v58, v6
	v_add_co_ci_u32_e32 v7, vcc_lo, v59, v7, vcc_lo
	s_clause 0x3
	global_load_b128 v[36:39], v[0:1], off slc dlc
	global_load_b128 v[24:27], v[2:3], off slc dlc
	;; [unrolled: 1-line block ×4, first 2 shown]
	v_mov_b32_e32 v7, 0
	v_cmp_gt_u32_e32 vcc_lo, s16, v64
	v_dual_mov_b32 v6, 0 :: v_dual_mov_b32 v5, 0
	v_dual_mov_b32 v4, 0 :: v_dual_mov_b32 v31, 0
	;; [unrolled: 1-line block ×9, first 2 shown]
	v_mov_b32_e32 v44, 0
	s_and_saveexec_b32 s33, vcc_lo
	s_cbranch_execz .LBB205_12
; %bb.24:                               ;   in Loop: Header=BB205_14 Depth=2
	v_subrev_nc_u32_e32 v4, s30, v64
	v_mov_b32_e32 v32, 0
	v_cmp_gt_u32_e32 vcc_lo, s16, v65
	v_dual_mov_b32 v33, 0 :: v_dual_mov_b32 v34, 0
	s_delay_alu instid0(VALU_DEP_4) | instskip(SKIP_2) | instid1(VALU_DEP_3)
	v_lshlrev_b32_e32 v49, 1, v4
	v_dual_mov_b32 v35, 0 :: v_dual_mov_b32 v28, 0
	v_dual_mov_b32 v29, 0 :: v_dual_mov_b32 v30, 0
	v_lshl_add_u32 v64, s15, 1, v49
	v_dual_mov_b32 v31, 0 :: v_dual_mov_b32 v20, 0
	v_dual_mov_b32 v21, 0 :: v_dual_mov_b32 v22, 0
	ds_load_b128 v[44:47], v49
	ds_load_b128 v[40:43], v64
	v_dual_mov_b32 v23, 0 :: v_dual_mov_b32 v16, 0
	v_dual_mov_b32 v17, 0 :: v_dual_mov_b32 v18, 0
	;; [unrolled: 1-line block ×6, first 2 shown]
	v_mov_b32_e32 v7, 0
	s_and_saveexec_b32 s34, vcc_lo
	s_cbranch_execz .LBB205_11
; %bb.25:                               ;   in Loop: Header=BB205_14 Depth=2
	ds_load_b128 v[32:35], v49 offset:1024
	ds_load_b128 v[28:31], v64 offset:1024
	v_dual_mov_b32 v20, 0 :: v_dual_mov_b32 v21, 0
	v_dual_mov_b32 v22, 0 :: v_dual_mov_b32 v23, 0
	;; [unrolled: 1-line block ×8, first 2 shown]
	s_mov_b32 s35, exec_lo
	v_cmpx_gt_u32_e64 s16, v63
	s_cbranch_execz .LBB205_10
; %bb.26:                               ;   in Loop: Header=BB205_14 Depth=2
	ds_load_b128 v[20:23], v49 offset:2048
	ds_load_b128 v[16:19], v64 offset:2048
	v_dual_mov_b32 v8, 0 :: v_dual_mov_b32 v9, 0
	v_dual_mov_b32 v10, 0 :: v_dual_mov_b32 v11, 0
	;; [unrolled: 1-line block ×4, first 2 shown]
	s_mov_b32 s36, exec_lo
	v_cmpx_gt_u32_e64 s16, v62
	s_cbranch_execz .LBB205_9
; %bb.27:                               ;   in Loop: Header=BB205_14 Depth=2
	ds_load_b128 v[8:11], v49 offset:3072
	ds_load_b128 v[4:7], v64 offset:3072
	s_branch .LBB205_9
.LBB205_28:                             ;   in Loop: Header=BB205_7 Depth=1
	s_mov_b32 s1, exec_lo
                                        ; implicit-def: $vgpr0
	v_cmpx_le_u32_e64 s19, v48
	s_xor_b32 s1, exec_lo, s1
; %bb.29:                               ;   in Loop: Header=BB205_7 Depth=1
	v_add_nc_u32_e32 v0, s21, v48
                                        ; implicit-def: $vgpr48
                                        ; implicit-def: $vgpr61
                                        ; implicit-def: $vgpr60
; %bb.30:                               ;   in Loop: Header=BB205_7 Depth=1
	s_and_not1_saveexec_b32 s2, s1
	s_cbranch_execz .LBB205_6
; %bb.31:                               ;   in Loop: Header=BB205_7 Depth=1
	v_cvt_i32_f32_e32 v0, v61
	v_cvt_i32_f32_e32 v1, v60
	s_delay_alu instid0(VALU_DEP_2) | instskip(NEXT) | instid1(VALU_DEP_2)
	v_cvt_f32_i32_dpp v0, v0 row_shr:8 row_mask:0xf bank_mask:0xf bound_ctrl:1
	v_cvt_f32_i32_dpp v1, v1 row_shr:8 row_mask:0xf bank_mask:0xf bound_ctrl:1
	s_delay_alu instid0(VALU_DEP_1) | instskip(SKIP_1) | instid1(VALU_DEP_1)
	v_dual_add_f32 v0, v61, v0 :: v_dual_add_f32 v1, v60, v1
	s_waitcnt vmcnt(0)
	v_cvt_i32_f32_e32 v2, v0
	s_delay_alu instid0(VALU_DEP_2) | instskip(NEXT) | instid1(VALU_DEP_2)
	v_cvt_i32_f32_e32 v3, v1
	v_cvt_f32_i32_dpp v2, v2 row_shr:4 row_mask:0xf bank_mask:0xf bound_ctrl:1
	s_delay_alu instid0(VALU_DEP_2) | instskip(NEXT) | instid1(VALU_DEP_1)
	v_cvt_f32_i32_dpp v3, v3 row_shr:4 row_mask:0xf bank_mask:0xf bound_ctrl:1
	v_dual_add_f32 v0, v0, v2 :: v_dual_add_f32 v1, v1, v3
	s_delay_alu instid0(VALU_DEP_1) | instskip(NEXT) | instid1(VALU_DEP_2)
	v_cvt_i32_f32_e32 v2, v0
	v_cvt_i32_f32_e32 v3, v1
	s_delay_alu instid0(VALU_DEP_2) | instskip(NEXT) | instid1(VALU_DEP_2)
	v_cvt_f32_i32_dpp v2, v2 row_shr:2 row_mask:0xf bank_mask:0xf bound_ctrl:1
	v_cvt_f32_i32_dpp v3, v3 row_shr:2 row_mask:0xf bank_mask:0xf bound_ctrl:1
	s_delay_alu instid0(VALU_DEP_1) | instskip(SKIP_1) | instid1(VALU_DEP_2)
	v_dual_add_f32 v0, v0, v2 :: v_dual_add_f32 v1, v1, v3
	v_xor_b32_e32 v2, 16, v57
	v_cvt_i32_f32_e32 v3, v0
	s_delay_alu instid0(VALU_DEP_3) | instskip(NEXT) | instid1(VALU_DEP_3)
	v_cvt_i32_f32_e32 v4, v1
	v_cmp_gt_i32_e32 vcc_lo, 32, v2
	s_delay_alu instid0(VALU_DEP_3) | instskip(NEXT) | instid1(VALU_DEP_3)
	v_cvt_f32_i32_dpp v3, v3 row_shr:1 row_mask:0xf bank_mask:0xf bound_ctrl:1
	v_cvt_f32_i32_dpp v4, v4 row_shr:1 row_mask:0xf bank_mask:0xf bound_ctrl:1
	s_delay_alu instid0(VALU_DEP_2) | instskip(NEXT) | instid1(VALU_DEP_2)
	v_dual_cndmask_b32 v2, v57, v2 :: v_dual_add_f32 v3, v0, v3
	v_add_f32_e32 v0, v1, v4
	s_delay_alu instid0(VALU_DEP_2)
	v_lshlrev_b32_e32 v2, 2, v2
	ds_bpermute_b32 v4, v2, v3
	ds_bpermute_b32 v1, v2, v0
	s_and_saveexec_b32 s1, s0
	s_cbranch_execz .LBB205_44
; %bb.32:                               ;   in Loop: Header=BB205_7 Depth=1
	v_dual_mov_b32 v2, 0 :: v_dual_mov_b32 v5, 0
	s_and_not1_b32 vcc_lo, exec_lo, s27
	s_cbranch_vccnz .LBB205_34
; %bb.33:                               ;   in Loop: Header=BB205_7 Depth=1
	v_mul_hi_u32 v2, v48, v56
	s_delay_alu instid0(VALU_DEP_1) | instskip(NEXT) | instid1(VALU_DEP_1)
	v_mul_lo_u32 v2, v2, s4
	v_sub_nc_u32_e32 v2, v48, v2
	s_delay_alu instid0(VALU_DEP_1) | instskip(SKIP_1) | instid1(VALU_DEP_2)
	v_subrev_nc_u32_e32 v5, s4, v2
	v_cmp_le_u32_e32 vcc_lo, s4, v2
	v_cndmask_b32_e32 v2, v2, v5, vcc_lo
	s_delay_alu instid0(VALU_DEP_1) | instskip(SKIP_1) | instid1(VALU_DEP_2)
	v_subrev_nc_u32_e32 v5, s4, v2
	v_cmp_le_u32_e32 vcc_lo, s4, v2
	v_cndmask_b32_e32 v49, v2, v5, vcc_lo
	s_delay_alu instid0(VALU_DEP_1) | instskip(SKIP_1) | instid1(VALU_DEP_1)
	v_lshlrev_b64 v[5:6], 1, v[49:50]
	v_add_nc_u32_e32 v49, s28, v49
	v_lshlrev_b64 v[7:8], 1, v[49:50]
	s_delay_alu instid0(VALU_DEP_3) | instskip(NEXT) | instid1(VALU_DEP_4)
	v_add_co_u32 v5, vcc_lo, s10, v5
	v_add_co_ci_u32_e32 v6, vcc_lo, s11, v6, vcc_lo
	s_delay_alu instid0(VALU_DEP_3) | instskip(NEXT) | instid1(VALU_DEP_4)
	v_add_co_u32 v7, vcc_lo, s10, v7
	v_add_co_ci_u32_e32 v8, vcc_lo, s11, v8, vcc_lo
	s_clause 0x1
	global_load_u16 v5, v[5:6], off
	global_load_u16 v2, v[7:8], off
.LBB205_34:                             ;   in Loop: Header=BB205_7 Depth=1
	v_cmp_ne_u32_e32 vcc_lo, 0, v51
	s_and_b32 exec_lo, exec_lo, vcc_lo
	s_cbranch_execz .LBB205_44
; %bb.35:                               ;   in Loop: Header=BB205_7 Depth=1
	s_waitcnt vmcnt(1) lgkmcnt(1)
	v_dual_add_f32 v3, v3, v4 :: v_dual_lshlrev_b32 v4, 16, v5
	s_delay_alu instid0(VALU_DEP_1) | instskip(NEXT) | instid1(VALU_DEP_1)
	v_add_f32_e32 v4, v3, v4
	v_and_b32_e32 v3, 0x7f800000, v4
	s_delay_alu instid0(VALU_DEP_1) | instskip(SKIP_1) | instid1(SALU_CYCLE_1)
	v_cmp_ne_u32_e32 vcc_lo, 0x7f800000, v3
                                        ; implicit-def: $vgpr3
	s_and_saveexec_b32 s30, vcc_lo
	s_xor_b32 s30, exec_lo, s30
; %bb.36:                               ;   in Loop: Header=BB205_7 Depth=1
	v_bfe_u32 v3, v4, 16, 1
	s_delay_alu instid0(VALU_DEP_1)
	v_add3_u32 v3, v4, v3, 0x7fff
                                        ; implicit-def: $vgpr4
; %bb.37:                               ;   in Loop: Header=BB205_7 Depth=1
	s_and_not1_saveexec_b32 s30, s30
; %bb.38:                               ;   in Loop: Header=BB205_7 Depth=1
	v_and_b32_e32 v3, 0xffff, v4
	v_or_b32_e32 v5, 0x10000, v4
	s_delay_alu instid0(VALU_DEP_2) | instskip(NEXT) | instid1(VALU_DEP_2)
	v_cmp_eq_u32_e32 vcc_lo, 0, v3
	v_cndmask_b32_e32 v3, v5, v4, vcc_lo
; %bb.39:                               ;   in Loop: Header=BB205_7 Depth=1
	s_or_b32 exec_lo, exec_lo, s30
	s_waitcnt vmcnt(0) lgkmcnt(0)
	v_dual_add_f32 v0, v0, v1 :: v_dual_lshlrev_b32 v1, 16, v2
	s_delay_alu instid0(VALU_DEP_1) | instskip(NEXT) | instid1(VALU_DEP_1)
	v_add_f32_e32 v1, v0, v1
	v_dual_mov_b32 v49, v50 :: v_dual_and_b32 v0, 0x7f800000, v1
	s_delay_alu instid0(VALU_DEP_1) | instskip(NEXT) | instid1(VALU_DEP_1)
	v_lshlrev_b64 v[4:5], 1, v[48:49]
	v_add_co_u32 v4, vcc_lo, s12, v4
	s_delay_alu instid0(VALU_DEP_2) | instskip(NEXT) | instid1(VALU_DEP_4)
	v_add_co_ci_u32_e32 v5, vcc_lo, s13, v5, vcc_lo
	v_cmp_ne_u32_e32 vcc_lo, 0x7f800000, v0
                                        ; implicit-def: $vgpr0
	global_store_d16_hi_b16 v[4:5], v3, off
	s_and_saveexec_b32 s30, vcc_lo
	s_delay_alu instid0(SALU_CYCLE_1)
	s_xor_b32 s30, exec_lo, s30
; %bb.40:                               ;   in Loop: Header=BB205_7 Depth=1
	v_bfe_u32 v0, v1, 16, 1
	s_delay_alu instid0(VALU_DEP_1)
	v_add3_u32 v0, v1, v0, 0x7fff
                                        ; implicit-def: $vgpr1
; %bb.41:                               ;   in Loop: Header=BB205_7 Depth=1
	s_and_not1_saveexec_b32 s30, s30
; %bb.42:                               ;   in Loop: Header=BB205_7 Depth=1
	v_and_b32_e32 v0, 0xffff, v1
	v_or_b32_e32 v2, 0x10000, v1
	s_delay_alu instid0(VALU_DEP_2) | instskip(NEXT) | instid1(VALU_DEP_2)
	v_cmp_eq_u32_e32 vcc_lo, 0, v0
	v_cndmask_b32_e32 v0, v2, v1, vcc_lo
; %bb.43:                               ;   in Loop: Header=BB205_7 Depth=1
	s_or_b32 exec_lo, exec_lo, s30
	v_add_nc_u32_e32 v49, s19, v48
	s_delay_alu instid0(VALU_DEP_1) | instskip(NEXT) | instid1(VALU_DEP_1)
	v_lshlrev_b64 v[1:2], 1, v[49:50]
	v_add_co_u32 v1, vcc_lo, s12, v1
	s_delay_alu instid0(VALU_DEP_2)
	v_add_co_ci_u32_e32 v2, vcc_lo, s13, v2, vcc_lo
	global_store_d16_hi_b16 v[1:2], v0, off
.LBB205_44:                             ;   in Loop: Header=BB205_7 Depth=1
	s_or_b32 exec_lo, exec_lo, s1
	v_add_nc_u32_e32 v0, s21, v48
	s_waitcnt lgkmcnt(0)
	s_delay_alu instid0(VALU_DEP_1) | instskip(SKIP_1) | instid1(VALU_DEP_2)
	v_add_nc_u32_e32 v1, 1, v0
	v_cmp_gt_u32_e32 vcc_lo, s19, v0
	v_cmp_le_u32_e64 s1, s19, v1
	s_delay_alu instid0(VALU_DEP_1) | instskip(NEXT) | instid1(SALU_CYCLE_1)
	s_and_b32 s30, vcc_lo, s1
	s_and_saveexec_b32 s1, s30
	s_cbranch_execz .LBB205_5
; %bb.45:                               ;   in Loop: Header=BB205_7 Depth=1
	v_add_nc_u32_e32 v0, s5, v48
	s_delay_alu instid0(VALU_DEP_1)
	v_cmp_eq_u32_e32 vcc_lo, 1, v0
	v_dual_mov_b32 v0, s26 :: v_dual_cndmask_b32 v51, 0, v51
	s_branch .LBB205_5
.LBB205_46:
	s_nop 0
	s_sendmsg sendmsg(MSG_DEALLOC_VGPRS)
	s_endpgm
	.section	.rodata,"a",@progbits
	.p2align	6, 0x0
	.amdhsa_kernel _Z16wvSplitK_hf_big_I14__hip_bfloat16Li64ELi1ELi16ELi8ELi4ELi2EEviiiiiiPKT_S3_S3_PS1_ii
		.amdhsa_group_segment_fixed_size 65536
		.amdhsa_private_segment_fixed_size 0
		.amdhsa_kernarg_size 64
		.amdhsa_user_sgpr_count 15
		.amdhsa_user_sgpr_dispatch_ptr 0
		.amdhsa_user_sgpr_queue_ptr 0
		.amdhsa_user_sgpr_kernarg_segment_ptr 1
		.amdhsa_user_sgpr_dispatch_id 0
		.amdhsa_user_sgpr_private_segment_size 0
		.amdhsa_wavefront_size32 1
		.amdhsa_uses_dynamic_stack 0
		.amdhsa_enable_private_segment 0
		.amdhsa_system_sgpr_workgroup_id_x 1
		.amdhsa_system_sgpr_workgroup_id_y 0
		.amdhsa_system_sgpr_workgroup_id_z 0
		.amdhsa_system_sgpr_workgroup_info 0
		.amdhsa_system_vgpr_workitem_id 1
		.amdhsa_next_free_vgpr 66
		.amdhsa_next_free_sgpr 37
		.amdhsa_reserve_vcc 1
		.amdhsa_float_round_mode_32 0
		.amdhsa_float_round_mode_16_64 0
		.amdhsa_float_denorm_mode_32 3
		.amdhsa_float_denorm_mode_16_64 3
		.amdhsa_dx10_clamp 1
		.amdhsa_ieee_mode 1
		.amdhsa_fp16_overflow 0
		.amdhsa_workgroup_processor_mode 1
		.amdhsa_memory_ordered 1
		.amdhsa_forward_progress 0
		.amdhsa_shared_vgpr_count 0
		.amdhsa_exception_fp_ieee_invalid_op 0
		.amdhsa_exception_fp_denorm_src 0
		.amdhsa_exception_fp_ieee_div_zero 0
		.amdhsa_exception_fp_ieee_overflow 0
		.amdhsa_exception_fp_ieee_underflow 0
		.amdhsa_exception_fp_ieee_inexact 0
		.amdhsa_exception_int_div_zero 0
	.end_amdhsa_kernel
	.section	.text._Z16wvSplitK_hf_big_I14__hip_bfloat16Li64ELi1ELi16ELi8ELi4ELi2EEviiiiiiPKT_S3_S3_PS1_ii,"axG",@progbits,_Z16wvSplitK_hf_big_I14__hip_bfloat16Li64ELi1ELi16ELi8ELi4ELi2EEviiiiiiPKT_S3_S3_PS1_ii,comdat
.Lfunc_end205:
	.size	_Z16wvSplitK_hf_big_I14__hip_bfloat16Li64ELi1ELi16ELi8ELi4ELi2EEviiiiiiPKT_S3_S3_PS1_ii, .Lfunc_end205-_Z16wvSplitK_hf_big_I14__hip_bfloat16Li64ELi1ELi16ELi8ELi4ELi2EEviiiiiiPKT_S3_S3_PS1_ii
                                        ; -- End function
	.section	.AMDGPU.csdata,"",@progbits
; Kernel info:
; codeLenInByte = 3592
; NumSgprs: 39
; NumVgprs: 66
; ScratchSize: 0
; MemoryBound: 0
; FloatMode: 240
; IeeeMode: 1
; LDSByteSize: 65536 bytes/workgroup (compile time only)
; SGPRBlocks: 4
; VGPRBlocks: 8
; NumSGPRsForWavesPerEU: 39
; NumVGPRsForWavesPerEU: 66
; Occupancy: 16
; WaveLimiterHint : 0
; COMPUTE_PGM_RSRC2:SCRATCH_EN: 0
; COMPUTE_PGM_RSRC2:USER_SGPR: 15
; COMPUTE_PGM_RSRC2:TRAP_HANDLER: 0
; COMPUTE_PGM_RSRC2:TGID_X_EN: 1
; COMPUTE_PGM_RSRC2:TGID_Y_EN: 0
; COMPUTE_PGM_RSRC2:TGID_Z_EN: 0
; COMPUTE_PGM_RSRC2:TIDIG_COMP_CNT: 1
	.section	.text._Z16wvSplitK_hf_sml_I14__hip_bfloat16Li64ELi2ELi16ELi8ELi2ELi2EEviiiiiiPKT_S3_S3_PS1_ii,"axG",@progbits,_Z16wvSplitK_hf_sml_I14__hip_bfloat16Li64ELi2ELi16ELi8ELi2ELi2EEviiiiiiPKT_S3_S3_PS1_ii,comdat
	.protected	_Z16wvSplitK_hf_sml_I14__hip_bfloat16Li64ELi2ELi16ELi8ELi2ELi2EEviiiiiiPKT_S3_S3_PS1_ii ; -- Begin function _Z16wvSplitK_hf_sml_I14__hip_bfloat16Li64ELi2ELi16ELi8ELi2ELi2EEviiiiiiPKT_S3_S3_PS1_ii
	.globl	_Z16wvSplitK_hf_sml_I14__hip_bfloat16Li64ELi2ELi16ELi8ELi2ELi2EEviiiiiiPKT_S3_S3_PS1_ii
	.p2align	8
	.type	_Z16wvSplitK_hf_sml_I14__hip_bfloat16Li64ELi2ELi16ELi8ELi2ELi2EEviiiiiiPKT_S3_S3_PS1_ii,@function
_Z16wvSplitK_hf_sml_I14__hip_bfloat16Li64ELi2ELi16ELi8ELi2ELi2EEviiiiiiPKT_S3_S3_PS1_ii: ; @_Z16wvSplitK_hf_sml_I14__hip_bfloat16Li64ELi2ELi16ELi8ELi2ELi2EEviiiiiiPKT_S3_S3_PS1_ii
; %bb.0:
	s_clause 0x2
	s_load_b128 s[4:7], s[0:1], 0x0
	s_load_b64 s[8:9], s[0:1], 0x10
	s_load_b64 s[10:11], s[0:1], 0x28
	v_and_b32_e32 v2, 0x3ff, v0
	v_bfe_u32 v3, v0, 10, 10
	s_mov_b32 s12, exec_lo
	s_delay_alu instid0(VALU_DEP_2) | instskip(NEXT) | instid1(VALU_DEP_1)
	v_lshlrev_b32_e32 v39, 3, v2
	v_lshl_add_u32 v4, v3, 9, v39
	s_waitcnt lgkmcnt(0)
	s_lshl_b32 s6, s6, 1
	s_delay_alu instid0(SALU_CYCLE_1)
	s_min_u32 s3, s6, 0x8000
	s_delay_alu instid0(VALU_DEP_1) | instid1(SALU_CYCLE_1)
	v_cmpx_gt_u32_e64 s3, v4
	s_cbranch_execz .LBB206_3
; %bb.1:
	s_load_b64 s[16:17], s[0:1], 0x20
	v_lshlrev_b32_e32 v5, 10, v3
	v_lshlrev_b32_e32 v6, 4, v2
	s_mov_b32 s13, 0
	s_delay_alu instid0(VALU_DEP_1) | instskip(NEXT) | instid1(VALU_DEP_1)
	v_add_co_u32 v0, s2, v5, v6
	v_add_co_ci_u32_e64 v1, null, 0, 0, s2
	v_add_nc_u32_e32 v5, v5, v6
	s_waitcnt lgkmcnt(0)
	s_delay_alu instid0(VALU_DEP_3) | instskip(NEXT) | instid1(VALU_DEP_3)
	v_add_co_u32 v0, vcc_lo, s16, v0
	v_add_co_ci_u32_e32 v1, vcc_lo, s17, v1, vcc_lo
	.p2align	6
.LBB206_2:                              ; =>This Inner Loop Header: Depth=1
	global_load_b128 v[6:9], v[0:1], off
	v_add_nc_u32_e32 v4, 0x2000, v4
	v_add_co_u32 v0, vcc_lo, 0x4000, v0
	v_add_co_ci_u32_e32 v1, vcc_lo, 0, v1, vcc_lo
	s_delay_alu instid0(VALU_DEP_3) | instskip(NEXT) | instid1(VALU_DEP_1)
	v_cmp_le_u32_e64 s2, s3, v4
	s_or_b32 s13, s2, s13
	s_waitcnt vmcnt(0)
	ds_store_b128 v5, v[6:9]
	v_add_nc_u32_e32 v5, 0x4000, v5
	s_and_not1_b32 exec_lo, exec_lo, s13
	s_cbranch_execnz .LBB206_2
.LBB206_3:
	s_or_b32 exec_lo, exec_lo, s12
	s_load_b64 s[16:17], s[0:1], 0x38
	s_waitcnt lgkmcnt(0)
	s_barrier
	buffer_gl0_inv
	s_mov_b32 s2, exec_lo
	v_cmpx_gt_u32_e64 s16, v3
	s_cbranch_execz .LBB206_34
; %bb.4:
	s_mul_i32 s15, s15, s16
	s_delay_alu instid0(SALU_CYCLE_1) | instskip(NEXT) | instid1(VALU_DEP_1)
	v_add_lshl_u32 v32, s15, v3, 1
	v_cmp_gt_u32_e32 vcc_lo, s7, v32
	s_and_b32 exec_lo, exec_lo, vcc_lo
	s_cbranch_execz .LBB206_34
; %bb.5:
	v_cvt_f32_u32_e32 v0, s8
	v_mbcnt_lo_u32_b32 v1, -1, 0
	s_cmp_lg_u32 s4, 0
	s_clause 0x1
	s_load_b64 s[2:3], s[0:1], 0x18
	s_load_b64 s[12:13], s[0:1], 0x30
	s_cselect_b32 s1, -1, 0
	v_rcp_iflag_f32_e32 v0, v0
	v_xor_b32_e32 v4, 16, v1
	s_add_i32 s14, s4, -8
	s_add_i32 s15, s7, -1
	s_cmp_lg_u64 s[10:11], 0
	s_mul_i32 s16, s16, s17
	v_cmp_gt_i32_e32 vcc_lo, 32, v4
	v_mov_b32_e32 v34, 0
	s_cselect_b32 s18, -1, 0
	s_sub_i32 s0, 0, s8
	s_abs_i32 s17, s9
	v_cndmask_b32_e32 v1, v1, v4, vcc_lo
	s_waitcnt_depctr 0xfff
	v_mul_f32_e32 v0, 0x4f7ffffe, v0
	s_lshl_b32 s9, s16, 1
	s_sub_i32 s16, 1, s17
	s_cmp_lt_u32 s17, 2
	v_lshlrev_b32_e32 v41, 2, v1
	v_cvt_u32_f32_e32 v0, v0
	s_cselect_b32 s16, s16, 1
	v_lshlrev_b32_e32 v40, 4, v2
	s_sub_i32 s19, s16, s17
	s_cmp_ge_u32 s16, s17
	v_mul_lo_u32 v3, s0, v0
	v_cmp_eq_u32_e64 s0, 63, v2
	s_cselect_b32 s17, s19, s16
	s_mov_b32 s16, 0
	s_mul_i32 s17, s17, s8
	s_delay_alu instid0(VALU_DEP_2) | instskip(NEXT) | instid1(VALU_DEP_1)
	v_mul_hi_u32 v3, v0, v3
	v_add_nc_u32_e32 v42, v0, v3
	s_branch .LBB206_8
.LBB206_6:                              ;   in Loop: Header=BB206_8 Depth=1
	s_or_b32 exec_lo, exec_lo, s20
	v_add_nc_u32_e32 v33, 1, v33
	s_delay_alu instid0(VALU_DEP_1) | instskip(NEXT) | instid1(VALU_DEP_1)
	v_lshlrev_b64 v[1:2], 1, v[33:34]
	v_add_co_u32 v1, vcc_lo, s12, v1
	s_delay_alu instid0(VALU_DEP_2)
	v_add_co_ci_u32_e32 v2, vcc_lo, s13, v2, vcc_lo
	global_store_d16_hi_b16 v[1:2], v0, off
.LBB206_7:                              ;   in Loop: Header=BB206_8 Depth=1
	s_or_b32 exec_lo, exec_lo, s19
	v_add_nc_u32_e32 v32, s9, v32
	s_delay_alu instid0(VALU_DEP_1) | instskip(SKIP_1) | instid1(SALU_CYCLE_1)
	v_cmp_le_u32_e32 vcc_lo, s7, v32
	s_or_b32 s16, vcc_lo, s16
	s_and_not1_b32 exec_lo, exec_lo, s16
	s_cbranch_execz .LBB206_34
.LBB206_8:                              ; =>This Loop Header: Depth=1
                                        ;     Child Loop BB206_12 Depth 2
	v_mov_b32_e32 v44, v34
	v_mov_b32_e32 v45, v34
	;; [unrolled: 1-line block ×4, first 2 shown]
	s_and_not1_b32 vcc_lo, exec_lo, s1
	s_cbranch_vccnz .LBB206_15
; %bb.9:                                ;   in Loop: Header=BB206_8 Depth=1
	v_or_b32_e32 v0, 1, v32
	s_waitcnt lgkmcnt(0)
	v_min_u32_e32 v1, s15, v32
	v_dual_mov_b32 v47, 0 :: v_dual_mov_b32 v44, 0
	v_mov_b32_e32 v43, v40
	v_min_u32_e32 v0, s15, v0
	s_delay_alu instid0(VALU_DEP_4) | instskip(SKIP_2) | instid1(VALU_DEP_4)
	v_mul_lo_u32 v33, v1, s5
	v_dual_mov_b32 v1, v34 :: v_dual_mov_b32 v46, 0
	v_mov_b32_e32 v45, 0
	v_mul_lo_u32 v0, v0, s5
	s_mov_b32 s19, 0
	s_delay_alu instid0(VALU_DEP_4) | instskip(NEXT) | instid1(VALU_DEP_2)
	v_lshlrev_b64 v[35:36], 1, v[33:34]
	v_lshlrev_b64 v[37:38], 1, v[0:1]
	s_branch .LBB206_12
.LBB206_10:                             ;   in Loop: Header=BB206_12 Depth=2
	s_or_b32 exec_lo, exec_lo, s21
.LBB206_11:                             ;   in Loop: Header=BB206_12 Depth=2
	s_delay_alu instid0(SALU_CYCLE_1)
	s_or_b32 exec_lo, exec_lo, s20
	s_waitcnt vmcnt(3)
	v_and_b32_e32 v48, 0xffff0000, v24
	s_waitcnt lgkmcnt(1)
	v_and_b32_e32 v49, 0xffff0000, v29
	v_and_b32_e32 v50, 0xffff0000, v25
	;; [unrolled: 1-line block ×5, first 2 shown]
	s_waitcnt vmcnt(2)
	v_and_b32_e32 v58, 0xffff0000, v21
	v_lshlrev_b32_e32 v29, 16, v29
	v_lshlrev_b32_e32 v21, 16, v21
	v_and_b32_e32 v53, 0xffff0000, v30
	v_lshlrev_b32_e32 v28, 16, v28
	v_and_b32_e32 v56, 0xffff0000, v27
	v_mul_f32_e32 v52, v49, v50
	v_dual_mul_f32 v51, v33, v48 :: v_dual_lshlrev_b32 v30, 16, v30
	s_delay_alu instid0(VALU_DEP_3) | instskip(SKIP_4) | instid1(VALU_DEP_2)
	v_dual_mul_f32 v57, v55, v56 :: v_dual_lshlrev_b32 v26, 16, v26
	v_lshlrev_b32_e32 v24, 16, v24
	s_addk_i32 s19, 0x400
	v_add_nc_u32_e32 v43, 0x800, v43
	s_cmp_ge_u32 s19, s4
	v_fmac_f32_e32 v51, v28, v24
	s_delay_alu instid0(VALU_DEP_1) | instskip(SKIP_1) | instid1(VALU_DEP_1)
	v_add_f32_e32 v47, v47, v51
	v_lshlrev_b32_e32 v25, 16, v25
	v_fmac_f32_e32 v52, v29, v25
	s_delay_alu instid0(VALU_DEP_1) | instskip(SKIP_2) | instid1(VALU_DEP_2)
	v_add_f32_e32 v47, v47, v52
	v_and_b32_e32 v52, 0xffff0000, v20
	v_dual_mul_f32 v51, v53, v54 :: v_dual_lshlrev_b32 v20, 16, v20
	v_mul_f32_e32 v33, v33, v52
	s_delay_alu instid0(VALU_DEP_2) | instskip(NEXT) | instid1(VALU_DEP_2)
	v_fmac_f32_e32 v51, v30, v26
	v_dual_fmac_f32 v33, v28, v20 :: v_dual_mul_f32 v28, v49, v58
	s_waitcnt lgkmcnt(0)
	v_and_b32_e32 v49, 0xffff0000, v16
	s_delay_alu instid0(VALU_DEP_3) | instskip(NEXT) | instid1(VALU_DEP_2)
	v_dual_add_f32 v47, v47, v51 :: v_dual_lshlrev_b32 v16, 16, v16
	v_dual_add_f32 v33, v46, v33 :: v_dual_mul_f32 v46, v49, v48
	s_delay_alu instid0(VALU_DEP_1) | instskip(NEXT) | instid1(VALU_DEP_1)
	v_fmac_f32_e32 v46, v16, v24
	v_dual_add_f32 v45, v45, v46 :: v_dual_and_b32 v48, 0xffff0000, v17
	s_delay_alu instid0(VALU_DEP_1) | instskip(SKIP_1) | instid1(VALU_DEP_1)
	v_dual_mul_f32 v24, v48, v50 :: v_dual_lshlrev_b32 v31, 16, v31
	v_lshlrev_b32_e32 v17, 16, v17
	v_dual_fmac_f32 v24, v17, v25 :: v_dual_lshlrev_b32 v27, 16, v27
	s_delay_alu instid0(VALU_DEP_1) | instskip(SKIP_1) | instid1(VALU_DEP_1)
	v_dual_fmac_f32 v57, v31, v27 :: v_dual_add_f32 v24, v45, v24
	v_fmac_f32_e32 v28, v29, v21
	v_dual_add_f32 v47, v47, v57 :: v_dual_add_f32 v28, v33, v28
	v_and_b32_e32 v29, 0xffff0000, v22
	s_delay_alu instid0(VALU_DEP_1) | instskip(NEXT) | instid1(VALU_DEP_1)
	v_dual_mul_f32 v51, v53, v29 :: v_dual_lshlrev_b32 v22, 16, v22
	v_fmac_f32_e32 v51, v30, v22
	v_and_b32_e32 v30, 0xffff0000, v18
	v_lshlrev_b32_e32 v18, 16, v18
	s_delay_alu instid0(VALU_DEP_2) | instskip(NEXT) | instid1(VALU_DEP_1)
	v_mul_f32_e32 v25, v30, v54
	v_fmac_f32_e32 v25, v18, v26
	v_and_b32_e32 v33, 0xffff0000, v23
	v_lshlrev_b32_e32 v23, 16, v23
	v_add_f32_e32 v26, v28, v51
	v_and_b32_e32 v28, 0xffff0000, v19
	s_delay_alu instid0(VALU_DEP_4) | instskip(NEXT) | instid1(VALU_DEP_1)
	v_dual_mul_f32 v46, v55, v33 :: v_dual_mul_f32 v45, v49, v52
	v_fmac_f32_e32 v45, v16, v20
	v_mul_f32_e32 v20, v48, v58
	s_delay_alu instid0(VALU_DEP_3) | instskip(SKIP_2) | instid1(VALU_DEP_4)
	v_fmac_f32_e32 v46, v31, v23
	v_add_f32_e32 v16, v24, v25
	v_mul_f32_e32 v24, v28, v56
	v_fmac_f32_e32 v20, v17, v21
	s_waitcnt vmcnt(1)
	v_dual_add_f32 v25, v44, v45 :: v_dual_and_b32 v44, 0xffff0000, v8
	v_lshlrev_b32_e32 v19, 16, v19
	s_delay_alu instid0(VALU_DEP_2) | instskip(NEXT) | instid1(VALU_DEP_2)
	v_dual_mul_f32 v17, v30, v29 :: v_dual_add_f32 v20, v25, v20
	v_dual_fmac_f32 v24, v19, v27 :: v_dual_and_b32 v25, 0xffff0000, v13
	v_and_b32_e32 v29, 0xffff0000, v9
	v_and_b32_e32 v31, 0xffff0000, v12
	v_lshlrev_b32_e32 v12, 16, v12
	v_dual_fmac_f32 v17, v18, v22 :: v_dual_lshlrev_b32 v8, 16, v8
	s_delay_alu instid0(VALU_DEP_3) | instskip(SKIP_2) | instid1(VALU_DEP_3)
	v_dual_mul_f32 v18, v25, v29 :: v_dual_mul_f32 v21, v31, v44
	v_mul_f32_e32 v22, v28, v33
	v_dual_add_f32 v16, v16, v24 :: v_dual_lshlrev_b32 v9, 16, v9
	v_dual_fmac_f32 v21, v12, v8 :: v_dual_and_b32 v28, 0xffff0000, v14
	v_and_b32_e32 v30, 0xffff0000, v10
	v_dual_add_f32 v17, v20, v17 :: v_dual_lshlrev_b32 v14, 16, v14
	v_fmac_f32_e32 v22, v19, v23
	s_delay_alu instid0(VALU_DEP_4)
	v_add_f32_e32 v21, v47, v21
	v_lshlrev_b32_e32 v13, 16, v13
	v_mul_f32_e32 v33, v28, v30
	s_waitcnt vmcnt(0)
	v_dual_add_f32 v19, v26, v46 :: v_dual_and_b32 v20, 0xffff0000, v0
	v_lshlrev_b32_e32 v10, 16, v10
	v_fmac_f32_e32 v18, v13, v9
	v_lshlrev_b32_e32 v0, 16, v0
	s_delay_alu instid0(VALU_DEP_2) | instskip(NEXT) | instid1(VALU_DEP_4)
	v_dual_add_f32 v18, v21, v18 :: v_dual_mul_f32 v21, v31, v20
	v_fmac_f32_e32 v33, v14, v10
	v_dual_add_f32 v17, v17, v22 :: v_dual_and_b32 v22, 0xffff0000, v15
	s_delay_alu instid0(VALU_DEP_3) | instskip(NEXT) | instid1(VALU_DEP_3)
	v_dual_fmac_f32 v21, v12, v0 :: v_dual_and_b32 v24, 0xffff0000, v11
	v_add_f32_e32 v18, v18, v33
	s_delay_alu instid0(VALU_DEP_2) | instskip(SKIP_4) | instid1(VALU_DEP_4)
	v_add_f32_e32 v19, v19, v21
	v_and_b32_e32 v21, 0xffff0000, v4
	v_and_b32_e32 v23, 0xffff0000, v1
	v_lshlrev_b32_e32 v4, 16, v4
	v_mul_f32_e32 v27, v22, v24
	v_dual_mul_f32 v26, v21, v44 :: v_dual_lshlrev_b32 v1, 16, v1
	s_delay_alu instid0(VALU_DEP_4) | instskip(NEXT) | instid1(VALU_DEP_2)
	v_dual_mul_f32 v12, v25, v23 :: v_dual_and_b32 v25, 0xffff0000, v2
	v_dual_fmac_f32 v26, v4, v8 :: v_dual_lshlrev_b32 v15, 16, v15
	v_lshlrev_b32_e32 v2, 16, v2
	s_delay_alu instid0(VALU_DEP_3) | instskip(NEXT) | instid1(VALU_DEP_4)
	v_fmac_f32_e32 v12, v13, v1
	v_mul_f32_e32 v13, v28, v25
	v_and_b32_e32 v28, 0xffff0000, v5
	v_lshlrev_b32_e32 v11, 16, v11
	s_delay_alu instid0(VALU_DEP_4) | instskip(NEXT) | instid1(VALU_DEP_4)
	v_dual_add_f32 v12, v19, v12 :: v_dual_lshlrev_b32 v5, 16, v5
	v_fmac_f32_e32 v13, v14, v2
	v_add_f32_e32 v14, v16, v26
	s_delay_alu instid0(VALU_DEP_4) | instskip(NEXT) | instid1(VALU_DEP_3)
	v_dual_mul_f32 v8, v28, v29 :: v_dual_fmac_f32 v27, v15, v11
	v_dual_add_f32 v12, v12, v13 :: v_dual_and_b32 v19, 0xffff0000, v6
	s_delay_alu instid0(VALU_DEP_2) | instskip(SKIP_3) | instid1(VALU_DEP_4)
	v_dual_fmac_f32 v8, v5, v9 :: v_dual_and_b32 v13, 0xffff0000, v3
	v_mul_f32_e32 v9, v21, v20
	v_lshlrev_b32_e32 v3, 16, v3
	v_add_f32_e32 v47, v18, v27
	v_mul_f32_e32 v16, v22, v13
	v_add_f32_e32 v8, v14, v8
	v_dual_fmac_f32 v9, v4, v0 :: v_dual_lshlrev_b32 v4, 16, v6
	v_mul_f32_e32 v0, v28, v23
	v_mul_f32_e32 v6, v19, v30
	s_delay_alu instid0(VALU_DEP_3) | instskip(SKIP_1) | instid1(VALU_DEP_4)
	v_dual_add_f32 v9, v17, v9 :: v_dual_and_b32 v14, 0xffff0000, v7
	v_fmac_f32_e32 v16, v15, v3
	v_dual_fmac_f32 v0, v5, v1 :: v_dual_lshlrev_b32 v5, 16, v7
	s_delay_alu instid0(VALU_DEP_4) | instskip(NEXT) | instid1(VALU_DEP_4)
	v_dual_mul_f32 v1, v19, v25 :: v_dual_fmac_f32 v6, v4, v10
	v_mul_f32_e32 v7, v14, v24
	s_delay_alu instid0(VALU_DEP_3) | instskip(SKIP_1) | instid1(VALU_DEP_4)
	v_add_f32_e32 v0, v9, v0
	v_add_f32_e32 v46, v12, v16
	v_dual_fmac_f32 v1, v4, v2 :: v_dual_mul_f32 v2, v14, v13
	s_delay_alu instid0(VALU_DEP_4) | instskip(NEXT) | instid1(VALU_DEP_2)
	v_dual_fmac_f32 v7, v5, v11 :: v_dual_add_f32 v4, v8, v6
	v_add_f32_e32 v0, v0, v1
	s_delay_alu instid0(VALU_DEP_3) | instskip(NEXT) | instid1(VALU_DEP_3)
	v_fmac_f32_e32 v2, v5, v3
	v_add_f32_e32 v45, v4, v7
	s_delay_alu instid0(VALU_DEP_2)
	v_add_f32_e32 v44, v0, v2
	s_cbranch_scc1 .LBB206_15
.LBB206_12:                             ;   Parent Loop BB206_8 Depth=1
                                        ; =>  This Inner Loop Header: Depth=2
	v_add_nc_u32_e32 v12, s19, v39
	v_dual_mov_b32 v14, 0 :: v_dual_mov_b32 v19, 0
	v_dual_mov_b32 v18, 0 :: v_dual_mov_b32 v31, 0
	s_delay_alu instid0(VALU_DEP_3) | instskip(SKIP_3) | instid1(VALU_DEP_4)
	v_min_u32_e32 v33, s14, v12
	v_add_nc_u32_e32 v48, 0x200, v12
	v_dual_mov_b32 v16, 0 :: v_dual_mov_b32 v29, 0
	v_mov_b32_e32 v30, 0
	v_lshlrev_b64 v[0:1], 1, v[33:34]
	s_delay_alu instid0(VALU_DEP_4)
	v_min_u32_e32 v33, s14, v48
	v_dual_mov_b32 v28, 0 :: v_dual_mov_b32 v15, 0
	v_mov_b32_e32 v13, 0
	v_mov_b32_e32 v17, 0
	s_waitcnt lgkmcnt(0)
	v_add_co_u32 v4, vcc_lo, s2, v0
	v_add_co_ci_u32_e32 v5, vcc_lo, s3, v1, vcc_lo
	v_lshlrev_b64 v[0:1], 1, v[33:34]
	s_delay_alu instid0(VALU_DEP_3) | instskip(NEXT) | instid1(VALU_DEP_3)
	v_add_co_u32 v2, vcc_lo, v4, v35
	v_add_co_ci_u32_e32 v3, vcc_lo, v5, v36, vcc_lo
	s_delay_alu instid0(VALU_DEP_3) | instskip(NEXT) | instid1(VALU_DEP_4)
	v_add_co_u32 v6, vcc_lo, s2, v0
	v_add_co_ci_u32_e32 v7, vcc_lo, s3, v1, vcc_lo
	v_add_co_u32 v0, vcc_lo, v4, v37
	v_add_co_ci_u32_e32 v1, vcc_lo, v5, v38, vcc_lo
	s_delay_alu instid0(VALU_DEP_4) | instskip(NEXT) | instid1(VALU_DEP_4)
	v_add_co_u32 v4, vcc_lo, v6, v35
	v_add_co_ci_u32_e32 v5, vcc_lo, v7, v36, vcc_lo
	v_add_co_u32 v6, vcc_lo, v6, v37
	v_add_co_ci_u32_e32 v7, vcc_lo, v7, v38, vcc_lo
	s_clause 0x3
	global_load_b128 v[24:27], v[2:3], off slc dlc
	global_load_b128 v[20:23], v[0:1], off slc dlc
	;; [unrolled: 1-line block ×4, first 2 shown]
	v_mov_b32_e32 v7, 0
	v_cmp_gt_u32_e32 vcc_lo, s4, v12
	v_dual_mov_b32 v6, 0 :: v_dual_mov_b32 v5, 0
	v_mov_b32_e32 v4, 0
	v_mov_b32_e32 v12, 0
	s_and_saveexec_b32 s20, vcc_lo
	s_cbranch_execz .LBB206_11
; %bb.13:                               ;   in Loop: Header=BB206_12 Depth=2
	v_dual_mov_b32 v12, 0 :: v_dual_add_nc_u32 v33, s6, v43
	v_dual_mov_b32 v13, 0 :: v_dual_mov_b32 v14, 0
	ds_load_b128 v[28:31], v43
	ds_load_b128 v[16:19], v33
	v_dual_mov_b32 v15, 0 :: v_dual_mov_b32 v4, 0
	v_dual_mov_b32 v5, 0 :: v_dual_mov_b32 v6, 0
	v_mov_b32_e32 v7, 0
	s_mov_b32 s21, exec_lo
	v_cmpx_gt_u32_e64 s4, v48
	s_cbranch_execz .LBB206_10
; %bb.14:                               ;   in Loop: Header=BB206_12 Depth=2
	ds_load_b128 v[12:15], v43 offset:1024
	ds_load_b128 v[4:7], v33 offset:1024
	s_branch .LBB206_10
.LBB206_15:                             ;   in Loop: Header=BB206_8 Depth=1
	; sched_barrier mask(0x00000000)
	s_delay_alu instid0(VALU_DEP_1)
	v_cvt_i32_f32_e32 v0, v47
	s_waitcnt lgkmcnt(0)
	v_cvt_i32_f32_e32 v1, v46
	v_cvt_i32_f32_e32 v2, v45
	;; [unrolled: 1-line block ×3, first 2 shown]
	v_cvt_f32_i32_dpp v0, v0 row_shr:8 row_mask:0xf bank_mask:0xf bound_ctrl:1
	s_delay_alu instid0(VALU_DEP_4) | instskip(NEXT) | instid1(VALU_DEP_4)
	v_cvt_f32_i32_dpp v1, v1 row_shr:8 row_mask:0xf bank_mask:0xf bound_ctrl:1
	v_cvt_f32_i32_dpp v2, v2 row_shr:8 row_mask:0xf bank_mask:0xf bound_ctrl:1
	s_delay_alu instid0(VALU_DEP_4) | instskip(NEXT) | instid1(VALU_DEP_3)
	v_cvt_f32_i32_dpp v3, v3 row_shr:8 row_mask:0xf bank_mask:0xf bound_ctrl:1
	v_dual_add_f32 v0, v47, v0 :: v_dual_add_f32 v1, v46, v1
	s_delay_alu instid0(VALU_DEP_2) | instskip(NEXT) | instid1(VALU_DEP_2)
	v_dual_add_f32 v2, v45, v2 :: v_dual_add_f32 v3, v44, v3
	v_cvt_i32_f32_e32 v4, v0
	s_delay_alu instid0(VALU_DEP_3) | instskip(NEXT) | instid1(VALU_DEP_3)
	v_cvt_i32_f32_e32 v5, v1
	v_cvt_i32_f32_e32 v6, v2
	s_delay_alu instid0(VALU_DEP_4) | instskip(NEXT) | instid1(VALU_DEP_4)
	v_cvt_i32_f32_e32 v7, v3
	v_cvt_f32_i32_dpp v4, v4 row_shr:4 row_mask:0xf bank_mask:0xf bound_ctrl:1
	s_delay_alu instid0(VALU_DEP_4) | instskip(NEXT) | instid1(VALU_DEP_4)
	v_cvt_f32_i32_dpp v5, v5 row_shr:4 row_mask:0xf bank_mask:0xf bound_ctrl:1
	v_cvt_f32_i32_dpp v6, v6 row_shr:4 row_mask:0xf bank_mask:0xf bound_ctrl:1
	s_delay_alu instid0(VALU_DEP_4) | instskip(NEXT) | instid1(VALU_DEP_3)
	v_cvt_f32_i32_dpp v7, v7 row_shr:4 row_mask:0xf bank_mask:0xf bound_ctrl:1
	v_dual_add_f32 v0, v0, v4 :: v_dual_add_f32 v1, v1, v5
	s_delay_alu instid0(VALU_DEP_2) | instskip(NEXT) | instid1(VALU_DEP_2)
	v_dual_add_f32 v2, v2, v6 :: v_dual_add_f32 v3, v3, v7
	v_cvt_i32_f32_e32 v4, v0
	s_delay_alu instid0(VALU_DEP_3) | instskip(NEXT) | instid1(VALU_DEP_3)
	v_cvt_i32_f32_e32 v5, v1
	v_cvt_i32_f32_e32 v6, v2
	s_delay_alu instid0(VALU_DEP_4) | instskip(NEXT) | instid1(VALU_DEP_4)
	v_cvt_i32_f32_e32 v7, v3
	;; [unrolled: 15-line block ×3, first 2 shown]
	v_cvt_f32_i32_dpp v4, v4 row_shr:1 row_mask:0xf bank_mask:0xf bound_ctrl:1
	s_delay_alu instid0(VALU_DEP_4) | instskip(NEXT) | instid1(VALU_DEP_4)
	v_cvt_f32_i32_dpp v5, v5 row_shr:1 row_mask:0xf bank_mask:0xf bound_ctrl:1
	v_cvt_f32_i32_dpp v6, v6 row_shr:1 row_mask:0xf bank_mask:0xf bound_ctrl:1
	s_delay_alu instid0(VALU_DEP_4) | instskip(NEXT) | instid1(VALU_DEP_3)
	v_cvt_f32_i32_dpp v8, v7 row_shr:1 row_mask:0xf bank_mask:0xf bound_ctrl:1
	v_dual_add_f32 v7, v0, v4 :: v_dual_add_f32 v0, v1, v5
	s_delay_alu instid0(VALU_DEP_3) | instskip(NEXT) | instid1(VALU_DEP_3)
	v_add_f32_e32 v4, v2, v6
	v_add_f32_e32 v2, v3, v8
	ds_bpermute_b32 v9, v41, v7
	ds_bpermute_b32 v1, v41, v0
	;; [unrolled: 1-line block ×4, first 2 shown]
	s_and_saveexec_b32 s19, s0
	s_cbranch_execz .LBB206_7
; %bb.16:                               ;   in Loop: Header=BB206_8 Depth=1
	v_dual_mov_b32 v6, 0 :: v_dual_mov_b32 v11, 0
	v_mov_b32_e32 v8, 0
	v_mov_b32_e32 v10, 0
	s_and_not1_b32 vcc_lo, exec_lo, s18
	s_cbranch_vccnz .LBB206_18
; %bb.17:                               ;   in Loop: Header=BB206_8 Depth=1
	v_mul_hi_u32 v6, v32, v42
	v_or_b32_e32 v8, 1, v32
	s_delay_alu instid0(VALU_DEP_1) | instskip(NEXT) | instid1(VALU_DEP_3)
	v_mul_hi_u32 v10, v8, v42
	v_mul_lo_u32 v6, v6, s8
	s_delay_alu instid0(VALU_DEP_2) | instskip(NEXT) | instid1(VALU_DEP_2)
	v_mul_lo_u32 v10, v10, s8
	v_sub_nc_u32_e32 v6, v32, v6
	s_delay_alu instid0(VALU_DEP_1) | instskip(NEXT) | instid1(VALU_DEP_3)
	v_subrev_nc_u32_e32 v11, s8, v6
	v_sub_nc_u32_e32 v8, v8, v10
	v_cmp_le_u32_e32 vcc_lo, s8, v6
	s_delay_alu instid0(VALU_DEP_2) | instskip(NEXT) | instid1(VALU_DEP_4)
	v_subrev_nc_u32_e32 v10, s8, v8
	v_cndmask_b32_e32 v6, v6, v11, vcc_lo
	v_cmp_le_u32_e32 vcc_lo, s8, v8
	s_delay_alu instid0(VALU_DEP_2) | instskip(NEXT) | instid1(VALU_DEP_4)
	v_subrev_nc_u32_e32 v11, s8, v6
	v_cndmask_b32_e32 v8, v8, v10, vcc_lo
	v_cmp_le_u32_e32 vcc_lo, s8, v6
	s_delay_alu instid0(VALU_DEP_3) | instskip(NEXT) | instid1(VALU_DEP_3)
	v_cndmask_b32_e32 v33, v6, v11, vcc_lo
	v_subrev_nc_u32_e32 v6, s8, v8
	v_cmp_le_u32_e32 vcc_lo, s8, v8
	v_mov_b32_e32 v11, v34
	s_delay_alu instid0(VALU_DEP_4) | instskip(NEXT) | instid1(VALU_DEP_4)
	v_lshlrev_b64 v[12:13], 1, v[33:34]
	v_dual_cndmask_b32 v10, v8, v6 :: v_dual_add_nc_u32 v33, s17, v33
	s_delay_alu instid0(VALU_DEP_1) | instskip(NEXT) | instid1(VALU_DEP_2)
	v_lshlrev_b64 v[16:17], 1, v[33:34]
	v_lshlrev_b64 v[14:15], 1, v[10:11]
	v_add_nc_u32_e32 v33, s17, v10
	v_add_co_u32 v10, vcc_lo, s10, v12
	v_add_co_ci_u32_e32 v11, vcc_lo, s11, v13, vcc_lo
	s_delay_alu instid0(VALU_DEP_3)
	v_lshlrev_b64 v[12:13], 1, v[33:34]
	v_add_co_u32 v14, vcc_lo, s10, v14
	v_add_co_ci_u32_e32 v15, vcc_lo, s11, v15, vcc_lo
	v_add_co_u32 v16, vcc_lo, s10, v16
	v_add_co_ci_u32_e32 v17, vcc_lo, s11, v17, vcc_lo
	;; [unrolled: 2-line block ×3, first 2 shown]
	s_clause 0x3
	global_load_u16 v11, v[10:11], off
	global_load_u16 v10, v[14:15], off
	;; [unrolled: 1-line block ×4, first 2 shown]
.LBB206_18:                             ;   in Loop: Header=BB206_8 Depth=1
	s_waitcnt lgkmcnt(0)
	v_add_f32_e32 v7, v7, v9
	s_waitcnt vmcnt(3)
	v_lshlrev_b32_e32 v9, 16, v11
	s_delay_alu instid0(VALU_DEP_1) | instskip(NEXT) | instid1(VALU_DEP_1)
	v_add_f32_e32 v9, v7, v9
	v_and_b32_e32 v7, 0x7f800000, v9
	s_delay_alu instid0(VALU_DEP_1) | instskip(SKIP_1) | instid1(SALU_CYCLE_1)
	v_cmp_ne_u32_e32 vcc_lo, 0x7f800000, v7
                                        ; implicit-def: $vgpr7
	s_and_saveexec_b32 s20, vcc_lo
	s_xor_b32 s20, exec_lo, s20
; %bb.19:                               ;   in Loop: Header=BB206_8 Depth=1
	v_bfe_u32 v7, v9, 16, 1
	s_delay_alu instid0(VALU_DEP_1)
	v_add3_u32 v7, v9, v7, 0x7fff
                                        ; implicit-def: $vgpr9
; %bb.20:                               ;   in Loop: Header=BB206_8 Depth=1
	s_and_not1_saveexec_b32 s20, s20
; %bb.21:                               ;   in Loop: Header=BB206_8 Depth=1
	v_and_b32_e32 v7, 0xffff, v9
	v_or_b32_e32 v11, 0x10000, v9
	s_delay_alu instid0(VALU_DEP_2) | instskip(NEXT) | instid1(VALU_DEP_2)
	v_cmp_eq_u32_e32 vcc_lo, 0, v7
	v_cndmask_b32_e32 v7, v11, v9, vcc_lo
; %bb.22:                               ;   in Loop: Header=BB206_8 Depth=1
	s_or_b32 exec_lo, exec_lo, s20
	s_waitcnt vmcnt(2)
	v_dual_add_f32 v0, v0, v1 :: v_dual_lshlrev_b32 v1, 16, v10
	s_mov_b32 s20, exec_lo
	s_delay_alu instid0(VALU_DEP_1) | instskip(NEXT) | instid1(VALU_DEP_1)
	v_add_f32_e32 v9, v0, v1
	v_dual_mov_b32 v33, v34 :: v_dual_and_b32 v10, 0x7f800000, v9
	s_delay_alu instid0(VALU_DEP_1) | instskip(NEXT) | instid1(VALU_DEP_1)
	v_lshlrev_b64 v[0:1], 1, v[32:33]
	v_add_co_u32 v0, vcc_lo, s12, v0
	s_delay_alu instid0(VALU_DEP_2)
	v_add_co_ci_u32_e32 v1, vcc_lo, s13, v1, vcc_lo
	global_store_d16_hi_b16 v[0:1], v7, off
                                        ; implicit-def: $vgpr7
	v_cmpx_ne_u32_e32 0x7f800000, v10
	s_xor_b32 s20, exec_lo, s20
; %bb.23:                               ;   in Loop: Header=BB206_8 Depth=1
	v_bfe_u32 v7, v9, 16, 1
	s_delay_alu instid0(VALU_DEP_1)
	v_add3_u32 v7, v9, v7, 0x7fff
                                        ; implicit-def: $vgpr9
; %bb.24:                               ;   in Loop: Header=BB206_8 Depth=1
	s_and_not1_saveexec_b32 s20, s20
; %bb.25:                               ;   in Loop: Header=BB206_8 Depth=1
	v_and_b32_e32 v7, 0xffff, v9
	v_or_b32_e32 v10, 0x10000, v9
	s_delay_alu instid0(VALU_DEP_2) | instskip(NEXT) | instid1(VALU_DEP_2)
	v_cmp_eq_u32_e32 vcc_lo, 0, v7
	v_cndmask_b32_e32 v7, v10, v9, vcc_lo
; %bb.26:                               ;   in Loop: Header=BB206_8 Depth=1
	s_or_b32 exec_lo, exec_lo, s20
	s_waitcnt vmcnt(1)
	v_dual_add_f32 v4, v4, v5 :: v_dual_lshlrev_b32 v5, 16, v8
	s_mov_b32 s20, exec_lo
	global_store_d16_hi_b16 v[0:1], v7, off offset:2
                                        ; implicit-def: $vgpr0
	v_add_f32_e32 v4, v4, v5
	s_delay_alu instid0(VALU_DEP_1) | instskip(NEXT) | instid1(VALU_DEP_1)
	v_and_b32_e32 v5, 0x7f800000, v4
	v_cmpx_ne_u32_e32 0x7f800000, v5
	s_xor_b32 s20, exec_lo, s20
; %bb.27:                               ;   in Loop: Header=BB206_8 Depth=1
	v_bfe_u32 v0, v4, 16, 1
	s_delay_alu instid0(VALU_DEP_1)
	v_add3_u32 v0, v4, v0, 0x7fff
                                        ; implicit-def: $vgpr4
; %bb.28:                               ;   in Loop: Header=BB206_8 Depth=1
	s_and_not1_saveexec_b32 s20, s20
; %bb.29:                               ;   in Loop: Header=BB206_8 Depth=1
	v_and_b32_e32 v0, 0xffff, v4
	v_or_b32_e32 v1, 0x10000, v4
	s_delay_alu instid0(VALU_DEP_2) | instskip(NEXT) | instid1(VALU_DEP_2)
	v_cmp_eq_u32_e32 vcc_lo, 0, v0
	v_cndmask_b32_e32 v0, v1, v4, vcc_lo
; %bb.30:                               ;   in Loop: Header=BB206_8 Depth=1
	s_or_b32 exec_lo, exec_lo, s20
	s_waitcnt vmcnt(0)
	v_dual_add_f32 v1, v2, v3 :: v_dual_lshlrev_b32 v2, 16, v6
	v_add_nc_u32_e32 v33, s7, v32
	s_mov_b32 s20, exec_lo
	s_delay_alu instid0(VALU_DEP_2) | instskip(NEXT) | instid1(VALU_DEP_2)
	v_add_f32_e32 v1, v1, v2
	v_lshlrev_b64 v[2:3], 1, v[33:34]
	s_delay_alu instid0(VALU_DEP_2) | instskip(NEXT) | instid1(VALU_DEP_2)
	v_and_b32_e32 v4, 0x7f800000, v1
	v_add_co_u32 v2, vcc_lo, s12, v2
	s_delay_alu instid0(VALU_DEP_3)
	v_add_co_ci_u32_e32 v3, vcc_lo, s13, v3, vcc_lo
	global_store_d16_hi_b16 v[2:3], v0, off
                                        ; implicit-def: $vgpr0
	v_cmpx_ne_u32_e32 0x7f800000, v4
	s_xor_b32 s20, exec_lo, s20
; %bb.31:                               ;   in Loop: Header=BB206_8 Depth=1
	v_bfe_u32 v0, v1, 16, 1
	s_delay_alu instid0(VALU_DEP_1)
	v_add3_u32 v0, v1, v0, 0x7fff
                                        ; implicit-def: $vgpr1
; %bb.32:                               ;   in Loop: Header=BB206_8 Depth=1
	s_and_not1_saveexec_b32 s20, s20
	s_cbranch_execz .LBB206_6
; %bb.33:                               ;   in Loop: Header=BB206_8 Depth=1
	v_and_b32_e32 v0, 0xffff, v1
	v_or_b32_e32 v2, 0x10000, v1
	s_delay_alu instid0(VALU_DEP_2) | instskip(NEXT) | instid1(VALU_DEP_2)
	v_cmp_eq_u32_e32 vcc_lo, 0, v0
	v_cndmask_b32_e32 v0, v2, v1, vcc_lo
	s_branch .LBB206_6
.LBB206_34:
	s_nop 0
	s_sendmsg sendmsg(MSG_DEALLOC_VGPRS)
	s_endpgm
	.section	.rodata,"a",@progbits
	.p2align	6, 0x0
	.amdhsa_kernel _Z16wvSplitK_hf_sml_I14__hip_bfloat16Li64ELi2ELi16ELi8ELi2ELi2EEviiiiiiPKT_S3_S3_PS1_ii
		.amdhsa_group_segment_fixed_size 65536
		.amdhsa_private_segment_fixed_size 0
		.amdhsa_kernarg_size 64
		.amdhsa_user_sgpr_count 15
		.amdhsa_user_sgpr_dispatch_ptr 0
		.amdhsa_user_sgpr_queue_ptr 0
		.amdhsa_user_sgpr_kernarg_segment_ptr 1
		.amdhsa_user_sgpr_dispatch_id 0
		.amdhsa_user_sgpr_private_segment_size 0
		.amdhsa_wavefront_size32 1
		.amdhsa_uses_dynamic_stack 0
		.amdhsa_enable_private_segment 0
		.amdhsa_system_sgpr_workgroup_id_x 1
		.amdhsa_system_sgpr_workgroup_id_y 0
		.amdhsa_system_sgpr_workgroup_id_z 0
		.amdhsa_system_sgpr_workgroup_info 0
		.amdhsa_system_vgpr_workitem_id 1
		.amdhsa_next_free_vgpr 59
		.amdhsa_next_free_sgpr 22
		.amdhsa_reserve_vcc 1
		.amdhsa_float_round_mode_32 0
		.amdhsa_float_round_mode_16_64 0
		.amdhsa_float_denorm_mode_32 3
		.amdhsa_float_denorm_mode_16_64 3
		.amdhsa_dx10_clamp 1
		.amdhsa_ieee_mode 1
		.amdhsa_fp16_overflow 0
		.amdhsa_workgroup_processor_mode 1
		.amdhsa_memory_ordered 1
		.amdhsa_forward_progress 0
		.amdhsa_shared_vgpr_count 0
		.amdhsa_exception_fp_ieee_invalid_op 0
		.amdhsa_exception_fp_denorm_src 0
		.amdhsa_exception_fp_ieee_div_zero 0
		.amdhsa_exception_fp_ieee_overflow 0
		.amdhsa_exception_fp_ieee_underflow 0
		.amdhsa_exception_fp_ieee_inexact 0
		.amdhsa_exception_int_div_zero 0
	.end_amdhsa_kernel
	.section	.text._Z16wvSplitK_hf_sml_I14__hip_bfloat16Li64ELi2ELi16ELi8ELi2ELi2EEviiiiiiPKT_S3_S3_PS1_ii,"axG",@progbits,_Z16wvSplitK_hf_sml_I14__hip_bfloat16Li64ELi2ELi16ELi8ELi2ELi2EEviiiiiiPKT_S3_S3_PS1_ii,comdat
.Lfunc_end206:
	.size	_Z16wvSplitK_hf_sml_I14__hip_bfloat16Li64ELi2ELi16ELi8ELi2ELi2EEviiiiiiPKT_S3_S3_PS1_ii, .Lfunc_end206-_Z16wvSplitK_hf_sml_I14__hip_bfloat16Li64ELi2ELi16ELi8ELi2ELi2EEviiiiiiPKT_S3_S3_PS1_ii
                                        ; -- End function
	.section	.AMDGPU.csdata,"",@progbits
; Kernel info:
; codeLenInByte = 3136
; NumSgprs: 24
; NumVgprs: 59
; ScratchSize: 0
; MemoryBound: 0
; FloatMode: 240
; IeeeMode: 1
; LDSByteSize: 65536 bytes/workgroup (compile time only)
; SGPRBlocks: 2
; VGPRBlocks: 7
; NumSGPRsForWavesPerEU: 24
; NumVGPRsForWavesPerEU: 59
; Occupancy: 16
; WaveLimiterHint : 0
; COMPUTE_PGM_RSRC2:SCRATCH_EN: 0
; COMPUTE_PGM_RSRC2:USER_SGPR: 15
; COMPUTE_PGM_RSRC2:TRAP_HANDLER: 0
; COMPUTE_PGM_RSRC2:TGID_X_EN: 1
; COMPUTE_PGM_RSRC2:TGID_Y_EN: 0
; COMPUTE_PGM_RSRC2:TGID_Z_EN: 0
; COMPUTE_PGM_RSRC2:TIDIG_COMP_CNT: 1
	.section	.text._Z12wvSplitK_hf_I14__hip_bfloat16Li64ELi2ELi16ELi8ELi2ELi2EEviiiiiiPKT_S3_S3_PS1_ii,"axG",@progbits,_Z12wvSplitK_hf_I14__hip_bfloat16Li64ELi2ELi16ELi8ELi2ELi2EEviiiiiiPKT_S3_S3_PS1_ii,comdat
	.protected	_Z12wvSplitK_hf_I14__hip_bfloat16Li64ELi2ELi16ELi8ELi2ELi2EEviiiiiiPKT_S3_S3_PS1_ii ; -- Begin function _Z12wvSplitK_hf_I14__hip_bfloat16Li64ELi2ELi16ELi8ELi2ELi2EEviiiiiiPKT_S3_S3_PS1_ii
	.globl	_Z12wvSplitK_hf_I14__hip_bfloat16Li64ELi2ELi16ELi8ELi2ELi2EEviiiiiiPKT_S3_S3_PS1_ii
	.p2align	8
	.type	_Z12wvSplitK_hf_I14__hip_bfloat16Li64ELi2ELi16ELi8ELi2ELi2EEviiiiiiPKT_S3_S3_PS1_ii,@function
_Z12wvSplitK_hf_I14__hip_bfloat16Li64ELi2ELi16ELi8ELi2ELi2EEviiiiiiPKT_S3_S3_PS1_ii: ; @_Z12wvSplitK_hf_I14__hip_bfloat16Li64ELi2ELi16ELi8ELi2ELi2EEviiiiiiPKT_S3_S3_PS1_ii
; %bb.0:
	s_clause 0x1
	s_load_b64 s[18:19], s[0:1], 0x38
	s_load_b128 s[4:7], s[0:1], 0x0
	v_bfe_u32 v2, v0, 10, 10
	s_clause 0x1
	s_load_b64 s[8:9], s[0:1], 0x20
	s_load_b64 s[10:11], s[0:1], 0x10
	s_mov_b32 s12, 1
	s_delay_alu instid0(SALU_CYCLE_1) | instskip(NEXT) | instid1(SALU_CYCLE_1)
	s_mov_b32 s13, s12
	v_dual_mov_b32 v33, s13 :: v_dual_mov_b32 v32, s12
	s_waitcnt lgkmcnt(0)
	s_mul_i32 s15, s15, s18
	s_delay_alu instid0(SALU_CYCLE_1) | instskip(NEXT) | instid1(VALU_DEP_1)
	v_add_lshl_u32 v34, s15, v2, 1
	v_add_nc_u32_e32 v1, 2, v34
	v_cmp_gt_u32_e32 vcc_lo, s7, v34
	s_delay_alu instid0(VALU_DEP_2) | instskip(NEXT) | instid1(VALU_DEP_1)
	v_cmp_le_u32_e64 s2, s7, v1
	s_and_b32 s2, vcc_lo, s2
	s_delay_alu instid0(SALU_CYCLE_1)
	s_and_saveexec_b32 s14, s2
	s_cbranch_execz .LBB207_6
; %bb.1:
	v_dual_mov_b32 v33, s13 :: v_dual_mov_b32 v32, s12
	s_add_i32 s15, s7, -2
	s_mov_b32 s16, exec_lo
	v_cmpx_ne_u32_e64 s15, v34
	s_cbranch_execz .LBB207_5
; %bb.2:
	v_subrev_nc_u32_e32 v1, s15, v34
	s_mov_b32 s2, 1
	s_mov_b32 s17, 0
	s_mov_b64 s[12:13], 0
	s_mov_b32 s3, s2
	v_cmp_lt_u32_e32 vcc_lo, 1, v1
	v_cndmask_b32_e32 v1, 1, v1, vcc_lo
.LBB207_3:                              ; =>This Inner Loop Header: Depth=1
	s_cmp_lg_u32 s12, 1
	s_cselect_b32 s3, s3, 0
	s_cmp_lg_u32 s12, 0
	s_cselect_b32 s2, s2, 0
	s_add_u32 s12, s12, 1
	v_dual_mov_b32 v33, s3 :: v_dual_mov_b32 v32, s2
	v_cmp_eq_u32_e32 vcc_lo, s12, v1
	s_addc_u32 s13, s13, 0
	s_or_b32 s17, vcc_lo, s17
	s_delay_alu instid0(SALU_CYCLE_1)
	s_and_not1_b32 exec_lo, exec_lo, s17
	s_cbranch_execnz .LBB207_3
; %bb.4:
	s_or_b32 exec_lo, exec_lo, s17
	v_mov_b32_e32 v34, s15
.LBB207_5:
	s_or_b32 exec_lo, exec_lo, s16
.LBB207_6:
	s_delay_alu instid0(SALU_CYCLE_1)
	s_or_b32 exec_lo, exec_lo, s14
	s_load_b64 s[12:13], s[0:1], 0x28
	v_and_b32_e32 v3, 0x3ff, v0
	s_lshl_b32 s2, s6, 1
	s_mov_b32 s14, exec_lo
	s_min_u32 s3, s2, 0x8000
	s_delay_alu instid0(VALU_DEP_1) | instskip(NEXT) | instid1(VALU_DEP_1)
	v_lshlrev_b32_e32 v45, 3, v3
	v_lshl_add_u32 v4, v2, 9, v45
	s_delay_alu instid0(VALU_DEP_1)
	v_cmpx_gt_u32_e64 s3, v4
	s_cbranch_execz .LBB207_9
; %bb.7:
	v_lshlrev_b32_e32 v5, 10, v2
	v_lshlrev_b32_e32 v6, 4, v3
	s_mov_b32 s15, 0
	s_delay_alu instid0(VALU_DEP_1) | instskip(NEXT) | instid1(VALU_DEP_1)
	v_add_co_u32 v0, s2, v5, v6
	v_add_co_ci_u32_e64 v1, null, 0, 0, s2
	v_add_nc_u32_e32 v5, v5, v6
	s_delay_alu instid0(VALU_DEP_3) | instskip(NEXT) | instid1(VALU_DEP_3)
	v_add_co_u32 v0, vcc_lo, s8, v0
	v_add_co_ci_u32_e32 v1, vcc_lo, s9, v1, vcc_lo
	.p2align	6
.LBB207_8:                              ; =>This Inner Loop Header: Depth=1
	global_load_b128 v[6:9], v[0:1], off
	v_add_nc_u32_e32 v4, 0x2000, v4
	v_add_co_u32 v0, vcc_lo, 0x4000, v0
	v_add_co_ci_u32_e32 v1, vcc_lo, 0, v1, vcc_lo
	s_delay_alu instid0(VALU_DEP_3) | instskip(NEXT) | instid1(VALU_DEP_1)
	v_cmp_le_u32_e64 s2, s3, v4
	s_or_b32 s15, s2, s15
	s_waitcnt vmcnt(0)
	ds_store_b128 v5, v[6:9]
	v_add_nc_u32_e32 v5, 0x4000, v5
	s_and_not1_b32 exec_lo, exec_lo, s15
	s_cbranch_execnz .LBB207_8
.LBB207_9:
	s_or_b32 exec_lo, exec_lo, s14
	v_cmp_gt_u32_e32 vcc_lo, s18, v2
	v_cmp_gt_u32_e64 s2, s7, v34
	s_waitcnt lgkmcnt(0)
	s_barrier
	buffer_gl0_inv
	s_and_b32 s2, vcc_lo, s2
	s_delay_alu instid0(SALU_CYCLE_1)
	s_and_saveexec_b32 s3, s2
	s_cbranch_execz .LBB207_68
; %bb.10:
	v_cvt_f32_u32_e32 v0, s10
	v_mbcnt_lo_u32_b32 v1, -1, 0
	s_cmp_lg_u32 s4, 0
	s_clause 0x1
	s_load_b64 s[14:15], s[0:1], 0x18
	s_load_b64 s[16:17], s[0:1], 0x30
	s_cselect_b32 s3, -1, 0
	v_rcp_iflag_f32_e32 v0, v0
	s_add_i32 s20, s4, -8
	s_add_i32 s21, s7, -1
	s_cmp_lg_u64 s[12:13], 0
	s_mul_i32 s1, s18, s19
	s_cselect_b32 s22, -1, 0
	s_sub_i32 s0, 0, s10
	s_lshl_b32 s23, s1, 1
	s_abs_i32 s1, s11
	s_add_i32 s11, s7, -2
	s_waitcnt_depctr 0xfff
	v_mul_f32_e32 v0, 0x4f7ffffe, v0
	s_sub_i32 s2, 1, s1
	s_cmp_lt_u32 s1, 2
	s_mov_b32 s24, 0
	s_cselect_b32 s2, s2, 1
	v_cvt_u32_f32_e32 v0, v0
	s_sub_i32 s18, s2, s1
	s_cmp_ge_u32 s2, s1
	s_cselect_b32 s25, s18, s2
	s_delay_alu instid0(VALU_DEP_1) | instskip(SKIP_3) | instid1(VALU_DEP_1)
	v_mul_lo_u32 v2, s0, v0
	v_cmp_eq_u32_e64 s0, 63, v3
	v_xor_b32_e32 v3, 16, v1
	s_mul_i32 s25, s25, s10
	v_cmp_gt_i32_e32 vcc_lo, 32, v3
	s_delay_alu instid0(VALU_DEP_4) | instskip(SKIP_1) | instid1(VALU_DEP_2)
	v_mul_hi_u32 v2, v0, v2
	v_dual_mov_b32 v36, 0 :: v_dual_cndmask_b32 v1, v1, v3
	v_add_nc_u32_e32 v47, v0, v2
	s_delay_alu instid0(VALU_DEP_2)
	v_lshlrev_b32_e32 v46, 2, v1
	s_branch .LBB207_13
.LBB207_11:                             ;   in Loop: Header=BB207_13 Depth=1
	s_or_b32 exec_lo, exec_lo, s27
	v_mov_b32_e32 v34, s11
.LBB207_12:                             ;   in Loop: Header=BB207_13 Depth=1
	s_or_b32 exec_lo, exec_lo, s26
	s_delay_alu instid0(VALU_DEP_1) | instskip(SKIP_1) | instid1(SALU_CYCLE_1)
	v_cmp_le_u32_e32 vcc_lo, s7, v34
	s_or_b32 s24, vcc_lo, s24
	s_and_not1_b32 exec_lo, exec_lo, s24
	s_cbranch_execz .LBB207_68
.LBB207_13:                             ; =>This Loop Header: Depth=1
                                        ;     Child Loop BB207_18 Depth 2
                                        ;     Child Loop BB207_66 Depth 2
	s_delay_alu instid0(VALU_DEP_3)
	v_dual_mov_b32 v48, v36 :: v_dual_add_nc_u32 v37, 1, v34
	v_mov_b32_e32 v49, v36
	v_mov_b32_e32 v50, v36
	;; [unrolled: 1-line block ×3, first 2 shown]
	s_and_not1_b32 vcc_lo, exec_lo, s3
	s_cbranch_vccnz .LBB207_36
; %bb.14:                               ;   in Loop: Header=BB207_13 Depth=1
	v_min_u32_e32 v0, s21, v34
	s_waitcnt lgkmcnt(0)
	v_min_u32_e32 v1, s21, v37
	v_dual_mov_b32 v51, 0 :: v_dual_mov_b32 v48, 0
	v_mov_b32_e32 v49, 0
	v_mul_lo_u32 v35, v0, s5
	s_delay_alu instid0(VALU_DEP_4) | instskip(SKIP_2) | instid1(VALU_DEP_3)
	v_mul_lo_u32 v0, v1, s5
	v_dual_mov_b32 v1, v36 :: v_dual_mov_b32 v50, 0
	s_mov_b32 s1, 0
	v_lshlrev_b64 v[38:39], 1, v[35:36]
	s_delay_alu instid0(VALU_DEP_2)
	v_lshlrev_b64 v[40:41], 1, v[0:1]
	s_branch .LBB207_18
.LBB207_15:                             ;   in Loop: Header=BB207_18 Depth=2
	s_or_b32 exec_lo, exec_lo, s19
.LBB207_16:                             ;   in Loop: Header=BB207_18 Depth=2
	s_delay_alu instid0(SALU_CYCLE_1)
	s_or_b32 exec_lo, exec_lo, s18
.LBB207_17:                             ;   in Loop: Header=BB207_18 Depth=2
	s_delay_alu instid0(SALU_CYCLE_1)
	s_or_b32 exec_lo, exec_lo, s2
	s_waitcnt vmcnt(0) lgkmcnt(0)
	v_and_b32_e32 v54, 0xffff0000, v26
	v_and_b32_e32 v58, 0xffff0000, v13
	v_lshlrev_b32_e32 v13, 16, v13
	v_and_b32_e32 v55, 0xffff0000, v22
	v_and_b32_e32 v35, 0xffff0000, v24
	;; [unrolled: 1-line block ×3, first 2 shown]
	v_lshlrev_b32_e32 v22, 16, v22
	v_and_b32_e32 v57, 0xffff0000, v23
	v_dual_mul_f32 v56, v54, v55 :: v_dual_and_b32 v43, 0xffff0000, v25
	v_lshlrev_b32_e32 v26, 16, v26
	v_lshlrev_b32_e32 v25, 16, v25
	;; [unrolled: 1-line block ×4, first 2 shown]
	s_delay_alu instid0(VALU_DEP_4) | instskip(SKIP_3) | instid1(VALU_DEP_3)
	v_dual_mul_f32 v53, v43, v44 :: v_dual_fmac_f32 v56, v26, v22
	v_and_b32_e32 v42, 0xffff0000, v20
	v_lshlrev_b32_e32 v20, 16, v20
	s_addk_i32 s1, 0x400
	v_dual_fmac_f32 v53, v25, v21 :: v_dual_lshlrev_b32 v24, 16, v24
	s_delay_alu instid0(VALU_DEP_3) | instskip(SKIP_1) | instid1(VALU_DEP_1)
	v_mul_f32_e32 v52, v35, v42
	s_cmp_ge_u32 s1, s4
	v_fmac_f32_e32 v52, v24, v20
	s_delay_alu instid0(VALU_DEP_1) | instskip(NEXT) | instid1(VALU_DEP_1)
	v_add_f32_e32 v51, v51, v52
	v_add_f32_e32 v51, v51, v53
	v_and_b32_e32 v53, 0xffff0000, v27
	v_lshlrev_b32_e32 v27, 16, v27
	s_delay_alu instid0(VALU_DEP_2) | instskip(NEXT) | instid1(VALU_DEP_1)
	v_dual_mul_f32 v59, v53, v57 :: v_dual_and_b32 v52, 0xffff0000, v12
	v_dual_fmac_f32 v59, v27, v23 :: v_dual_lshlrev_b32 v12, 16, v12
	s_delay_alu instid0(VALU_DEP_2) | instskip(NEXT) | instid1(VALU_DEP_1)
	v_mul_f32_e32 v35, v35, v52
	v_dual_fmac_f32 v35, v24, v12 :: v_dual_mul_f32 v24, v43, v58
	v_dual_add_f32 v43, v51, v56 :: v_dual_and_b32 v56, 0xffff0000, v29
	v_lshlrev_b32_e32 v29, 16, v29
	s_delay_alu instid0(VALU_DEP_3) | instskip(NEXT) | instid1(VALU_DEP_3)
	v_dual_add_f32 v35, v50, v35 :: v_dual_and_b32 v50, 0xffff0000, v28
	v_add_f32_e32 v43, v43, v59
	v_and_b32_e32 v59, 0xffff0000, v5
	v_and_b32_e32 v51, 0xffff0000, v14
	v_lshlrev_b32_e32 v14, 16, v14
	s_delay_alu instid0(VALU_DEP_3) | instskip(NEXT) | instid1(VALU_DEP_3)
	v_dual_mul_f32 v60, v56, v59 :: v_dual_lshlrev_b32 v5, 16, v5
	v_dual_fmac_f32 v24, v25, v13 :: v_dual_mul_f32 v25, v54, v51
	v_and_b32_e32 v54, 0xffff0000, v4
	s_delay_alu instid0(VALU_DEP_3) | instskip(NEXT) | instid1(VALU_DEP_3)
	v_fmac_f32_e32 v60, v29, v5
	v_dual_add_f32 v24, v35, v24 :: v_dual_fmac_f32 v25, v26, v14
	v_and_b32_e32 v35, 0xffff0000, v15
	v_lshlrev_b32_e32 v26, 16, v28
	v_dual_mul_f32 v28, v50, v54 :: v_dual_lshlrev_b32 v15, 16, v15
	s_delay_alu instid0(VALU_DEP_3) | instskip(NEXT) | instid1(VALU_DEP_1)
	v_dual_add_f32 v24, v24, v25 :: v_dual_mul_f32 v53, v53, v35
	v_dual_fmac_f32 v53, v27, v15 :: v_dual_and_b32 v62, 0xffff0000, v6
	s_delay_alu instid0(VALU_DEP_1) | instskip(SKIP_4) | instid1(VALU_DEP_4)
	v_dual_add_f32 v24, v24, v53 :: v_dual_and_b32 v61, 0xffff0000, v30
	v_lshlrev_b32_e32 v4, 16, v4
	v_and_b32_e32 v53, 0xffff0000, v7
	v_and_b32_e32 v27, 0xffff0000, v0
	v_lshlrev_b32_e32 v0, 16, v0
	v_fmac_f32_e32 v28, v26, v4
	s_delay_alu instid0(VALU_DEP_1) | instskip(NEXT) | instid1(VALU_DEP_1)
	v_add_f32_e32 v28, v43, v28
	v_dual_add_f32 v25, v28, v60 :: v_dual_mul_f32 v28, v50, v27
	v_and_b32_e32 v50, 0xffff0000, v1
	v_lshlrev_b32_e32 v30, 16, v30
	s_delay_alu instid0(VALU_DEP_3) | instskip(NEXT) | instid1(VALU_DEP_3)
	v_dual_mul_f32 v43, v61, v62 :: v_dual_fmac_f32 v28, v26, v0
	v_mul_f32_e32 v26, v56, v50
	v_and_b32_e32 v56, 0xffff0000, v8
	s_delay_alu instid0(VALU_DEP_3) | instskip(NEXT) | instid1(VALU_DEP_2)
	v_dual_add_f32 v24, v24, v28 :: v_dual_lshlrev_b32 v1, 16, v1
	v_dual_mul_f32 v28, v56, v42 :: v_dual_lshlrev_b32 v7, 16, v7
	s_delay_alu instid0(VALU_DEP_2)
	v_fmac_f32_e32 v26, v29, v1
	v_and_b32_e32 v42, 0xffff0000, v10
	v_lshlrev_b32_e32 v10, 16, v10
	v_lshlrev_b32_e32 v8, 16, v8
	v_and_b32_e32 v29, 0xffff0000, v9
	v_lshlrev_b32_e32 v9, 16, v9
	v_lshlrev_b32_e32 v6, 16, v6
	v_add_f32_e32 v24, v24, v26
	v_fmac_f32_e32 v28, v8, v20
	v_mul_f32_e32 v20, v29, v44
	s_delay_alu instid0(VALU_DEP_2) | instskip(NEXT) | instid1(VALU_DEP_2)
	v_add_f32_e32 v28, v49, v28
	v_dual_fmac_f32 v20, v9, v21 :: v_dual_mul_f32 v21, v42, v55
	s_delay_alu instid0(VALU_DEP_1) | instskip(NEXT) | instid1(VALU_DEP_2)
	v_dual_fmac_f32 v43, v30, v6 :: v_dual_add_f32 v20, v28, v20
	v_dual_mul_f32 v28, v56, v52 :: v_dual_fmac_f32 v21, v10, v22
	s_delay_alu instid0(VALU_DEP_2) | instskip(NEXT) | instid1(VALU_DEP_2)
	v_add_f32_e32 v25, v25, v43
	v_dual_fmac_f32 v28, v8, v12 :: v_dual_and_b32 v43, 0xffff0000, v31
	s_delay_alu instid0(VALU_DEP_3) | instskip(SKIP_2) | instid1(VALU_DEP_4)
	v_add_f32_e32 v8, v20, v21
	v_and_b32_e32 v20, 0xffff0000, v3
	v_dual_mul_f32 v12, v29, v58 :: v_dual_lshlrev_b32 v3, 16, v3
	v_dual_add_f32 v21, v48, v28 :: v_dual_mul_f32 v60, v43, v53
	s_delay_alu instid0(VALU_DEP_2) | instskip(SKIP_1) | instid1(VALU_DEP_2)
	v_dual_fmac_f32 v12, v9, v13 :: v_dual_mul_f32 v9, v42, v51
	v_lshlrev_b32_e32 v13, 16, v16
	v_dual_add_f32 v12, v21, v12 :: v_dual_fmac_f32 v9, v10, v14
	v_and_b32_e32 v26, 0xffff0000, v2
	v_lshlrev_b32_e32 v2, 16, v2
	v_and_b32_e32 v21, 0xffff0000, v17
	s_delay_alu instid0(VALU_DEP_4) | instskip(NEXT) | instid1(VALU_DEP_4)
	v_add_f32_e32 v9, v12, v9
	v_dual_mul_f32 v44, v61, v26 :: v_dual_lshlrev_b32 v31, 16, v31
	v_lshlrev_b32_e32 v12, 16, v18
	s_delay_alu instid0(VALU_DEP_4) | instskip(NEXT) | instid1(VALU_DEP_3)
	v_mul_f32_e32 v14, v21, v59
	v_fmac_f32_e32 v60, v31, v7
	s_delay_alu instid0(VALU_DEP_4) | instskip(SKIP_2) | instid1(VALU_DEP_2)
	v_fmac_f32_e32 v44, v30, v2
	v_and_b32_e32 v30, 0xffff0000, v11
	v_lshlrev_b32_e32 v11, 16, v11
	v_dual_add_f32 v51, v25, v60 :: v_dual_mul_f32 v10, v30, v35
	s_delay_alu instid0(VALU_DEP_1) | instskip(NEXT) | instid1(VALU_DEP_1)
	v_fmac_f32_e32 v10, v11, v15
	v_dual_add_f32 v9, v9, v10 :: v_dual_mul_f32 v22, v30, v57
	v_and_b32_e32 v10, 0xffff0000, v18
	v_add_f32_e32 v24, v24, v44
	s_delay_alu instid0(VALU_DEP_3) | instskip(NEXT) | instid1(VALU_DEP_1)
	v_dual_fmac_f32 v22, v11, v23 :: v_dual_and_b32 v23, 0xffff0000, v16
	v_mul_f32_e32 v16, v23, v54
	s_delay_alu instid0(VALU_DEP_1) | instskip(SKIP_1) | instid1(VALU_DEP_1)
	v_fmac_f32_e32 v16, v13, v4
	v_lshlrev_b32_e32 v4, 16, v17
	v_dual_fmac_f32 v14, v4, v5 :: v_dual_mul_f32 v5, v23, v27
	s_delay_alu instid0(VALU_DEP_1) | instskip(SKIP_2) | instid1(VALU_DEP_3)
	v_fmac_f32_e32 v5, v13, v0
	v_mul_f32_e32 v0, v21, v50
	v_mul_f32_e32 v13, v10, v62
	v_add_f32_e32 v5, v9, v5
	s_delay_alu instid0(VALU_DEP_3) | instskip(NEXT) | instid1(VALU_DEP_3)
	v_dual_fmac_f32 v0, v4, v1 :: v_dual_mul_f32 v1, v10, v26
	v_dual_fmac_f32 v13, v12, v6 :: v_dual_lshlrev_b32 v4, 16, v19
	s_delay_alu instid0(VALU_DEP_2) | instskip(SKIP_1) | instid1(VALU_DEP_2)
	v_dual_add_f32 v0, v5, v0 :: v_dual_fmac_f32 v1, v12, v2
	v_add_f32_e32 v8, v8, v22
	v_add_f32_e32 v0, v0, v1
	s_delay_alu instid0(VALU_DEP_2) | instskip(NEXT) | instid1(VALU_DEP_1)
	v_add_f32_e32 v8, v8, v16
	v_add_f32_e32 v8, v8, v14
	s_delay_alu instid0(VALU_DEP_1) | instskip(NEXT) | instid1(VALU_DEP_1)
	v_dual_add_f32 v5, v8, v13 :: v_dual_and_b32 v14, 0xffff0000, v19
	v_dual_mul_f32 v11, v43, v20 :: v_dual_mul_f32 v6, v14, v53
	s_delay_alu instid0(VALU_DEP_1) | instskip(NEXT) | instid1(VALU_DEP_2)
	v_dual_mul_f32 v2, v14, v20 :: v_dual_fmac_f32 v11, v31, v3
	v_fmac_f32_e32 v6, v4, v7
	s_delay_alu instid0(VALU_DEP_2) | instskip(NEXT) | instid1(VALU_DEP_2)
	v_fmac_f32_e32 v2, v4, v3
	v_dual_add_f32 v50, v24, v11 :: v_dual_add_f32 v49, v5, v6
	s_delay_alu instid0(VALU_DEP_2)
	v_add_f32_e32 v48, v0, v2
	s_cbranch_scc1 .LBB207_36
.LBB207_18:                             ;   Parent Loop BB207_13 Depth=1
                                        ; =>  This Inner Loop Header: Depth=2
	v_dual_mov_b32 v18, 0 :: v_dual_add_nc_u32 v43, s1, v45
	v_dual_mov_b32 v17, 0 :: v_dual_mov_b32 v16, 0
	v_dual_mov_b32 v31, 0 :: v_dual_mov_b32 v30, 0
	s_delay_alu instid0(VALU_DEP_3) | instskip(SKIP_2) | instid1(VALU_DEP_3)
	v_min_u32_e32 v35, s20, v43
	v_dual_mov_b32 v19, 0 :: v_dual_add_nc_u32 v42, 0x200, v43
	v_dual_mov_b32 v29, 0 :: v_dual_mov_b32 v28, 0
	v_lshlrev_b64 v[0:1], 1, v[35:36]
	s_delay_alu instid0(VALU_DEP_3)
	v_min_u32_e32 v35, s20, v42
	s_waitcnt vmcnt(2)
	v_dual_mov_b32 v11, 0 :: v_dual_mov_b32 v10, 0
	v_dual_mov_b32 v27, 0 :: v_dual_mov_b32 v26, 0
	s_waitcnt vmcnt(0) lgkmcnt(0)
	v_add_co_u32 v4, vcc_lo, s14, v0
	v_add_co_ci_u32_e32 v5, vcc_lo, s15, v1, vcc_lo
	v_lshlrev_b64 v[0:1], 1, v[35:36]
	s_delay_alu instid0(VALU_DEP_3) | instskip(NEXT) | instid1(VALU_DEP_3)
	v_add_co_u32 v2, vcc_lo, v4, v38
	v_add_co_ci_u32_e32 v3, vcc_lo, v5, v39, vcc_lo
	v_dual_mov_b32 v25, 0 :: v_dual_mov_b32 v24, 0
	s_delay_alu instid0(VALU_DEP_4) | instskip(SKIP_3) | instid1(VALU_DEP_4)
	v_add_co_u32 v6, vcc_lo, s14, v0
	v_add_co_ci_u32_e32 v7, vcc_lo, s15, v1, vcc_lo
	v_add_co_u32 v0, vcc_lo, v4, v40
	v_add_co_ci_u32_e32 v1, vcc_lo, v5, v41, vcc_lo
	v_add_co_u32 v4, vcc_lo, v6, v38
	s_delay_alu instid0(VALU_DEP_4)
	v_add_co_ci_u32_e32 v5, vcc_lo, v7, v39, vcc_lo
	v_add_co_u32 v8, vcc_lo, v6, v40
	v_add_co_ci_u32_e32 v9, vcc_lo, v7, v41, vcc_lo
	s_clause 0x3
	global_load_b128 v[20:23], v[2:3], off slc dlc
	global_load_b128 v[12:15], v[0:1], off slc dlc
	;; [unrolled: 1-line block ×4, first 2 shown]
	v_dual_mov_b32 v9, 0 :: v_dual_mov_b32 v8, 0
	s_mov_b32 s2, exec_lo
	v_cmpx_gt_u32_e64 s4, v43
	s_cbranch_execz .LBB207_17
; %bb.19:                               ;   in Loop: Header=BB207_18 Depth=2
	s_mov_b32 s18, exec_lo
                                        ; implicit-def: $vgpr27
	v_cmpx_lt_u32_e32 0x7fff, v43
	s_xor_b32 s18, exec_lo, s18
	s_cbranch_execz .LBB207_21
; %bb.20:                               ;   in Loop: Header=BB207_18 Depth=2
	v_mov_b32_e32 v44, v36
	s_delay_alu instid0(VALU_DEP_1) | instskip(NEXT) | instid1(VALU_DEP_1)
	v_lshlrev_b64 v[8:9], 1, v[43:44]
	v_add_co_u32 v8, vcc_lo, s8, v8
	s_delay_alu instid0(VALU_DEP_2)
	v_add_co_ci_u32_e32 v9, vcc_lo, s9, v9, vcc_lo
	global_load_b128 v[24:27], v[8:9], off
.LBB207_21:                             ;   in Loop: Header=BB207_18 Depth=2
	s_and_not1_saveexec_b32 s18, s18
	s_cbranch_execz .LBB207_23
; %bb.22:                               ;   in Loop: Header=BB207_18 Depth=2
	v_lshlrev_b32_e32 v8, 1, v43
	s_waitcnt vmcnt(0)
	ds_load_b128 v[24:27], v8
.LBB207_23:                             ;   in Loop: Header=BB207_18 Depth=2
	s_or_b32 exec_lo, exec_lo, s18
	v_add_nc_u32_e32 v35, s6, v43
	s_mov_b32 s18, exec_lo
                                        ; implicit-def: $vgpr11
	s_delay_alu instid0(VALU_DEP_1)
	v_cmpx_lt_u32_e32 0x7fff, v35
	s_xor_b32 s18, exec_lo, s18
	s_cbranch_execz .LBB207_25
; %bb.24:                               ;   in Loop: Header=BB207_18 Depth=2
	v_lshlrev_b64 v[8:9], 1, v[35:36]
	s_delay_alu instid0(VALU_DEP_1) | instskip(NEXT) | instid1(VALU_DEP_2)
	v_add_co_u32 v8, vcc_lo, s8, v8
	v_add_co_ci_u32_e32 v9, vcc_lo, s9, v9, vcc_lo
	global_load_b128 v[8:11], v[8:9], off
.LBB207_25:                             ;   in Loop: Header=BB207_18 Depth=2
	s_and_not1_saveexec_b32 s18, s18
	s_cbranch_execz .LBB207_27
; %bb.26:                               ;   in Loop: Header=BB207_18 Depth=2
	s_waitcnt vmcnt(0)
	v_lshlrev_b32_e32 v8, 1, v35
	ds_load_b128 v[8:11], v8
.LBB207_27:                             ;   in Loop: Header=BB207_18 Depth=2
	s_or_b32 exec_lo, exec_lo, s18
	v_dual_mov_b32 v19, 0 :: v_dual_mov_b32 v18, 0
	v_dual_mov_b32 v17, 0 :: v_dual_mov_b32 v16, 0
	;; [unrolled: 1-line block ×4, first 2 shown]
	s_mov_b32 s18, exec_lo
	v_cmpx_gt_u32_e64 s4, v42
	s_cbranch_execz .LBB207_16
; %bb.28:                               ;   in Loop: Header=BB207_18 Depth=2
	s_mov_b32 s19, exec_lo
                                        ; implicit-def: $vgpr31
	v_cmpx_lt_u32_e32 0x7fff, v42
	s_xor_b32 s19, exec_lo, s19
	s_cbranch_execz .LBB207_30
; %bb.29:                               ;   in Loop: Header=BB207_18 Depth=2
	v_mov_b32_e32 v43, v36
	s_delay_alu instid0(VALU_DEP_1) | instskip(NEXT) | instid1(VALU_DEP_1)
	v_lshlrev_b64 v[16:17], 1, v[42:43]
                                        ; implicit-def: $vgpr43
	v_add_co_u32 v16, vcc_lo, s8, v16
	s_delay_alu instid0(VALU_DEP_2)
	v_add_co_ci_u32_e32 v17, vcc_lo, s9, v17, vcc_lo
	global_load_b128 v[28:31], v[16:17], off
.LBB207_30:                             ;   in Loop: Header=BB207_18 Depth=2
	s_and_not1_saveexec_b32 s19, s19
	s_cbranch_execz .LBB207_32
; %bb.31:                               ;   in Loop: Header=BB207_18 Depth=2
	v_lshlrev_b32_e32 v16, 1, v43
	s_waitcnt vmcnt(0)
	ds_load_b128 v[28:31], v16 offset:1024
.LBB207_32:                             ;   in Loop: Header=BB207_18 Depth=2
	s_or_b32 exec_lo, exec_lo, s19
	v_add_nc_u32_e32 v16, s6, v42
	s_mov_b32 s19, exec_lo
                                        ; implicit-def: $vgpr19
	s_delay_alu instid0(VALU_DEP_1)
	v_cmpx_lt_u32_e32 0x7fff, v16
	s_xor_b32 s19, exec_lo, s19
	s_cbranch_execz .LBB207_34
; %bb.33:                               ;   in Loop: Header=BB207_18 Depth=2
	v_mov_b32_e32 v17, v36
	s_delay_alu instid0(VALU_DEP_1) | instskip(NEXT) | instid1(VALU_DEP_1)
	v_lshlrev_b64 v[16:17], 1, v[16:17]
	v_add_co_u32 v16, vcc_lo, s8, v16
	s_delay_alu instid0(VALU_DEP_2)
	v_add_co_ci_u32_e32 v17, vcc_lo, s9, v17, vcc_lo
	global_load_b128 v[16:19], v[16:17], off
.LBB207_34:                             ;   in Loop: Header=BB207_18 Depth=2
	s_and_not1_saveexec_b32 s19, s19
	s_cbranch_execz .LBB207_15
; %bb.35:                               ;   in Loop: Header=BB207_18 Depth=2
	s_waitcnt vmcnt(0)
	v_lshlrev_b32_e32 v16, 1, v35
	ds_load_b128 v[16:19], v16 offset:1024
	s_branch .LBB207_15
.LBB207_36:                             ;   in Loop: Header=BB207_13 Depth=1
	s_delay_alu instid0(VALU_DEP_1)
	v_cvt_i32_f32_e32 v0, v51
	s_waitcnt lgkmcnt(0)
	v_cvt_i32_f32_e32 v1, v50
	v_cvt_i32_f32_e32 v2, v49
	;; [unrolled: 1-line block ×3, first 2 shown]
	v_cvt_f32_i32_dpp v0, v0 row_shr:8 row_mask:0xf bank_mask:0xf bound_ctrl:1
	s_delay_alu instid0(VALU_DEP_4) | instskip(NEXT) | instid1(VALU_DEP_4)
	v_cvt_f32_i32_dpp v1, v1 row_shr:8 row_mask:0xf bank_mask:0xf bound_ctrl:1
	v_cvt_f32_i32_dpp v2, v2 row_shr:8 row_mask:0xf bank_mask:0xf bound_ctrl:1
	s_delay_alu instid0(VALU_DEP_4) | instskip(NEXT) | instid1(VALU_DEP_3)
	v_cvt_f32_i32_dpp v3, v3 row_shr:8 row_mask:0xf bank_mask:0xf bound_ctrl:1
	v_dual_add_f32 v0, v51, v0 :: v_dual_add_f32 v1, v50, v1
	s_delay_alu instid0(VALU_DEP_2) | instskip(SKIP_1) | instid1(VALU_DEP_2)
	v_dual_add_f32 v2, v49, v2 :: v_dual_add_f32 v3, v48, v3
	s_waitcnt vmcnt(0)
	v_cvt_i32_f32_e32 v4, v0
	s_delay_alu instid0(VALU_DEP_3) | instskip(NEXT) | instid1(VALU_DEP_3)
	v_cvt_i32_f32_e32 v5, v1
	v_cvt_i32_f32_e32 v6, v2
	;; [unrolled: 1-line block ×3, first 2 shown]
	s_delay_alu instid0(VALU_DEP_4) | instskip(NEXT) | instid1(VALU_DEP_4)
	v_cvt_f32_i32_dpp v4, v4 row_shr:4 row_mask:0xf bank_mask:0xf bound_ctrl:1
	v_cvt_f32_i32_dpp v5, v5 row_shr:4 row_mask:0xf bank_mask:0xf bound_ctrl:1
	s_delay_alu instid0(VALU_DEP_4) | instskip(NEXT) | instid1(VALU_DEP_4)
	v_cvt_f32_i32_dpp v6, v6 row_shr:4 row_mask:0xf bank_mask:0xf bound_ctrl:1
	v_cvt_f32_i32_dpp v7, v7 row_shr:4 row_mask:0xf bank_mask:0xf bound_ctrl:1
	s_delay_alu instid0(VALU_DEP_3) | instskip(NEXT) | instid1(VALU_DEP_2)
	v_dual_add_f32 v0, v0, v4 :: v_dual_add_f32 v1, v1, v5
	v_dual_add_f32 v2, v2, v6 :: v_dual_add_f32 v3, v3, v7
	s_delay_alu instid0(VALU_DEP_2) | instskip(NEXT) | instid1(VALU_DEP_3)
	v_cvt_i32_f32_e32 v4, v0
	v_cvt_i32_f32_e32 v5, v1
	s_delay_alu instid0(VALU_DEP_3) | instskip(NEXT) | instid1(VALU_DEP_4)
	v_cvt_i32_f32_e32 v6, v2
	v_cvt_i32_f32_e32 v7, v3
	s_delay_alu instid0(VALU_DEP_4) | instskip(NEXT) | instid1(VALU_DEP_4)
	v_cvt_f32_i32_dpp v4, v4 row_shr:2 row_mask:0xf bank_mask:0xf bound_ctrl:1
	v_cvt_f32_i32_dpp v5, v5 row_shr:2 row_mask:0xf bank_mask:0xf bound_ctrl:1
	s_delay_alu instid0(VALU_DEP_4) | instskip(NEXT) | instid1(VALU_DEP_4)
	v_cvt_f32_i32_dpp v6, v6 row_shr:2 row_mask:0xf bank_mask:0xf bound_ctrl:1
	v_cvt_f32_i32_dpp v7, v7 row_shr:2 row_mask:0xf bank_mask:0xf bound_ctrl:1
	s_delay_alu instid0(VALU_DEP_3) | instskip(NEXT) | instid1(VALU_DEP_2)
	v_dual_add_f32 v0, v0, v4 :: v_dual_add_f32 v1, v1, v5
	v_dual_add_f32 v2, v2, v6 :: v_dual_add_f32 v3, v3, v7
	s_delay_alu instid0(VALU_DEP_2) | instskip(NEXT) | instid1(VALU_DEP_3)
	v_cvt_i32_f32_e32 v4, v0
	v_cvt_i32_f32_e32 v5, v1
	s_delay_alu instid0(VALU_DEP_3) | instskip(NEXT) | instid1(VALU_DEP_4)
	v_cvt_i32_f32_e32 v6, v2
	v_cvt_i32_f32_e32 v7, v3
	s_delay_alu instid0(VALU_DEP_4) | instskip(NEXT) | instid1(VALU_DEP_4)
	v_cvt_f32_i32_dpp v4, v4 row_shr:1 row_mask:0xf bank_mask:0xf bound_ctrl:1
	v_cvt_f32_i32_dpp v5, v5 row_shr:1 row_mask:0xf bank_mask:0xf bound_ctrl:1
	s_delay_alu instid0(VALU_DEP_4) | instskip(NEXT) | instid1(VALU_DEP_4)
	v_cvt_f32_i32_dpp v6, v6 row_shr:1 row_mask:0xf bank_mask:0xf bound_ctrl:1
	v_cvt_f32_i32_dpp v7, v7 row_shr:1 row_mask:0xf bank_mask:0xf bound_ctrl:1
	s_delay_alu instid0(VALU_DEP_3) | instskip(NEXT) | instid1(VALU_DEP_3)
	v_dual_add_f32 v8, v0, v4 :: v_dual_add_f32 v5, v1, v5
	v_add_f32_e32 v2, v2, v6
	s_delay_alu instid0(VALU_DEP_3)
	v_add_f32_e32 v0, v3, v7
	ds_bpermute_b32 v9, v46, v8
	ds_bpermute_b32 v6, v46, v5
	;; [unrolled: 1-line block ×4, first 2 shown]
	s_and_saveexec_b32 s18, s0
	s_cbranch_execz .LBB207_63
; %bb.37:                               ;   in Loop: Header=BB207_13 Depth=1
	v_dual_mov_b32 v4, 0 :: v_dual_mov_b32 v7, 0
	v_dual_mov_b32 v10, 0 :: v_dual_mov_b32 v11, 0
	s_and_not1_b32 vcc_lo, exec_lo, s22
	s_cbranch_vccnz .LBB207_39
; %bb.38:                               ;   in Loop: Header=BB207_13 Depth=1
	v_mul_hi_u32 v4, v34, v47
	v_mul_hi_u32 v7, v37, v47
	s_delay_alu instid0(VALU_DEP_2) | instskip(NEXT) | instid1(VALU_DEP_2)
	v_mul_lo_u32 v4, v4, s10
	v_mul_lo_u32 v7, v7, s10
	s_delay_alu instid0(VALU_DEP_2) | instskip(NEXT) | instid1(VALU_DEP_2)
	v_sub_nc_u32_e32 v4, v34, v4
	v_sub_nc_u32_e32 v7, v37, v7
	s_delay_alu instid0(VALU_DEP_2) | instskip(SKIP_1) | instid1(VALU_DEP_3)
	v_subrev_nc_u32_e32 v10, s10, v4
	v_cmp_le_u32_e32 vcc_lo, s10, v4
	v_subrev_nc_u32_e32 v11, s10, v7
	s_delay_alu instid0(VALU_DEP_3) | instskip(SKIP_1) | instid1(VALU_DEP_3)
	v_cndmask_b32_e32 v4, v4, v10, vcc_lo
	v_cmp_le_u32_e32 vcc_lo, s10, v7
	v_cndmask_b32_e32 v7, v7, v11, vcc_lo
	s_delay_alu instid0(VALU_DEP_3) | instskip(SKIP_2) | instid1(VALU_DEP_4)
	v_subrev_nc_u32_e32 v10, s10, v4
	v_cmp_le_u32_e32 vcc_lo, s10, v4
	v_mov_b32_e32 v11, v36
	v_subrev_nc_u32_e32 v12, s10, v7
	s_delay_alu instid0(VALU_DEP_4) | instskip(SKIP_1) | instid1(VALU_DEP_3)
	v_cndmask_b32_e32 v35, v4, v10, vcc_lo
	v_cmp_le_u32_e32 vcc_lo, s10, v7
	v_cndmask_b32_e32 v10, v7, v12, vcc_lo
	s_delay_alu instid0(VALU_DEP_3) | instskip(SKIP_1) | instid1(VALU_DEP_3)
	v_lshlrev_b64 v[12:13], 1, v[35:36]
	v_add_nc_u32_e32 v35, s25, v35
	v_lshlrev_b64 v[14:15], 1, v[10:11]
	s_delay_alu instid0(VALU_DEP_2)
	v_lshlrev_b64 v[16:17], 1, v[35:36]
	v_add_nc_u32_e32 v35, s25, v10
	v_add_co_u32 v10, vcc_lo, s12, v12
	v_add_co_ci_u32_e32 v11, vcc_lo, s13, v13, vcc_lo
	v_add_co_u32 v12, vcc_lo, s12, v14
	v_add_co_ci_u32_e32 v13, vcc_lo, s13, v15, vcc_lo
	v_lshlrev_b64 v[14:15], 1, v[35:36]
	v_add_co_u32 v16, vcc_lo, s12, v16
	v_add_co_ci_u32_e32 v17, vcc_lo, s13, v17, vcc_lo
	s_delay_alu instid0(VALU_DEP_3) | instskip(NEXT) | instid1(VALU_DEP_4)
	v_add_co_u32 v14, vcc_lo, s12, v14
	v_add_co_ci_u32_e32 v15, vcc_lo, s13, v15, vcc_lo
	s_clause 0x3
	global_load_u16 v11, v[10:11], off
	global_load_u16 v10, v[12:13], off
	;; [unrolled: 1-line block ×4, first 2 shown]
.LBB207_39:                             ;   in Loop: Header=BB207_13 Depth=1
	v_cmp_ne_u32_e32 vcc_lo, 0, v32
	s_and_saveexec_b32 s2, vcc_lo
	s_cbranch_execnz .LBB207_43
; %bb.40:                               ;   in Loop: Header=BB207_13 Depth=1
	s_or_b32 exec_lo, exec_lo, s2
	v_cmp_ne_u32_e64 s1, 0, v33
	s_delay_alu instid0(VALU_DEP_1)
	s_and_saveexec_b32 s19, s1
	s_cbranch_execnz .LBB207_48
.LBB207_41:                             ;   in Loop: Header=BB207_13 Depth=1
	s_or_b32 exec_lo, exec_lo, s19
	v_add_nc_u32_e32 v35, s7, v34
	s_and_saveexec_b32 s2, vcc_lo
	s_cbranch_execnz .LBB207_53
.LBB207_42:                             ;   in Loop: Header=BB207_13 Depth=1
	s_or_b32 exec_lo, exec_lo, s2
	s_delay_alu instid0(SALU_CYCLE_1)
	s_and_b32 exec_lo, exec_lo, s1
	s_cbranch_execnz .LBB207_58
	s_branch .LBB207_63
.LBB207_43:                             ;   in Loop: Header=BB207_13 Depth=1
	s_waitcnt vmcnt(3) lgkmcnt(0)
	v_dual_add_f32 v8, v8, v9 :: v_dual_lshlrev_b32 v9, 16, v11
	s_delay_alu instid0(VALU_DEP_1) | instskip(NEXT) | instid1(VALU_DEP_1)
	v_add_f32_e32 v9, v8, v9
	v_and_b32_e32 v8, 0x7f800000, v9
	s_delay_alu instid0(VALU_DEP_1) | instskip(NEXT) | instid1(VALU_DEP_1)
	v_cmp_ne_u32_e64 s1, 0x7f800000, v8
                                        ; implicit-def: $vgpr8
	s_and_saveexec_b32 s19, s1
	s_delay_alu instid0(SALU_CYCLE_1)
	s_xor_b32 s1, exec_lo, s19
; %bb.44:                               ;   in Loop: Header=BB207_13 Depth=1
	v_bfe_u32 v8, v9, 16, 1
	s_delay_alu instid0(VALU_DEP_1)
	v_add3_u32 v8, v9, v8, 0x7fff
                                        ; implicit-def: $vgpr9
; %bb.45:                               ;   in Loop: Header=BB207_13 Depth=1
	s_and_not1_saveexec_b32 s19, s1
; %bb.46:                               ;   in Loop: Header=BB207_13 Depth=1
	v_and_b32_e32 v8, 0xffff, v9
	v_or_b32_e32 v11, 0x10000, v9
	s_delay_alu instid0(VALU_DEP_2) | instskip(NEXT) | instid1(VALU_DEP_1)
	v_cmp_eq_u32_e64 s1, 0, v8
	v_cndmask_b32_e64 v8, v11, v9, s1
; %bb.47:                               ;   in Loop: Header=BB207_13 Depth=1
	s_or_b32 exec_lo, exec_lo, s19
	v_mov_b32_e32 v35, v36
	s_delay_alu instid0(VALU_DEP_1) | instskip(NEXT) | instid1(VALU_DEP_1)
	v_lshlrev_b64 v[11:12], 1, v[34:35]
	v_add_co_u32 v11, s1, s16, v11
	s_delay_alu instid0(VALU_DEP_1) | instskip(SKIP_3) | instid1(VALU_DEP_1)
	v_add_co_ci_u32_e64 v12, s1, s17, v12, s1
	global_store_d16_hi_b16 v[11:12], v8, off
	s_or_b32 exec_lo, exec_lo, s2
	v_cmp_ne_u32_e64 s1, 0, v33
	s_and_saveexec_b32 s19, s1
	s_cbranch_execz .LBB207_41
.LBB207_48:                             ;   in Loop: Header=BB207_13 Depth=1
	s_waitcnt lgkmcnt(0)
	v_add_f32_e32 v5, v5, v6
	s_waitcnt vmcnt(2)
	v_lshlrev_b32_e32 v6, 16, v10
	s_delay_alu instid0(VALU_DEP_1) | instskip(NEXT) | instid1(VALU_DEP_1)
	v_add_f32_e32 v6, v5, v6
	v_and_b32_e32 v5, 0x7f800000, v6
	s_delay_alu instid0(VALU_DEP_1) | instskip(NEXT) | instid1(VALU_DEP_1)
	v_cmp_ne_u32_e64 s2, 0x7f800000, v5
                                        ; implicit-def: $vgpr5
	s_and_saveexec_b32 s26, s2
	s_delay_alu instid0(SALU_CYCLE_1)
	s_xor_b32 s2, exec_lo, s26
; %bb.49:                               ;   in Loop: Header=BB207_13 Depth=1
	v_bfe_u32 v5, v6, 16, 1
	s_delay_alu instid0(VALU_DEP_1)
	v_add3_u32 v5, v6, v5, 0x7fff
                                        ; implicit-def: $vgpr6
; %bb.50:                               ;   in Loop: Header=BB207_13 Depth=1
	s_and_not1_saveexec_b32 s26, s2
; %bb.51:                               ;   in Loop: Header=BB207_13 Depth=1
	v_and_b32_e32 v5, 0xffff, v6
	v_or_b32_e32 v8, 0x10000, v6
	s_delay_alu instid0(VALU_DEP_2) | instskip(NEXT) | instid1(VALU_DEP_1)
	v_cmp_eq_u32_e64 s2, 0, v5
	v_cndmask_b32_e64 v5, v8, v6, s2
; %bb.52:                               ;   in Loop: Header=BB207_13 Depth=1
	s_or_b32 exec_lo, exec_lo, s26
	v_mov_b32_e32 v38, v36
	s_delay_alu instid0(VALU_DEP_1) | instskip(NEXT) | instid1(VALU_DEP_1)
	v_lshlrev_b64 v[8:9], 1, v[37:38]
	v_add_co_u32 v8, s2, s16, v8
	s_delay_alu instid0(VALU_DEP_1)
	v_add_co_ci_u32_e64 v9, s2, s17, v9, s2
	global_store_d16_hi_b16 v[8:9], v5, off
	s_or_b32 exec_lo, exec_lo, s19
	v_add_nc_u32_e32 v35, s7, v34
	s_and_saveexec_b32 s2, vcc_lo
	s_cbranch_execz .LBB207_42
.LBB207_53:                             ;   in Loop: Header=BB207_13 Depth=1
	s_waitcnt lgkmcnt(0)
	v_add_f32_e32 v2, v2, v3
	s_waitcnt vmcnt(1)
	v_lshlrev_b32_e32 v3, 16, v7
	s_delay_alu instid0(VALU_DEP_1) | instskip(NEXT) | instid1(VALU_DEP_1)
	v_add_f32_e32 v3, v2, v3
	v_and_b32_e32 v2, 0x7f800000, v3
	s_delay_alu instid0(VALU_DEP_1) | instskip(SKIP_1) | instid1(SALU_CYCLE_1)
	v_cmp_ne_u32_e32 vcc_lo, 0x7f800000, v2
                                        ; implicit-def: $vgpr2
	s_and_saveexec_b32 s19, vcc_lo
	s_xor_b32 s19, exec_lo, s19
; %bb.54:                               ;   in Loop: Header=BB207_13 Depth=1
	v_bfe_u32 v2, v3, 16, 1
	s_delay_alu instid0(VALU_DEP_1)
	v_add3_u32 v2, v3, v2, 0x7fff
                                        ; implicit-def: $vgpr3
; %bb.55:                               ;   in Loop: Header=BB207_13 Depth=1
	s_and_not1_saveexec_b32 s19, s19
; %bb.56:                               ;   in Loop: Header=BB207_13 Depth=1
	v_and_b32_e32 v2, 0xffff, v3
	v_or_b32_e32 v5, 0x10000, v3
	s_delay_alu instid0(VALU_DEP_2) | instskip(NEXT) | instid1(VALU_DEP_2)
	v_cmp_eq_u32_e32 vcc_lo, 0, v2
	v_cndmask_b32_e32 v2, v5, v3, vcc_lo
; %bb.57:                               ;   in Loop: Header=BB207_13 Depth=1
	s_or_b32 exec_lo, exec_lo, s19
	v_lshlrev_b64 v[5:6], 1, v[35:36]
	s_delay_alu instid0(VALU_DEP_1) | instskip(NEXT) | instid1(VALU_DEP_2)
	v_add_co_u32 v5, vcc_lo, s16, v5
	v_add_co_ci_u32_e32 v6, vcc_lo, s17, v6, vcc_lo
	global_store_d16_hi_b16 v[5:6], v2, off
	s_or_b32 exec_lo, exec_lo, s2
	s_delay_alu instid0(SALU_CYCLE_1)
	s_and_b32 exec_lo, exec_lo, s1
	s_cbranch_execz .LBB207_63
.LBB207_58:                             ;   in Loop: Header=BB207_13 Depth=1
	s_waitcnt vmcnt(0) lgkmcnt(0)
	v_dual_add_f32 v0, v0, v1 :: v_dual_lshlrev_b32 v1, 16, v4
	s_delay_alu instid0(VALU_DEP_1) | instskip(NEXT) | instid1(VALU_DEP_1)
	v_add_f32_e32 v1, v0, v1
	v_and_b32_e32 v0, 0x7f800000, v1
	s_delay_alu instid0(VALU_DEP_1) | instskip(SKIP_1) | instid1(SALU_CYCLE_1)
	v_cmp_ne_u32_e32 vcc_lo, 0x7f800000, v0
                                        ; implicit-def: $vgpr0
	s_and_saveexec_b32 s1, vcc_lo
	s_xor_b32 s1, exec_lo, s1
; %bb.59:                               ;   in Loop: Header=BB207_13 Depth=1
	v_bfe_u32 v0, v1, 16, 1
	s_delay_alu instid0(VALU_DEP_1)
	v_add3_u32 v0, v1, v0, 0x7fff
                                        ; implicit-def: $vgpr1
; %bb.60:                               ;   in Loop: Header=BB207_13 Depth=1
	s_and_not1_saveexec_b32 s1, s1
; %bb.61:                               ;   in Loop: Header=BB207_13 Depth=1
	v_and_b32_e32 v0, 0xffff, v1
	v_or_b32_e32 v2, 0x10000, v1
	s_delay_alu instid0(VALU_DEP_2) | instskip(NEXT) | instid1(VALU_DEP_2)
	v_cmp_eq_u32_e32 vcc_lo, 0, v0
	v_cndmask_b32_e32 v0, v2, v1, vcc_lo
; %bb.62:                               ;   in Loop: Header=BB207_13 Depth=1
	s_or_b32 exec_lo, exec_lo, s1
	v_add_nc_u32_e32 v35, 1, v35
	s_delay_alu instid0(VALU_DEP_1) | instskip(NEXT) | instid1(VALU_DEP_1)
	v_lshlrev_b64 v[1:2], 1, v[35:36]
	v_add_co_u32 v1, vcc_lo, s16, v1
	s_delay_alu instid0(VALU_DEP_2)
	v_add_co_ci_u32_e32 v2, vcc_lo, s17, v2, vcc_lo
	global_store_d16_hi_b16 v[1:2], v0, off
.LBB207_63:                             ;   in Loop: Header=BB207_13 Depth=1
	s_or_b32 exec_lo, exec_lo, s18
	v_add_nc_u32_e32 v34, s23, v34
	s_delay_alu instid0(VALU_DEP_1) | instskip(SKIP_1) | instid1(VALU_DEP_2)
	v_add_nc_u32_e32 v0, 2, v34
	v_cmp_gt_u32_e32 vcc_lo, s7, v34
	v_cmp_le_u32_e64 s1, s7, v0
	s_delay_alu instid0(VALU_DEP_1) | instskip(NEXT) | instid1(SALU_CYCLE_1)
	s_and_b32 s1, vcc_lo, s1
	s_and_saveexec_b32 s26, s1
	s_cbranch_execz .LBB207_12
; %bb.64:                               ;   in Loop: Header=BB207_13 Depth=1
	s_mov_b32 s27, exec_lo
	v_cmpx_ne_u32_e64 s11, v34
	s_cbranch_execz .LBB207_11
; %bb.65:                               ;   in Loop: Header=BB207_13 Depth=1
	v_subrev_nc_u32_e32 v0, s11, v34
	s_mov_b32 s28, 0
	s_mov_b64 s[18:19], 0
	s_delay_alu instid0(VALU_DEP_1)
	v_cmp_lt_u32_e32 vcc_lo, 1, v0
	v_cndmask_b32_e32 v0, 1, v0, vcc_lo
.LBB207_66:                             ;   Parent Loop BB207_13 Depth=1
                                        ; =>  This Inner Loop Header: Depth=2
	s_cmp_lg_u32 s18, 1
	s_cselect_b32 vcc_lo, -1, 0
	s_cmp_lg_u32 s18, 0
	v_cndmask_b32_e32 v33, 0, v33, vcc_lo
	s_cselect_b32 s1, -1, 0
	s_add_u32 s18, s18, 1
	v_cndmask_b32_e64 v32, 0, v32, s1
	v_cmp_eq_u32_e64 s2, s18, v0
	s_addc_u32 s19, s19, 0
	s_delay_alu instid0(VALU_DEP_1) | instskip(NEXT) | instid1(SALU_CYCLE_1)
	s_or_b32 s28, s2, s28
	s_and_not1_b32 exec_lo, exec_lo, s28
	s_cbranch_execnz .LBB207_66
; %bb.67:                               ;   in Loop: Header=BB207_13 Depth=1
	s_or_b32 exec_lo, exec_lo, s28
	s_branch .LBB207_11
.LBB207_68:
	s_nop 0
	s_sendmsg sendmsg(MSG_DEALLOC_VGPRS)
	s_endpgm
	.section	.rodata,"a",@progbits
	.p2align	6, 0x0
	.amdhsa_kernel _Z12wvSplitK_hf_I14__hip_bfloat16Li64ELi2ELi16ELi8ELi2ELi2EEviiiiiiPKT_S3_S3_PS1_ii
		.amdhsa_group_segment_fixed_size 65536
		.amdhsa_private_segment_fixed_size 0
		.amdhsa_kernarg_size 64
		.amdhsa_user_sgpr_count 15
		.amdhsa_user_sgpr_dispatch_ptr 0
		.amdhsa_user_sgpr_queue_ptr 0
		.amdhsa_user_sgpr_kernarg_segment_ptr 1
		.amdhsa_user_sgpr_dispatch_id 0
		.amdhsa_user_sgpr_private_segment_size 0
		.amdhsa_wavefront_size32 1
		.amdhsa_uses_dynamic_stack 0
		.amdhsa_enable_private_segment 0
		.amdhsa_system_sgpr_workgroup_id_x 1
		.amdhsa_system_sgpr_workgroup_id_y 0
		.amdhsa_system_sgpr_workgroup_id_z 0
		.amdhsa_system_sgpr_workgroup_info 0
		.amdhsa_system_vgpr_workitem_id 1
		.amdhsa_next_free_vgpr 63
		.amdhsa_next_free_sgpr 29
		.amdhsa_reserve_vcc 1
		.amdhsa_float_round_mode_32 0
		.amdhsa_float_round_mode_16_64 0
		.amdhsa_float_denorm_mode_32 3
		.amdhsa_float_denorm_mode_16_64 3
		.amdhsa_dx10_clamp 1
		.amdhsa_ieee_mode 1
		.amdhsa_fp16_overflow 0
		.amdhsa_workgroup_processor_mode 1
		.amdhsa_memory_ordered 1
		.amdhsa_forward_progress 0
		.amdhsa_shared_vgpr_count 0
		.amdhsa_exception_fp_ieee_invalid_op 0
		.amdhsa_exception_fp_denorm_src 0
		.amdhsa_exception_fp_ieee_div_zero 0
		.amdhsa_exception_fp_ieee_overflow 0
		.amdhsa_exception_fp_ieee_underflow 0
		.amdhsa_exception_fp_ieee_inexact 0
		.amdhsa_exception_int_div_zero 0
	.end_amdhsa_kernel
	.section	.text._Z12wvSplitK_hf_I14__hip_bfloat16Li64ELi2ELi16ELi8ELi2ELi2EEviiiiiiPKT_S3_S3_PS1_ii,"axG",@progbits,_Z12wvSplitK_hf_I14__hip_bfloat16Li64ELi2ELi16ELi8ELi2ELi2EEviiiiiiPKT_S3_S3_PS1_ii,comdat
.Lfunc_end207:
	.size	_Z12wvSplitK_hf_I14__hip_bfloat16Li64ELi2ELi16ELi8ELi2ELi2EEviiiiiiPKT_S3_S3_PS1_ii, .Lfunc_end207-_Z12wvSplitK_hf_I14__hip_bfloat16Li64ELi2ELi16ELi8ELi2ELi2EEviiiiiiPKT_S3_S3_PS1_ii
                                        ; -- End function
	.section	.AMDGPU.csdata,"",@progbits
; Kernel info:
; codeLenInByte = 4000
; NumSgprs: 31
; NumVgprs: 63
; ScratchSize: 0
; MemoryBound: 0
; FloatMode: 240
; IeeeMode: 1
; LDSByteSize: 65536 bytes/workgroup (compile time only)
; SGPRBlocks: 3
; VGPRBlocks: 7
; NumSGPRsForWavesPerEU: 31
; NumVGPRsForWavesPerEU: 63
; Occupancy: 16
; WaveLimiterHint : 0
; COMPUTE_PGM_RSRC2:SCRATCH_EN: 0
; COMPUTE_PGM_RSRC2:USER_SGPR: 15
; COMPUTE_PGM_RSRC2:TRAP_HANDLER: 0
; COMPUTE_PGM_RSRC2:TGID_X_EN: 1
; COMPUTE_PGM_RSRC2:TGID_Y_EN: 0
; COMPUTE_PGM_RSRC2:TGID_Z_EN: 0
; COMPUTE_PGM_RSRC2:TIDIG_COMP_CNT: 1
	.section	.text._Z16wvSplitK_hf_big_I14__hip_bfloat16Li64ELi2ELi16ELi8ELi2ELi2EEviiiiiiPKT_S3_S3_PS1_ii,"axG",@progbits,_Z16wvSplitK_hf_big_I14__hip_bfloat16Li64ELi2ELi16ELi8ELi2ELi2EEviiiiiiPKT_S3_S3_PS1_ii,comdat
	.protected	_Z16wvSplitK_hf_big_I14__hip_bfloat16Li64ELi2ELi16ELi8ELi2ELi2EEviiiiiiPKT_S3_S3_PS1_ii ; -- Begin function _Z16wvSplitK_hf_big_I14__hip_bfloat16Li64ELi2ELi16ELi8ELi2ELi2EEviiiiiiPKT_S3_S3_PS1_ii
	.globl	_Z16wvSplitK_hf_big_I14__hip_bfloat16Li64ELi2ELi16ELi8ELi2ELi2EEviiiiiiPKT_S3_S3_PS1_ii
	.p2align	8
	.type	_Z16wvSplitK_hf_big_I14__hip_bfloat16Li64ELi2ELi16ELi8ELi2ELi2EEviiiiiiPKT_S3_S3_PS1_ii,@function
_Z16wvSplitK_hf_big_I14__hip_bfloat16Li64ELi2ELi16ELi8ELi2ELi2EEviiiiiiPKT_S3_S3_PS1_ii: ; @_Z16wvSplitK_hf_big_I14__hip_bfloat16Li64ELi2ELi16ELi8ELi2ELi2EEviiiiiiPKT_S3_S3_PS1_ii
; %bb.0:
	s_load_b64 s[20:21], s[0:1], 0x38
	v_bfe_u32 v1, v0, 10, 10
	s_mov_b32 s2, exec_lo
	s_waitcnt lgkmcnt(0)
	s_delay_alu instid0(VALU_DEP_1)
	v_cmpx_gt_u32_e64 s20, v1
	s_cbranch_execz .LBB208_64
; %bb.1:
	s_load_b128 s[16:19], s[0:1], 0x0
	s_mul_i32 s15, s15, s20
	s_mov_b32 s4, 1
	v_add_lshl_u32 v34, s15, v1, 1
	s_mov_b32 s5, s4
	s_delay_alu instid0(SALU_CYCLE_1) | instskip(NEXT) | instid1(VALU_DEP_2)
	v_dual_mov_b32 v33, s5 :: v_dual_mov_b32 v32, s4
	v_add_nc_u32_e32 v2, 2, v34
	s_waitcnt lgkmcnt(0)
	v_cmp_gt_u32_e32 vcc_lo, s19, v34
	s_delay_alu instid0(VALU_DEP_2) | instskip(NEXT) | instid1(VALU_DEP_1)
	v_cmp_le_u32_e64 s2, s19, v2
	s_and_b32 s2, vcc_lo, s2
	s_delay_alu instid0(SALU_CYCLE_1)
	s_and_saveexec_b32 s6, s2
	s_cbranch_execz .LBB208_7
; %bb.2:
	v_dual_mov_b32 v33, s5 :: v_dual_mov_b32 v32, s4
	s_add_i32 s7, s19, -2
	s_mov_b32 s8, exec_lo
	v_cmpx_ne_u32_e64 s7, v34
	s_cbranch_execz .LBB208_6
; %bb.3:
	v_subrev_nc_u32_e32 v2, s7, v34
	s_mov_b32 s2, 1
	s_mov_b32 s9, 0
	s_mov_b64 s[4:5], 0
	s_mov_b32 s3, s2
	v_cmp_lt_u32_e32 vcc_lo, 1, v2
	v_cndmask_b32_e32 v2, 1, v2, vcc_lo
.LBB208_4:                              ; =>This Inner Loop Header: Depth=1
	s_cmp_lg_u32 s4, 1
	s_cselect_b32 s3, s3, 0
	s_cmp_lg_u32 s4, 0
	s_cselect_b32 s2, s2, 0
	s_add_u32 s4, s4, 1
	v_dual_mov_b32 v33, s3 :: v_dual_mov_b32 v32, s2
	v_cmp_eq_u32_e32 vcc_lo, s4, v2
	s_addc_u32 s5, s5, 0
	s_or_b32 s9, vcc_lo, s9
	s_delay_alu instid0(SALU_CYCLE_1)
	s_and_not1_b32 exec_lo, exec_lo, s9
	s_cbranch_execnz .LBB208_4
; %bb.5:
	s_or_b32 exec_lo, exec_lo, s9
	v_mov_b32_e32 v34, s7
.LBB208_6:
	s_or_b32 exec_lo, exec_lo, s8
.LBB208_7:
	s_delay_alu instid0(SALU_CYCLE_1)
	s_or_b32 exec_lo, exec_lo, s6
	s_lshl_b32 s2, s20, 1
	s_abs_i32 s6, s19
	s_abs_i32 s3, s2
	s_mov_b32 s22, 0
	v_cvt_f32_u32_e32 v2, s3
	s_sub_i32 s5, 0, s3
	s_delay_alu instid0(VALU_DEP_1) | instskip(SKIP_2) | instid1(VALU_DEP_1)
	v_rcp_iflag_f32_e32 v2, v2
	s_waitcnt_depctr 0xfff
	v_mul_f32_e32 v2, 0x4f7ffffe, v2
	v_cvt_u32_f32_e32 v2, v2
	s_delay_alu instid0(VALU_DEP_1) | instskip(NEXT) | instid1(VALU_DEP_1)
	v_readfirstlane_b32 s4, v2
	s_mul_i32 s5, s5, s4
	s_delay_alu instid0(SALU_CYCLE_1) | instskip(NEXT) | instid1(SALU_CYCLE_1)
	s_mul_hi_u32 s5, s4, s5
	s_add_i32 s4, s4, s5
	s_ashr_i32 s5, s19, 31
	s_mul_hi_u32 s4, s6, s4
	s_delay_alu instid0(SALU_CYCLE_1) | instskip(NEXT) | instid1(SALU_CYCLE_1)
	s_mul_i32 s4, s4, s3
	s_sub_i32 s4, s6, s4
	s_delay_alu instid0(SALU_CYCLE_1) | instskip(SKIP_2) | instid1(SALU_CYCLE_1)
	s_sub_i32 s6, s4, s3
	s_cmp_ge_u32 s4, s3
	s_cselect_b32 s4, s6, s4
	s_sub_i32 s6, s4, s3
	s_cmp_ge_u32 s4, s3
	s_cselect_b32 s3, s6, s4
	s_add_i32 s2, s2, s19
	s_xor_b32 s3, s3, s5
	s_delay_alu instid0(SALU_CYCLE_1) | instskip(NEXT) | instid1(SALU_CYCLE_1)
	s_sub_i32 s3, s3, s5
	s_sub_i32 s2, s2, s3
	s_cmp_eq_u32 s3, 0
	s_cselect_b32 s3, s19, s2
	s_delay_alu instid0(SALU_CYCLE_1)
	v_cmp_gt_u32_e32 vcc_lo, s3, v34
	s_and_b32 exec_lo, exec_lo, vcc_lo
	s_cbranch_execz .LBB208_64
; %bb.8:
	s_load_b256 s[4:11], s[0:1], 0x10
	s_min_u32 s23, s18, 0x4000
	s_cmp_lg_u32 s16, 0
	s_load_b64 s[12:13], s[0:1], 0x30
	s_mul_i32 s0, s21, s20
	s_cselect_b32 s21, -1, 0
	s_cmp_lg_u32 s18, 0
	v_and_b32_e32 v0, 0x3ff, v0
	s_cselect_b32 s24, -1, 0
	s_lshl_b32 s25, s20, 9
	s_add_i32 s26, s16, -8
	s_add_i32 s27, s19, -1
	s_lshl_b32 s28, s0, 1
	v_dual_mov_b32 v36, 0 :: v_dual_lshlrev_b32 v41, 3, v0
	v_cmp_eq_u32_e64 s0, 63, v0
	v_lshlrev_b32_e32 v0, 4, v0
	v_mbcnt_lo_u32_b32 v46, -1, 0
	s_delay_alu instid0(VALU_DEP_4)
	v_lshl_add_u32 v42, v1, 9, v41
	s_waitcnt lgkmcnt(0)
	v_cvt_f32_u32_e32 v2, s4
	s_cmp_lg_u64 s[10:11], 0
	v_lshl_add_u32 v43, v1, 10, v0
	s_cselect_b32 s29, -1, 0
	s_sub_i32 s1, 0, s4
	v_rcp_iflag_f32_e32 v2, v2
	v_add_nc_u32_e32 v44, s18, v42
	s_waitcnt_depctr 0xfff
	v_mul_f32_e32 v2, 0x4f7ffffe, v2
	s_delay_alu instid0(VALU_DEP_1) | instskip(NEXT) | instid1(VALU_DEP_1)
	v_cvt_u32_f32_e32 v2, v2
	v_mul_lo_u32 v3, s1, v2
	s_abs_i32 s1, s5
	s_add_i32 s5, s19, -2
	s_sub_i32 s2, 1, s1
	s_cmp_lt_u32 s1, 2
	s_cselect_b32 s2, s2, 1
	s_delay_alu instid0(SALU_CYCLE_1) | instskip(NEXT) | instid1(VALU_DEP_1)
	s_sub_i32 s14, s2, s1
	v_mul_hi_u32 v3, v2, v3
	s_cmp_ge_u32 s2, s1
	s_cselect_b32 s31, s14, s2
	s_add_u32 s30, s12, 2
	s_mul_i32 s31, s31, s4
	s_addc_u32 s33, s13, 0
	s_lshl_b32 s34, s23, 1
	s_delay_alu instid0(VALU_DEP_1)
	v_add_nc_u32_e32 v45, v2, v3
	s_lshl_b32 s20, s20, 10
	s_branch .LBB208_12
.LBB208_9:                              ;   in Loop: Header=BB208_12 Depth=1
	s_or_b32 exec_lo, exec_lo, s37
	v_mov_b32_e32 v34, s5
.LBB208_10:                             ;   in Loop: Header=BB208_12 Depth=1
	s_or_b32 exec_lo, exec_lo, s36
.LBB208_11:                             ;   in Loop: Header=BB208_12 Depth=1
	s_delay_alu instid0(SALU_CYCLE_1) | instskip(NEXT) | instid1(VALU_DEP_1)
	s_or_b32 exec_lo, exec_lo, s35
	v_cmp_le_u32_e32 vcc_lo, s3, v34
	s_or_b32 s22, vcc_lo, s22
	s_delay_alu instid0(SALU_CYCLE_1)
	s_and_not1_b32 exec_lo, exec_lo, s22
	s_cbranch_execz .LBB208_64
.LBB208_12:                             ; =>This Loop Header: Depth=1
                                        ;     Child Loop BB208_17 Depth 2
                                        ;       Child Loop BB208_22 Depth 3
                                        ;     Child Loop BB208_62 Depth 2
	v_mov_b32_e32 v47, v36
	v_mov_b32_e32 v48, v36
	;; [unrolled: 1-line block ×4, first 2 shown]
	s_and_not1_b32 vcc_lo, exec_lo, s21
	s_mov_b32 s14, 0
	s_cbranch_vccnz .LBB208_29
; %bb.13:                               ;   in Loop: Header=BB208_12 Depth=1
	v_add_nc_u32_e32 v0, 1, v34
	s_waitcnt lgkmcnt(0)
	v_min_u32_e32 v1, s27, v34
	v_cmp_gt_u32_e64 s1, s19, v34
	v_dual_mov_b32 v50, 0 :: v_dual_mov_b32 v49, 0
	v_dual_mov_b32 v48, 0 :: v_dual_mov_b32 v47, 0
	s_delay_alu instid0(VALU_DEP_4) | instskip(SKIP_3) | instid1(VALU_DEP_1)
	v_mul_lo_u32 v35, v1, s17
	v_mov_b32_e32 v1, v36
	v_min_u32_e32 v0, s27, v0
	s_mov_b32 s15, 0
	v_mul_lo_u32 v0, v0, s17
	s_delay_alu instid0(VALU_DEP_4) | instskip(NEXT) | instid1(VALU_DEP_2)
	v_lshlrev_b64 v[37:38], 1, v[35:36]
	v_lshlrev_b64 v[39:40], 1, v[0:1]
	s_branch .LBB208_17
.LBB208_14:                             ;   in Loop: Header=BB208_17 Depth=2
	s_or_b32 exec_lo, exec_lo, s36
.LBB208_15:                             ;   in Loop: Header=BB208_17 Depth=2
	s_delay_alu instid0(SALU_CYCLE_1)
	s_or_b32 exec_lo, exec_lo, s35
	s_waitcnt lgkmcnt(1)
	v_and_b32_e32 v58, 0xffff0000, v31
	s_waitcnt vmcnt(3)
	v_and_b32_e32 v59, 0xffff0000, v27
	v_and_b32_e32 v35, 0xffff0000, v28
	v_and_b32_e32 v52, 0xffff0000, v29
	v_and_b32_e32 v56, 0xffff0000, v30
	s_delay_alu instid0(VALU_DEP_4) | instskip(SKIP_4) | instid1(VALU_DEP_3)
	v_dual_mul_f32 v60, v58, v59 :: v_dual_and_b32 v57, 0xffff0000, v26
	v_and_b32_e32 v51, 0xffff0000, v24
	v_and_b32_e32 v53, 0xffff0000, v25
	v_lshlrev_b32_e32 v25, 16, v25
	s_waitcnt vmcnt(2)
	v_dual_mul_f32 v54, v35, v51 :: v_dual_and_b32 v61, 0xffff0000, v17
	s_delay_alu instid0(VALU_DEP_3) | instskip(SKIP_1) | instid1(VALU_DEP_1)
	v_dual_mul_f32 v55, v52, v53 :: v_dual_lshlrev_b32 v28, 16, v28
	v_lshlrev_b32_e32 v29, 16, v29
	v_dual_fmac_f32 v55, v29, v25 :: v_dual_lshlrev_b32 v24, 16, v24
	s_delay_alu instid0(VALU_DEP_1) | instskip(NEXT) | instid1(VALU_DEP_1)
	v_fmac_f32_e32 v54, v28, v24
	v_add_f32_e32 v50, v50, v54
	s_delay_alu instid0(VALU_DEP_1) | instskip(NEXT) | instid1(VALU_DEP_1)
	v_dual_add_f32 v50, v50, v55 :: v_dual_and_b32 v55, 0xffff0000, v16
	v_dual_mul_f32 v35, v35, v55 :: v_dual_lshlrev_b32 v16, 16, v16
	v_lshlrev_b32_e32 v31, 16, v31
	s_delay_alu instid0(VALU_DEP_2) | instskip(SKIP_2) | instid1(VALU_DEP_3)
	v_fmac_f32_e32 v35, v28, v16
	v_mul_f32_e32 v28, v52, v61
	v_lshlrev_b32_e32 v30, 16, v30
	v_dual_mul_f32 v54, v56, v57 :: v_dual_add_f32 v35, v49, v35
	v_lshlrev_b32_e32 v17, 16, v17
	s_delay_alu instid0(VALU_DEP_1) | instskip(NEXT) | instid1(VALU_DEP_1)
	v_dual_fmac_f32 v28, v29, v17 :: v_dual_and_b32 v29, 0xffff0000, v18
	v_dual_add_f32 v28, v35, v28 :: v_dual_and_b32 v35, 0xffff0000, v19
	s_waitcnt lgkmcnt(0)
	v_and_b32_e32 v52, 0xffff0000, v20
	v_lshlrev_b32_e32 v26, 16, v26
	v_lshlrev_b32_e32 v19, 16, v19
	s_delay_alu instid0(VALU_DEP_3) | instskip(NEXT) | instid1(VALU_DEP_3)
	v_dual_mul_f32 v49, v52, v51 :: v_dual_lshlrev_b32 v18, 16, v18
	v_fmac_f32_e32 v54, v30, v26
	s_delay_alu instid0(VALU_DEP_1) | instskip(SKIP_1) | instid1(VALU_DEP_2)
	v_dual_add_f32 v50, v50, v54 :: v_dual_lshlrev_b32 v27, 16, v27
	v_mul_f32_e32 v54, v56, v29
	v_dual_fmac_f32 v60, v31, v27 :: v_dual_and_b32 v51, 0xffff0000, v21
	s_delay_alu instid0(VALU_DEP_2) | instskip(SKIP_4) | instid1(VALU_DEP_2)
	v_fmac_f32_e32 v54, v30, v18
	v_and_b32_e32 v30, 0xffff0000, v22
	v_lshlrev_b32_e32 v22, 16, v22
	v_lshlrev_b32_e32 v20, 16, v20
	v_add_f32_e32 v50, v50, v60
	v_dual_fmac_f32 v49, v20, v24 :: v_dual_mul_f32 v24, v51, v53
	s_delay_alu instid0(VALU_DEP_1) | instskip(SKIP_2) | instid1(VALU_DEP_1)
	v_add_f32_e32 v48, v48, v49
	v_lshlrev_b32_e32 v21, 16, v21
	v_mul_f32_e32 v49, v58, v35
	v_fmac_f32_e32 v49, v31, v19
	s_delay_alu instid0(VALU_DEP_3) | instskip(SKIP_1) | instid1(VALU_DEP_2)
	v_dual_fmac_f32 v24, v21, v25 :: v_dual_and_b32 v31, 0xffff0000, v12
	v_dual_mul_f32 v25, v30, v57 :: v_dual_lshlrev_b32 v12, 16, v12
	v_add_f32_e32 v24, v48, v24
	s_delay_alu instid0(VALU_DEP_2) | instskip(SKIP_2) | instid1(VALU_DEP_3)
	v_dual_mul_f32 v48, v52, v55 :: v_dual_fmac_f32 v25, v22, v26
	v_add_f32_e32 v26, v28, v54
	v_and_b32_e32 v28, 0xffff0000, v23
	v_fmac_f32_e32 v48, v20, v16
	v_dual_mul_f32 v23, v51, v61 :: v_dual_lshlrev_b32 v20, 16, v23
	s_delay_alu instid0(VALU_DEP_1) | instskip(NEXT) | instid1(VALU_DEP_3)
	v_fmac_f32_e32 v23, v21, v17
	v_dual_add_f32 v16, v24, v25 :: v_dual_add_f32 v25, v47, v48
	v_mul_f32_e32 v17, v30, v29
	s_waitcnt vmcnt(1)
	v_and_b32_e32 v47, 0xffff0000, v8
	v_and_b32_e32 v29, 0xffff0000, v9
	v_dual_add_f32 v23, v25, v23 :: v_dual_and_b32 v30, 0xffff0000, v10
	v_dual_fmac_f32 v17, v22, v18 :: v_dual_mul_f32 v24, v28, v59
	v_and_b32_e32 v25, 0xffff0000, v13
	v_mul_f32_e32 v21, v31, v47
	v_mul_f32_e32 v22, v28, v35
	s_delay_alu instid0(VALU_DEP_4)
	v_dual_add_f32 v17, v23, v17 :: v_dual_and_b32 v28, 0xffff0000, v14
	v_lshlrev_b32_e32 v8, 16, v8
	s_waitcnt vmcnt(0)
	v_and_b32_e32 v23, 0xffff0000, v1
	v_lshlrev_b32_e32 v1, 16, v1
	v_mul_f32_e32 v35, v28, v30
	v_fmac_f32_e32 v21, v12, v8
	v_dual_fmac_f32 v24, v20, v27 :: v_dual_lshlrev_b32 v13, 16, v13
	v_dual_fmac_f32 v22, v20, v19 :: v_dual_lshlrev_b32 v9, 16, v9
	s_delay_alu instid0(VALU_DEP_3) | instskip(SKIP_1) | instid1(VALU_DEP_3)
	v_add_f32_e32 v21, v50, v21
	v_dual_add_f32 v19, v26, v49 :: v_dual_lshlrev_b32 v10, 16, v10
	v_dual_add_f32 v17, v17, v22 :: v_dual_and_b32 v20, 0xffff0000, v0
	v_lshlrev_b32_e32 v0, 16, v0
	v_lshlrev_b32_e32 v14, 16, v14
	v_mul_f32_e32 v18, v25, v29
	s_delay_alu instid0(VALU_DEP_2) | instskip(NEXT) | instid1(VALU_DEP_2)
	v_dual_add_f32 v16, v16, v24 :: v_dual_fmac_f32 v35, v14, v10
	v_fmac_f32_e32 v18, v13, v9
	s_delay_alu instid0(VALU_DEP_1) | instskip(NEXT) | instid1(VALU_DEP_1)
	v_dual_add_f32 v18, v21, v18 :: v_dual_mul_f32 v21, v31, v20
	v_dual_add_f32 v18, v18, v35 :: v_dual_fmac_f32 v21, v12, v0
	v_dual_mul_f32 v12, v25, v23 :: v_dual_and_b32 v25, 0xffff0000, v2
	s_delay_alu instid0(VALU_DEP_2) | instskip(SKIP_2) | instid1(VALU_DEP_4)
	v_add_f32_e32 v19, v19, v21
	v_and_b32_e32 v21, 0xffff0000, v4
	v_and_b32_e32 v24, 0xffff0000, v11
	v_dual_fmac_f32 v12, v13, v1 :: v_dual_lshlrev_b32 v11, 16, v11
	v_dual_mul_f32 v13, v28, v25 :: v_dual_lshlrev_b32 v4, 16, v4
	s_delay_alu instid0(VALU_DEP_4) | instskip(SKIP_1) | instid1(VALU_DEP_4)
	v_mul_f32_e32 v26, v21, v47
	v_and_b32_e32 v28, 0xffff0000, v5
	v_dual_add_f32 v12, v19, v12 :: v_dual_lshlrev_b32 v5, 16, v5
	s_delay_alu instid0(VALU_DEP_3) | instskip(NEXT) | instid1(VALU_DEP_3)
	v_dual_fmac_f32 v26, v4, v8 :: v_dual_and_b32 v19, 0xffff0000, v6
	v_mul_f32_e32 v8, v28, v29
	s_delay_alu instid0(VALU_DEP_1) | instskip(SKIP_3) | instid1(VALU_DEP_3)
	v_fmac_f32_e32 v8, v5, v9
	v_dual_mul_f32 v9, v21, v20 :: v_dual_lshlrev_b32 v2, 16, v2
	v_and_b32_e32 v22, 0xffff0000, v15
	v_lshlrev_b32_e32 v15, 16, v15
	v_fmac_f32_e32 v13, v14, v2
	s_delay_alu instid0(VALU_DEP_1) | instskip(NEXT) | instid1(VALU_DEP_1)
	v_dual_mul_f32 v27, v22, v24 :: v_dual_add_f32 v12, v12, v13
	v_fmac_f32_e32 v27, v15, v11
	v_and_b32_e32 v13, 0xffff0000, v3
	v_lshlrev_b32_e32 v3, 16, v3
	v_fmac_f32_e32 v9, v4, v0
	v_add_f32_e32 v14, v16, v26
	v_mul_f32_e32 v0, v28, v23
	s_delay_alu instid0(VALU_DEP_3) | instskip(NEXT) | instid1(VALU_DEP_2)
	v_dual_add_f32 v50, v18, v27 :: v_dual_add_f32 v9, v17, v9
	v_dual_fmac_f32 v0, v5, v1 :: v_dual_lshlrev_b32 v5, 16, v7
	s_delay_alu instid0(VALU_DEP_4) | instskip(SKIP_1) | instid1(VALU_DEP_3)
	v_dual_add_f32 v8, v14, v8 :: v_dual_mul_f32 v1, v19, v25
	v_and_b32_e32 v14, 0xffff0000, v7
	v_add_f32_e32 v0, v9, v0
	s_delay_alu instid0(VALU_DEP_2) | instskip(NEXT) | instid1(VALU_DEP_1)
	v_dual_mul_f32 v7, v14, v24 :: v_dual_lshlrev_b32 v4, 16, v6
	v_dual_fmac_f32 v7, v5, v11 :: v_dual_mul_f32 v16, v22, v13
	s_delay_alu instid0(VALU_DEP_2) | instskip(NEXT) | instid1(VALU_DEP_2)
	v_dual_fmac_f32 v1, v4, v2 :: v_dual_mul_f32 v2, v14, v13
	v_fmac_f32_e32 v16, v15, v3
	v_mul_f32_e32 v6, v19, v30
	s_delay_alu instid0(VALU_DEP_3) | instskip(NEXT) | instid1(VALU_DEP_3)
	v_add_f32_e32 v0, v0, v1
	v_dual_fmac_f32 v2, v5, v3 :: v_dual_add_f32 v49, v12, v16
	s_delay_alu instid0(VALU_DEP_3) | instskip(NEXT) | instid1(VALU_DEP_2)
	v_fmac_f32_e32 v6, v4, v10
	v_add_f32_e32 v47, v0, v2
	s_delay_alu instid0(VALU_DEP_2) | instskip(NEXT) | instid1(VALU_DEP_1)
	v_add_f32_e32 v4, v8, v6
	v_add_f32_e32 v48, v4, v7
.LBB208_16:                             ;   in Loop: Header=BB208_17 Depth=2
	s_or_b32 exec_lo, exec_lo, s2
	s_addk_i32 s15, 0x400
	s_delay_alu instid0(SALU_CYCLE_1)
	s_cmp_ge_u32 s15, s16
	s_cbranch_scc1 .LBB208_29
.LBB208_17:                             ;   Parent Loop BB208_12 Depth=1
                                        ; =>  This Loop Header: Depth=2
                                        ;       Child Loop BB208_22 Depth 3
	s_cmp_eq_u32 s15, 0
	s_cselect_b32 s35, -1, 0
	s_add_i32 s2, s14, s23
	s_delay_alu instid0(SALU_CYCLE_1) | instskip(SKIP_1) | instid1(SALU_CYCLE_1)
	s_cmp_eq_u32 s15, s2
	s_cselect_b32 s36, -1, 0
	s_or_b32 s36, s35, s36
	s_delay_alu instid0(SALU_CYCLE_1)
	s_and_not1_b32 vcc_lo, exec_lo, s36
	s_cbranch_vccz .LBB208_19
; %bb.18:                               ;   in Loop: Header=BB208_17 Depth=2
	s_and_saveexec_b32 s2, s1
	s_cbranch_execz .LBB208_16
	s_branch .LBB208_26
.LBB208_19:                             ;   in Loop: Header=BB208_17 Depth=2
	s_and_b32 s35, s35, exec_lo
	s_cselect_b32 s14, s14, s2
	s_and_not1_b32 vcc_lo, exec_lo, s24
	s_waitcnt vmcnt(0)
	s_waitcnt_vscnt null, 0x0
	s_barrier
	buffer_gl0_inv
	s_cbranch_vccnz .LBB208_25
; %bb.20:                               ;   in Loop: Header=BB208_17 Depth=2
	v_add_nc_u32_e32 v0, s14, v44
	v_dual_mov_b32 v2, v43 :: v_dual_add_nc_u32 v1, s14, v42
	s_mov_b32 s35, 0
	s_mov_b32 s36, 0
                                        ; implicit-def: $sgpr37
	s_set_inst_prefetch_distance 0x1
	s_branch .LBB208_22
	.p2align	6
.LBB208_21:                             ;   in Loop: Header=BB208_22 Depth=3
	s_or_b32 exec_lo, exec_lo, s2
	s_delay_alu instid0(SALU_CYCLE_1) | instskip(NEXT) | instid1(SALU_CYCLE_1)
	s_and_b32 s2, exec_lo, s37
	s_or_b32 s35, s2, s35
	s_delay_alu instid0(SALU_CYCLE_1)
	s_and_not1_b32 exec_lo, exec_lo, s35
	s_cbranch_execz .LBB208_24
.LBB208_22:                             ;   Parent Loop BB208_12 Depth=1
                                        ;     Parent Loop BB208_17 Depth=2
                                        ; =>    This Inner Loop Header: Depth=3
	v_add_nc_u32_e32 v35, s36, v1
	v_add_nc_u32_e32 v3, s36, v42
	s_or_b32 s37, s37, exec_lo
	s_delay_alu instid0(VALU_DEP_2) | instskip(NEXT) | instid1(VALU_DEP_2)
	v_cmp_gt_u32_e32 vcc_lo, s18, v35
	v_cmp_gt_u32_e64 s2, s23, v3
	s_delay_alu instid0(VALU_DEP_1) | instskip(NEXT) | instid1(SALU_CYCLE_1)
	s_and_b32 s38, s2, vcc_lo
	s_and_saveexec_b32 s2, s38
	s_cbranch_execz .LBB208_21
; %bb.23:                               ;   in Loop: Header=BB208_22 Depth=3
	v_lshlrev_b64 v[3:4], 1, v[35:36]
	v_add_nc_u32_e32 v35, s36, v0
	s_add_i32 s36, s36, s25
	v_add_nc_u32_e32 v11, s34, v2
	s_cmp_ge_u32 s36, s23
	s_delay_alu instid0(VALU_DEP_2) | instskip(SKIP_3) | instid1(VALU_DEP_3)
	v_lshlrev_b64 v[7:8], 1, v[35:36]
	v_add_co_u32 v3, vcc_lo, s8, v3
	v_add_co_ci_u32_e32 v4, vcc_lo, s9, v4, vcc_lo
	s_cselect_b32 s38, -1, 0
	v_add_co_u32 v7, vcc_lo, s8, v7
	global_load_b128 v[3:6], v[3:4], off
	v_add_co_ci_u32_e32 v8, vcc_lo, s9, v8, vcc_lo
	s_and_not1_b32 s37, s37, exec_lo
	s_and_b32 s38, s38, exec_lo
	global_load_b128 v[7:10], v[7:8], off
	s_or_b32 s37, s37, s38
	s_waitcnt vmcnt(1)
	ds_store_b128 v2, v[3:6]
	v_add_nc_u32_e32 v2, s20, v2
	s_waitcnt vmcnt(0)
	ds_store_2addr_b64 v11, v[7:8], v[9:10] offset1:1
	s_branch .LBB208_21
.LBB208_24:                             ;   in Loop: Header=BB208_17 Depth=2
	s_set_inst_prefetch_distance 0x2
	s_or_b32 exec_lo, exec_lo, s35
.LBB208_25:                             ;   in Loop: Header=BB208_17 Depth=2
	s_waitcnt lgkmcnt(0)
	s_barrier
	buffer_gl0_inv
	s_and_saveexec_b32 s2, s1
	s_cbranch_execz .LBB208_16
.LBB208_26:                             ;   in Loop: Header=BB208_17 Depth=2
	v_add_nc_u32_e32 v51, s15, v41
	v_dual_mov_b32 v15, 0 :: v_dual_mov_b32 v14, 0
	v_dual_mov_b32 v13, 0 :: v_dual_mov_b32 v12, 0
	s_delay_alu instid0(VALU_DEP_3) | instskip(SKIP_3) | instid1(VALU_DEP_4)
	v_min_u32_e32 v35, s26, v51
	v_dual_mov_b32 v23, 0 :: v_dual_add_nc_u32 v52, 0x200, v51
	v_dual_mov_b32 v22, 0 :: v_dual_mov_b32 v21, 0
	v_mov_b32_e32 v20, 0
	v_lshlrev_b64 v[0:1], 1, v[35:36]
	s_delay_alu instid0(VALU_DEP_4) | instskip(SKIP_3) | instid1(VALU_DEP_4)
	v_min_u32_e32 v35, s26, v52
	v_dual_mov_b32 v31, 0 :: v_dual_mov_b32 v30, 0
	v_dual_mov_b32 v29, 0 :: v_dual_mov_b32 v28, 0
	s_waitcnt vmcnt(0)
	v_add_co_u32 v4, vcc_lo, s6, v0
	v_add_co_ci_u32_e32 v5, vcc_lo, s7, v1, vcc_lo
	v_lshlrev_b64 v[0:1], 1, v[35:36]
	s_delay_alu instid0(VALU_DEP_3) | instskip(NEXT) | instid1(VALU_DEP_3)
	v_add_co_u32 v2, vcc_lo, v4, v37
	v_add_co_ci_u32_e32 v3, vcc_lo, v5, v38, vcc_lo
	s_mov_b32 s35, exec_lo
	s_delay_alu instid0(VALU_DEP_3) | instskip(NEXT) | instid1(VALU_DEP_4)
	v_add_co_u32 v6, vcc_lo, s6, v0
	v_add_co_ci_u32_e32 v7, vcc_lo, s7, v1, vcc_lo
	v_add_co_u32 v0, vcc_lo, v4, v39
	v_add_co_ci_u32_e32 v1, vcc_lo, v5, v40, vcc_lo
	s_delay_alu instid0(VALU_DEP_4) | instskip(NEXT) | instid1(VALU_DEP_4)
	v_add_co_u32 v4, vcc_lo, v6, v37
	v_add_co_ci_u32_e32 v5, vcc_lo, v7, v38, vcc_lo
	v_add_co_u32 v6, vcc_lo, v6, v39
	v_add_co_ci_u32_e32 v7, vcc_lo, v7, v40, vcc_lo
	s_clause 0x3
	global_load_b128 v[24:27], v[2:3], off slc dlc
	global_load_b128 v[16:19], v[0:1], off slc dlc
	;; [unrolled: 1-line block ×4, first 2 shown]
	v_dual_mov_b32 v7, 0 :: v_dual_mov_b32 v6, 0
	v_dual_mov_b32 v5, 0 :: v_dual_mov_b32 v4, 0
	v_cmpx_gt_u32_e64 s16, v51
	s_cbranch_execz .LBB208_15
; %bb.27:                               ;   in Loop: Header=BB208_17 Depth=2
	v_subrev_nc_u32_e32 v4, s14, v51
	v_dual_mov_b32 v13, 0 :: v_dual_mov_b32 v14, 0
	v_mov_b32_e32 v15, 0
	v_dual_mov_b32 v5, 0 :: v_dual_mov_b32 v6, 0
	s_delay_alu instid0(VALU_DEP_4) | instskip(SKIP_2) | instid1(VALU_DEP_2)
	v_dual_mov_b32 v12, 0 :: v_dual_lshlrev_b32 v51, 1, v4
	v_dual_mov_b32 v4, 0 :: v_dual_mov_b32 v7, 0
	s_mov_b32 s36, exec_lo
	v_lshl_add_u32 v35, s23, 1, v51
	ds_load_b128 v[28:31], v51
	ds_load_b128 v[20:23], v35
	v_cmpx_gt_u32_e64 s16, v52
	s_cbranch_execz .LBB208_14
; %bb.28:                               ;   in Loop: Header=BB208_17 Depth=2
	ds_load_b128 v[12:15], v51 offset:1024
	ds_load_b128 v[4:7], v35 offset:1024
	s_branch .LBB208_14
.LBB208_29:                             ;   in Loop: Header=BB208_12 Depth=1
	s_mov_b32 s1, exec_lo
	v_cmpx_le_u32_e64 s19, v34
	s_xor_b32 s1, exec_lo, s1
; %bb.30:                               ;   in Loop: Header=BB208_12 Depth=1
	v_add_nc_u32_e32 v34, s28, v34
                                        ; implicit-def: $vgpr50
                                        ; implicit-def: $vgpr49
                                        ; implicit-def: $vgpr48
                                        ; implicit-def: $vgpr47
; %bb.31:                               ;   in Loop: Header=BB208_12 Depth=1
	s_and_not1_saveexec_b32 s35, s1
	s_cbranch_execz .LBB208_11
; %bb.32:                               ;   in Loop: Header=BB208_12 Depth=1
	v_cvt_i32_f32_e32 v0, v50
	s_waitcnt lgkmcnt(0)
	v_cvt_i32_f32_e32 v1, v49
	v_cvt_i32_f32_e32 v2, v48
	;; [unrolled: 1-line block ×3, first 2 shown]
	v_cvt_f32_i32_dpp v0, v0 row_shr:8 row_mask:0xf bank_mask:0xf bound_ctrl:1
	s_delay_alu instid0(VALU_DEP_4) | instskip(NEXT) | instid1(VALU_DEP_4)
	v_cvt_f32_i32_dpp v1, v1 row_shr:8 row_mask:0xf bank_mask:0xf bound_ctrl:1
	v_cvt_f32_i32_dpp v2, v2 row_shr:8 row_mask:0xf bank_mask:0xf bound_ctrl:1
	s_delay_alu instid0(VALU_DEP_4) | instskip(NEXT) | instid1(VALU_DEP_3)
	v_cvt_f32_i32_dpp v3, v3 row_shr:8 row_mask:0xf bank_mask:0xf bound_ctrl:1
	v_dual_add_f32 v0, v50, v0 :: v_dual_add_f32 v1, v49, v1
	s_delay_alu instid0(VALU_DEP_2) | instskip(SKIP_1) | instid1(VALU_DEP_2)
	v_dual_add_f32 v2, v48, v2 :: v_dual_add_f32 v3, v47, v3
	s_waitcnt vmcnt(0)
	v_cvt_i32_f32_e32 v4, v0
	s_delay_alu instid0(VALU_DEP_3) | instskip(NEXT) | instid1(VALU_DEP_3)
	v_cvt_i32_f32_e32 v5, v1
	v_cvt_i32_f32_e32 v6, v2
	;; [unrolled: 1-line block ×3, first 2 shown]
	s_delay_alu instid0(VALU_DEP_4) | instskip(NEXT) | instid1(VALU_DEP_4)
	v_cvt_f32_i32_dpp v4, v4 row_shr:4 row_mask:0xf bank_mask:0xf bound_ctrl:1
	v_cvt_f32_i32_dpp v5, v5 row_shr:4 row_mask:0xf bank_mask:0xf bound_ctrl:1
	s_delay_alu instid0(VALU_DEP_4) | instskip(NEXT) | instid1(VALU_DEP_4)
	v_cvt_f32_i32_dpp v6, v6 row_shr:4 row_mask:0xf bank_mask:0xf bound_ctrl:1
	v_cvt_f32_i32_dpp v7, v7 row_shr:4 row_mask:0xf bank_mask:0xf bound_ctrl:1
	s_delay_alu instid0(VALU_DEP_3) | instskip(NEXT) | instid1(VALU_DEP_2)
	v_dual_add_f32 v0, v0, v4 :: v_dual_add_f32 v1, v1, v5
	v_dual_add_f32 v2, v2, v6 :: v_dual_add_f32 v3, v3, v7
	s_delay_alu instid0(VALU_DEP_2) | instskip(NEXT) | instid1(VALU_DEP_3)
	v_cvt_i32_f32_e32 v4, v0
	v_cvt_i32_f32_e32 v5, v1
	s_delay_alu instid0(VALU_DEP_3) | instskip(NEXT) | instid1(VALU_DEP_4)
	v_cvt_i32_f32_e32 v6, v2
	v_cvt_i32_f32_e32 v7, v3
	s_delay_alu instid0(VALU_DEP_4) | instskip(NEXT) | instid1(VALU_DEP_4)
	v_cvt_f32_i32_dpp v4, v4 row_shr:2 row_mask:0xf bank_mask:0xf bound_ctrl:1
	v_cvt_f32_i32_dpp v5, v5 row_shr:2 row_mask:0xf bank_mask:0xf bound_ctrl:1
	s_delay_alu instid0(VALU_DEP_4) | instskip(NEXT) | instid1(VALU_DEP_4)
	v_cvt_f32_i32_dpp v6, v6 row_shr:2 row_mask:0xf bank_mask:0xf bound_ctrl:1
	v_cvt_f32_i32_dpp v7, v7 row_shr:2 row_mask:0xf bank_mask:0xf bound_ctrl:1
	s_delay_alu instid0(VALU_DEP_3) | instskip(NEXT) | instid1(VALU_DEP_2)
	v_dual_add_f32 v0, v0, v4 :: v_dual_add_f32 v1, v1, v5
	v_dual_add_f32 v2, v2, v6 :: v_dual_add_f32 v3, v3, v7
	v_xor_b32_e32 v4, 16, v46
	s_delay_alu instid0(VALU_DEP_3) | instskip(NEXT) | instid1(VALU_DEP_4)
	v_cvt_i32_f32_e32 v5, v0
	v_cvt_i32_f32_e32 v6, v1
	s_delay_alu instid0(VALU_DEP_4)
	v_cvt_i32_f32_e32 v7, v2
	v_cvt_i32_f32_e32 v8, v3
	v_cmp_gt_i32_e32 vcc_lo, 32, v4
	v_cvt_f32_i32_dpp v5, v5 row_shr:1 row_mask:0xf bank_mask:0xf bound_ctrl:1
	v_cvt_f32_i32_dpp v6, v6 row_shr:1 row_mask:0xf bank_mask:0xf bound_ctrl:1
	;; [unrolled: 1-line block ×4, first 2 shown]
	v_cndmask_b32_e32 v4, v46, v4, vcc_lo
	s_delay_alu instid0(VALU_DEP_4) | instskip(NEXT) | instid1(VALU_DEP_4)
	v_dual_add_f32 v8, v0, v5 :: v_dual_add_f32 v5, v1, v6
	v_add_f32_e32 v2, v2, v7
	s_delay_alu instid0(VALU_DEP_4) | instskip(NEXT) | instid1(VALU_DEP_4)
	v_add_f32_e32 v0, v3, v9
	v_lshlrev_b32_e32 v4, 2, v4
	ds_bpermute_b32 v9, v4, v8
	ds_bpermute_b32 v6, v4, v5
	;; [unrolled: 1-line block ×4, first 2 shown]
	s_and_saveexec_b32 s14, s0
	s_cbranch_execz .LBB208_59
; %bb.33:                               ;   in Loop: Header=BB208_12 Depth=1
	v_dual_mov_b32 v4, 0 :: v_dual_mov_b32 v7, 0
	v_dual_mov_b32 v10, 0 :: v_dual_mov_b32 v11, 0
	s_and_not1_b32 vcc_lo, exec_lo, s29
	s_cbranch_vccnz .LBB208_35
; %bb.34:                               ;   in Loop: Header=BB208_12 Depth=1
	v_mul_hi_u32 v4, v34, v45
	s_delay_alu instid0(VALU_DEP_1) | instskip(NEXT) | instid1(VALU_DEP_1)
	v_mul_lo_u32 v4, v4, s4
	v_sub_nc_u32_e32 v4, v34, v4
	s_delay_alu instid0(VALU_DEP_1) | instskip(SKIP_1) | instid1(VALU_DEP_2)
	v_subrev_nc_u32_e32 v11, s4, v4
	v_cmp_le_u32_e32 vcc_lo, s4, v4
	v_dual_cndmask_b32 v4, v4, v11 :: v_dual_add_nc_u32 v7, 1, v34
	s_delay_alu instid0(VALU_DEP_1) | instskip(NEXT) | instid1(VALU_DEP_2)
	v_mul_hi_u32 v10, v7, v45
	v_subrev_nc_u32_e32 v11, s4, v4
	s_delay_alu instid0(VALU_DEP_2) | instskip(NEXT) | instid1(VALU_DEP_1)
	v_mul_lo_u32 v10, v10, s4
	v_sub_nc_u32_e32 v7, v7, v10
	s_delay_alu instid0(VALU_DEP_1) | instskip(SKIP_1) | instid1(VALU_DEP_2)
	v_subrev_nc_u32_e32 v10, s4, v7
	v_cmp_le_u32_e32 vcc_lo, s4, v7
	v_cndmask_b32_e32 v7, v7, v10, vcc_lo
	v_cmp_le_u32_e32 vcc_lo, s4, v4
	v_cndmask_b32_e32 v35, v4, v11, vcc_lo
	s_delay_alu instid0(VALU_DEP_3) | instskip(SKIP_1) | instid1(VALU_DEP_2)
	v_subrev_nc_u32_e32 v4, s4, v7
	v_cmp_le_u32_e32 vcc_lo, s4, v7
	v_dual_mov_b32 v11, v36 :: v_dual_cndmask_b32 v10, v7, v4
	s_delay_alu instid0(VALU_DEP_4) | instskip(SKIP_1) | instid1(VALU_DEP_3)
	v_lshlrev_b64 v[12:13], 1, v[35:36]
	v_add_nc_u32_e32 v35, s31, v35
	v_lshlrev_b64 v[14:15], 1, v[10:11]
	s_delay_alu instid0(VALU_DEP_2) | instskip(SKIP_3) | instid1(VALU_DEP_3)
	v_lshlrev_b64 v[16:17], 1, v[35:36]
	v_add_nc_u32_e32 v35, s31, v10
	v_add_co_u32 v10, vcc_lo, s10, v12
	v_add_co_ci_u32_e32 v11, vcc_lo, s11, v13, vcc_lo
	v_lshlrev_b64 v[12:13], 1, v[35:36]
	v_add_co_u32 v14, vcc_lo, s10, v14
	v_add_co_ci_u32_e32 v15, vcc_lo, s11, v15, vcc_lo
	v_add_co_u32 v16, vcc_lo, s10, v16
	v_add_co_ci_u32_e32 v17, vcc_lo, s11, v17, vcc_lo
	;; [unrolled: 2-line block ×3, first 2 shown]
	s_clause 0x3
	global_load_u16 v11, v[10:11], off
	global_load_u16 v10, v[14:15], off
	;; [unrolled: 1-line block ×4, first 2 shown]
.LBB208_35:                             ;   in Loop: Header=BB208_12 Depth=1
	v_cmp_ne_u32_e32 vcc_lo, 0, v32
	s_and_saveexec_b32 s2, vcc_lo
	s_cbranch_execnz .LBB208_39
; %bb.36:                               ;   in Loop: Header=BB208_12 Depth=1
	s_or_b32 exec_lo, exec_lo, s2
	v_cmp_ne_u32_e64 s1, 0, v33
	s_delay_alu instid0(VALU_DEP_1)
	s_and_saveexec_b32 s15, s1
	s_cbranch_execnz .LBB208_44
.LBB208_37:                             ;   in Loop: Header=BB208_12 Depth=1
	s_or_b32 exec_lo, exec_lo, s15
	v_add_nc_u32_e32 v35, s19, v34
	s_and_saveexec_b32 s2, vcc_lo
	s_cbranch_execnz .LBB208_49
.LBB208_38:                             ;   in Loop: Header=BB208_12 Depth=1
	s_or_b32 exec_lo, exec_lo, s2
	s_delay_alu instid0(SALU_CYCLE_1)
	s_and_b32 exec_lo, exec_lo, s1
	s_cbranch_execnz .LBB208_54
	s_branch .LBB208_59
.LBB208_39:                             ;   in Loop: Header=BB208_12 Depth=1
	s_waitcnt vmcnt(3) lgkmcnt(3)
	v_dual_add_f32 v8, v8, v9 :: v_dual_lshlrev_b32 v9, 16, v11
	s_delay_alu instid0(VALU_DEP_1) | instskip(NEXT) | instid1(VALU_DEP_1)
	v_add_f32_e32 v9, v8, v9
	v_and_b32_e32 v8, 0x7f800000, v9
	s_delay_alu instid0(VALU_DEP_1) | instskip(NEXT) | instid1(VALU_DEP_1)
	v_cmp_ne_u32_e64 s1, 0x7f800000, v8
                                        ; implicit-def: $vgpr8
	s_and_saveexec_b32 s15, s1
	s_delay_alu instid0(SALU_CYCLE_1)
	s_xor_b32 s1, exec_lo, s15
; %bb.40:                               ;   in Loop: Header=BB208_12 Depth=1
	v_bfe_u32 v8, v9, 16, 1
	s_delay_alu instid0(VALU_DEP_1)
	v_add3_u32 v8, v9, v8, 0x7fff
                                        ; implicit-def: $vgpr9
; %bb.41:                               ;   in Loop: Header=BB208_12 Depth=1
	s_and_not1_saveexec_b32 s15, s1
; %bb.42:                               ;   in Loop: Header=BB208_12 Depth=1
	v_and_b32_e32 v8, 0xffff, v9
	v_or_b32_e32 v11, 0x10000, v9
	s_delay_alu instid0(VALU_DEP_2) | instskip(NEXT) | instid1(VALU_DEP_1)
	v_cmp_eq_u32_e64 s1, 0, v8
	v_cndmask_b32_e64 v8, v11, v9, s1
; %bb.43:                               ;   in Loop: Header=BB208_12 Depth=1
	s_or_b32 exec_lo, exec_lo, s15
	v_mov_b32_e32 v35, v36
	s_delay_alu instid0(VALU_DEP_1) | instskip(NEXT) | instid1(VALU_DEP_1)
	v_lshlrev_b64 v[11:12], 1, v[34:35]
	v_add_co_u32 v11, s1, s12, v11
	s_delay_alu instid0(VALU_DEP_1) | instskip(SKIP_3) | instid1(VALU_DEP_1)
	v_add_co_ci_u32_e64 v12, s1, s13, v12, s1
	global_store_d16_hi_b16 v[11:12], v8, off
	s_or_b32 exec_lo, exec_lo, s2
	v_cmp_ne_u32_e64 s1, 0, v33
	s_and_saveexec_b32 s15, s1
	s_cbranch_execz .LBB208_37
.LBB208_44:                             ;   in Loop: Header=BB208_12 Depth=1
	s_waitcnt lgkmcnt(2)
	v_add_f32_e32 v5, v5, v6
	s_waitcnt vmcnt(2)
	v_lshlrev_b32_e32 v6, 16, v10
	s_delay_alu instid0(VALU_DEP_1) | instskip(NEXT) | instid1(VALU_DEP_1)
	v_add_f32_e32 v6, v5, v6
	v_and_b32_e32 v5, 0x7f800000, v6
	s_delay_alu instid0(VALU_DEP_1) | instskip(NEXT) | instid1(VALU_DEP_1)
	v_cmp_ne_u32_e64 s2, 0x7f800000, v5
                                        ; implicit-def: $vgpr5
	s_and_saveexec_b32 s36, s2
	s_delay_alu instid0(SALU_CYCLE_1)
	s_xor_b32 s2, exec_lo, s36
; %bb.45:                               ;   in Loop: Header=BB208_12 Depth=1
	v_bfe_u32 v5, v6, 16, 1
	s_delay_alu instid0(VALU_DEP_1)
	v_add3_u32 v5, v6, v5, 0x7fff
                                        ; implicit-def: $vgpr6
; %bb.46:                               ;   in Loop: Header=BB208_12 Depth=1
	s_and_not1_saveexec_b32 s36, s2
; %bb.47:                               ;   in Loop: Header=BB208_12 Depth=1
	v_and_b32_e32 v5, 0xffff, v6
	v_or_b32_e32 v8, 0x10000, v6
	s_delay_alu instid0(VALU_DEP_2) | instskip(NEXT) | instid1(VALU_DEP_1)
	v_cmp_eq_u32_e64 s2, 0, v5
	v_cndmask_b32_e64 v5, v8, v6, s2
; %bb.48:                               ;   in Loop: Header=BB208_12 Depth=1
	s_or_b32 exec_lo, exec_lo, s36
	v_mov_b32_e32 v35, v36
	s_delay_alu instid0(VALU_DEP_1) | instskip(NEXT) | instid1(VALU_DEP_1)
	v_lshlrev_b64 v[8:9], 1, v[34:35]
	v_add_co_u32 v8, s2, s30, v8
	s_delay_alu instid0(VALU_DEP_1)
	v_add_co_ci_u32_e64 v9, s2, s33, v9, s2
	global_store_d16_hi_b16 v[8:9], v5, off
	s_or_b32 exec_lo, exec_lo, s15
	v_add_nc_u32_e32 v35, s19, v34
	s_and_saveexec_b32 s2, vcc_lo
	s_cbranch_execz .LBB208_38
.LBB208_49:                             ;   in Loop: Header=BB208_12 Depth=1
	s_waitcnt lgkmcnt(1)
	v_add_f32_e32 v2, v2, v3
	s_waitcnt vmcnt(1)
	v_lshlrev_b32_e32 v3, 16, v7
	s_delay_alu instid0(VALU_DEP_1) | instskip(NEXT) | instid1(VALU_DEP_1)
	v_add_f32_e32 v3, v2, v3
	v_and_b32_e32 v2, 0x7f800000, v3
	s_delay_alu instid0(VALU_DEP_1) | instskip(SKIP_1) | instid1(SALU_CYCLE_1)
	v_cmp_ne_u32_e32 vcc_lo, 0x7f800000, v2
                                        ; implicit-def: $vgpr2
	s_and_saveexec_b32 s15, vcc_lo
	s_xor_b32 s15, exec_lo, s15
; %bb.50:                               ;   in Loop: Header=BB208_12 Depth=1
	v_bfe_u32 v2, v3, 16, 1
	s_delay_alu instid0(VALU_DEP_1)
	v_add3_u32 v2, v3, v2, 0x7fff
                                        ; implicit-def: $vgpr3
; %bb.51:                               ;   in Loop: Header=BB208_12 Depth=1
	s_and_not1_saveexec_b32 s15, s15
; %bb.52:                               ;   in Loop: Header=BB208_12 Depth=1
	v_and_b32_e32 v2, 0xffff, v3
	v_or_b32_e32 v5, 0x10000, v3
	s_delay_alu instid0(VALU_DEP_2) | instskip(NEXT) | instid1(VALU_DEP_2)
	v_cmp_eq_u32_e32 vcc_lo, 0, v2
	v_cndmask_b32_e32 v2, v5, v3, vcc_lo
; %bb.53:                               ;   in Loop: Header=BB208_12 Depth=1
	s_or_b32 exec_lo, exec_lo, s15
	v_lshlrev_b64 v[5:6], 1, v[35:36]
	s_delay_alu instid0(VALU_DEP_1) | instskip(NEXT) | instid1(VALU_DEP_2)
	v_add_co_u32 v5, vcc_lo, s12, v5
	v_add_co_ci_u32_e32 v6, vcc_lo, s13, v6, vcc_lo
	global_store_d16_hi_b16 v[5:6], v2, off
	s_or_b32 exec_lo, exec_lo, s2
	s_delay_alu instid0(SALU_CYCLE_1)
	s_and_b32 exec_lo, exec_lo, s1
	s_cbranch_execz .LBB208_59
.LBB208_54:                             ;   in Loop: Header=BB208_12 Depth=1
	s_waitcnt vmcnt(0) lgkmcnt(0)
	v_dual_add_f32 v0, v0, v1 :: v_dual_lshlrev_b32 v1, 16, v4
	s_delay_alu instid0(VALU_DEP_1) | instskip(NEXT) | instid1(VALU_DEP_1)
	v_add_f32_e32 v1, v0, v1
	v_and_b32_e32 v0, 0x7f800000, v1
	s_delay_alu instid0(VALU_DEP_1) | instskip(SKIP_1) | instid1(SALU_CYCLE_1)
	v_cmp_ne_u32_e32 vcc_lo, 0x7f800000, v0
                                        ; implicit-def: $vgpr0
	s_and_saveexec_b32 s1, vcc_lo
	s_xor_b32 s1, exec_lo, s1
; %bb.55:                               ;   in Loop: Header=BB208_12 Depth=1
	v_bfe_u32 v0, v1, 16, 1
	s_delay_alu instid0(VALU_DEP_1)
	v_add3_u32 v0, v1, v0, 0x7fff
                                        ; implicit-def: $vgpr1
; %bb.56:                               ;   in Loop: Header=BB208_12 Depth=1
	s_and_not1_saveexec_b32 s1, s1
; %bb.57:                               ;   in Loop: Header=BB208_12 Depth=1
	v_and_b32_e32 v0, 0xffff, v1
	v_or_b32_e32 v2, 0x10000, v1
	s_delay_alu instid0(VALU_DEP_2) | instskip(NEXT) | instid1(VALU_DEP_2)
	v_cmp_eq_u32_e32 vcc_lo, 0, v0
	v_cndmask_b32_e32 v0, v2, v1, vcc_lo
; %bb.58:                               ;   in Loop: Header=BB208_12 Depth=1
	s_or_b32 exec_lo, exec_lo, s1
	v_add_nc_u32_e32 v35, 1, v35
	s_delay_alu instid0(VALU_DEP_1) | instskip(NEXT) | instid1(VALU_DEP_1)
	v_lshlrev_b64 v[1:2], 1, v[35:36]
	v_add_co_u32 v1, vcc_lo, s12, v1
	s_delay_alu instid0(VALU_DEP_2)
	v_add_co_ci_u32_e32 v2, vcc_lo, s13, v2, vcc_lo
	global_store_d16_hi_b16 v[1:2], v0, off
.LBB208_59:                             ;   in Loop: Header=BB208_12 Depth=1
	s_or_b32 exec_lo, exec_lo, s14
	v_add_nc_u32_e32 v34, s28, v34
	s_delay_alu instid0(VALU_DEP_1) | instskip(SKIP_1) | instid1(VALU_DEP_2)
	v_add_nc_u32_e32 v0, 2, v34
	v_cmp_gt_u32_e32 vcc_lo, s19, v34
	v_cmp_le_u32_e64 s1, s19, v0
	s_delay_alu instid0(VALU_DEP_1) | instskip(NEXT) | instid1(SALU_CYCLE_1)
	s_and_b32 s1, vcc_lo, s1
	s_and_saveexec_b32 s36, s1
	s_cbranch_execz .LBB208_10
; %bb.60:                               ;   in Loop: Header=BB208_12 Depth=1
	s_mov_b32 s37, exec_lo
	v_cmpx_ne_u32_e64 s5, v34
	s_cbranch_execz .LBB208_9
; %bb.61:                               ;   in Loop: Header=BB208_12 Depth=1
	v_subrev_nc_u32_e32 v0, s5, v34
	s_mov_b32 s38, 0
	s_mov_b64 s[14:15], 0
	s_delay_alu instid0(VALU_DEP_1)
	v_cmp_lt_u32_e32 vcc_lo, 1, v0
	v_cndmask_b32_e32 v0, 1, v0, vcc_lo
.LBB208_62:                             ;   Parent Loop BB208_12 Depth=1
                                        ; =>  This Inner Loop Header: Depth=2
	s_cmp_lg_u32 s14, 1
	s_cselect_b32 vcc_lo, -1, 0
	s_cmp_lg_u32 s14, 0
	v_cndmask_b32_e32 v33, 0, v33, vcc_lo
	s_cselect_b32 s1, -1, 0
	s_add_u32 s14, s14, 1
	v_cndmask_b32_e64 v32, 0, v32, s1
	v_cmp_eq_u32_e64 s2, s14, v0
	s_addc_u32 s15, s15, 0
	s_delay_alu instid0(VALU_DEP_1) | instskip(NEXT) | instid1(SALU_CYCLE_1)
	s_or_b32 s38, s2, s38
	s_and_not1_b32 exec_lo, exec_lo, s38
	s_cbranch_execnz .LBB208_62
; %bb.63:                               ;   in Loop: Header=BB208_12 Depth=1
	s_or_b32 exec_lo, exec_lo, s38
	s_branch .LBB208_9
.LBB208_64:
	s_nop 0
	s_sendmsg sendmsg(MSG_DEALLOC_VGPRS)
	s_endpgm
	.section	.rodata,"a",@progbits
	.p2align	6, 0x0
	.amdhsa_kernel _Z16wvSplitK_hf_big_I14__hip_bfloat16Li64ELi2ELi16ELi8ELi2ELi2EEviiiiiiPKT_S3_S3_PS1_ii
		.amdhsa_group_segment_fixed_size 65536
		.amdhsa_private_segment_fixed_size 0
		.amdhsa_kernarg_size 64
		.amdhsa_user_sgpr_count 15
		.amdhsa_user_sgpr_dispatch_ptr 0
		.amdhsa_user_sgpr_queue_ptr 0
		.amdhsa_user_sgpr_kernarg_segment_ptr 1
		.amdhsa_user_sgpr_dispatch_id 0
		.amdhsa_user_sgpr_private_segment_size 0
		.amdhsa_wavefront_size32 1
		.amdhsa_uses_dynamic_stack 0
		.amdhsa_enable_private_segment 0
		.amdhsa_system_sgpr_workgroup_id_x 1
		.amdhsa_system_sgpr_workgroup_id_y 0
		.amdhsa_system_sgpr_workgroup_id_z 0
		.amdhsa_system_sgpr_workgroup_info 0
		.amdhsa_system_vgpr_workitem_id 1
		.amdhsa_next_free_vgpr 62
		.amdhsa_next_free_sgpr 39
		.amdhsa_reserve_vcc 1
		.amdhsa_float_round_mode_32 0
		.amdhsa_float_round_mode_16_64 0
		.amdhsa_float_denorm_mode_32 3
		.amdhsa_float_denorm_mode_16_64 3
		.amdhsa_dx10_clamp 1
		.amdhsa_ieee_mode 1
		.amdhsa_fp16_overflow 0
		.amdhsa_workgroup_processor_mode 1
		.amdhsa_memory_ordered 1
		.amdhsa_forward_progress 0
		.amdhsa_shared_vgpr_count 0
		.amdhsa_exception_fp_ieee_invalid_op 0
		.amdhsa_exception_fp_denorm_src 0
		.amdhsa_exception_fp_ieee_div_zero 0
		.amdhsa_exception_fp_ieee_overflow 0
		.amdhsa_exception_fp_ieee_underflow 0
		.amdhsa_exception_fp_ieee_inexact 0
		.amdhsa_exception_int_div_zero 0
	.end_amdhsa_kernel
	.section	.text._Z16wvSplitK_hf_big_I14__hip_bfloat16Li64ELi2ELi16ELi8ELi2ELi2EEviiiiiiPKT_S3_S3_PS1_ii,"axG",@progbits,_Z16wvSplitK_hf_big_I14__hip_bfloat16Li64ELi2ELi16ELi8ELi2ELi2EEviiiiiiPKT_S3_S3_PS1_ii,comdat
.Lfunc_end208:
	.size	_Z16wvSplitK_hf_big_I14__hip_bfloat16Li64ELi2ELi16ELi8ELi2ELi2EEviiiiiiPKT_S3_S3_PS1_ii, .Lfunc_end208-_Z16wvSplitK_hf_big_I14__hip_bfloat16Li64ELi2ELi16ELi8ELi2ELi2EEviiiiiiPKT_S3_S3_PS1_ii
                                        ; -- End function
	.section	.AMDGPU.csdata,"",@progbits
; Kernel info:
; codeLenInByte = 4064
; NumSgprs: 41
; NumVgprs: 62
; ScratchSize: 0
; MemoryBound: 0
; FloatMode: 240
; IeeeMode: 1
; LDSByteSize: 65536 bytes/workgroup (compile time only)
; SGPRBlocks: 5
; VGPRBlocks: 7
; NumSGPRsForWavesPerEU: 41
; NumVGPRsForWavesPerEU: 62
; Occupancy: 16
; WaveLimiterHint : 0
; COMPUTE_PGM_RSRC2:SCRATCH_EN: 0
; COMPUTE_PGM_RSRC2:USER_SGPR: 15
; COMPUTE_PGM_RSRC2:TRAP_HANDLER: 0
; COMPUTE_PGM_RSRC2:TGID_X_EN: 1
; COMPUTE_PGM_RSRC2:TGID_Y_EN: 0
; COMPUTE_PGM_RSRC2:TGID_Z_EN: 0
; COMPUTE_PGM_RSRC2:TIDIG_COMP_CNT: 1
	.section	.text._Z16wvSplitK_hf_sml_I14__hip_bfloat16Li64ELi3ELi16ELi8ELi2ELi2EEviiiiiiPKT_S3_S3_PS1_ii,"axG",@progbits,_Z16wvSplitK_hf_sml_I14__hip_bfloat16Li64ELi3ELi16ELi8ELi2ELi2EEviiiiiiPKT_S3_S3_PS1_ii,comdat
	.protected	_Z16wvSplitK_hf_sml_I14__hip_bfloat16Li64ELi3ELi16ELi8ELi2ELi2EEviiiiiiPKT_S3_S3_PS1_ii ; -- Begin function _Z16wvSplitK_hf_sml_I14__hip_bfloat16Li64ELi3ELi16ELi8ELi2ELi2EEviiiiiiPKT_S3_S3_PS1_ii
	.globl	_Z16wvSplitK_hf_sml_I14__hip_bfloat16Li64ELi3ELi16ELi8ELi2ELi2EEviiiiiiPKT_S3_S3_PS1_ii
	.p2align	8
	.type	_Z16wvSplitK_hf_sml_I14__hip_bfloat16Li64ELi3ELi16ELi8ELi2ELi2EEviiiiiiPKT_S3_S3_PS1_ii,@function
_Z16wvSplitK_hf_sml_I14__hip_bfloat16Li64ELi3ELi16ELi8ELi2ELi2EEviiiiiiPKT_S3_S3_PS1_ii: ; @_Z16wvSplitK_hf_sml_I14__hip_bfloat16Li64ELi3ELi16ELi8ELi2ELi2EEviiiiiiPKT_S3_S3_PS1_ii
; %bb.0:
	s_clause 0x2
	s_load_b128 s[4:7], s[0:1], 0x0
	s_load_b64 s[8:9], s[0:1], 0x10
	s_load_b64 s[10:11], s[0:1], 0x28
	v_and_b32_e32 v3, 0x3ff, v0
	v_bfe_u32 v0, v0, 10, 10
	s_mov_b32 s12, exec_lo
	s_delay_alu instid0(VALU_DEP_2) | instskip(NEXT) | instid1(VALU_DEP_1)
	v_lshlrev_b32_e32 v50, 3, v3
	v_lshl_add_u32 v4, v0, 9, v50
	s_waitcnt lgkmcnt(0)
	s_lshl_b32 s6, s6, 1
	s_delay_alu instid0(SALU_CYCLE_1)
	s_min_u32 s3, s6, 0x8000
	s_delay_alu instid0(VALU_DEP_1) | instid1(SALU_CYCLE_1)
	v_cmpx_gt_u32_e64 s3, v4
	s_cbranch_execz .LBB209_3
; %bb.1:
	s_load_b64 s[16:17], s[0:1], 0x20
	v_lshlrev_b32_e32 v5, 10, v0
	v_lshlrev_b32_e32 v6, 4, v3
	s_mov_b32 s13, 0
	s_delay_alu instid0(VALU_DEP_1) | instskip(NEXT) | instid1(VALU_DEP_1)
	v_add_co_u32 v1, s2, v5, v6
	v_add_co_ci_u32_e64 v2, null, 0, 0, s2
	v_add_nc_u32_e32 v5, v5, v6
	s_waitcnt lgkmcnt(0)
	s_delay_alu instid0(VALU_DEP_3) | instskip(NEXT) | instid1(VALU_DEP_3)
	v_add_co_u32 v1, vcc_lo, s16, v1
	v_add_co_ci_u32_e32 v2, vcc_lo, s17, v2, vcc_lo
	.p2align	6
.LBB209_2:                              ; =>This Inner Loop Header: Depth=1
	global_load_b128 v[6:9], v[1:2], off
	v_add_nc_u32_e32 v4, 0x2000, v4
	v_add_co_u32 v1, vcc_lo, 0x4000, v1
	v_add_co_ci_u32_e32 v2, vcc_lo, 0, v2, vcc_lo
	s_delay_alu instid0(VALU_DEP_3) | instskip(NEXT) | instid1(VALU_DEP_1)
	v_cmp_le_u32_e64 s2, s3, v4
	s_or_b32 s13, s2, s13
	s_waitcnt vmcnt(0)
	ds_store_b128 v5, v[6:9]
	v_add_nc_u32_e32 v5, 0x4000, v5
	s_and_not1_b32 exec_lo, exec_lo, s13
	s_cbranch_execnz .LBB209_2
.LBB209_3:
	s_or_b32 exec_lo, exec_lo, s12
	s_load_b64 s[16:17], s[0:1], 0x38
	s_waitcnt lgkmcnt(0)
	s_barrier
	buffer_gl0_inv
	s_mov_b32 s2, exec_lo
	v_cmpx_gt_u32_e64 s16, v0
	s_cbranch_execz .LBB209_42
; %bb.4:
	v_mad_u64_u32 v[1:2], null, s15, s16, v[0:1]
	s_delay_alu instid0(VALU_DEP_1) | instskip(NEXT) | instid1(VALU_DEP_1)
	v_lshl_add_u32 v40, v1, 1, v1
	v_cmp_gt_u32_e32 vcc_lo, s7, v40
	s_and_b32 exec_lo, exec_lo, vcc_lo
	s_cbranch_execz .LBB209_42
; %bb.5:
	v_cvt_f32_u32_e32 v0, s8
	s_cmp_lg_u32 s4, 0
	s_clause 0x1
	s_load_b64 s[2:3], s[0:1], 0x18
	s_load_b64 s[12:13], s[0:1], 0x30
	s_cselect_b32 s1, -1, 0
	s_add_i32 s14, s4, -8
	v_rcp_iflag_f32_e32 v0, v0
	s_add_i32 s15, s7, -1
	s_cmp_lg_u64 s[10:11], 0
	v_mbcnt_lo_u32_b32 v1, -1, 0
	s_cselect_b32 s18, -1, 0
	s_sub_i32 s0, 0, s8
	s_abs_i32 s9, s9
	s_mul_i32 s17, s16, s17
	v_xor_b32_e32 v4, 16, v1
	s_sub_i32 s19, 1, s9
	s_waitcnt_depctr 0xfff
	v_dual_mul_f32 v0, 0x4f7ffffe, v0 :: v_dual_lshlrev_b32 v51, 4, v3
	s_cmp_lt_u32 s9, 2
	v_cmp_gt_i32_e32 vcc_lo, 32, v4
	v_mov_b32_e32 v42, 0
	s_delay_alu instid0(VALU_DEP_3)
	v_cvt_u32_f32_e32 v0, v0
	s_cselect_b32 s19, s19, 1
	s_mov_b32 s16, 0
	v_cndmask_b32_e32 v1, v1, v4, vcc_lo
	s_sub_i32 s20, s19, s9
	v_mul_lo_u32 v2, s0, v0
	s_cmp_ge_u32 s19, s9
	v_cmp_eq_u32_e64 s0, 63, v3
	v_lshlrev_b32_e32 v52, 2, v1
	s_cselect_b32 s19, s20, s19
	s_mul_i32 s9, s17, 3
	s_mul_i32 s17, s19, s8
	s_delay_alu instid0(VALU_DEP_3) | instskip(NEXT) | instid1(VALU_DEP_1)
	v_mul_hi_u32 v2, v0, v2
	v_add_nc_u32_e32 v53, v0, v2
	s_branch .LBB209_8
.LBB209_6:                              ;   in Loop: Header=BB209_8 Depth=1
	s_or_b32 exec_lo, exec_lo, s20
	v_add_nc_u32_e32 v41, 2, v41
	s_delay_alu instid0(VALU_DEP_1) | instskip(NEXT) | instid1(VALU_DEP_1)
	v_lshlrev_b64 v[1:2], 1, v[41:42]
	v_add_co_u32 v1, vcc_lo, s12, v1
	s_delay_alu instid0(VALU_DEP_2)
	v_add_co_ci_u32_e32 v2, vcc_lo, s13, v2, vcc_lo
	global_store_d16_hi_b16 v[1:2], v0, off
.LBB209_7:                              ;   in Loop: Header=BB209_8 Depth=1
	s_or_b32 exec_lo, exec_lo, s19
	v_add_nc_u32_e32 v40, s9, v40
	s_delay_alu instid0(VALU_DEP_1) | instskip(SKIP_1) | instid1(SALU_CYCLE_1)
	v_cmp_le_u32_e32 vcc_lo, s7, v40
	s_or_b32 s16, vcc_lo, s16
	s_and_not1_b32 exec_lo, exec_lo, s16
	s_cbranch_execz .LBB209_42
.LBB209_8:                              ; =>This Loop Header: Depth=1
                                        ;     Child Loop BB209_12 Depth 2
	v_dual_mov_b32 v56, v42 :: v_dual_add_nc_u32 v43, 2, v40
	v_mov_b32_e32 v55, v42
	v_mov_b32_e32 v58, v42
	;; [unrolled: 1-line block ×5, first 2 shown]
	s_and_not1_b32 vcc_lo, exec_lo, s1
	s_cbranch_vccnz .LBB209_15
; %bb.9:                                ;   in Loop: Header=BB209_8 Depth=1
	s_waitcnt lgkmcnt(0)
	v_dual_mov_b32 v1, v42 :: v_dual_add_nc_u32 v0, 1, v40
	v_min_u32_e32 v2, s15, v40
	v_min_u32_e32 v4, s15, v43
	v_dual_mov_b32 v3, v42 :: v_dual_mov_b32 v54, v51
	s_delay_alu instid0(VALU_DEP_4) | instskip(NEXT) | instid1(VALU_DEP_4)
	v_min_u32_e32 v0, s15, v0
	v_mul_lo_u32 v41, v2, s5
	s_delay_alu instid0(VALU_DEP_4) | instskip(SKIP_1) | instid1(VALU_DEP_4)
	v_mul_lo_u32 v2, v4, s5
	v_dual_mov_b32 v57, 0 :: v_dual_mov_b32 v60, 0
	v_mul_lo_u32 v0, v0, s5
	v_dual_mov_b32 v59, 0 :: v_dual_mov_b32 v58, 0
	v_dual_mov_b32 v56, 0 :: v_dual_mov_b32 v55, 0
	v_lshlrev_b64 v[44:45], 1, v[41:42]
	v_lshlrev_b64 v[46:47], 1, v[2:3]
	s_mov_b32 s19, 0
	v_lshlrev_b64 v[48:49], 1, v[0:1]
	s_branch .LBB209_12
.LBB209_10:                             ;   in Loop: Header=BB209_12 Depth=2
	s_or_b32 exec_lo, exec_lo, s21
.LBB209_11:                             ;   in Loop: Header=BB209_12 Depth=2
	s_delay_alu instid0(SALU_CYCLE_1)
	s_or_b32 exec_lo, exec_lo, s20
	s_waitcnt lgkmcnt(1)
	v_and_b32_e32 v66, 0xffff0000, v38
	s_waitcnt vmcnt(5)
	v_and_b32_e32 v69, 0xffff0000, v35
	v_and_b32_e32 v67, 0xffff0000, v34
	;; [unrolled: 1-line block ×4, first 2 shown]
	v_lshlrev_b32_e32 v34, 16, v34
	v_lshlrev_b32_e32 v35, 16, v35
	s_waitcnt vmcnt(4)
	v_dual_mul_f32 v68, v66, v67 :: v_dual_and_b32 v71, 0xffff0000, v29
	v_lshlrev_b32_e32 v38, 16, v38
	v_and_b32_e32 v61, 0xffff0000, v32
	v_lshlrev_b32_e32 v37, 16, v37
	v_lshlrev_b32_e32 v32, 16, v32
	v_add_nc_u32_e32 v54, 0x800, v54
	v_fmac_f32_e32 v68, v38, v34
	v_mul_f32_e32 v64, v41, v61
	v_and_b32_e32 v63, 0xffff0000, v33
	v_lshlrev_b32_e32 v36, 16, v36
	s_addk_i32 s19, 0x400
	s_delay_alu instid0(SALU_CYCLE_1) | instskip(NEXT) | instid1(VALU_DEP_2)
	s_cmp_ge_u32 s19, s4
	v_mul_f32_e32 v65, v62, v63
	v_lshlrev_b32_e32 v33, 16, v33
	s_delay_alu instid0(VALU_DEP_1) | instskip(NEXT) | instid1(VALU_DEP_1)
	v_dual_fmac_f32 v65, v37, v33 :: v_dual_fmac_f32 v64, v36, v32
	v_add_f32_e32 v57, v57, v64
	v_mul_f32_e32 v73, v62, v71
	s_delay_alu instid0(VALU_DEP_2) | instskip(SKIP_1) | instid1(VALU_DEP_2)
	v_add_f32_e32 v57, v57, v65
	v_and_b32_e32 v65, 0xffff0000, v39
	v_dual_add_f32 v57, v57, v68 :: v_dual_and_b32 v68, 0xffff0000, v30
	v_lshlrev_b32_e32 v39, 16, v39
	v_lshlrev_b32_e32 v30, 16, v30
	s_delay_alu instid0(VALU_DEP_3) | instskip(NEXT) | instid1(VALU_DEP_1)
	v_dual_mul_f32 v74, v66, v68 :: v_dual_lshlrev_b32 v29, 16, v29
	v_fmac_f32_e32 v74, v38, v30
	v_and_b32_e32 v64, 0xffff0000, v28
	v_lshlrev_b32_e32 v28, 16, v28
	s_delay_alu instid0(VALU_DEP_2) | instskip(NEXT) | instid1(VALU_DEP_1)
	v_mul_f32_e32 v70, v41, v64
	v_dual_fmac_f32 v73, v37, v29 :: v_dual_fmac_f32 v70, v36, v28
	s_delay_alu instid0(VALU_DEP_1)
	v_add_f32_e32 v60, v60, v70
	v_mul_f32_e32 v72, v65, v69
	s_waitcnt vmcnt(3)
	v_and_b32_e32 v70, 0xffff0000, v24
	v_lshlrev_b32_e32 v24, 16, v24
	v_add_f32_e32 v60, v60, v73
	s_delay_alu instid0(VALU_DEP_3) | instskip(NEXT) | instid1(VALU_DEP_1)
	v_dual_fmac_f32 v72, v39, v35 :: v_dual_mul_f32 v41, v41, v70
	v_dual_add_f32 v60, v60, v74 :: v_dual_add_f32 v57, v57, v72
	v_and_b32_e32 v72, 0xffff0000, v25
	v_and_b32_e32 v73, 0xffff0000, v31
	s_delay_alu instid0(VALU_DEP_4) | instskip(SKIP_1) | instid1(VALU_DEP_4)
	v_fmac_f32_e32 v41, v36, v24
	v_lshlrev_b32_e32 v25, 16, v25
	v_dual_mul_f32 v36, v62, v72 :: v_dual_lshlrev_b32 v31, 16, v31
	s_delay_alu instid0(VALU_DEP_4) | instskip(NEXT) | instid1(VALU_DEP_4)
	v_mul_f32_e32 v62, v65, v73
	v_add_f32_e32 v41, v59, v41
	s_delay_alu instid0(VALU_DEP_3) | instskip(SKIP_1) | instid1(VALU_DEP_3)
	v_dual_fmac_f32 v36, v37, v25 :: v_dual_and_b32 v59, 0xffff0000, v26
	s_waitcnt lgkmcnt(0)
	v_dual_fmac_f32 v62, v39, v31 :: v_dual_and_b32 v37, 0xffff0000, v20
	s_delay_alu instid0(VALU_DEP_2) | instskip(NEXT) | instid1(VALU_DEP_3)
	v_mul_f32_e32 v66, v66, v59
	v_dual_add_f32 v36, v41, v36 :: v_dual_and_b32 v41, 0xffff0000, v27
	s_delay_alu instid0(VALU_DEP_3) | instskip(SKIP_1) | instid1(VALU_DEP_3)
	v_dual_mul_f32 v61, v37, v61 :: v_dual_lshlrev_b32 v26, 16, v26
	v_lshlrev_b32_e32 v27, 16, v27
	v_dual_mul_f32 v65, v65, v41 :: v_dual_lshlrev_b32 v20, 16, v20
	s_delay_alu instid0(VALU_DEP_3) | instskip(SKIP_2) | instid1(VALU_DEP_4)
	v_fmac_f32_e32 v66, v38, v26
	v_and_b32_e32 v38, 0xffff0000, v21
	v_lshlrev_b32_e32 v21, 16, v21
	v_fmac_f32_e32 v65, v39, v27
	v_fmac_f32_e32 v61, v20, v32
	v_add_f32_e32 v36, v36, v66
	v_dual_mul_f32 v32, v38, v63 :: v_dual_and_b32 v63, 0xffff0000, v22
	s_delay_alu instid0(VALU_DEP_3) | instskip(SKIP_1) | instid1(VALU_DEP_3)
	v_dual_add_f32 v39, v58, v61 :: v_dual_lshlrev_b32 v22, 16, v22
	v_mul_f32_e32 v58, v37, v64
	v_dual_fmac_f32 v32, v21, v33 :: v_dual_mul_f32 v33, v63, v67
	v_dual_add_f32 v36, v36, v65 :: v_dual_mul_f32 v37, v37, v70
	s_delay_alu instid0(VALU_DEP_3) | instskip(NEXT) | instid1(VALU_DEP_2)
	v_fmac_f32_e32 v58, v20, v28
	v_dual_mul_f32 v28, v38, v71 :: v_dual_fmac_f32 v37, v20, v24
	v_mul_f32_e32 v20, v38, v72
	s_delay_alu instid0(VALU_DEP_2) | instskip(SKIP_3) | instid1(VALU_DEP_3)
	v_dual_fmac_f32 v28, v21, v29 :: v_dual_mul_f32 v29, v63, v68
	v_fmac_f32_e32 v33, v22, v34
	s_waitcnt vmcnt(1)
	v_and_b32_e32 v38, 0xffff0000, v10
	v_dual_fmac_f32 v20, v21, v25 :: v_dual_fmac_f32 v29, v22, v30
	v_dual_add_f32 v32, v39, v32 :: v_dual_add_f32 v39, v56, v58
	v_add_f32_e32 v30, v55, v37
	s_delay_alu instid0(VALU_DEP_2)
	v_add_f32_e32 v24, v39, v28
	v_and_b32_e32 v34, 0xffff0000, v23
	v_lshlrev_b32_e32 v23, 16, v23
	s_waitcnt vmcnt(0)
	v_and_b32_e32 v39, 0xffff0000, v4
	v_add_f32_e32 v21, v24, v29
	v_dual_add_f32 v60, v60, v62 :: v_dual_mul_f32 v25, v34, v73
	v_dual_mul_f32 v56, v34, v69 :: v_dual_and_b32 v29, 0xffff0000, v16
	s_delay_alu instid0(VALU_DEP_2) | instskip(SKIP_2) | instid1(VALU_DEP_3)
	v_fmac_f32_e32 v25, v23, v31
	v_dual_mul_f32 v24, v63, v59 :: v_dual_mul_f32 v31, v34, v41
	v_add_f32_e32 v28, v32, v33
	v_dual_fmac_f32 v56, v23, v35 :: v_dual_add_f32 v21, v21, v25
	s_delay_alu instid0(VALU_DEP_3) | instskip(NEXT) | instid1(VALU_DEP_4)
	v_dual_fmac_f32 v24, v22, v26 :: v_dual_and_b32 v25, 0xffff0000, v8
	v_fmac_f32_e32 v31, v23, v27
	v_and_b32_e32 v23, 0xffff0000, v18
	v_dual_add_f32 v20, v30, v20 :: v_dual_and_b32 v27, 0xffff0000, v14
	v_lshlrev_b32_e32 v18, 16, v18
	v_lshlrev_b32_e32 v14, 16, v14
	s_delay_alu instid0(VALU_DEP_4) | instskip(NEXT) | instid1(VALU_DEP_4)
	v_dual_mul_f32 v41, v23, v38 :: v_dual_and_b32 v26, 0xffff0000, v13
	v_dual_mul_f32 v33, v23, v27 :: v_dual_and_b32 v30, 0xffff0000, v12
	v_add_f32_e32 v20, v20, v24
	v_lshlrev_b32_e32 v10, 16, v10
	v_and_b32_e32 v35, 0xffff0000, v9
	s_delay_alu instid0(VALU_DEP_4)
	v_fmac_f32_e32 v33, v18, v14
	v_mul_f32_e32 v22, v29, v30
	v_add_f32_e32 v20, v20, v31
	v_and_b32_e32 v31, 0xffff0000, v19
	v_and_b32_e32 v24, 0xffff0000, v17
	v_lshlrev_b32_e32 v16, 16, v16
	v_lshlrev_b32_e32 v19, 16, v19
	;; [unrolled: 1-line block ×3, first 2 shown]
	s_delay_alu instid0(VALU_DEP_4) | instskip(SKIP_1) | instid1(VALU_DEP_3)
	v_dual_mul_f32 v32, v24, v26 :: v_dual_lshlrev_b32 v17, 16, v17
	v_lshlrev_b32_e32 v13, 16, v13
	v_dual_fmac_f32 v22, v16, v12 :: v_dual_lshlrev_b32 v9, 16, v9
	v_lshlrev_b32_e32 v4, 16, v4
	s_delay_alu instid0(VALU_DEP_3) | instskip(NEXT) | instid1(VALU_DEP_3)
	v_fmac_f32_e32 v32, v17, v13
	v_add_f32_e32 v22, v57, v22
	s_delay_alu instid0(VALU_DEP_1) | instskip(NEXT) | instid1(VALU_DEP_1)
	v_add_f32_e32 v22, v22, v32
	v_add_f32_e32 v22, v22, v33
	v_and_b32_e32 v32, 0xffff0000, v15
	v_lshlrev_b32_e32 v15, 16, v15
	s_delay_alu instid0(VALU_DEP_2) | instskip(SKIP_2) | instid1(VALU_DEP_3)
	v_mul_f32_e32 v37, v31, v32
	v_dual_mul_f32 v33, v24, v35 :: v_dual_mul_f32 v34, v29, v25
	v_mul_f32_e32 v29, v29, v39
	v_fmac_f32_e32 v37, v19, v15
	s_delay_alu instid0(VALU_DEP_3) | instskip(NEXT) | instid1(VALU_DEP_3)
	v_fmac_f32_e32 v33, v17, v9
	v_fmac_f32_e32 v29, v16, v4
	s_delay_alu instid0(VALU_DEP_3) | instskip(SKIP_2) | instid1(VALU_DEP_4)
	v_dual_add_f32 v57, v22, v37 :: v_dual_lshlrev_b32 v8, 16, v8
	v_and_b32_e32 v37, 0xffff0000, v7
	v_lshlrev_b32_e32 v7, 16, v7
	v_add_f32_e32 v29, v36, v29
	s_delay_alu instid0(VALU_DEP_4) | instskip(SKIP_2) | instid1(VALU_DEP_3)
	v_fmac_f32_e32 v34, v16, v8
	v_and_b32_e32 v36, 0xffff0000, v6
	v_lshlrev_b32_e32 v6, 16, v6
	v_add_f32_e32 v34, v60, v34
	v_add_f32_e32 v28, v28, v56
	s_delay_alu instid0(VALU_DEP_4) | instskip(SKIP_1) | instid1(VALU_DEP_4)
	v_mul_f32_e32 v23, v23, v36
	v_fmac_f32_e32 v41, v18, v10
	v_add_f32_e32 v33, v34, v33
	s_delay_alu instid0(VALU_DEP_3) | instskip(SKIP_1) | instid1(VALU_DEP_3)
	v_dual_fmac_f32 v23, v18, v6 :: v_dual_and_b32 v34, 0xffff0000, v5
	v_lshlrev_b32_e32 v5, 16, v5
	v_add_f32_e32 v22, v33, v41
	s_delay_alu instid0(VALU_DEP_3) | instskip(SKIP_1) | instid1(VALU_DEP_2)
	v_dual_mul_f32 v16, v24, v34 :: v_dual_and_b32 v33, 0xffff0000, v0
	v_lshlrev_b32_e32 v0, 16, v0
	v_fmac_f32_e32 v16, v17, v5
	s_delay_alu instid0(VALU_DEP_3) | instskip(NEXT) | instid1(VALU_DEP_2)
	v_mul_f32_e32 v30, v33, v30
	v_dual_add_f32 v16, v29, v16 :: v_dual_and_b32 v29, 0xffff0000, v1
	s_delay_alu instid0(VALU_DEP_2) | instskip(NEXT) | instid1(VALU_DEP_2)
	v_dual_fmac_f32 v30, v0, v12 :: v_dual_lshlrev_b32 v1, 16, v1
	v_mul_f32_e32 v12, v29, v26
	v_and_b32_e32 v26, 0xffff0000, v2
	v_lshlrev_b32_e32 v2, 16, v2
	v_mul_f32_e32 v18, v31, v37
	s_delay_alu instid0(VALU_DEP_3) | instskip(SKIP_2) | instid1(VALU_DEP_3)
	v_dual_fmac_f32 v12, v1, v13 :: v_dual_mul_f32 v13, v26, v27
	v_and_b32_e32 v24, 0xffff0000, v11
	v_lshlrev_b32_e32 v11, 16, v11
	v_dual_fmac_f32 v18, v19, v7 :: v_dual_fmac_f32 v13, v2, v14
	s_delay_alu instid0(VALU_DEP_3) | instskip(NEXT) | instid1(VALU_DEP_1)
	v_mul_f32_e32 v17, v31, v24
	v_fmac_f32_e32 v17, v19, v11
	v_dual_mul_f32 v19, v33, v39 :: v_dual_add_f32 v28, v28, v30
	s_delay_alu instid0(VALU_DEP_1) | instskip(NEXT) | instid1(VALU_DEP_2)
	v_dual_add_f32 v60, v22, v17 :: v_dual_fmac_f32 v19, v0, v4
	v_add_f32_e32 v12, v28, v12
	s_delay_alu instid0(VALU_DEP_1) | instskip(SKIP_3) | instid1(VALU_DEP_4)
	v_dual_add_f32 v12, v12, v13 :: v_dual_and_b32 v13, 0xffff0000, v3
	v_lshlrev_b32_e32 v3, 16, v3
	v_add_f32_e32 v14, v16, v23
	v_mul_f32_e32 v16, v33, v25
	v_mul_f32_e32 v23, v13, v32
	s_delay_alu instid0(VALU_DEP_2) | instskip(SKIP_1) | instid1(VALU_DEP_3)
	v_fmac_f32_e32 v16, v0, v8
	v_mul_f32_e32 v8, v29, v35
	v_dual_mul_f32 v0, v29, v34 :: v_dual_fmac_f32 v23, v3, v15
	s_delay_alu instid0(VALU_DEP_3) | instskip(NEXT) | instid1(VALU_DEP_3)
	v_add_f32_e32 v4, v21, v16
	v_fmac_f32_e32 v8, v1, v9
	v_add_f32_e32 v16, v20, v19
	s_delay_alu instid0(VALU_DEP_4) | instskip(SKIP_4) | instid1(VALU_DEP_4)
	v_fmac_f32_e32 v0, v1, v5
	v_mul_f32_e32 v5, v13, v24
	v_mul_f32_e32 v9, v26, v38
	;; [unrolled: 1-line block ×3, first 2 shown]
	v_add_f32_e32 v4, v4, v8
	v_dual_add_f32 v0, v16, v0 :: v_dual_fmac_f32 v5, v3, v11
	s_delay_alu instid0(VALU_DEP_4) | instskip(NEXT) | instid1(VALU_DEP_4)
	v_fmac_f32_e32 v9, v2, v10
	v_dual_fmac_f32 v1, v2, v6 :: v_dual_mul_f32 v2, v13, v37
	v_add_f32_e32 v58, v12, v23
	s_delay_alu instid0(VALU_DEP_3) | instskip(NEXT) | instid1(VALU_DEP_3)
	v_add_f32_e32 v4, v4, v9
	v_add_f32_e32 v0, v0, v1
	s_delay_alu instid0(VALU_DEP_4) | instskip(NEXT) | instid1(VALU_DEP_3)
	v_fmac_f32_e32 v2, v3, v7
	v_add_f32_e32 v56, v4, v5
	s_delay_alu instid0(VALU_DEP_2)
	v_add_f32_e32 v55, v0, v2
	v_add_f32_e32 v59, v14, v18
	s_cbranch_scc1 .LBB209_15
.LBB209_12:                             ;   Parent Loop BB209_8 Depth=1
                                        ; =>  This Inner Loop Header: Depth=2
	v_dual_mov_b32 v19, 0 :: v_dual_add_nc_u32 v18, s19, v50
	v_dual_mov_b32 v23, 0 :: v_dual_mov_b32 v22, 0
	v_dual_mov_b32 v21, 0 :: v_dual_mov_b32 v20, 0
	s_delay_alu instid0(VALU_DEP_3) | instskip(SKIP_3) | instid1(VALU_DEP_4)
	v_min_u32_e32 v41, s14, v18
	v_add_nc_u32_e32 v61, 0x200, v18
	v_dual_mov_b32 v39, 0 :: v_dual_mov_b32 v38, 0
	v_dual_mov_b32 v37, 0 :: v_dual_mov_b32 v36, 0
	v_lshlrev_b64 v[0:1], 1, v[41:42]
	s_delay_alu instid0(VALU_DEP_4) | instskip(SKIP_1) | instid1(VALU_DEP_2)
	v_min_u32_e32 v41, s14, v61
	s_waitcnt lgkmcnt(0)
	v_add_co_u32 v6, vcc_lo, s2, v0
	s_delay_alu instid0(VALU_DEP_3) | instskip(NEXT) | instid1(VALU_DEP_3)
	v_add_co_ci_u32_e32 v7, vcc_lo, s3, v1, vcc_lo
	v_lshlrev_b64 v[0:1], 1, v[41:42]
	s_delay_alu instid0(VALU_DEP_3) | instskip(NEXT) | instid1(VALU_DEP_3)
	v_add_co_u32 v2, vcc_lo, v6, v44
	v_add_co_ci_u32_e32 v3, vcc_lo, v7, v45, vcc_lo
	v_add_co_u32 v4, vcc_lo, v6, v48
	v_add_co_ci_u32_e32 v5, vcc_lo, v7, v49, vcc_lo
	;; [unrolled: 2-line block ×4, first 2 shown]
	s_delay_alu instid0(VALU_DEP_4) | instskip(NEXT) | instid1(VALU_DEP_4)
	v_add_co_u32 v6, vcc_lo, v10, v44
	v_add_co_ci_u32_e32 v7, vcc_lo, v11, v45, vcc_lo
	v_add_co_u32 v8, vcc_lo, v10, v48
	v_add_co_ci_u32_e32 v9, vcc_lo, v11, v49, vcc_lo
	;; [unrolled: 2-line block ×3, first 2 shown]
	s_clause 0x5
	global_load_b128 v[32:35], v[2:3], off slc dlc
	global_load_b128 v[28:31], v[4:5], off slc dlc
	;; [unrolled: 1-line block ×6, first 2 shown]
	v_mov_b32_e32 v3, 0
	v_cmp_gt_u32_e32 vcc_lo, s4, v18
	v_dual_mov_b32 v2, 0 :: v_dual_mov_b32 v1, 0
	v_mov_b32_e32 v0, 0
	v_dual_mov_b32 v18, 0 :: v_dual_mov_b32 v17, 0
	v_mov_b32_e32 v16, 0
	s_and_saveexec_b32 s20, vcc_lo
	s_cbranch_execz .LBB209_11
; %bb.13:                               ;   in Loop: Header=BB209_12 Depth=2
	v_dual_mov_b32 v16, 0 :: v_dual_add_nc_u32 v41, s6, v54
	v_dual_mov_b32 v17, 0 :: v_dual_mov_b32 v18, 0
	ds_load_b128 v[36:39], v54
	ds_load_b128 v[20:23], v41
	v_dual_mov_b32 v19, 0 :: v_dual_mov_b32 v0, 0
	v_dual_mov_b32 v1, 0 :: v_dual_mov_b32 v2, 0
	v_mov_b32_e32 v3, 0
	s_mov_b32 s21, exec_lo
	v_cmpx_gt_u32_e64 s4, v61
	s_cbranch_execz .LBB209_10
; %bb.14:                               ;   in Loop: Header=BB209_12 Depth=2
	ds_load_b128 v[16:19], v54 offset:1024
	ds_load_b128 v[0:3], v41 offset:1024
	s_branch .LBB209_10
.LBB209_15:                             ;   in Loop: Header=BB209_8 Depth=1
	; sched_barrier mask(0x00000000)
	s_delay_alu instid0(VALU_DEP_1)
	v_cvt_i32_f32_e32 v0, v57
	s_waitcnt lgkmcnt(0)
	v_cvt_i32_f32_e32 v1, v60
	v_cvt_i32_f32_e32 v2, v59
	;; [unrolled: 1-line block ×4, first 2 shown]
	v_cvt_f32_i32_dpp v0, v0 row_shr:8 row_mask:0xf bank_mask:0xf bound_ctrl:1
	v_cvt_i32_f32_e32 v5, v55
	v_cvt_f32_i32_dpp v1, v1 row_shr:8 row_mask:0xf bank_mask:0xf bound_ctrl:1
	v_cvt_f32_i32_dpp v2, v2 row_shr:8 row_mask:0xf bank_mask:0xf bound_ctrl:1
	;; [unrolled: 1-line block ×3, first 2 shown]
	v_add_f32_e32 v0, v57, v0
	v_cvt_f32_i32_dpp v4, v4 row_shr:8 row_mask:0xf bank_mask:0xf bound_ctrl:1
	v_add_f32_e32 v1, v60, v1
	v_cvt_f32_i32_dpp v5, v5 row_shr:8 row_mask:0xf bank_mask:0xf bound_ctrl:1
	v_dual_add_f32 v2, v59, v2 :: v_dual_add_f32 v3, v58, v3
	v_cvt_i32_f32_e32 v6, v0
	s_delay_alu instid0(VALU_DEP_3) | instskip(SKIP_1) | instid1(VALU_DEP_4)
	v_dual_add_f32 v4, v56, v4 :: v_dual_add_f32 v5, v55, v5
	v_cvt_i32_f32_e32 v7, v1
	v_cvt_i32_f32_e32 v8, v2
	s_delay_alu instid0(VALU_DEP_4) | instskip(SKIP_3) | instid1(VALU_DEP_4)
	v_cvt_f32_i32_dpp v6, v6 row_shr:4 row_mask:0xf bank_mask:0xf bound_ctrl:1
	v_cvt_i32_f32_e32 v9, v3
	v_cvt_i32_f32_e32 v10, v4
	;; [unrolled: 1-line block ×3, first 2 shown]
	v_add_f32_e32 v0, v0, v6
	v_cvt_f32_i32_dpp v6, v7 row_shr:4 row_mask:0xf bank_mask:0xf bound_ctrl:1
	v_cvt_f32_i32_dpp v7, v8 row_shr:4 row_mask:0xf bank_mask:0xf bound_ctrl:1
	;; [unrolled: 1-line block ×5, first 2 shown]
	s_delay_alu instid0(VALU_DEP_4) | instskip(NEXT) | instid1(VALU_DEP_4)
	v_dual_add_f32 v1, v1, v6 :: v_dual_add_f32 v2, v2, v7
	v_add_f32_e32 v3, v3, v8
	v_cvt_i32_f32_e32 v10, v0
	s_delay_alu instid0(VALU_DEP_4) | instskip(NEXT) | instid1(VALU_DEP_4)
	v_dual_add_f32 v4, v4, v9 :: v_dual_add_f32 v5, v5, v11
	v_cvt_i32_f32_e32 v7, v1
	v_cvt_i32_f32_e32 v8, v2
	s_delay_alu instid0(VALU_DEP_4) | instskip(NEXT) | instid1(VALU_DEP_4)
	v_cvt_f32_i32_dpp v6, v10 row_shr:2 row_mask:0xf bank_mask:0xf bound_ctrl:1
	v_cvt_i32_f32_e32 v9, v4
	v_cvt_i32_f32_e32 v10, v5
	v_cvt_f32_i32_dpp v7, v7 row_shr:2 row_mask:0xf bank_mask:0xf bound_ctrl:1
	v_cvt_f32_i32_dpp v8, v8 row_shr:2 row_mask:0xf bank_mask:0xf bound_ctrl:1
	v_add_f32_e32 v0, v0, v6
	v_cvt_i32_f32_e32 v6, v3
	v_cvt_f32_i32_dpp v9, v9 row_shr:2 row_mask:0xf bank_mask:0xf bound_ctrl:1
	v_add_f32_e32 v1, v1, v7
	v_cvt_f32_i32_dpp v10, v10 row_shr:2 row_mask:0xf bank_mask:0xf bound_ctrl:1
	v_cvt_i32_f32_e32 v11, v0
	v_cvt_f32_i32_dpp v6, v6 row_shr:2 row_mask:0xf bank_mask:0xf bound_ctrl:1
	v_add_f32_e32 v2, v2, v8
	s_delay_alu instid0(VALU_DEP_4) | instskip(NEXT) | instid1(VALU_DEP_4)
	v_dual_add_f32 v4, v4, v9 :: v_dual_add_f32 v5, v5, v10
	v_cvt_f32_i32_dpp v11, v11 row_shr:1 row_mask:0xf bank_mask:0xf bound_ctrl:1
	s_delay_alu instid0(VALU_DEP_4) | instskip(NEXT) | instid1(VALU_DEP_4)
	v_add_f32_e32 v3, v3, v6
	v_cvt_i32_f32_e32 v6, v2
	s_delay_alu instid0(VALU_DEP_4) | instskip(SKIP_1) | instid1(VALU_DEP_4)
	v_cvt_i32_f32_e32 v8, v4
	v_cvt_i32_f32_e32 v9, v5
	;; [unrolled: 1-line block ×3, first 2 shown]
	s_delay_alu instid0(VALU_DEP_4)
	v_cvt_f32_i32_dpp v6, v6 row_shr:1 row_mask:0xf bank_mask:0xf bound_ctrl:1
	v_add_f32_e32 v12, v0, v11
	v_cvt_i32_f32_e32 v0, v1
	v_cvt_f32_i32_dpp v8, v8 row_shr:1 row_mask:0xf bank_mask:0xf bound_ctrl:1
	v_cvt_f32_i32_dpp v7, v7 row_shr:1 row_mask:0xf bank_mask:0xf bound_ctrl:1
	;; [unrolled: 1-line block ×3, first 2 shown]
	v_add_f32_e32 v9, v2, v6
	v_cvt_f32_i32_dpp v0, v0 row_shr:1 row_mask:0xf bank_mask:0xf bound_ctrl:1
	v_add_f32_e32 v4, v4, v8
	v_add_f32_e32 v6, v3, v7
	;; [unrolled: 1-line block ×3, first 2 shown]
	ds_bpermute_b32 v13, v52, v12
	v_add_f32_e32 v0, v1, v0
	ds_bpermute_b32 v10, v52, v9
	ds_bpermute_b32 v7, v52, v6
	;; [unrolled: 1-line block ×5, first 2 shown]
	s_and_saveexec_b32 s19, s0
	s_cbranch_execz .LBB209_7
; %bb.16:                               ;   in Loop: Header=BB209_8 Depth=1
	v_dual_mov_b32 v17, 0 :: v_dual_mov_b32 v16, 0
	v_dual_mov_b32 v15, 0 :: v_dual_mov_b32 v14, 0
	;; [unrolled: 1-line block ×3, first 2 shown]
	s_and_not1_b32 vcc_lo, exec_lo, s18
	s_cbranch_vccnz .LBB209_18
; %bb.17:                               ;   in Loop: Header=BB209_8 Depth=1
	v_mul_hi_u32 v8, v40, v53
	v_mul_hi_u32 v14, v43, v53
	s_delay_alu instid0(VALU_DEP_2) | instskip(NEXT) | instid1(VALU_DEP_2)
	v_mul_lo_u32 v8, v8, s8
	v_mul_lo_u32 v14, v14, s8
	s_delay_alu instid0(VALU_DEP_2) | instskip(NEXT) | instid1(VALU_DEP_2)
	v_sub_nc_u32_e32 v8, v40, v8
	v_sub_nc_u32_e32 v14, v43, v14
	s_delay_alu instid0(VALU_DEP_2) | instskip(SKIP_1) | instid1(VALU_DEP_2)
	v_subrev_nc_u32_e32 v16, s8, v8
	v_cmp_le_u32_e32 vcc_lo, s8, v8
	v_cndmask_b32_e32 v8, v8, v16, vcc_lo
	s_delay_alu instid0(VALU_DEP_4) | instskip(SKIP_1) | instid1(VALU_DEP_1)
	v_cmp_le_u32_e32 vcc_lo, s8, v14
	v_add_nc_u32_e32 v11, 1, v40
	v_mul_hi_u32 v15, v11, v53
	s_delay_alu instid0(VALU_DEP_1) | instskip(NEXT) | instid1(VALU_DEP_1)
	v_mul_lo_u32 v15, v15, s8
	v_sub_nc_u32_e32 v11, v11, v15
	v_subrev_nc_u32_e32 v15, s8, v14
	s_delay_alu instid0(VALU_DEP_2) | instskip(NEXT) | instid1(VALU_DEP_2)
	v_subrev_nc_u32_e32 v16, s8, v11
	v_cndmask_b32_e32 v14, v14, v15, vcc_lo
	v_cmp_le_u32_e32 vcc_lo, s8, v11
	v_mov_b32_e32 v15, v42
	v_subrev_nc_u32_e32 v17, s8, v8
	v_cndmask_b32_e32 v11, v11, v16, vcc_lo
	v_cmp_le_u32_e32 vcc_lo, s8, v8
	v_subrev_nc_u32_e32 v16, s8, v14
	s_delay_alu instid0(VALU_DEP_4) | instskip(SKIP_2) | instid1(VALU_DEP_4)
	v_cndmask_b32_e32 v41, v8, v17, vcc_lo
	v_cmp_le_u32_e32 vcc_lo, s8, v14
	v_subrev_nc_u32_e32 v8, s8, v11
	v_cndmask_b32_e32 v16, v14, v16, vcc_lo
	v_cmp_le_u32_e32 vcc_lo, s8, v11
	v_mov_b32_e32 v17, v42
	v_lshlrev_b64 v[18:19], 1, v[41:42]
	v_dual_cndmask_b32 v14, v11, v8 :: v_dual_add_nc_u32 v41, s17, v41
	s_delay_alu instid0(VALU_DEP_3) | instskip(NEXT) | instid1(VALU_DEP_2)
	v_lshlrev_b64 v[20:21], 1, v[16:17]
	v_lshlrev_b64 v[24:25], 1, v[41:42]
	s_delay_alu instid0(VALU_DEP_3)
	v_lshlrev_b64 v[22:23], 1, v[14:15]
	v_add_nc_u32_e32 v41, s17, v14
	v_add_co_u32 v14, vcc_lo, s10, v18
	v_add_co_ci_u32_e32 v15, vcc_lo, s11, v19, vcc_lo
	v_add_co_u32 v18, vcc_lo, s10, v20
	v_add_co_ci_u32_e32 v19, vcc_lo, s11, v21, vcc_lo
	v_lshlrev_b64 v[20:21], 1, v[41:42]
	v_add_nc_u32_e32 v41, s17, v16
	v_add_co_u32 v22, vcc_lo, s10, v22
	v_add_co_ci_u32_e32 v23, vcc_lo, s11, v23, vcc_lo
	v_add_co_u32 v24, vcc_lo, s10, v24
	s_delay_alu instid0(VALU_DEP_4) | instskip(SKIP_3) | instid1(VALU_DEP_4)
	v_lshlrev_b64 v[16:17], 1, v[41:42]
	v_add_co_ci_u32_e32 v25, vcc_lo, s11, v25, vcc_lo
	v_add_co_u32 v20, vcc_lo, s10, v20
	v_add_co_ci_u32_e32 v21, vcc_lo, s11, v21, vcc_lo
	v_add_co_u32 v26, vcc_lo, s10, v16
	v_add_co_ci_u32_e32 v27, vcc_lo, s11, v17, vcc_lo
	s_clause 0x5
	global_load_u16 v17, v[14:15], off
	global_load_u16 v16, v[22:23], off
	;; [unrolled: 1-line block ×6, first 2 shown]
.LBB209_18:                             ;   in Loop: Header=BB209_8 Depth=1
	s_waitcnt lgkmcnt(0)
	v_add_f32_e32 v12, v12, v13
	s_waitcnt vmcnt(5)
	v_lshlrev_b32_e32 v13, 16, v17
	s_delay_alu instid0(VALU_DEP_1) | instskip(NEXT) | instid1(VALU_DEP_1)
	v_add_f32_e32 v13, v12, v13
	v_and_b32_e32 v12, 0x7f800000, v13
	s_delay_alu instid0(VALU_DEP_1) | instskip(SKIP_1) | instid1(SALU_CYCLE_1)
	v_cmp_ne_u32_e32 vcc_lo, 0x7f800000, v12
                                        ; implicit-def: $vgpr12
	s_and_saveexec_b32 s20, vcc_lo
	s_xor_b32 s20, exec_lo, s20
; %bb.19:                               ;   in Loop: Header=BB209_8 Depth=1
	v_bfe_u32 v12, v13, 16, 1
	s_delay_alu instid0(VALU_DEP_1)
	v_add3_u32 v12, v13, v12, 0x7fff
                                        ; implicit-def: $vgpr13
; %bb.20:                               ;   in Loop: Header=BB209_8 Depth=1
	s_and_not1_saveexec_b32 s20, s20
; %bb.21:                               ;   in Loop: Header=BB209_8 Depth=1
	v_and_b32_e32 v12, 0xffff, v13
	v_or_b32_e32 v17, 0x10000, v13
	s_delay_alu instid0(VALU_DEP_2) | instskip(NEXT) | instid1(VALU_DEP_2)
	v_cmp_eq_u32_e32 vcc_lo, 0, v12
	v_cndmask_b32_e32 v12, v17, v13, vcc_lo
; %bb.22:                               ;   in Loop: Header=BB209_8 Depth=1
	s_or_b32 exec_lo, exec_lo, s20
	s_waitcnt vmcnt(4)
	v_dual_add_f32 v0, v0, v1 :: v_dual_lshlrev_b32 v1, 16, v16
	s_mov_b32 s20, exec_lo
	s_delay_alu instid0(VALU_DEP_1) | instskip(NEXT) | instid1(VALU_DEP_1)
	v_add_f32_e32 v13, v0, v1
	v_dual_mov_b32 v41, v42 :: v_dual_and_b32 v16, 0x7f800000, v13
	s_delay_alu instid0(VALU_DEP_1) | instskip(NEXT) | instid1(VALU_DEP_1)
	v_lshlrev_b64 v[0:1], 1, v[40:41]
	v_add_co_u32 v0, vcc_lo, s12, v0
	s_delay_alu instid0(VALU_DEP_2)
	v_add_co_ci_u32_e32 v1, vcc_lo, s13, v1, vcc_lo
	global_store_d16_hi_b16 v[0:1], v12, off
                                        ; implicit-def: $vgpr12
	v_cmpx_ne_u32_e32 0x7f800000, v16
	s_xor_b32 s20, exec_lo, s20
; %bb.23:                               ;   in Loop: Header=BB209_8 Depth=1
	v_bfe_u32 v12, v13, 16, 1
	s_delay_alu instid0(VALU_DEP_1)
	v_add3_u32 v12, v13, v12, 0x7fff
                                        ; implicit-def: $vgpr13
; %bb.24:                               ;   in Loop: Header=BB209_8 Depth=1
	s_and_not1_saveexec_b32 s20, s20
; %bb.25:                               ;   in Loop: Header=BB209_8 Depth=1
	v_and_b32_e32 v12, 0xffff, v13
	v_or_b32_e32 v16, 0x10000, v13
	s_delay_alu instid0(VALU_DEP_2) | instskip(NEXT) | instid1(VALU_DEP_2)
	v_cmp_eq_u32_e32 vcc_lo, 0, v12
	v_cndmask_b32_e32 v12, v16, v13, vcc_lo
; %bb.26:                               ;   in Loop: Header=BB209_8 Depth=1
	s_or_b32 exec_lo, exec_lo, s20
	s_waitcnt vmcnt(3)
	v_dual_add_f32 v9, v9, v10 :: v_dual_lshlrev_b32 v10, 16, v15
	s_mov_b32 s20, exec_lo
	global_store_d16_hi_b16 v[0:1], v12, off offset:2
                                        ; implicit-def: $vgpr0
	v_add_f32_e32 v9, v9, v10
	s_delay_alu instid0(VALU_DEP_1) | instskip(NEXT) | instid1(VALU_DEP_1)
	v_and_b32_e32 v10, 0x7f800000, v9
	v_cmpx_ne_u32_e32 0x7f800000, v10
	s_xor_b32 s20, exec_lo, s20
; %bb.27:                               ;   in Loop: Header=BB209_8 Depth=1
	v_bfe_u32 v0, v9, 16, 1
	s_delay_alu instid0(VALU_DEP_1)
	v_add3_u32 v0, v9, v0, 0x7fff
                                        ; implicit-def: $vgpr9
; %bb.28:                               ;   in Loop: Header=BB209_8 Depth=1
	s_and_not1_saveexec_b32 s20, s20
; %bb.29:                               ;   in Loop: Header=BB209_8 Depth=1
	v_and_b32_e32 v0, 0xffff, v9
	v_or_b32_e32 v1, 0x10000, v9
	s_delay_alu instid0(VALU_DEP_2) | instskip(NEXT) | instid1(VALU_DEP_2)
	v_cmp_eq_u32_e32 vcc_lo, 0, v0
	v_cndmask_b32_e32 v0, v1, v9, vcc_lo
; %bb.30:                               ;   in Loop: Header=BB209_8 Depth=1
	s_or_b32 exec_lo, exec_lo, s20
	s_waitcnt vmcnt(2)
	v_dual_add_f32 v1, v6, v7 :: v_dual_lshlrev_b32 v6, 16, v14
	v_mov_b32_e32 v44, v42
	s_mov_b32 s20, exec_lo
	s_delay_alu instid0(VALU_DEP_2) | instskip(NEXT) | instid1(VALU_DEP_2)
	v_add_f32_e32 v1, v1, v6
	v_lshlrev_b64 v[6:7], 1, v[43:44]
	s_delay_alu instid0(VALU_DEP_2) | instskip(NEXT) | instid1(VALU_DEP_2)
	v_and_b32_e32 v9, 0x7f800000, v1
	v_add_co_u32 v6, vcc_lo, s12, v6
	s_delay_alu instid0(VALU_DEP_3)
	v_add_co_ci_u32_e32 v7, vcc_lo, s13, v7, vcc_lo
	global_store_d16_hi_b16 v[6:7], v0, off
                                        ; implicit-def: $vgpr0
	v_cmpx_ne_u32_e32 0x7f800000, v9
	s_xor_b32 s20, exec_lo, s20
; %bb.31:                               ;   in Loop: Header=BB209_8 Depth=1
	v_bfe_u32 v0, v1, 16, 1
	s_delay_alu instid0(VALU_DEP_1)
	v_add3_u32 v0, v1, v0, 0x7fff
                                        ; implicit-def: $vgpr1
; %bb.32:                               ;   in Loop: Header=BB209_8 Depth=1
	s_and_not1_saveexec_b32 s20, s20
; %bb.33:                               ;   in Loop: Header=BB209_8 Depth=1
	v_and_b32_e32 v0, 0xffff, v1
	v_or_b32_e32 v6, 0x10000, v1
	s_delay_alu instid0(VALU_DEP_2) | instskip(NEXT) | instid1(VALU_DEP_2)
	v_cmp_eq_u32_e32 vcc_lo, 0, v0
	v_cndmask_b32_e32 v0, v6, v1, vcc_lo
; %bb.34:                               ;   in Loop: Header=BB209_8 Depth=1
	s_or_b32 exec_lo, exec_lo, s20
	s_waitcnt vmcnt(1)
	v_dual_add_f32 v1, v4, v5 :: v_dual_lshlrev_b32 v4, 16, v11
	v_add_nc_u32_e32 v41, s7, v40
	s_mov_b32 s20, exec_lo
	s_delay_alu instid0(VALU_DEP_2) | instskip(NEXT) | instid1(VALU_DEP_2)
	v_add_f32_e32 v1, v1, v4
	v_lshlrev_b64 v[4:5], 1, v[41:42]
	s_delay_alu instid0(VALU_DEP_2) | instskip(NEXT) | instid1(VALU_DEP_2)
	v_and_b32_e32 v6, 0x7f800000, v1
	v_add_co_u32 v4, vcc_lo, s12, v4
	s_delay_alu instid0(VALU_DEP_3)
	v_add_co_ci_u32_e32 v5, vcc_lo, s13, v5, vcc_lo
	global_store_d16_hi_b16 v[4:5], v0, off
                                        ; implicit-def: $vgpr0
	v_cmpx_ne_u32_e32 0x7f800000, v6
	s_xor_b32 s20, exec_lo, s20
; %bb.35:                               ;   in Loop: Header=BB209_8 Depth=1
	v_bfe_u32 v0, v1, 16, 1
	s_delay_alu instid0(VALU_DEP_1)
	v_add3_u32 v0, v1, v0, 0x7fff
                                        ; implicit-def: $vgpr1
; %bb.36:                               ;   in Loop: Header=BB209_8 Depth=1
	s_and_not1_saveexec_b32 s20, s20
; %bb.37:                               ;   in Loop: Header=BB209_8 Depth=1
	v_and_b32_e32 v0, 0xffff, v1
	v_or_b32_e32 v4, 0x10000, v1
	s_delay_alu instid0(VALU_DEP_2) | instskip(NEXT) | instid1(VALU_DEP_2)
	v_cmp_eq_u32_e32 vcc_lo, 0, v0
	v_cndmask_b32_e32 v0, v4, v1, vcc_lo
; %bb.38:                               ;   in Loop: Header=BB209_8 Depth=1
	s_or_b32 exec_lo, exec_lo, s20
	v_dual_add_f32 v1, v2, v3 :: v_dual_add_nc_u32 v2, 1, v41
	s_waitcnt vmcnt(0)
	v_dual_mov_b32 v3, v42 :: v_dual_lshlrev_b32 v4, 16, v8
	s_mov_b32 s20, exec_lo
	s_delay_alu instid0(VALU_DEP_1) | instskip(NEXT) | instid1(VALU_DEP_2)
	v_add_f32_e32 v1, v1, v4
	v_lshlrev_b64 v[2:3], 1, v[2:3]
	s_delay_alu instid0(VALU_DEP_2) | instskip(NEXT) | instid1(VALU_DEP_2)
	v_and_b32_e32 v4, 0x7f800000, v1
	v_add_co_u32 v2, vcc_lo, s12, v2
	s_delay_alu instid0(VALU_DEP_3)
	v_add_co_ci_u32_e32 v3, vcc_lo, s13, v3, vcc_lo
	global_store_d16_hi_b16 v[2:3], v0, off
                                        ; implicit-def: $vgpr0
	v_cmpx_ne_u32_e32 0x7f800000, v4
	s_xor_b32 s20, exec_lo, s20
; %bb.39:                               ;   in Loop: Header=BB209_8 Depth=1
	v_bfe_u32 v0, v1, 16, 1
	s_delay_alu instid0(VALU_DEP_1)
	v_add3_u32 v0, v1, v0, 0x7fff
                                        ; implicit-def: $vgpr1
; %bb.40:                               ;   in Loop: Header=BB209_8 Depth=1
	s_and_not1_saveexec_b32 s20, s20
	s_cbranch_execz .LBB209_6
; %bb.41:                               ;   in Loop: Header=BB209_8 Depth=1
	v_and_b32_e32 v0, 0xffff, v1
	v_or_b32_e32 v2, 0x10000, v1
	s_delay_alu instid0(VALU_DEP_2) | instskip(NEXT) | instid1(VALU_DEP_2)
	v_cmp_eq_u32_e32 vcc_lo, 0, v0
	v_cndmask_b32_e32 v0, v2, v1, vcc_lo
	s_branch .LBB209_6
.LBB209_42:
	s_nop 0
	s_sendmsg sendmsg(MSG_DEALLOC_VGPRS)
	s_endpgm
	.section	.rodata,"a",@progbits
	.p2align	6, 0x0
	.amdhsa_kernel _Z16wvSplitK_hf_sml_I14__hip_bfloat16Li64ELi3ELi16ELi8ELi2ELi2EEviiiiiiPKT_S3_S3_PS1_ii
		.amdhsa_group_segment_fixed_size 65536
		.amdhsa_private_segment_fixed_size 0
		.amdhsa_kernarg_size 64
		.amdhsa_user_sgpr_count 15
		.amdhsa_user_sgpr_dispatch_ptr 0
		.amdhsa_user_sgpr_queue_ptr 0
		.amdhsa_user_sgpr_kernarg_segment_ptr 1
		.amdhsa_user_sgpr_dispatch_id 0
		.amdhsa_user_sgpr_private_segment_size 0
		.amdhsa_wavefront_size32 1
		.amdhsa_uses_dynamic_stack 0
		.amdhsa_enable_private_segment 0
		.amdhsa_system_sgpr_workgroup_id_x 1
		.amdhsa_system_sgpr_workgroup_id_y 0
		.amdhsa_system_sgpr_workgroup_id_z 0
		.amdhsa_system_sgpr_workgroup_info 0
		.amdhsa_system_vgpr_workitem_id 1
		.amdhsa_next_free_vgpr 75
		.amdhsa_next_free_sgpr 22
		.amdhsa_reserve_vcc 1
		.amdhsa_float_round_mode_32 0
		.amdhsa_float_round_mode_16_64 0
		.amdhsa_float_denorm_mode_32 3
		.amdhsa_float_denorm_mode_16_64 3
		.amdhsa_dx10_clamp 1
		.amdhsa_ieee_mode 1
		.amdhsa_fp16_overflow 0
		.amdhsa_workgroup_processor_mode 1
		.amdhsa_memory_ordered 1
		.amdhsa_forward_progress 0
		.amdhsa_shared_vgpr_count 0
		.amdhsa_exception_fp_ieee_invalid_op 0
		.amdhsa_exception_fp_denorm_src 0
		.amdhsa_exception_fp_ieee_div_zero 0
		.amdhsa_exception_fp_ieee_overflow 0
		.amdhsa_exception_fp_ieee_underflow 0
		.amdhsa_exception_fp_ieee_inexact 0
		.amdhsa_exception_int_div_zero 0
	.end_amdhsa_kernel
	.section	.text._Z16wvSplitK_hf_sml_I14__hip_bfloat16Li64ELi3ELi16ELi8ELi2ELi2EEviiiiiiPKT_S3_S3_PS1_ii,"axG",@progbits,_Z16wvSplitK_hf_sml_I14__hip_bfloat16Li64ELi3ELi16ELi8ELi2ELi2EEviiiiiiPKT_S3_S3_PS1_ii,comdat
.Lfunc_end209:
	.size	_Z16wvSplitK_hf_sml_I14__hip_bfloat16Li64ELi3ELi16ELi8ELi2ELi2EEviiiiiiPKT_S3_S3_PS1_ii, .Lfunc_end209-_Z16wvSplitK_hf_sml_I14__hip_bfloat16Li64ELi3ELi16ELi8ELi2ELi2EEviiiiiiPKT_S3_S3_PS1_ii
                                        ; -- End function
	.section	.AMDGPU.csdata,"",@progbits
; Kernel info:
; codeLenInByte = 4100
; NumSgprs: 24
; NumVgprs: 75
; ScratchSize: 0
; MemoryBound: 0
; FloatMode: 240
; IeeeMode: 1
; LDSByteSize: 65536 bytes/workgroup (compile time only)
; SGPRBlocks: 2
; VGPRBlocks: 9
; NumSGPRsForWavesPerEU: 24
; NumVGPRsForWavesPerEU: 75
; Occupancy: 16
; WaveLimiterHint : 0
; COMPUTE_PGM_RSRC2:SCRATCH_EN: 0
; COMPUTE_PGM_RSRC2:USER_SGPR: 15
; COMPUTE_PGM_RSRC2:TRAP_HANDLER: 0
; COMPUTE_PGM_RSRC2:TGID_X_EN: 1
; COMPUTE_PGM_RSRC2:TGID_Y_EN: 0
; COMPUTE_PGM_RSRC2:TGID_Z_EN: 0
; COMPUTE_PGM_RSRC2:TIDIG_COMP_CNT: 1
	.section	.text._Z12wvSplitK_hf_I14__hip_bfloat16Li64ELi3ELi16ELi8ELi2ELi2EEviiiiiiPKT_S3_S3_PS1_ii,"axG",@progbits,_Z12wvSplitK_hf_I14__hip_bfloat16Li64ELi3ELi16ELi8ELi2ELi2EEviiiiiiPKT_S3_S3_PS1_ii,comdat
	.protected	_Z12wvSplitK_hf_I14__hip_bfloat16Li64ELi3ELi16ELi8ELi2ELi2EEviiiiiiPKT_S3_S3_PS1_ii ; -- Begin function _Z12wvSplitK_hf_I14__hip_bfloat16Li64ELi3ELi16ELi8ELi2ELi2EEviiiiiiPKT_S3_S3_PS1_ii
	.globl	_Z12wvSplitK_hf_I14__hip_bfloat16Li64ELi3ELi16ELi8ELi2ELi2EEviiiiiiPKT_S3_S3_PS1_ii
	.p2align	8
	.type	_Z12wvSplitK_hf_I14__hip_bfloat16Li64ELi3ELi16ELi8ELi2ELi2EEviiiiiiPKT_S3_S3_PS1_ii,@function
_Z12wvSplitK_hf_I14__hip_bfloat16Li64ELi3ELi16ELi8ELi2ELi2EEviiiiiiPKT_S3_S3_PS1_ii: ; @_Z12wvSplitK_hf_I14__hip_bfloat16Li64ELi3ELi16ELi8ELi2ELi2EEviiiiiiPKT_S3_S3_PS1_ii
; %bb.0:
	s_clause 0x1
	s_load_b64 s[18:19], s[0:1], 0x38
	s_load_b128 s[4:7], s[0:1], 0x0
	v_bfe_u32 v1, v0, 10, 10
	s_mov_b32 s8, 1
	s_delay_alu instid0(SALU_CYCLE_1) | instskip(SKIP_1) | instid1(SALU_CYCLE_1)
	s_mov_b32 s9, s8
	s_mov_b32 s10, s8
	v_mov_b32_e32 v42, s10
	v_dual_mov_b32 v40, s8 :: v_dual_mov_b32 v41, s9
	s_waitcnt lgkmcnt(0)
	v_mad_u64_u32 v[2:3], null, s15, s18, v[1:2]
	s_clause 0x1
	s_load_b64 s[12:13], s[0:1], 0x20
	s_load_b64 s[14:15], s[0:1], 0x10
	s_delay_alu instid0(VALU_DEP_1) | instskip(NEXT) | instid1(VALU_DEP_1)
	v_lshl_add_u32 v43, v2, 1, v2
	v_add_nc_u32_e32 v2, 3, v43
	v_cmp_gt_u32_e32 vcc_lo, s7, v43
	s_delay_alu instid0(VALU_DEP_2) | instskip(NEXT) | instid1(VALU_DEP_1)
	v_cmp_le_u32_e64 s2, s7, v2
	s_and_b32 s2, vcc_lo, s2
	s_delay_alu instid0(SALU_CYCLE_1)
	s_and_saveexec_b32 s11, s2
	s_cbranch_execz .LBB210_6
; %bb.1:
	v_dual_mov_b32 v42, s10 :: v_dual_mov_b32 v41, s9
	v_mov_b32_e32 v40, s8
	s_add_i32 s16, s7, -3
	s_mov_b32 s17, exec_lo
	v_cmpx_ne_u32_e64 s16, v43
	s_cbranch_execz .LBB210_5
; %bb.2:
	v_subrev_nc_u32_e32 v2, s16, v43
	s_mov_b32 s20, 0
	s_mov_b64 s[2:3], 0
	s_mov_b32 s9, s8
	s_mov_b32 s10, s8
	v_cmp_lt_u32_e32 vcc_lo, 1, v2
	v_cndmask_b32_e32 v2, 1, v2, vcc_lo
.LBB210_3:                              ; =>This Inner Loop Header: Depth=1
	s_cmp_lg_u32 s2, 2
	s_cselect_b32 s10, s10, 0
	s_cmp_lg_u32 s2, 1
	s_cselect_b32 s9, s9, 0
	;; [unrolled: 2-line block ×3, first 2 shown]
	s_add_u32 s2, s2, 1
	v_dual_mov_b32 v42, s10 :: v_dual_mov_b32 v41, s9
	v_cmp_eq_u32_e32 vcc_lo, s2, v2
	v_mov_b32_e32 v40, s8
	s_addc_u32 s3, s3, 0
	s_or_b32 s20, vcc_lo, s20
	s_delay_alu instid0(SALU_CYCLE_1)
	s_and_not1_b32 exec_lo, exec_lo, s20
	s_cbranch_execnz .LBB210_3
; %bb.4:
	s_or_b32 exec_lo, exec_lo, s20
	v_mov_b32_e32 v43, s16
.LBB210_5:
	s_or_b32 exec_lo, exec_lo, s17
.LBB210_6:
	s_delay_alu instid0(SALU_CYCLE_1)
	s_or_b32 exec_lo, exec_lo, s11
	s_load_b64 s[8:9], s[0:1], 0x28
	v_and_b32_e32 v0, 0x3ff, v0
	s_lshl_b32 s2, s6, 1
	s_mov_b32 s10, exec_lo
	s_min_u32 s3, s2, 0x8000
	s_delay_alu instid0(VALU_DEP_1) | instskip(NEXT) | instid1(VALU_DEP_1)
	v_lshlrev_b32_e32 v57, 3, v0
	v_lshl_add_u32 v4, v1, 9, v57
	s_delay_alu instid0(VALU_DEP_1)
	v_cmpx_gt_u32_e64 s3, v4
	s_cbranch_execz .LBB210_9
; %bb.7:
	v_lshlrev_b32_e32 v5, 10, v1
	v_lshlrev_b32_e32 v6, 4, v0
	s_mov_b32 s11, 0
	s_delay_alu instid0(VALU_DEP_1) | instskip(NEXT) | instid1(VALU_DEP_1)
	v_add_co_u32 v2, s2, v5, v6
	v_add_co_ci_u32_e64 v3, null, 0, 0, s2
	v_add_nc_u32_e32 v5, v5, v6
	s_waitcnt lgkmcnt(0)
	s_delay_alu instid0(VALU_DEP_3) | instskip(NEXT) | instid1(VALU_DEP_3)
	v_add_co_u32 v2, vcc_lo, s12, v2
	v_add_co_ci_u32_e32 v3, vcc_lo, s13, v3, vcc_lo
	.p2align	6
.LBB210_8:                              ; =>This Inner Loop Header: Depth=1
	global_load_b128 v[6:9], v[2:3], off
	v_add_nc_u32_e32 v4, 0x2000, v4
	v_add_co_u32 v2, vcc_lo, 0x4000, v2
	v_add_co_ci_u32_e32 v3, vcc_lo, 0, v3, vcc_lo
	s_delay_alu instid0(VALU_DEP_3) | instskip(NEXT) | instid1(VALU_DEP_1)
	v_cmp_le_u32_e64 s2, s3, v4
	s_or_b32 s11, s2, s11
	s_waitcnt vmcnt(0)
	ds_store_b128 v5, v[6:9]
	v_add_nc_u32_e32 v5, 0x4000, v5
	s_and_not1_b32 exec_lo, exec_lo, s11
	s_cbranch_execnz .LBB210_8
.LBB210_9:
	s_or_b32 exec_lo, exec_lo, s10
	v_cmp_gt_u32_e32 vcc_lo, s18, v1
	v_cmp_gt_u32_e64 s2, s7, v43
	s_waitcnt lgkmcnt(0)
	s_barrier
	buffer_gl0_inv
	s_and_b32 s2, vcc_lo, s2
	s_delay_alu instid0(SALU_CYCLE_1)
	s_and_saveexec_b32 s3, s2
	s_cbranch_execz .LBB210_80
; %bb.10:
	v_cvt_f32_u32_e32 v1, s14
	v_mbcnt_lo_u32_b32 v2, -1, 0
	s_cmp_lg_u32 s4, 0
	s_clause 0x1
	s_load_b64 s[10:11], s[0:1], 0x18
	s_load_b64 s[16:17], s[0:1], 0x30
	s_cselect_b32 s20, -1, 0
	v_rcp_iflag_f32_e32 v1, v1
	s_add_i32 s21, s4, -8
	s_add_i32 s22, s7, -1
	s_cmp_lg_u64 s[8:9], 0
	s_mul_i32 s25, s18, s19
	s_cselect_b32 s23, -1, 0
	s_sub_i32 s0, 0, s14
	s_abs_i32 s1, s15
	s_add_i32 s15, s7, -3
	s_sub_i32 s2, 1, s1
	s_waitcnt_depctr 0xfff
	v_mul_f32_e32 v1, 0x4f7ffffe, v1
	s_cmp_lt_u32 s1, 2
	s_mov_b32 s24, 0
	s_cselect_b32 s2, s2, 1
	s_mul_i32 s25, s25, 3
	v_cvt_u32_f32_e32 v1, v1
	s_sub_i32 s3, s2, s1
	s_cmp_ge_u32 s2, s1
	s_cselect_b32 s26, s3, s2
	s_delay_alu instid0(VALU_DEP_1) | instskip(SKIP_3) | instid1(VALU_DEP_1)
	v_mul_lo_u32 v3, s0, v1
	v_cmp_eq_u32_e64 s0, 63, v0
	v_xor_b32_e32 v0, 16, v2
	s_mul_i32 s26, s26, s14
	v_cmp_gt_i32_e32 vcc_lo, 32, v0
	s_delay_alu instid0(VALU_DEP_4) | instskip(SKIP_1) | instid1(VALU_DEP_2)
	v_mul_hi_u32 v3, v1, v3
	v_dual_cndmask_b32 v0, v2, v0 :: v_dual_mov_b32 v45, 0
	v_add_nc_u32_e32 v59, v1, v3
	s_delay_alu instid0(VALU_DEP_2)
	v_lshlrev_b32_e32 v58, 2, v0
	s_branch .LBB210_13
.LBB210_11:                             ;   in Loop: Header=BB210_13 Depth=1
	s_or_b32 exec_lo, exec_lo, s28
	v_mov_b32_e32 v43, s15
.LBB210_12:                             ;   in Loop: Header=BB210_13 Depth=1
	s_or_b32 exec_lo, exec_lo, s27
	s_delay_alu instid0(VALU_DEP_1) | instskip(SKIP_1) | instid1(SALU_CYCLE_1)
	v_cmp_le_u32_e32 vcc_lo, s7, v43
	s_or_b32 s24, vcc_lo, s24
	s_and_not1_b32 exec_lo, exec_lo, s24
	s_cbranch_execz .LBB210_80
.LBB210_13:                             ; =>This Loop Header: Depth=1
                                        ;     Child Loop BB210_18 Depth 2
                                        ;     Child Loop BB210_78 Depth 2
	s_delay_alu instid0(VALU_DEP_3)
	v_dual_mov_b32 v60, v45 :: v_dual_add_nc_u32 v47, 1, v43
	v_dual_mov_b32 v61, v45 :: v_dual_add_nc_u32 v46, 2, v43
	v_mov_b32_e32 v63, v45
	v_mov_b32_e32 v64, v45
	;; [unrolled: 1-line block ×4, first 2 shown]
	s_and_not1_b32 vcc_lo, exec_lo, s20
	s_cbranch_vccnz .LBB210_36
; %bb.14:                               ;   in Loop: Header=BB210_13 Depth=1
	v_min_u32_e32 v0, s22, v43
	s_waitcnt lgkmcnt(0)
	v_min_u32_e32 v1, s22, v47
	v_min_u32_e32 v2, s22, v46
	v_dual_mov_b32 v3, v45 :: v_dual_mov_b32 v64, 0
	v_mul_lo_u32 v44, v0, s5
	s_delay_alu instid0(VALU_DEP_4) | instskip(NEXT) | instid1(VALU_DEP_4)
	v_mul_lo_u32 v0, v1, s5
	v_mul_lo_u32 v2, v2, s5
	v_dual_mov_b32 v1, v45 :: v_dual_mov_b32 v62, 0
	v_dual_mov_b32 v65, 0 :: v_dual_mov_b32 v60, 0
	v_mov_b32_e32 v63, 0
	v_lshlrev_b64 v[48:49], 1, v[44:45]
	s_delay_alu instid0(VALU_DEP_4)
	v_lshlrev_b64 v[50:51], 1, v[0:1]
	v_lshlrev_b64 v[52:53], 1, v[2:3]
	v_mov_b32_e32 v61, 0
	s_mov_b32 s1, 0
	s_branch .LBB210_18
.LBB210_15:                             ;   in Loop: Header=BB210_18 Depth=2
	s_or_b32 exec_lo, exec_lo, s18
.LBB210_16:                             ;   in Loop: Header=BB210_18 Depth=2
	s_delay_alu instid0(SALU_CYCLE_1)
	s_or_b32 exec_lo, exec_lo, s3
.LBB210_17:                             ;   in Loop: Header=BB210_18 Depth=2
	s_delay_alu instid0(SALU_CYCLE_1)
	s_or_b32 exec_lo, exec_lo, s2
	s_waitcnt vmcnt(0) lgkmcnt(0)
	v_and_b32_e32 v55, 0xffff0000, v33
	v_and_b32_e32 v56, 0xffff0000, v29
	v_lshlrev_b32_e32 v33, 16, v33
	v_lshlrev_b32_e32 v29, 16, v29
	v_and_b32_e32 v81, 0xffff0000, v4
	s_delay_alu instid0(VALU_DEP_4) | instskip(SKIP_3) | instid1(VALU_DEP_4)
	v_dual_mul_f32 v67, v55, v56 :: v_dual_and_b32 v68, 0xffff0000, v34
	v_and_b32_e32 v44, 0xffff0000, v32
	v_lshlrev_b32_e32 v32, 16, v32
	v_lshlrev_b32_e32 v34, 16, v34
	v_dual_fmac_f32 v67, v33, v29 :: v_dual_and_b32 v70, 0xffff0000, v35
	v_and_b32_e32 v54, 0xffff0000, v28
	v_lshlrev_b32_e32 v28, 16, v28
	v_and_b32_e32 v76, 0xffff0000, v27
	v_lshlrev_b32_e32 v27, 16, v27
	v_and_b32_e32 v78, 0xffff0000, v38
	v_mul_f32_e32 v66, v44, v54
	v_lshlrev_b32_e32 v38, 16, v38
	s_addk_i32 s1, 0x400
	v_and_b32_e32 v71, 0xffff0000, v31
	s_cmp_ge_u32 s1, s4
	v_dual_fmac_f32 v66, v32, v28 :: v_dual_and_b32 v77, 0xffff0000, v22
	v_lshlrev_b32_e32 v22, 16, v22
	s_delay_alu instid0(VALU_DEP_3) | instskip(NEXT) | instid1(VALU_DEP_3)
	v_dual_mul_f32 v72, v70, v71 :: v_dual_and_b32 v79, 0xffff0000, v18
	v_add_f32_e32 v62, v62, v66
	v_and_b32_e32 v69, 0xffff0000, v30
	v_lshlrev_b32_e32 v30, 16, v30
	s_delay_alu instid0(VALU_DEP_3) | instskip(NEXT) | instid1(VALU_DEP_3)
	v_add_f32_e32 v62, v62, v67
	v_dual_mul_f32 v66, v68, v69 :: v_dual_and_b32 v67, 0xffff0000, v24
	v_lshlrev_b32_e32 v18, 16, v18
	s_delay_alu instid0(VALU_DEP_2) | instskip(NEXT) | instid1(VALU_DEP_1)
	v_dual_fmac_f32 v66, v34, v30 :: v_dual_lshlrev_b32 v35, 16, v35
	v_dual_mul_f32 v73, v44, v67 :: v_dual_add_f32 v62, v62, v66
	v_and_b32_e32 v66, 0xffff0000, v25
	v_lshlrev_b32_e32 v31, 16, v31
	s_delay_alu instid0(VALU_DEP_2) | instskip(NEXT) | instid1(VALU_DEP_2)
	v_dual_mul_f32 v74, v55, v66 :: v_dual_lshlrev_b32 v25, 16, v25
	v_fmac_f32_e32 v72, v35, v31
	s_delay_alu instid0(VALU_DEP_2) | instskip(NEXT) | instid1(VALU_DEP_2)
	v_fmac_f32_e32 v74, v33, v25
	v_add_f32_e32 v62, v62, v72
	v_and_b32_e32 v72, 0xffff0000, v26
	v_lshlrev_b32_e32 v26, 16, v26
	v_lshlrev_b32_e32 v4, 16, v4
	s_delay_alu instid0(VALU_DEP_3) | instskip(NEXT) | instid1(VALU_DEP_1)
	v_mul_f32_e32 v75, v68, v72
	v_dual_fmac_f32 v75, v34, v26 :: v_dual_lshlrev_b32 v24, 16, v24
	s_delay_alu instid0(VALU_DEP_1) | instskip(NEXT) | instid1(VALU_DEP_1)
	v_fmac_f32_e32 v73, v32, v24
	v_add_f32_e32 v65, v65, v73
	v_and_b32_e32 v73, 0xffff0000, v20
	s_delay_alu instid0(VALU_DEP_2) | instskip(NEXT) | instid1(VALU_DEP_2)
	v_dual_add_f32 v65, v65, v74 :: v_dual_lshlrev_b32 v20, 16, v20
	v_mul_f32_e32 v44, v44, v73
	s_delay_alu instid0(VALU_DEP_1) | instskip(NEXT) | instid1(VALU_DEP_1)
	v_fmac_f32_e32 v44, v32, v20
	v_add_f32_e32 v44, v64, v44
	v_mul_f32_e32 v64, v68, v77
	v_and_b32_e32 v68, 0xffff0000, v23
	s_delay_alu instid0(VALU_DEP_2) | instskip(SKIP_2) | instid1(VALU_DEP_1)
	v_dual_fmac_f32 v64, v34, v22 :: v_dual_lshlrev_b32 v23, 16, v23
	v_lshlrev_b32_e32 v34, 16, v36
	v_and_b32_e32 v74, 0xffff0000, v21
	v_dual_mul_f32 v32, v55, v74 :: v_dual_lshlrev_b32 v21, 16, v21
	s_delay_alu instid0(VALU_DEP_1) | instskip(SKIP_3) | instid1(VALU_DEP_4)
	v_fmac_f32_e32 v32, v33, v21
	v_add_f32_e32 v33, v65, v75
	v_and_b32_e32 v65, 0xffff0000, v16
	v_lshlrev_b32_e32 v16, 16, v16
	v_add_f32_e32 v32, v44, v32
	v_and_b32_e32 v44, 0xffff0000, v36
	s_delay_alu instid0(VALU_DEP_2) | instskip(NEXT) | instid1(VALU_DEP_2)
	v_add_f32_e32 v32, v32, v64
	v_mul_f32_e32 v83, v44, v81
	v_mul_f32_e32 v55, v70, v76
	;; [unrolled: 1-line block ×3, first 2 shown]
	v_and_b32_e32 v80, 0xffff0000, v19
	v_lshlrev_b32_e32 v19, 16, v19
	v_fmac_f32_e32 v83, v34, v4
	v_fmac_f32_e32 v55, v35, v27
	v_dual_fmac_f32 v70, v35, v23 :: v_dual_and_b32 v35, 0xffff0000, v5
	v_lshlrev_b32_e32 v5, 16, v5
	s_delay_alu instid0(VALU_DEP_2) | instskip(SKIP_3) | instid1(VALU_DEP_4)
	v_dual_add_f32 v33, v33, v55 :: v_dual_add_f32 v32, v32, v70
	v_and_b32_e32 v70, 0xffff0000, v6
	v_lshlrev_b32_e32 v6, 16, v6
	v_and_b32_e32 v55, 0xffff0000, v37
	v_add_f32_e32 v33, v33, v83
	v_lshlrev_b32_e32 v37, 16, v37
	v_dual_mul_f32 v83, v78, v70 :: v_dual_mul_f32 v36, v44, v65
	s_delay_alu instid0(VALU_DEP_1) | instskip(NEXT) | instid1(VALU_DEP_2)
	v_dual_mul_f32 v84, v55, v35 :: v_dual_fmac_f32 v83, v38, v6
	v_fmac_f32_e32 v36, v34, v16
	s_delay_alu instid0(VALU_DEP_2) | instskip(SKIP_1) | instid1(VALU_DEP_3)
	v_fmac_f32_e32 v84, v37, v5
	v_and_b32_e32 v64, 0xffff0000, v17
	v_dual_add_f32 v36, v62, v36 :: v_dual_lshlrev_b32 v17, 16, v17
	s_delay_alu instid0(VALU_DEP_3) | instskip(NEXT) | instid1(VALU_DEP_3)
	v_add_f32_e32 v33, v33, v84
	v_dual_mul_f32 v75, v55, v64 :: v_dual_and_b32 v84, 0xffff0000, v7
	v_lshlrev_b32_e32 v7, 16, v7
	s_delay_alu instid0(VALU_DEP_3) | instskip(NEXT) | instid1(VALU_DEP_3)
	v_add_f32_e32 v33, v33, v83
	v_dual_fmac_f32 v75, v37, v17 :: v_dual_mul_f32 v62, v78, v79
	s_delay_alu instid0(VALU_DEP_1) | instskip(NEXT) | instid1(VALU_DEP_2)
	v_add_f32_e32 v36, v36, v75
	v_dual_fmac_f32 v62, v38, v18 :: v_dual_and_b32 v75, 0xffff0000, v39
	s_delay_alu instid0(VALU_DEP_1) | instskip(NEXT) | instid1(VALU_DEP_2)
	v_dual_mul_f32 v82, v75, v80 :: v_dual_lshlrev_b32 v39, 16, v39
	v_add_f32_e32 v36, v36, v62
	s_delay_alu instid0(VALU_DEP_2) | instskip(NEXT) | instid1(VALU_DEP_1)
	v_fmac_f32_e32 v82, v39, v19
	v_add_f32_e32 v62, v36, v82
	v_and_b32_e32 v36, 0xffff0000, v0
	v_lshlrev_b32_e32 v0, 16, v0
	v_and_b32_e32 v82, 0xffff0000, v1
	s_delay_alu instid0(VALU_DEP_3) | instskip(NEXT) | instid1(VALU_DEP_1)
	v_dual_mul_f32 v44, v44, v36 :: v_dual_lshlrev_b32 v1, 16, v1
	v_fmac_f32_e32 v44, v34, v0
	s_delay_alu instid0(VALU_DEP_3) | instskip(SKIP_2) | instid1(VALU_DEP_4)
	v_mul_f32_e32 v34, v55, v82
	v_and_b32_e32 v55, 0xffff0000, v2
	v_lshlrev_b32_e32 v2, 16, v2
	v_add_f32_e32 v32, v32, v44
	s_delay_alu instid0(VALU_DEP_3) | instskip(SKIP_2) | instid1(VALU_DEP_3)
	v_dual_fmac_f32 v34, v37, v1 :: v_dual_mul_f32 v37, v78, v55
	v_and_b32_e32 v44, 0xffff0000, v8
	v_lshlrev_b32_e32 v8, 16, v8
	v_add_f32_e32 v32, v32, v34
	s_delay_alu instid0(VALU_DEP_4) | instskip(NEXT) | instid1(VALU_DEP_4)
	v_fmac_f32_e32 v37, v38, v2
	v_mul_f32_e32 v34, v44, v54
	v_and_b32_e32 v38, 0xffff0000, v9
	v_lshlrev_b32_e32 v9, 16, v9
	v_and_b32_e32 v54, 0xffff0000, v10
	v_lshlrev_b32_e32 v10, 16, v10
	v_fmac_f32_e32 v34, v8, v28
	v_mul_f32_e32 v28, v38, v56
	v_mul_f32_e32 v56, v44, v67
	;; [unrolled: 1-line block ×3, first 2 shown]
	s_delay_alu instid0(VALU_DEP_4) | instskip(NEXT) | instid1(VALU_DEP_4)
	v_add_f32_e32 v34, v63, v34
	v_fmac_f32_e32 v28, v9, v29
	s_delay_alu instid0(VALU_DEP_4) | instskip(SKIP_2) | instid1(VALU_DEP_4)
	v_dual_mul_f32 v63, v54, v69 :: v_dual_fmac_f32 v56, v8, v24
	v_mul_f32_e32 v24, v38, v66
	v_fmac_f32_e32 v44, v8, v20
	v_add_f32_e32 v28, v34, v28
	s_delay_alu instid0(VALU_DEP_4) | instskip(NEXT) | instid1(VALU_DEP_4)
	v_dual_fmac_f32 v63, v10, v30 :: v_dual_and_b32 v34, 0xffff0000, v11
	v_dual_fmac_f32 v24, v9, v25 :: v_dual_lshlrev_b32 v11, 16, v11
	v_mul_f32_e32 v25, v54, v72
	s_delay_alu instid0(VALU_DEP_3) | instskip(NEXT) | instid1(VALU_DEP_4)
	v_mul_f32_e32 v30, v34, v71
	v_add_f32_e32 v28, v28, v63
	v_mul_f32_e32 v8, v38, v74
	s_delay_alu instid0(VALU_DEP_4) | instskip(NEXT) | instid1(VALU_DEP_4)
	v_dual_add_f32 v56, v61, v56 :: v_dual_fmac_f32 v25, v10, v26
	v_fmac_f32_e32 v30, v11, v31
	v_and_b32_e32 v26, 0xffff0000, v12
	s_delay_alu instid0(VALU_DEP_4) | instskip(NEXT) | instid1(VALU_DEP_3)
	v_dual_fmac_f32 v8, v9, v21 :: v_dual_lshlrev_b32 v9, 16, v12
	v_dual_mul_f32 v21, v34, v76 :: v_dual_add_f32 v20, v28, v30
	s_delay_alu instid0(VALU_DEP_3) | instskip(SKIP_3) | instid1(VALU_DEP_4)
	v_mul_f32_e32 v12, v26, v65
	v_and_b32_e32 v28, 0xffff0000, v13
	v_mul_f32_e32 v30, v54, v77
	v_lshlrev_b32_e32 v13, 16, v13
	v_dual_fmac_f32 v21, v11, v27 :: v_dual_fmac_f32 v12, v9, v16
	s_delay_alu instid0(VALU_DEP_4) | instskip(NEXT) | instid1(VALU_DEP_4)
	v_mul_f32_e32 v16, v28, v64
	v_fmac_f32_e32 v30, v10, v22
	v_and_b32_e32 v10, 0xffff0000, v14
	v_mul_f32_e32 v22, v34, v68
	v_add_f32_e32 v12, v20, v12
	v_fmac_f32_e32 v16, v13, v17
	s_delay_alu instid0(VALU_DEP_4) | instskip(NEXT) | instid1(VALU_DEP_4)
	v_dual_mul_f32 v17, v10, v79 :: v_dual_lshlrev_b32 v14, 16, v14
	v_fmac_f32_e32 v22, v11, v23
	v_add_f32_e32 v24, v56, v24
	s_delay_alu instid0(VALU_DEP_4) | instskip(NEXT) | instid1(VALU_DEP_4)
	v_dual_add_f32 v11, v12, v16 :: v_dual_mul_f32 v16, v26, v81
	v_fmac_f32_e32 v17, v14, v18
	v_mul_f32_e32 v18, v26, v36
	s_delay_alu instid0(VALU_DEP_4) | instskip(SKIP_1) | instid1(VALU_DEP_4)
	v_add_f32_e32 v24, v24, v25
	v_add_f32_e32 v25, v60, v44
	v_dual_fmac_f32 v16, v9, v4 :: v_dual_add_f32 v11, v11, v17
	v_and_b32_e32 v17, 0xffff0000, v15
	s_delay_alu instid0(VALU_DEP_3) | instskip(SKIP_2) | instid1(VALU_DEP_4)
	v_dual_add_f32 v8, v25, v8 :: v_dual_lshlrev_b32 v15, 16, v15
	v_add_f32_e32 v12, v24, v21
	v_mul_f32_e32 v4, v28, v35
	v_mul_f32_e32 v20, v17, v80
	v_fmac_f32_e32 v18, v9, v0
	v_add_f32_e32 v8, v8, v30
	s_delay_alu instid0(VALU_DEP_4) | instskip(NEXT) | instid1(VALU_DEP_4)
	v_dual_add_f32 v9, v12, v16 :: v_dual_fmac_f32 v4, v13, v5
	v_dual_fmac_f32 v20, v15, v19 :: v_dual_mul_f32 v5, v10, v70
	s_delay_alu instid0(VALU_DEP_3) | instskip(NEXT) | instid1(VALU_DEP_3)
	v_add_f32_e32 v8, v8, v22
	v_add_f32_e32 v4, v9, v4
	s_delay_alu instid0(VALU_DEP_3) | instskip(SKIP_1) | instid1(VALU_DEP_4)
	v_dual_add_f32 v63, v11, v20 :: v_dual_add_f32 v32, v32, v37
	v_and_b32_e32 v37, 0xffff0000, v3
	v_dual_add_f32 v8, v8, v18 :: v_dual_lshlrev_b32 v3, 16, v3
	v_dual_fmac_f32 v5, v14, v6 :: v_dual_mul_f32 v6, v17, v84
	s_delay_alu instid0(VALU_DEP_3) | instskip(NEXT) | instid1(VALU_DEP_2)
	v_mul_f32_e32 v29, v75, v37
	v_add_f32_e32 v4, v4, v5
	s_delay_alu instid0(VALU_DEP_3) | instskip(NEXT) | instid1(VALU_DEP_3)
	v_fmac_f32_e32 v6, v15, v7
	v_dual_fmac_f32 v29, v39, v3 :: v_dual_mul_f32 v0, v28, v82
	s_delay_alu instid0(VALU_DEP_2) | instskip(NEXT) | instid1(VALU_DEP_2)
	v_add_f32_e32 v61, v4, v6
	v_add_f32_e32 v64, v32, v29
	s_delay_alu instid0(VALU_DEP_3) | instskip(SKIP_1) | instid1(VALU_DEP_2)
	v_dual_fmac_f32 v0, v13, v1 :: v_dual_mul_f32 v1, v10, v55
	v_mul_f32_e32 v78, v75, v84
	v_dual_add_f32 v0, v8, v0 :: v_dual_fmac_f32 v1, v14, v2
	v_mul_f32_e32 v2, v17, v37
	s_delay_alu instid0(VALU_DEP_3) | instskip(NEXT) | instid1(VALU_DEP_3)
	v_fmac_f32_e32 v78, v39, v7
	v_add_f32_e32 v0, v0, v1
	s_delay_alu instid0(VALU_DEP_2) | instskip(NEXT) | instid1(VALU_DEP_1)
	v_dual_fmac_f32 v2, v15, v3 :: v_dual_add_f32 v65, v33, v78
	v_add_f32_e32 v60, v0, v2
	s_cbranch_scc1 .LBB210_36
.LBB210_18:                             ;   Parent Loop BB210_13 Depth=1
                                        ; =>  This Inner Loop Header: Depth=2
	v_dual_mov_b32 v14, 0 :: v_dual_add_nc_u32 v55, s1, v57
	s_waitcnt vmcnt(2)
	v_dual_mov_b32 v13, 0 :: v_dual_mov_b32 v12, 0
	v_dual_mov_b32 v39, 0 :: v_dual_mov_b32 v38, 0
	s_delay_alu instid0(VALU_DEP_3) | instskip(SKIP_2) | instid1(VALU_DEP_3)
	v_min_u32_e32 v44, s21, v55
	v_dual_mov_b32 v15, 0 :: v_dual_add_nc_u32 v54, 0x200, v55
	v_dual_mov_b32 v37, 0 :: v_dual_mov_b32 v36, 0
	v_lshlrev_b64 v[0:1], 1, v[44:45]
	s_delay_alu instid0(VALU_DEP_3) | instskip(SKIP_3) | instid1(VALU_DEP_4)
	v_min_u32_e32 v44, s21, v54
	v_dual_mov_b32 v35, 0 :: v_dual_mov_b32 v34, 0
	v_dual_mov_b32 v33, 0 :: v_dual_mov_b32 v32, 0
	s_waitcnt vmcnt(0) lgkmcnt(0)
	v_add_co_u32 v6, vcc_lo, s10, v0
	v_add_co_ci_u32_e32 v7, vcc_lo, s11, v1, vcc_lo
	v_lshlrev_b64 v[0:1], 1, v[44:45]
	s_delay_alu instid0(VALU_DEP_3) | instskip(NEXT) | instid1(VALU_DEP_3)
	v_add_co_u32 v2, vcc_lo, v6, v48
	v_add_co_ci_u32_e32 v3, vcc_lo, v7, v49, vcc_lo
	v_add_co_u32 v4, vcc_lo, v6, v50
	v_add_co_ci_u32_e32 v5, vcc_lo, v7, v51, vcc_lo
	;; [unrolled: 2-line block ×4, first 2 shown]
	s_delay_alu instid0(VALU_DEP_4) | instskip(NEXT) | instid1(VALU_DEP_4)
	v_add_co_u32 v6, vcc_lo, v10, v48
	v_add_co_ci_u32_e32 v7, vcc_lo, v11, v49, vcc_lo
	v_add_co_u32 v8, vcc_lo, v10, v50
	v_add_co_ci_u32_e32 v9, vcc_lo, v11, v51, vcc_lo
	;; [unrolled: 2-line block ×3, first 2 shown]
	s_clause 0x5
	global_load_b128 v[28:31], v[2:3], off slc dlc
	global_load_b128 v[24:27], v[4:5], off slc dlc
	;; [unrolled: 1-line block ×6, first 2 shown]
	v_dual_mov_b32 v11, 0 :: v_dual_mov_b32 v10, 0
	v_dual_mov_b32 v9, 0 :: v_dual_mov_b32 v8, 0
	s_mov_b32 s2, exec_lo
	v_cmpx_gt_u32_e64 s4, v55
	s_cbranch_execz .LBB210_17
; %bb.19:                               ;   in Loop: Header=BB210_18 Depth=2
	s_mov_b32 s3, exec_lo
                                        ; implicit-def: $vgpr35
	v_cmpx_lt_u32_e32 0x7fff, v55
	s_xor_b32 s3, exec_lo, s3
	s_cbranch_execz .LBB210_21
; %bb.20:                               ;   in Loop: Header=BB210_18 Depth=2
	v_mov_b32_e32 v56, v45
	s_delay_alu instid0(VALU_DEP_1) | instskip(NEXT) | instid1(VALU_DEP_1)
	v_lshlrev_b64 v[8:9], 1, v[55:56]
	v_add_co_u32 v8, vcc_lo, s12, v8
	s_delay_alu instid0(VALU_DEP_2)
	v_add_co_ci_u32_e32 v9, vcc_lo, s13, v9, vcc_lo
	global_load_b128 v[32:35], v[8:9], off
.LBB210_21:                             ;   in Loop: Header=BB210_18 Depth=2
	s_and_not1_saveexec_b32 s3, s3
	s_cbranch_execz .LBB210_23
; %bb.22:                               ;   in Loop: Header=BB210_18 Depth=2
	v_lshlrev_b32_e32 v8, 1, v55
	s_waitcnt vmcnt(0)
	ds_load_b128 v[32:35], v8
.LBB210_23:                             ;   in Loop: Header=BB210_18 Depth=2
	s_or_b32 exec_lo, exec_lo, s3
	v_add_nc_u32_e32 v44, s6, v55
	s_mov_b32 s3, exec_lo
                                        ; implicit-def: $vgpr11
	s_delay_alu instid0(VALU_DEP_1)
	v_cmpx_lt_u32_e32 0x7fff, v44
	s_xor_b32 s3, exec_lo, s3
	s_cbranch_execz .LBB210_25
; %bb.24:                               ;   in Loop: Header=BB210_18 Depth=2
	v_lshlrev_b64 v[8:9], 1, v[44:45]
	s_delay_alu instid0(VALU_DEP_1) | instskip(NEXT) | instid1(VALU_DEP_2)
	v_add_co_u32 v8, vcc_lo, s12, v8
	v_add_co_ci_u32_e32 v9, vcc_lo, s13, v9, vcc_lo
	global_load_b128 v[8:11], v[8:9], off
.LBB210_25:                             ;   in Loop: Header=BB210_18 Depth=2
	s_and_not1_saveexec_b32 s3, s3
	s_cbranch_execz .LBB210_27
; %bb.26:                               ;   in Loop: Header=BB210_18 Depth=2
	s_waitcnt vmcnt(0)
	v_lshlrev_b32_e32 v8, 1, v44
	ds_load_b128 v[8:11], v8
.LBB210_27:                             ;   in Loop: Header=BB210_18 Depth=2
	s_or_b32 exec_lo, exec_lo, s3
	v_dual_mov_b32 v15, 0 :: v_dual_mov_b32 v14, 0
	v_dual_mov_b32 v13, 0 :: v_dual_mov_b32 v12, 0
	;; [unrolled: 1-line block ×4, first 2 shown]
	s_mov_b32 s3, exec_lo
	v_cmpx_gt_u32_e64 s4, v54
	s_cbranch_execz .LBB210_16
; %bb.28:                               ;   in Loop: Header=BB210_18 Depth=2
	s_mov_b32 s18, exec_lo
                                        ; implicit-def: $vgpr39
	v_cmpx_lt_u32_e32 0x7fff, v54
	s_xor_b32 s18, exec_lo, s18
	s_cbranch_execz .LBB210_30
; %bb.29:                               ;   in Loop: Header=BB210_18 Depth=2
	v_mov_b32_e32 v55, v45
	s_delay_alu instid0(VALU_DEP_1) | instskip(NEXT) | instid1(VALU_DEP_1)
	v_lshlrev_b64 v[12:13], 1, v[54:55]
                                        ; implicit-def: $vgpr55
	v_add_co_u32 v12, vcc_lo, s12, v12
	s_delay_alu instid0(VALU_DEP_2)
	v_add_co_ci_u32_e32 v13, vcc_lo, s13, v13, vcc_lo
	global_load_b128 v[36:39], v[12:13], off
.LBB210_30:                             ;   in Loop: Header=BB210_18 Depth=2
	s_and_not1_saveexec_b32 s18, s18
	s_cbranch_execz .LBB210_32
; %bb.31:                               ;   in Loop: Header=BB210_18 Depth=2
	v_lshlrev_b32_e32 v12, 1, v55
	s_waitcnt vmcnt(0)
	ds_load_b128 v[36:39], v12 offset:1024
.LBB210_32:                             ;   in Loop: Header=BB210_18 Depth=2
	s_or_b32 exec_lo, exec_lo, s18
	v_add_nc_u32_e32 v12, s6, v54
	s_mov_b32 s18, exec_lo
                                        ; implicit-def: $vgpr15
	s_delay_alu instid0(VALU_DEP_1)
	v_cmpx_lt_u32_e32 0x7fff, v12
	s_xor_b32 s18, exec_lo, s18
	s_cbranch_execz .LBB210_34
; %bb.33:                               ;   in Loop: Header=BB210_18 Depth=2
	v_mov_b32_e32 v13, v45
	s_delay_alu instid0(VALU_DEP_1) | instskip(NEXT) | instid1(VALU_DEP_1)
	v_lshlrev_b64 v[12:13], 1, v[12:13]
	v_add_co_u32 v12, vcc_lo, s12, v12
	s_delay_alu instid0(VALU_DEP_2)
	v_add_co_ci_u32_e32 v13, vcc_lo, s13, v13, vcc_lo
	global_load_b128 v[12:15], v[12:13], off
.LBB210_34:                             ;   in Loop: Header=BB210_18 Depth=2
	s_and_not1_saveexec_b32 s18, s18
	s_cbranch_execz .LBB210_15
; %bb.35:                               ;   in Loop: Header=BB210_18 Depth=2
	s_waitcnt vmcnt(0)
	v_lshlrev_b32_e32 v12, 1, v44
	ds_load_b128 v[12:15], v12 offset:1024
	s_branch .LBB210_15
.LBB210_36:                             ;   in Loop: Header=BB210_13 Depth=1
	s_delay_alu instid0(VALU_DEP_1)
	v_cvt_i32_f32_e32 v0, v62
	s_waitcnt lgkmcnt(0)
	v_cvt_i32_f32_e32 v1, v65
	v_cvt_i32_f32_e32 v2, v64
	;; [unrolled: 1-line block ×4, first 2 shown]
	v_cvt_f32_i32_dpp v0, v0 row_shr:8 row_mask:0xf bank_mask:0xf bound_ctrl:1
	v_cvt_f32_i32_dpp v1, v1 row_shr:8 row_mask:0xf bank_mask:0xf bound_ctrl:1
	;; [unrolled: 1-line block ×4, first 2 shown]
	v_cvt_i32_f32_e32 v5, v60
	s_delay_alu instid0(VALU_DEP_4) | instskip(SKIP_1) | instid1(VALU_DEP_4)
	v_dual_add_f32 v0, v62, v0 :: v_dual_add_f32 v1, v65, v1
	v_cvt_f32_i32_dpp v4, v4 row_shr:8 row_mask:0xf bank_mask:0xf bound_ctrl:1
	v_dual_add_f32 v2, v64, v2 :: v_dual_add_f32 v3, v63, v3
	s_waitcnt vmcnt(0)
	s_delay_alu instid0(VALU_DEP_3)
	v_cvt_i32_f32_e32 v6, v0
	v_cvt_f32_i32_dpp v5, v5 row_shr:8 row_mask:0xf bank_mask:0xf bound_ctrl:1
	v_add_f32_e32 v4, v61, v4
	v_cvt_i32_f32_e32 v7, v1
	v_cvt_i32_f32_e32 v8, v2
	v_cvt_f32_i32_dpp v6, v6 row_shr:4 row_mask:0xf bank_mask:0xf bound_ctrl:1
	v_add_f32_e32 v5, v60, v5
	v_cvt_i32_f32_e32 v9, v3
	v_cvt_i32_f32_e32 v10, v4
	s_delay_alu instid0(VALU_DEP_4)
	v_add_f32_e32 v0, v0, v6
	v_cvt_f32_i32_dpp v6, v7 row_shr:4 row_mask:0xf bank_mask:0xf bound_ctrl:1
	v_cvt_f32_i32_dpp v7, v8 row_shr:4 row_mask:0xf bank_mask:0xf bound_ctrl:1
	v_cvt_f32_i32_dpp v8, v9 row_shr:4 row_mask:0xf bank_mask:0xf bound_ctrl:1
	v_cvt_i32_f32_e32 v11, v5
	v_cvt_f32_i32_dpp v9, v10 row_shr:4 row_mask:0xf bank_mask:0xf bound_ctrl:1
	s_delay_alu instid0(VALU_DEP_4) | instskip(NEXT) | instid1(VALU_DEP_4)
	v_dual_add_f32 v1, v1, v6 :: v_dual_add_f32 v2, v2, v7
	v_add_f32_e32 v3, v3, v8
	v_cvt_i32_f32_e32 v10, v0
	v_cvt_f32_i32_dpp v11, v11 row_shr:4 row_mask:0xf bank_mask:0xf bound_ctrl:1
	s_delay_alu instid0(VALU_DEP_4)
	v_cvt_i32_f32_e32 v7, v1
	v_add_f32_e32 v4, v4, v9
	v_cvt_i32_f32_e32 v8, v2
	v_cvt_f32_i32_dpp v6, v10 row_shr:2 row_mask:0xf bank_mask:0xf bound_ctrl:1
	v_add_f32_e32 v5, v5, v11
	v_cvt_f32_i32_dpp v7, v7 row_shr:2 row_mask:0xf bank_mask:0xf bound_ctrl:1
	v_cvt_i32_f32_e32 v9, v4
	v_cvt_f32_i32_dpp v8, v8 row_shr:2 row_mask:0xf bank_mask:0xf bound_ctrl:1
	v_add_f32_e32 v0, v0, v6
	v_cvt_i32_f32_e32 v6, v3
	v_add_f32_e32 v1, v1, v7
	v_cvt_i32_f32_e32 v10, v5
	v_cvt_f32_i32_dpp v9, v9 row_shr:2 row_mask:0xf bank_mask:0xf bound_ctrl:1
	v_cvt_i32_f32_e32 v11, v0
	v_cvt_f32_i32_dpp v6, v6 row_shr:2 row_mask:0xf bank_mask:0xf bound_ctrl:1
	v_add_f32_e32 v2, v2, v8
	v_cvt_f32_i32_dpp v10, v10 row_shr:2 row_mask:0xf bank_mask:0xf bound_ctrl:1
	s_delay_alu instid0(VALU_DEP_4) | instskip(NEXT) | instid1(VALU_DEP_4)
	v_cvt_f32_i32_dpp v11, v11 row_shr:1 row_mask:0xf bank_mask:0xf bound_ctrl:1
	v_dual_add_f32 v3, v3, v6 :: v_dual_add_f32 v6, v4, v9
	v_cvt_i32_f32_e32 v4, v1
	s_delay_alu instid0(VALU_DEP_3) | instskip(SKIP_1) | instid1(VALU_DEP_4)
	v_dual_add_f32 v13, v0, v11 :: v_dual_add_f32 v0, v5, v10
	v_cvt_i32_f32_e32 v5, v2
	v_cvt_i32_f32_e32 v7, v3
	v_cvt_i32_f32_e32 v8, v6
	v_cvt_f32_i32_dpp v4, v4 row_shr:1 row_mask:0xf bank_mask:0xf bound_ctrl:1
	v_cvt_i32_f32_e32 v9, v0
	v_cvt_f32_i32_dpp v5, v5 row_shr:1 row_mask:0xf bank_mask:0xf bound_ctrl:1
	v_cvt_f32_i32_dpp v11, v7 row_shr:1 row_mask:0xf bank_mask:0xf bound_ctrl:1
	v_cvt_f32_i32_dpp v8, v8 row_shr:1 row_mask:0xf bank_mask:0xf bound_ctrl:1
	v_add_f32_e32 v10, v1, v4
	v_cvt_f32_i32_dpp v9, v9 row_shr:1 row_mask:0xf bank_mask:0xf bound_ctrl:1
	s_delay_alu instid0(VALU_DEP_4) | instskip(NEXT) | instid1(VALU_DEP_4)
	v_dual_add_f32 v7, v2, v5 :: v_dual_add_f32 v4, v3, v11
	v_add_f32_e32 v2, v6, v8
	ds_bpermute_b32 v14, v58, v13
	v_add_f32_e32 v0, v0, v9
	ds_bpermute_b32 v11, v58, v10
	ds_bpermute_b32 v8, v58, v7
	;; [unrolled: 1-line block ×5, first 2 shown]
	s_and_saveexec_b32 s18, s0
	s_cbranch_execz .LBB210_75
; %bb.37:                               ;   in Loop: Header=BB210_13 Depth=1
	v_dual_mov_b32 v17, 0 :: v_dual_mov_b32 v16, 0
	v_dual_mov_b32 v15, 0 :: v_dual_mov_b32 v12, 0
	;; [unrolled: 1-line block ×3, first 2 shown]
	s_and_not1_b32 vcc_lo, exec_lo, s23
	s_cbranch_vccnz .LBB210_39
; %bb.38:                               ;   in Loop: Header=BB210_13 Depth=1
	v_mul_hi_u32 v6, v43, v59
	v_mul_hi_u32 v9, v47, v59
	;; [unrolled: 1-line block ×3, first 2 shown]
	v_mov_b32_e32 v18, v45
	s_delay_alu instid0(VALU_DEP_4) | instskip(NEXT) | instid1(VALU_DEP_4)
	v_mul_lo_u32 v6, v6, s14
	v_mul_lo_u32 v9, v9, s14
	s_delay_alu instid0(VALU_DEP_4) | instskip(NEXT) | instid1(VALU_DEP_3)
	v_mul_lo_u32 v12, v12, s14
	v_sub_nc_u32_e32 v6, v43, v6
	s_delay_alu instid0(VALU_DEP_3) | instskip(NEXT) | instid1(VALU_DEP_3)
	v_sub_nc_u32_e32 v9, v47, v9
	v_sub_nc_u32_e32 v12, v46, v12
	s_delay_alu instid0(VALU_DEP_3) | instskip(SKIP_1) | instid1(VALU_DEP_4)
	v_subrev_nc_u32_e32 v15, s14, v6
	v_cmp_le_u32_e32 vcc_lo, s14, v6
	v_subrev_nc_u32_e32 v16, s14, v9
	s_delay_alu instid0(VALU_DEP_4) | instskip(NEXT) | instid1(VALU_DEP_4)
	v_subrev_nc_u32_e32 v17, s14, v12
	v_cndmask_b32_e32 v6, v6, v15, vcc_lo
	v_cmp_le_u32_e32 vcc_lo, s14, v9
	s_delay_alu instid0(VALU_DEP_4) | instskip(SKIP_1) | instid1(VALU_DEP_4)
	v_cndmask_b32_e32 v9, v9, v16, vcc_lo
	v_cmp_le_u32_e32 vcc_lo, s14, v12
	v_subrev_nc_u32_e32 v15, s14, v6
	v_cndmask_b32_e32 v12, v12, v17, vcc_lo
	v_cmp_le_u32_e32 vcc_lo, s14, v6
	v_subrev_nc_u32_e32 v17, s14, v9
	s_delay_alu instid0(VALU_DEP_3) | instskip(SKIP_2) | instid1(VALU_DEP_4)
	v_subrev_nc_u32_e32 v19, s14, v12
	v_cndmask_b32_e32 v44, v6, v15, vcc_lo
	v_cmp_le_u32_e32 vcc_lo, s14, v9
	v_cndmask_b32_e32 v15, v9, v17, vcc_lo
	v_cmp_le_u32_e32 vcc_lo, s14, v12
	v_dual_mov_b32 v16, v45 :: v_dual_cndmask_b32 v17, v12, v19
	v_lshlrev_b64 v[19:20], 1, v[44:45]
	v_add_nc_u32_e32 v44, s26, v44
	s_delay_alu instid0(VALU_DEP_3) | instskip(NEXT) | instid1(VALU_DEP_4)
	v_lshlrev_b64 v[21:22], 1, v[15:16]
	v_lshlrev_b64 v[23:24], 1, v[17:18]
	s_delay_alu instid0(VALU_DEP_3)
	v_lshlrev_b64 v[25:26], 1, v[44:45]
	v_add_nc_u32_e32 v44, s26, v15
	v_add_co_u32 v15, vcc_lo, s8, v19
	v_add_co_ci_u32_e32 v16, vcc_lo, s9, v20, vcc_lo
	v_add_co_u32 v18, vcc_lo, s8, v21
	v_add_co_ci_u32_e32 v19, vcc_lo, s9, v22, vcc_lo
	v_add_co_u32 v20, vcc_lo, s8, v23
	v_lshlrev_b64 v[22:23], 1, v[44:45]
	v_add_nc_u32_e32 v44, s26, v17
	v_add_co_ci_u32_e32 v21, vcc_lo, s9, v24, vcc_lo
	v_add_co_u32 v24, vcc_lo, s8, v25
	v_add_co_ci_u32_e32 v25, vcc_lo, s9, v26, vcc_lo
	s_delay_alu instid0(VALU_DEP_4) | instskip(SKIP_2) | instid1(VALU_DEP_3)
	v_lshlrev_b64 v[26:27], 1, v[44:45]
	v_add_co_u32 v22, vcc_lo, s8, v22
	v_add_co_ci_u32_e32 v23, vcc_lo, s9, v23, vcc_lo
	v_add_co_u32 v26, vcc_lo, s8, v26
	s_delay_alu instid0(VALU_DEP_4)
	v_add_co_ci_u32_e32 v27, vcc_lo, s9, v27, vcc_lo
	s_clause 0x5
	global_load_u16 v17, v[15:16], off
	global_load_u16 v16, v[18:19], off
	;; [unrolled: 1-line block ×6, first 2 shown]
.LBB210_39:                             ;   in Loop: Header=BB210_13 Depth=1
	v_cmp_ne_u32_e32 vcc_lo, 0, v40
	s_and_saveexec_b32 s2, vcc_lo
	s_cbranch_execnz .LBB210_45
; %bb.40:                               ;   in Loop: Header=BB210_13 Depth=1
	s_or_b32 exec_lo, exec_lo, s2
	v_cmp_ne_u32_e64 s1, 0, v41
	s_delay_alu instid0(VALU_DEP_1)
	s_and_saveexec_b32 s3, s1
	s_cbranch_execnz .LBB210_50
.LBB210_41:                             ;   in Loop: Header=BB210_13 Depth=1
	s_or_b32 exec_lo, exec_lo, s3
	v_cmp_ne_u32_e64 s2, 0, v42
	s_delay_alu instid0(VALU_DEP_1)
	s_and_saveexec_b32 s19, s2
	s_cbranch_execnz .LBB210_55
.LBB210_42:                             ;   in Loop: Header=BB210_13 Depth=1
	s_or_b32 exec_lo, exec_lo, s19
	v_add_nc_u32_e32 v44, s7, v43
	s_and_saveexec_b32 s3, vcc_lo
	s_cbranch_execnz .LBB210_60
.LBB210_43:                             ;   in Loop: Header=BB210_13 Depth=1
	s_or_b32 exec_lo, exec_lo, s3
	s_and_saveexec_b32 s3, s1
	s_cbranch_execnz .LBB210_65
.LBB210_44:                             ;   in Loop: Header=BB210_13 Depth=1
	s_or_b32 exec_lo, exec_lo, s3
	s_delay_alu instid0(SALU_CYCLE_1)
	s_and_b32 exec_lo, exec_lo, s2
	s_cbranch_execnz .LBB210_70
	s_branch .LBB210_75
.LBB210_45:                             ;   in Loop: Header=BB210_13 Depth=1
	s_waitcnt vmcnt(5) lgkmcnt(0)
	v_dual_add_f32 v13, v13, v14 :: v_dual_lshlrev_b32 v14, 16, v17
	s_delay_alu instid0(VALU_DEP_1) | instskip(NEXT) | instid1(VALU_DEP_1)
	v_add_f32_e32 v14, v13, v14
	v_and_b32_e32 v13, 0x7f800000, v14
	s_delay_alu instid0(VALU_DEP_1) | instskip(NEXT) | instid1(VALU_DEP_1)
	v_cmp_ne_u32_e64 s1, 0x7f800000, v13
                                        ; implicit-def: $vgpr13
	s_and_saveexec_b32 s3, s1
	s_delay_alu instid0(SALU_CYCLE_1)
	s_xor_b32 s1, exec_lo, s3
; %bb.46:                               ;   in Loop: Header=BB210_13 Depth=1
	v_bfe_u32 v13, v14, 16, 1
	s_delay_alu instid0(VALU_DEP_1)
	v_add3_u32 v13, v14, v13, 0x7fff
                                        ; implicit-def: $vgpr14
; %bb.47:                               ;   in Loop: Header=BB210_13 Depth=1
	s_and_not1_saveexec_b32 s3, s1
; %bb.48:                               ;   in Loop: Header=BB210_13 Depth=1
	v_and_b32_e32 v13, 0xffff, v14
	v_or_b32_e32 v17, 0x10000, v14
	s_delay_alu instid0(VALU_DEP_2) | instskip(NEXT) | instid1(VALU_DEP_1)
	v_cmp_eq_u32_e64 s1, 0, v13
	v_cndmask_b32_e64 v13, v17, v14, s1
; %bb.49:                               ;   in Loop: Header=BB210_13 Depth=1
	s_or_b32 exec_lo, exec_lo, s3
	v_mov_b32_e32 v44, v45
	s_delay_alu instid0(VALU_DEP_1) | instskip(NEXT) | instid1(VALU_DEP_1)
	v_lshlrev_b64 v[17:18], 1, v[43:44]
	v_add_co_u32 v17, s1, s16, v17
	s_delay_alu instid0(VALU_DEP_1) | instskip(SKIP_3) | instid1(VALU_DEP_1)
	v_add_co_ci_u32_e64 v18, s1, s17, v18, s1
	global_store_d16_hi_b16 v[17:18], v13, off
	s_or_b32 exec_lo, exec_lo, s2
	v_cmp_ne_u32_e64 s1, 0, v41
	s_and_saveexec_b32 s3, s1
	s_cbranch_execz .LBB210_41
.LBB210_50:                             ;   in Loop: Header=BB210_13 Depth=1
	s_waitcnt vmcnt(4) lgkmcnt(0)
	v_dual_add_f32 v10, v10, v11 :: v_dual_lshlrev_b32 v11, 16, v16
	s_delay_alu instid0(VALU_DEP_1) | instskip(NEXT) | instid1(VALU_DEP_1)
	v_add_f32_e32 v11, v10, v11
	v_and_b32_e32 v10, 0x7f800000, v11
	s_delay_alu instid0(VALU_DEP_1) | instskip(NEXT) | instid1(VALU_DEP_1)
	v_cmp_ne_u32_e64 s2, 0x7f800000, v10
                                        ; implicit-def: $vgpr10
	s_and_saveexec_b32 s19, s2
	s_delay_alu instid0(SALU_CYCLE_1)
	s_xor_b32 s2, exec_lo, s19
; %bb.51:                               ;   in Loop: Header=BB210_13 Depth=1
	v_bfe_u32 v10, v11, 16, 1
	s_delay_alu instid0(VALU_DEP_1)
	v_add3_u32 v10, v11, v10, 0x7fff
                                        ; implicit-def: $vgpr11
; %bb.52:                               ;   in Loop: Header=BB210_13 Depth=1
	s_and_not1_saveexec_b32 s19, s2
; %bb.53:                               ;   in Loop: Header=BB210_13 Depth=1
	v_and_b32_e32 v10, 0xffff, v11
	v_or_b32_e32 v13, 0x10000, v11
	s_delay_alu instid0(VALU_DEP_2) | instskip(NEXT) | instid1(VALU_DEP_1)
	v_cmp_eq_u32_e64 s2, 0, v10
	v_cndmask_b32_e64 v10, v13, v11, s2
; %bb.54:                               ;   in Loop: Header=BB210_13 Depth=1
	s_or_b32 exec_lo, exec_lo, s19
	v_mov_b32_e32 v48, v45
	s_delay_alu instid0(VALU_DEP_1) | instskip(NEXT) | instid1(VALU_DEP_1)
	v_lshlrev_b64 v[13:14], 1, v[47:48]
	v_add_co_u32 v13, s2, s16, v13
	s_delay_alu instid0(VALU_DEP_1) | instskip(SKIP_3) | instid1(VALU_DEP_1)
	v_add_co_ci_u32_e64 v14, s2, s17, v14, s2
	global_store_d16_hi_b16 v[13:14], v10, off
	s_or_b32 exec_lo, exec_lo, s3
	v_cmp_ne_u32_e64 s2, 0, v42
	s_and_saveexec_b32 s19, s2
	s_cbranch_execz .LBB210_42
.LBB210_55:                             ;   in Loop: Header=BB210_13 Depth=1
	s_waitcnt vmcnt(3) lgkmcnt(0)
	v_dual_add_f32 v7, v7, v8 :: v_dual_lshlrev_b32 v8, 16, v15
	s_delay_alu instid0(VALU_DEP_1) | instskip(NEXT) | instid1(VALU_DEP_1)
	v_add_f32_e32 v8, v7, v8
	v_and_b32_e32 v7, 0x7f800000, v8
	s_delay_alu instid0(VALU_DEP_1) | instskip(NEXT) | instid1(VALU_DEP_1)
	v_cmp_ne_u32_e64 s3, 0x7f800000, v7
                                        ; implicit-def: $vgpr7
	s_and_saveexec_b32 s27, s3
	s_delay_alu instid0(SALU_CYCLE_1)
	s_xor_b32 s3, exec_lo, s27
; %bb.56:                               ;   in Loop: Header=BB210_13 Depth=1
	v_bfe_u32 v7, v8, 16, 1
	s_delay_alu instid0(VALU_DEP_1)
	v_add3_u32 v7, v8, v7, 0x7fff
                                        ; implicit-def: $vgpr8
; %bb.57:                               ;   in Loop: Header=BB210_13 Depth=1
	s_and_not1_saveexec_b32 s27, s3
; %bb.58:                               ;   in Loop: Header=BB210_13 Depth=1
	v_and_b32_e32 v7, 0xffff, v8
	v_or_b32_e32 v10, 0x10000, v8
	s_delay_alu instid0(VALU_DEP_2) | instskip(NEXT) | instid1(VALU_DEP_1)
	v_cmp_eq_u32_e64 s3, 0, v7
	v_cndmask_b32_e64 v7, v10, v8, s3
; %bb.59:                               ;   in Loop: Header=BB210_13 Depth=1
	s_or_b32 exec_lo, exec_lo, s27
	v_mov_b32_e32 v47, v45
	s_delay_alu instid0(VALU_DEP_1) | instskip(NEXT) | instid1(VALU_DEP_1)
	v_lshlrev_b64 v[10:11], 1, v[46:47]
	v_add_co_u32 v10, s3, s16, v10
	s_delay_alu instid0(VALU_DEP_1)
	v_add_co_ci_u32_e64 v11, s3, s17, v11, s3
	global_store_d16_hi_b16 v[10:11], v7, off
	s_or_b32 exec_lo, exec_lo, s19
	v_add_nc_u32_e32 v44, s7, v43
	s_and_saveexec_b32 s3, vcc_lo
	s_cbranch_execz .LBB210_43
.LBB210_60:                             ;   in Loop: Header=BB210_13 Depth=1
	s_waitcnt vmcnt(2) lgkmcnt(0)
	v_dual_add_f32 v4, v4, v5 :: v_dual_lshlrev_b32 v5, 16, v12
	s_delay_alu instid0(VALU_DEP_1) | instskip(NEXT) | instid1(VALU_DEP_1)
	v_add_f32_e32 v5, v4, v5
	v_and_b32_e32 v4, 0x7f800000, v5
	s_delay_alu instid0(VALU_DEP_1) | instskip(SKIP_1) | instid1(SALU_CYCLE_1)
	v_cmp_ne_u32_e32 vcc_lo, 0x7f800000, v4
                                        ; implicit-def: $vgpr4
	s_and_saveexec_b32 s19, vcc_lo
	s_xor_b32 s19, exec_lo, s19
; %bb.61:                               ;   in Loop: Header=BB210_13 Depth=1
	v_bfe_u32 v4, v5, 16, 1
	s_delay_alu instid0(VALU_DEP_1)
	v_add3_u32 v4, v5, v4, 0x7fff
                                        ; implicit-def: $vgpr5
; %bb.62:                               ;   in Loop: Header=BB210_13 Depth=1
	s_and_not1_saveexec_b32 s19, s19
; %bb.63:                               ;   in Loop: Header=BB210_13 Depth=1
	v_and_b32_e32 v4, 0xffff, v5
	v_or_b32_e32 v7, 0x10000, v5
	s_delay_alu instid0(VALU_DEP_2) | instskip(NEXT) | instid1(VALU_DEP_2)
	v_cmp_eq_u32_e32 vcc_lo, 0, v4
	v_cndmask_b32_e32 v4, v7, v5, vcc_lo
; %bb.64:                               ;   in Loop: Header=BB210_13 Depth=1
	s_or_b32 exec_lo, exec_lo, s19
	v_lshlrev_b64 v[7:8], 1, v[44:45]
	s_delay_alu instid0(VALU_DEP_1) | instskip(NEXT) | instid1(VALU_DEP_2)
	v_add_co_u32 v7, vcc_lo, s16, v7
	v_add_co_ci_u32_e32 v8, vcc_lo, s17, v8, vcc_lo
	global_store_d16_hi_b16 v[7:8], v4, off
	s_or_b32 exec_lo, exec_lo, s3
	s_and_saveexec_b32 s3, s1
	s_cbranch_execz .LBB210_44
.LBB210_65:                             ;   in Loop: Header=BB210_13 Depth=1
	s_waitcnt vmcnt(1) lgkmcnt(0)
	v_dual_add_f32 v2, v2, v3 :: v_dual_lshlrev_b32 v3, 16, v9
	s_delay_alu instid0(VALU_DEP_1) | instskip(NEXT) | instid1(VALU_DEP_1)
	v_add_f32_e32 v3, v2, v3
	v_and_b32_e32 v2, 0x7f800000, v3
	s_delay_alu instid0(VALU_DEP_1) | instskip(SKIP_1) | instid1(SALU_CYCLE_1)
	v_cmp_ne_u32_e32 vcc_lo, 0x7f800000, v2
                                        ; implicit-def: $vgpr2
	s_and_saveexec_b32 s1, vcc_lo
	s_xor_b32 s1, exec_lo, s1
; %bb.66:                               ;   in Loop: Header=BB210_13 Depth=1
	v_bfe_u32 v2, v3, 16, 1
	s_delay_alu instid0(VALU_DEP_1)
	v_add3_u32 v2, v3, v2, 0x7fff
                                        ; implicit-def: $vgpr3
; %bb.67:                               ;   in Loop: Header=BB210_13 Depth=1
	s_and_not1_saveexec_b32 s1, s1
; %bb.68:                               ;   in Loop: Header=BB210_13 Depth=1
	v_and_b32_e32 v2, 0xffff, v3
	v_or_b32_e32 v4, 0x10000, v3
	s_delay_alu instid0(VALU_DEP_2) | instskip(NEXT) | instid1(VALU_DEP_2)
	v_cmp_eq_u32_e32 vcc_lo, 0, v2
	v_cndmask_b32_e32 v2, v4, v3, vcc_lo
; %bb.69:                               ;   in Loop: Header=BB210_13 Depth=1
	s_or_b32 exec_lo, exec_lo, s1
	v_dual_mov_b32 v4, v45 :: v_dual_add_nc_u32 v3, 1, v44
	s_delay_alu instid0(VALU_DEP_1) | instskip(NEXT) | instid1(VALU_DEP_1)
	v_lshlrev_b64 v[3:4], 1, v[3:4]
	v_add_co_u32 v3, vcc_lo, s16, v3
	s_delay_alu instid0(VALU_DEP_2) | instskip(SKIP_2) | instid1(SALU_CYCLE_1)
	v_add_co_ci_u32_e32 v4, vcc_lo, s17, v4, vcc_lo
	global_store_d16_hi_b16 v[3:4], v2, off
	s_or_b32 exec_lo, exec_lo, s3
	s_and_b32 exec_lo, exec_lo, s2
	s_cbranch_execz .LBB210_75
.LBB210_70:                             ;   in Loop: Header=BB210_13 Depth=1
	s_waitcnt vmcnt(0) lgkmcnt(0)
	v_dual_add_f32 v0, v0, v1 :: v_dual_lshlrev_b32 v1, 16, v6
	s_delay_alu instid0(VALU_DEP_1) | instskip(NEXT) | instid1(VALU_DEP_1)
	v_add_f32_e32 v1, v0, v1
	v_and_b32_e32 v0, 0x7f800000, v1
	s_delay_alu instid0(VALU_DEP_1) | instskip(SKIP_1) | instid1(SALU_CYCLE_1)
	v_cmp_ne_u32_e32 vcc_lo, 0x7f800000, v0
                                        ; implicit-def: $vgpr0
	s_and_saveexec_b32 s1, vcc_lo
	s_xor_b32 s1, exec_lo, s1
; %bb.71:                               ;   in Loop: Header=BB210_13 Depth=1
	v_bfe_u32 v0, v1, 16, 1
	s_delay_alu instid0(VALU_DEP_1)
	v_add3_u32 v0, v1, v0, 0x7fff
                                        ; implicit-def: $vgpr1
; %bb.72:                               ;   in Loop: Header=BB210_13 Depth=1
	s_and_not1_saveexec_b32 s1, s1
; %bb.73:                               ;   in Loop: Header=BB210_13 Depth=1
	v_and_b32_e32 v0, 0xffff, v1
	v_or_b32_e32 v2, 0x10000, v1
	s_delay_alu instid0(VALU_DEP_2) | instskip(NEXT) | instid1(VALU_DEP_2)
	v_cmp_eq_u32_e32 vcc_lo, 0, v0
	v_cndmask_b32_e32 v0, v2, v1, vcc_lo
; %bb.74:                               ;   in Loop: Header=BB210_13 Depth=1
	s_or_b32 exec_lo, exec_lo, s1
	v_add_nc_u32_e32 v44, 2, v44
	s_delay_alu instid0(VALU_DEP_1) | instskip(NEXT) | instid1(VALU_DEP_1)
	v_lshlrev_b64 v[1:2], 1, v[44:45]
	v_add_co_u32 v1, vcc_lo, s16, v1
	s_delay_alu instid0(VALU_DEP_2)
	v_add_co_ci_u32_e32 v2, vcc_lo, s17, v2, vcc_lo
	global_store_d16_hi_b16 v[1:2], v0, off
.LBB210_75:                             ;   in Loop: Header=BB210_13 Depth=1
	s_or_b32 exec_lo, exec_lo, s18
	v_add_nc_u32_e32 v43, s25, v43
	s_delay_alu instid0(VALU_DEP_1) | instskip(SKIP_1) | instid1(VALU_DEP_2)
	v_add_nc_u32_e32 v0, 3, v43
	v_cmp_gt_u32_e32 vcc_lo, s7, v43
	v_cmp_le_u32_e64 s1, s7, v0
	s_delay_alu instid0(VALU_DEP_1) | instskip(NEXT) | instid1(SALU_CYCLE_1)
	s_and_b32 s1, vcc_lo, s1
	s_and_saveexec_b32 s27, s1
	s_cbranch_execz .LBB210_12
; %bb.76:                               ;   in Loop: Header=BB210_13 Depth=1
	s_mov_b32 s28, exec_lo
	v_cmpx_ne_u32_e64 s15, v43
	s_cbranch_execz .LBB210_11
; %bb.77:                               ;   in Loop: Header=BB210_13 Depth=1
	v_subrev_nc_u32_e32 v0, s15, v43
	s_mov_b32 s29, 0
	s_mov_b64 s[18:19], 0
	s_delay_alu instid0(VALU_DEP_1)
	v_cmp_lt_u32_e32 vcc_lo, 1, v0
	v_cndmask_b32_e32 v0, 1, v0, vcc_lo
	.p2align	6
.LBB210_78:                             ;   Parent Loop BB210_13 Depth=1
                                        ; =>  This Inner Loop Header: Depth=2
	s_cmp_lg_u32 s18, 2
	s_cselect_b32 vcc_lo, -1, 0
	s_cmp_lg_u32 s18, 1
	v_cndmask_b32_e32 v42, 0, v42, vcc_lo
	s_cselect_b32 s1, -1, 0
	s_cmp_lg_u32 s18, 0
	v_cndmask_b32_e64 v41, 0, v41, s1
	s_cselect_b32 s2, -1, 0
	s_add_u32 s18, s18, 1
	v_cndmask_b32_e64 v40, 0, v40, s2
	v_cmp_eq_u32_e64 s3, s18, v0
	s_addc_u32 s19, s19, 0
	s_delay_alu instid0(VALU_DEP_1) | instskip(NEXT) | instid1(SALU_CYCLE_1)
	s_or_b32 s29, s3, s29
	s_and_not1_b32 exec_lo, exec_lo, s29
	s_cbranch_execnz .LBB210_78
; %bb.79:                               ;   in Loop: Header=BB210_13 Depth=1
	s_or_b32 exec_lo, exec_lo, s29
	s_branch .LBB210_11
.LBB210_80:
	s_nop 0
	s_sendmsg sendmsg(MSG_DEALLOC_VGPRS)
	s_endpgm
	.section	.rodata,"a",@progbits
	.p2align	6, 0x0
	.amdhsa_kernel _Z12wvSplitK_hf_I14__hip_bfloat16Li64ELi3ELi16ELi8ELi2ELi2EEviiiiiiPKT_S3_S3_PS1_ii
		.amdhsa_group_segment_fixed_size 65536
		.amdhsa_private_segment_fixed_size 0
		.amdhsa_kernarg_size 64
		.amdhsa_user_sgpr_count 15
		.amdhsa_user_sgpr_dispatch_ptr 0
		.amdhsa_user_sgpr_queue_ptr 0
		.amdhsa_user_sgpr_kernarg_segment_ptr 1
		.amdhsa_user_sgpr_dispatch_id 0
		.amdhsa_user_sgpr_private_segment_size 0
		.amdhsa_wavefront_size32 1
		.amdhsa_uses_dynamic_stack 0
		.amdhsa_enable_private_segment 0
		.amdhsa_system_sgpr_workgroup_id_x 1
		.amdhsa_system_sgpr_workgroup_id_y 0
		.amdhsa_system_sgpr_workgroup_id_z 0
		.amdhsa_system_sgpr_workgroup_info 0
		.amdhsa_system_vgpr_workitem_id 1
		.amdhsa_next_free_vgpr 85
		.amdhsa_next_free_sgpr 30
		.amdhsa_reserve_vcc 1
		.amdhsa_float_round_mode_32 0
		.amdhsa_float_round_mode_16_64 0
		.amdhsa_float_denorm_mode_32 3
		.amdhsa_float_denorm_mode_16_64 3
		.amdhsa_dx10_clamp 1
		.amdhsa_ieee_mode 1
		.amdhsa_fp16_overflow 0
		.amdhsa_workgroup_processor_mode 1
		.amdhsa_memory_ordered 1
		.amdhsa_forward_progress 0
		.amdhsa_shared_vgpr_count 0
		.amdhsa_exception_fp_ieee_invalid_op 0
		.amdhsa_exception_fp_denorm_src 0
		.amdhsa_exception_fp_ieee_div_zero 0
		.amdhsa_exception_fp_ieee_overflow 0
		.amdhsa_exception_fp_ieee_underflow 0
		.amdhsa_exception_fp_ieee_inexact 0
		.amdhsa_exception_int_div_zero 0
	.end_amdhsa_kernel
	.section	.text._Z12wvSplitK_hf_I14__hip_bfloat16Li64ELi3ELi16ELi8ELi2ELi2EEviiiiiiPKT_S3_S3_PS1_ii,"axG",@progbits,_Z12wvSplitK_hf_I14__hip_bfloat16Li64ELi3ELi16ELi8ELi2ELi2EEviiiiiiPKT_S3_S3_PS1_ii,comdat
.Lfunc_end210:
	.size	_Z12wvSplitK_hf_I14__hip_bfloat16Li64ELi3ELi16ELi8ELi2ELi2EEviiiiiiPKT_S3_S3_PS1_ii, .Lfunc_end210-_Z12wvSplitK_hf_I14__hip_bfloat16Li64ELi3ELi16ELi8ELi2ELi2EEviiiiiiPKT_S3_S3_PS1_ii
                                        ; -- End function
	.section	.AMDGPU.csdata,"",@progbits
; Kernel info:
; codeLenInByte = 5072
; NumSgprs: 32
; NumVgprs: 85
; ScratchSize: 0
; MemoryBound: 0
; FloatMode: 240
; IeeeMode: 1
; LDSByteSize: 65536 bytes/workgroup (compile time only)
; SGPRBlocks: 3
; VGPRBlocks: 10
; NumSGPRsForWavesPerEU: 32
; NumVGPRsForWavesPerEU: 85
; Occupancy: 16
; WaveLimiterHint : 0
; COMPUTE_PGM_RSRC2:SCRATCH_EN: 0
; COMPUTE_PGM_RSRC2:USER_SGPR: 15
; COMPUTE_PGM_RSRC2:TRAP_HANDLER: 0
; COMPUTE_PGM_RSRC2:TGID_X_EN: 1
; COMPUTE_PGM_RSRC2:TGID_Y_EN: 0
; COMPUTE_PGM_RSRC2:TGID_Z_EN: 0
; COMPUTE_PGM_RSRC2:TIDIG_COMP_CNT: 1
	.section	.text._Z16wvSplitK_hf_big_I14__hip_bfloat16Li64ELi3ELi16ELi8ELi2ELi2EEviiiiiiPKT_S3_S3_PS1_ii,"axG",@progbits,_Z16wvSplitK_hf_big_I14__hip_bfloat16Li64ELi3ELi16ELi8ELi2ELi2EEviiiiiiPKT_S3_S3_PS1_ii,comdat
	.protected	_Z16wvSplitK_hf_big_I14__hip_bfloat16Li64ELi3ELi16ELi8ELi2ELi2EEviiiiiiPKT_S3_S3_PS1_ii ; -- Begin function _Z16wvSplitK_hf_big_I14__hip_bfloat16Li64ELi3ELi16ELi8ELi2ELi2EEviiiiiiPKT_S3_S3_PS1_ii
	.globl	_Z16wvSplitK_hf_big_I14__hip_bfloat16Li64ELi3ELi16ELi8ELi2ELi2EEviiiiiiPKT_S3_S3_PS1_ii
	.p2align	8
	.type	_Z16wvSplitK_hf_big_I14__hip_bfloat16Li64ELi3ELi16ELi8ELi2ELi2EEviiiiiiPKT_S3_S3_PS1_ii,@function
_Z16wvSplitK_hf_big_I14__hip_bfloat16Li64ELi3ELi16ELi8ELi2ELi2EEviiiiiiPKT_S3_S3_PS1_ii: ; @_Z16wvSplitK_hf_big_I14__hip_bfloat16Li64ELi3ELi16ELi8ELi2ELi2EEviiiiiiPKT_S3_S3_PS1_ii
; %bb.0:
	s_load_b64 s[20:21], s[0:1], 0x38
	v_bfe_u32 v1, v0, 10, 10
	s_mov_b32 s2, exec_lo
	s_waitcnt lgkmcnt(0)
	s_delay_alu instid0(VALU_DEP_1)
	v_cmpx_gt_u32_e64 s20, v1
	s_cbranch_execz .LBB211_76
; %bb.1:
	s_load_b128 s[16:19], s[0:1], 0x0
	v_mad_u64_u32 v[2:3], null, s15, s20, v[1:2]
	s_mov_b32 s4, 1
	s_delay_alu instid0(SALU_CYCLE_1) | instskip(SKIP_1) | instid1(SALU_CYCLE_1)
	s_mov_b32 s5, s4
	s_mov_b32 s6, s4
	v_mov_b32_e32 v42, s6
	s_delay_alu instid0(VALU_DEP_2) | instskip(SKIP_1) | instid1(VALU_DEP_2)
	v_lshl_add_u32 v43, v2, 1, v2
	v_dual_mov_b32 v40, s4 :: v_dual_mov_b32 v41, s5
	v_add_nc_u32_e32 v2, 3, v43
	s_waitcnt lgkmcnt(0)
	v_cmp_gt_u32_e32 vcc_lo, s19, v43
	s_delay_alu instid0(VALU_DEP_2) | instskip(NEXT) | instid1(VALU_DEP_1)
	v_cmp_le_u32_e64 s2, s19, v2
	s_and_b32 s2, vcc_lo, s2
	s_delay_alu instid0(SALU_CYCLE_1)
	s_and_saveexec_b32 s7, s2
	s_cbranch_execz .LBB211_7
; %bb.2:
	v_dual_mov_b32 v42, s6 :: v_dual_mov_b32 v41, s5
	v_mov_b32_e32 v40, s4
	s_add_i32 s8, s19, -3
	s_mov_b32 s9, exec_lo
	v_cmpx_ne_u32_e64 s8, v43
	s_cbranch_execz .LBB211_6
; %bb.3:
	v_subrev_nc_u32_e32 v2, s8, v43
	s_mov_b32 s10, 0
	s_mov_b64 s[2:3], 0
	s_mov_b32 s5, s4
	s_mov_b32 s6, s4
	v_cmp_lt_u32_e32 vcc_lo, 1, v2
	v_cndmask_b32_e32 v2, 1, v2, vcc_lo
.LBB211_4:                              ; =>This Inner Loop Header: Depth=1
	s_cmp_lg_u32 s2, 2
	s_cselect_b32 s6, s6, 0
	s_cmp_lg_u32 s2, 1
	s_cselect_b32 s5, s5, 0
	s_cmp_lg_u32 s2, 0
	s_cselect_b32 s4, s4, 0
	s_add_u32 s2, s2, 1
	v_dual_mov_b32 v42, s6 :: v_dual_mov_b32 v41, s5
	v_cmp_eq_u32_e32 vcc_lo, s2, v2
	v_mov_b32_e32 v40, s4
	s_addc_u32 s3, s3, 0
	s_or_b32 s10, vcc_lo, s10
	s_delay_alu instid0(SALU_CYCLE_1)
	s_and_not1_b32 exec_lo, exec_lo, s10
	s_cbranch_execnz .LBB211_4
; %bb.5:
	s_or_b32 exec_lo, exec_lo, s10
	v_mov_b32_e32 v43, s8
.LBB211_6:
	s_or_b32 exec_lo, exec_lo, s9
.LBB211_7:
	s_delay_alu instid0(SALU_CYCLE_1)
	s_or_b32 exec_lo, exec_lo, s7
	s_mul_i32 s2, s20, 3
	s_abs_i32 s6, s19
	s_abs_i32 s3, s2
	s_mov_b32 s23, 0
	v_cvt_f32_u32_e32 v2, s3
	s_sub_i32 s5, 0, s3
	s_delay_alu instid0(VALU_DEP_1) | instskip(SKIP_2) | instid1(VALU_DEP_1)
	v_rcp_iflag_f32_e32 v2, v2
	s_waitcnt_depctr 0xfff
	v_mul_f32_e32 v2, 0x4f7ffffe, v2
	v_cvt_u32_f32_e32 v2, v2
	s_delay_alu instid0(VALU_DEP_1) | instskip(NEXT) | instid1(VALU_DEP_1)
	v_readfirstlane_b32 s4, v2
	s_mul_i32 s5, s5, s4
	s_delay_alu instid0(SALU_CYCLE_1) | instskip(NEXT) | instid1(SALU_CYCLE_1)
	s_mul_hi_u32 s5, s4, s5
	s_add_i32 s4, s4, s5
	s_ashr_i32 s5, s19, 31
	s_mul_hi_u32 s4, s6, s4
	s_delay_alu instid0(SALU_CYCLE_1) | instskip(NEXT) | instid1(SALU_CYCLE_1)
	s_mul_i32 s4, s4, s3
	s_sub_i32 s4, s6, s4
	s_delay_alu instid0(SALU_CYCLE_1) | instskip(SKIP_2) | instid1(SALU_CYCLE_1)
	s_sub_i32 s6, s4, s3
	s_cmp_ge_u32 s4, s3
	s_cselect_b32 s4, s6, s4
	s_sub_i32 s6, s4, s3
	s_cmp_ge_u32 s4, s3
	s_cselect_b32 s3, s6, s4
	s_add_i32 s4, s2, s19
	s_xor_b32 s3, s3, s5
	s_delay_alu instid0(SALU_CYCLE_1) | instskip(NEXT) | instid1(SALU_CYCLE_1)
	s_sub_i32 s3, s3, s5
	s_sub_i32 s4, s4, s3
	s_cmp_eq_u32 s3, 0
	s_cselect_b32 s22, s19, s4
	s_delay_alu instid0(SALU_CYCLE_1)
	v_cmp_gt_u32_e32 vcc_lo, s22, v43
	s_and_b32 exec_lo, exec_lo, vcc_lo
	s_cbranch_execz .LBB211_76
; %bb.8:
	s_load_b256 s[4:11], s[0:1], 0x10
	s_min_u32 s24, s18, 0x4000
	s_cmp_lg_u32 s16, 0
	s_load_b64 s[12:13], s[0:1], 0x30
	s_cselect_b32 s25, -1, 0
	s_cmp_lg_u32 s18, 0
	v_and_b32_e32 v0, 0x3ff, v0
	s_cselect_b32 s26, -1, 0
	s_lshl_b32 s27, s20, 9
	s_add_i32 s28, s16, -8
	s_add_i32 s29, s19, -1
	v_dual_mov_b32 v46, 0 :: v_dual_lshlrev_b32 v53, 3, v0
	s_mul_i32 s21, s2, s21
	v_cmp_eq_u32_e64 s0, 63, v0
	v_lshlrev_b32_e32 v0, 4, v0
	v_mbcnt_lo_u32_b32 v58, -1, 0
	v_lshl_add_u32 v54, v1, 9, v53
	s_delay_alu instid0(VALU_DEP_3)
	v_lshl_add_u32 v55, v1, 10, v0
	s_waitcnt lgkmcnt(0)
	v_cvt_f32_u32_e32 v2, s4
	s_cmp_lg_u64 s[10:11], 0
	v_add_nc_u32_e32 v56, s18, v54
	s_cselect_b32 s30, -1, 0
	s_sub_i32 s1, 0, s4
	v_rcp_iflag_f32_e32 v2, v2
	s_waitcnt_depctr 0xfff
	v_mul_f32_e32 v2, 0x4f7ffffe, v2
	s_delay_alu instid0(VALU_DEP_1) | instskip(NEXT) | instid1(VALU_DEP_1)
	v_cvt_u32_f32_e32 v2, v2
	v_mul_lo_u32 v3, s1, v2
	s_abs_i32 s1, s5
	s_add_i32 s5, s19, -3
	s_sub_i32 s2, 1, s1
	s_cmp_lt_u32 s1, 2
	s_cselect_b32 s2, s2, 1
	s_delay_alu instid0(VALU_DEP_1)
	v_mul_hi_u32 v3, v2, v3
	s_sub_i32 s3, s2, s1
	s_cmp_ge_u32 s2, s1
	s_cselect_b32 s33, s3, s2
	s_add_u32 s31, s12, 2
	s_mul_i32 s33, s33, s4
	s_addc_u32 s34, s13, 0
	s_delay_alu instid0(VALU_DEP_1)
	v_add_nc_u32_e32 v57, v2, v3
	s_lshl_b32 s35, s24, 1
	s_lshl_b32 s20, s20, 10
	s_branch .LBB211_12
.LBB211_9:                              ;   in Loop: Header=BB211_12 Depth=1
	s_or_b32 exec_lo, exec_lo, s38
	v_mov_b32_e32 v43, s5
.LBB211_10:                             ;   in Loop: Header=BB211_12 Depth=1
	s_or_b32 exec_lo, exec_lo, s37
.LBB211_11:                             ;   in Loop: Header=BB211_12 Depth=1
	s_delay_alu instid0(SALU_CYCLE_1) | instskip(NEXT) | instid1(VALU_DEP_1)
	s_or_b32 exec_lo, exec_lo, s36
	v_cmp_le_u32_e32 vcc_lo, s22, v43
	s_or_b32 s23, vcc_lo, s23
	s_delay_alu instid0(SALU_CYCLE_1)
	s_and_not1_b32 exec_lo, exec_lo, s23
	s_cbranch_execz .LBB211_76
.LBB211_12:                             ; =>This Loop Header: Depth=1
                                        ;     Child Loop BB211_17 Depth 2
                                        ;       Child Loop BB211_22 Depth 3
                                        ;     Child Loop BB211_74 Depth 2
	v_mov_b32_e32 v44, v46
	v_mov_b32_e32 v59, v46
	v_mov_b32_e32 v61, v46
	v_mov_b32_e32 v62, v46
	v_mov_b32_e32 v63, v46
	v_mov_b32_e32 v60, v46
	s_and_not1_b32 vcc_lo, exec_lo, s25
	s_mov_b32 s3, 0
	s_cbranch_vccnz .LBB211_29
; %bb.13:                               ;   in Loop: Header=BB211_12 Depth=1
	v_add_nc_u32_e32 v0, 1, v43
	s_waitcnt lgkmcnt(0)
	v_dual_mov_b32 v60, 0 :: v_dual_add_nc_u32 v1, 2, v43
	v_min_u32_e32 v2, s29, v43
	v_cmp_gt_u32_e64 s1, s19, v43
	v_dual_mov_b32 v63, 0 :: v_dual_mov_b32 v44, 0
	s_delay_alu instid0(VALU_DEP_4)
	v_min_u32_e32 v3, s29, v1
	v_mov_b32_e32 v1, v46
	v_min_u32_e32 v0, s29, v0
	v_mul_lo_u32 v45, v2, s17
	v_mov_b32_e32 v62, 0
	v_mul_lo_u32 v2, v3, s17
	v_mov_b32_e32 v3, v46
	;; [unrolled: 2-line block ×3, first 2 shown]
	v_mov_b32_e32 v59, 0
	s_mov_b32 s14, 0
	v_lshlrev_b64 v[47:48], 1, v[45:46]
	v_lshlrev_b64 v[51:52], 1, v[2:3]
	;; [unrolled: 1-line block ×3, first 2 shown]
	s_branch .LBB211_17
.LBB211_14:                             ;   in Loop: Header=BB211_17 Depth=2
	s_or_b32 exec_lo, exec_lo, s36
.LBB211_15:                             ;   in Loop: Header=BB211_17 Depth=2
	s_delay_alu instid0(SALU_CYCLE_1)
	s_or_b32 exec_lo, exec_lo, s15
	s_waitcnt lgkmcnt(1)
	v_and_b32_e32 v69, 0xffff0000, v38
	s_waitcnt vmcnt(5)
	v_and_b32_e32 v70, 0xffff0000, v34
	v_and_b32_e32 v64, 0xffff0000, v32
	;; [unrolled: 1-line block ×3, first 2 shown]
	v_lshlrev_b32_e32 v34, 16, v34
	s_delay_alu instid0(VALU_DEP_4)
	v_dual_mul_f32 v71, v69, v70 :: v_dual_and_b32 v72, 0xffff0000, v35
	v_and_b32_e32 v66, 0xffff0000, v33
	v_and_b32_e32 v45, 0xffff0000, v36
	v_lshlrev_b32_e32 v38, 16, v38
	v_lshlrev_b32_e32 v36, 16, v36
	s_waitcnt vmcnt(4)
	v_and_b32_e32 v74, 0xffff0000, v29
	v_mul_f32_e32 v68, v65, v66
	v_lshlrev_b32_e32 v32, 16, v32
	v_mul_f32_e32 v67, v45, v64
	v_fmac_f32_e32 v71, v38, v34
	s_delay_alu instid0(VALU_DEP_2) | instskip(NEXT) | instid1(VALU_DEP_1)
	v_fmac_f32_e32 v67, v36, v32
	v_dual_add_f32 v60, v60, v67 :: v_dual_lshlrev_b32 v37, 16, v37
	v_dual_mul_f32 v76, v65, v74 :: v_dual_lshlrev_b32 v33, 16, v33
	s_delay_alu instid0(VALU_DEP_1) | instskip(NEXT) | instid1(VALU_DEP_1)
	v_fmac_f32_e32 v68, v37, v33
	v_add_f32_e32 v60, v60, v68
	v_and_b32_e32 v67, 0xffff0000, v28
	v_lshlrev_b32_e32 v35, 16, v35
	v_lshlrev_b32_e32 v28, 16, v28
	s_delay_alu instid0(VALU_DEP_4) | instskip(NEXT) | instid1(VALU_DEP_4)
	v_add_f32_e32 v60, v60, v71
	v_mul_f32_e32 v73, v45, v67
	v_lshlrev_b32_e32 v29, 16, v29
	s_delay_alu instid0(VALU_DEP_2) | instskip(NEXT) | instid1(VALU_DEP_2)
	v_dual_fmac_f32 v73, v36, v28 :: v_dual_and_b32 v68, 0xffff0000, v39
	v_dual_fmac_f32 v76, v37, v29 :: v_dual_lshlrev_b32 v39, 16, v39
	s_delay_alu instid0(VALU_DEP_2) | instskip(SKIP_2) | instid1(VALU_DEP_2)
	v_add_f32_e32 v63, v63, v73
	s_waitcnt vmcnt(3)
	v_and_b32_e32 v73, 0xffff0000, v24
	v_add_f32_e32 v63, v63, v76
	v_mul_f32_e32 v75, v68, v72
	s_delay_alu instid0(VALU_DEP_3) | instskip(NEXT) | instid1(VALU_DEP_2)
	v_mul_f32_e32 v45, v45, v73
	v_fmac_f32_e32 v75, v39, v35
	s_delay_alu instid0(VALU_DEP_1)
	v_dual_add_f32 v60, v60, v75 :: v_dual_and_b32 v75, 0xffff0000, v25
	v_and_b32_e32 v71, 0xffff0000, v30
	v_lshlrev_b32_e32 v30, 16, v30
	v_lshlrev_b32_e32 v24, 16, v24
	v_and_b32_e32 v76, 0xffff0000, v31
	v_lshlrev_b32_e32 v25, 16, v25
	s_delay_alu instid0(VALU_DEP_3) | instskip(SKIP_1) | instid1(VALU_DEP_4)
	v_dual_fmac_f32 v45, v36, v24 :: v_dual_mul_f32 v36, v65, v75
	v_mul_f32_e32 v77, v69, v71
	v_mul_f32_e32 v65, v68, v76
	s_delay_alu instid0(VALU_DEP_3) | instskip(NEXT) | instid1(VALU_DEP_3)
	v_add_f32_e32 v45, v62, v45
	v_dual_fmac_f32 v36, v37, v25 :: v_dual_fmac_f32 v77, v38, v30
	v_and_b32_e32 v62, 0xffff0000, v26
	s_waitcnt lgkmcnt(0)
	v_and_b32_e32 v37, 0xffff0000, v20
	v_lshlrev_b32_e32 v20, 16, v20
	v_dual_add_f32 v36, v45, v36 :: v_dual_and_b32 v45, 0xffff0000, v27
	s_delay_alu instid0(VALU_DEP_3) | instskip(SKIP_1) | instid1(VALU_DEP_3)
	v_dual_mul_f32 v64, v37, v64 :: v_dual_lshlrev_b32 v31, 16, v31
	v_dual_add_f32 v63, v63, v77 :: v_dual_lshlrev_b32 v26, 16, v26
	v_dual_mul_f32 v68, v68, v45 :: v_dual_lshlrev_b32 v27, 16, v27
	v_mul_f32_e32 v69, v69, v62
	s_delay_alu instid0(VALU_DEP_4) | instskip(NEXT) | instid1(VALU_DEP_2)
	v_dual_fmac_f32 v65, v39, v31 :: v_dual_fmac_f32 v64, v20, v32
	v_dual_fmac_f32 v68, v39, v27 :: v_dual_fmac_f32 v69, v38, v26
	s_delay_alu instid0(VALU_DEP_2) | instskip(SKIP_1) | instid1(VALU_DEP_2)
	v_dual_add_f32 v39, v61, v64 :: v_dual_and_b32 v38, 0xffff0000, v21
	v_lshlrev_b32_e32 v21, 16, v21
	v_dual_add_f32 v63, v63, v65 :: v_dual_mul_f32 v32, v38, v66
	v_and_b32_e32 v66, 0xffff0000, v22
	v_dual_mul_f32 v61, v37, v67 :: v_dual_lshlrev_b32 v22, 16, v22
	v_mul_f32_e32 v37, v37, v73
	s_delay_alu instid0(VALU_DEP_3) | instskip(SKIP_1) | instid1(VALU_DEP_4)
	v_dual_fmac_f32 v32, v21, v33 :: v_dual_mul_f32 v33, v66, v70
	v_add_f32_e32 v36, v36, v69
	v_dual_fmac_f32 v61, v20, v28 :: v_dual_mul_f32 v28, v38, v74
	s_delay_alu instid0(VALU_DEP_3) | instskip(SKIP_1) | instid1(VALU_DEP_3)
	v_dual_add_f32 v32, v39, v32 :: v_dual_fmac_f32 v33, v22, v34
	v_dual_fmac_f32 v37, v20, v24 :: v_dual_mul_f32 v20, v38, v75
	v_dual_fmac_f32 v28, v21, v29 :: v_dual_mul_f32 v29, v66, v71
	v_and_b32_e32 v34, 0xffff0000, v23
	v_add_f32_e32 v36, v36, v68
	s_delay_alu instid0(VALU_DEP_3) | instskip(SKIP_3) | instid1(VALU_DEP_3)
	v_dual_fmac_f32 v20, v21, v25 :: v_dual_fmac_f32 v29, v22, v30
	v_add_f32_e32 v30, v44, v37
	v_add_f32_e32 v39, v59, v61
	v_mul_f32_e32 v25, v34, v76
	v_dual_add_f32 v20, v30, v20 :: v_dual_lshlrev_b32 v23, 16, v23
	s_delay_alu instid0(VALU_DEP_3)
	v_add_f32_e32 v24, v39, v28
	s_waitcnt vmcnt(2)
	v_and_b32_e32 v30, 0xffff0000, v12
	v_lshlrev_b32_e32 v12, 16, v12
	v_add_f32_e32 v28, v32, v33
	v_dual_add_f32 v21, v24, v29 :: v_dual_mul_f32 v24, v66, v62
	v_and_b32_e32 v29, 0xffff0000, v16
	v_lshlrev_b32_e32 v16, 16, v16
	s_delay_alu instid0(VALU_DEP_3) | instskip(NEXT) | instid1(VALU_DEP_3)
	v_fmac_f32_e32 v24, v22, v26
	v_dual_mul_f32 v59, v34, v72 :: v_dual_mul_f32 v22, v29, v30
	s_delay_alu instid0(VALU_DEP_1)
	v_dual_add_f32 v20, v20, v24 :: v_dual_fmac_f32 v59, v23, v35
	v_dual_fmac_f32 v25, v23, v31 :: v_dual_and_b32 v24, 0xffff0000, v17
	v_mul_f32_e32 v31, v34, v45
	v_and_b32_e32 v26, 0xffff0000, v13
	v_dual_fmac_f32 v22, v16, v12 :: v_dual_lshlrev_b32 v17, 16, v17
	v_add_f32_e32 v28, v28, v59
	s_delay_alu instid0(VALU_DEP_4) | instskip(NEXT) | instid1(VALU_DEP_4)
	v_fmac_f32_e32 v31, v23, v27
	v_dual_mul_f32 v32, v24, v26 :: v_dual_lshlrev_b32 v13, 16, v13
	v_and_b32_e32 v23, 0xffff0000, v18
	v_and_b32_e32 v27, 0xffff0000, v14
	v_dual_add_f32 v21, v21, v25 :: v_dual_lshlrev_b32 v18, 16, v18
	s_delay_alu instid0(VALU_DEP_4) | instskip(NEXT) | instid1(VALU_DEP_3)
	v_fmac_f32_e32 v32, v17, v13
	v_dual_add_f32 v22, v60, v22 :: v_dual_mul_f32 v33, v23, v27
	s_waitcnt vmcnt(0)
	v_and_b32_e32 v39, 0xffff0000, v4
	v_and_b32_e32 v38, 0xffff0000, v10
	v_add_f32_e32 v20, v20, v31
	v_dual_add_f32 v22, v22, v32 :: v_dual_and_b32 v31, 0xffff0000, v19
	v_and_b32_e32 v35, 0xffff0000, v9
	s_delay_alu instid0(VALU_DEP_4) | instskip(SKIP_2) | instid1(VALU_DEP_2)
	v_dual_mul_f32 v44, v23, v38 :: v_dual_lshlrev_b32 v9, 16, v9
	v_and_b32_e32 v32, 0xffff0000, v15
	v_lshlrev_b32_e32 v14, 16, v14
	v_dual_mul_f32 v37, v31, v32 :: v_dual_lshlrev_b32 v10, 16, v10
	s_delay_alu instid0(VALU_DEP_2) | instskip(SKIP_2) | instid1(VALU_DEP_4)
	v_fmac_f32_e32 v33, v18, v14
	v_and_b32_e32 v25, 0xffff0000, v8
	v_lshlrev_b32_e32 v8, 16, v8
	v_fmac_f32_e32 v44, v18, v10
	s_delay_alu instid0(VALU_DEP_4) | instskip(NEXT) | instid1(VALU_DEP_4)
	v_dual_add_f32 v22, v22, v33 :: v_dual_mul_f32 v33, v24, v35
	v_dual_mul_f32 v34, v29, v25 :: v_dual_lshlrev_b32 v19, 16, v19
	v_lshlrev_b32_e32 v15, 16, v15
	v_mul_f32_e32 v29, v29, v39
	s_delay_alu instid0(VALU_DEP_3) | instskip(NEXT) | instid1(VALU_DEP_3)
	v_dual_fmac_f32 v33, v17, v9 :: v_dual_fmac_f32 v34, v16, v8
	v_fmac_f32_e32 v37, v19, v15
	s_delay_alu instid0(VALU_DEP_2) | instskip(SKIP_1) | instid1(VALU_DEP_3)
	v_add_f32_e32 v34, v63, v34
	v_lshlrev_b32_e32 v4, 16, v4
	v_dual_add_f32 v60, v22, v37 :: v_dual_and_b32 v37, 0xffff0000, v7
	v_lshlrev_b32_e32 v7, 16, v7
	s_delay_alu instid0(VALU_DEP_4) | instskip(NEXT) | instid1(VALU_DEP_4)
	v_add_f32_e32 v33, v34, v33
	v_dual_fmac_f32 v29, v16, v4 :: v_dual_and_b32 v34, 0xffff0000, v5
	s_delay_alu instid0(VALU_DEP_2) | instskip(NEXT) | instid1(VALU_DEP_2)
	v_dual_add_f32 v22, v33, v44 :: v_dual_lshlrev_b32 v5, 16, v5
	v_mul_f32_e32 v16, v24, v34
	s_delay_alu instid0(VALU_DEP_3)
	v_add_f32_e32 v29, v36, v29
	v_and_b32_e32 v33, 0xffff0000, v0
	v_and_b32_e32 v36, 0xffff0000, v6
	;; [unrolled: 1-line block ×3, first 2 shown]
	v_dual_fmac_f32 v16, v17, v5 :: v_dual_lshlrev_b32 v11, 16, v11
	v_lshlrev_b32_e32 v0, 16, v0
	s_delay_alu instid0(VALU_DEP_4) | instskip(NEXT) | instid1(VALU_DEP_4)
	v_dual_mul_f32 v30, v33, v30 :: v_dual_mul_f32 v23, v23, v36
	v_mul_f32_e32 v17, v31, v24
	s_delay_alu instid0(VALU_DEP_4) | instskip(SKIP_1) | instid1(VALU_DEP_4)
	v_dual_add_f32 v16, v29, v16 :: v_dual_and_b32 v29, 0xffff0000, v1
	v_lshlrev_b32_e32 v6, 16, v6
	v_dual_fmac_f32 v30, v0, v12 :: v_dual_lshlrev_b32 v1, 16, v1
	s_delay_alu instid0(VALU_DEP_3) | instskip(SKIP_1) | instid1(VALU_DEP_3)
	v_dual_fmac_f32 v17, v19, v11 :: v_dual_mul_f32 v12, v29, v26
	v_and_b32_e32 v26, 0xffff0000, v2
	v_add_f32_e32 v28, v28, v30
	v_fmac_f32_e32 v23, v18, v6
	s_delay_alu instid0(VALU_DEP_4) | instskip(NEXT) | instid1(VALU_DEP_4)
	v_add_f32_e32 v63, v22, v17
	v_dual_fmac_f32 v12, v1, v13 :: v_dual_mul_f32 v13, v26, v27
	v_mul_f32_e32 v18, v31, v37
	s_delay_alu instid0(VALU_DEP_2) | instskip(NEXT) | instid1(VALU_DEP_2)
	v_add_f32_e32 v12, v28, v12
	v_fmac_f32_e32 v18, v19, v7
	v_dual_mul_f32 v19, v33, v39 :: v_dual_lshlrev_b32 v2, 16, v2
	s_delay_alu instid0(VALU_DEP_1) | instskip(NEXT) | instid1(VALU_DEP_2)
	v_fmac_f32_e32 v19, v0, v4
	v_dual_fmac_f32 v13, v2, v14 :: v_dual_add_f32 v14, v16, v23
	v_mul_f32_e32 v16, v33, v25
	s_delay_alu instid0(VALU_DEP_2) | instskip(NEXT) | instid1(VALU_DEP_2)
	v_dual_add_f32 v12, v12, v13 :: v_dual_and_b32 v13, 0xffff0000, v3
	v_dual_fmac_f32 v16, v0, v8 :: v_dual_lshlrev_b32 v3, 16, v3
	v_mul_f32_e32 v8, v29, v35
	s_delay_alu instid0(VALU_DEP_3) | instskip(NEXT) | instid1(VALU_DEP_1)
	v_mul_f32_e32 v23, v13, v32
	v_dual_mul_f32 v0, v29, v34 :: v_dual_fmac_f32 v23, v3, v15
	s_delay_alu instid0(VALU_DEP_3) | instskip(NEXT) | instid1(VALU_DEP_2)
	v_dual_fmac_f32 v8, v1, v9 :: v_dual_mul_f32 v9, v26, v38
	v_dual_fmac_f32 v0, v1, v5 :: v_dual_mul_f32 v1, v26, v36
	v_add_f32_e32 v62, v14, v18
	s_delay_alu instid0(VALU_DEP_3) | instskip(SKIP_4) | instid1(VALU_DEP_3)
	v_fmac_f32_e32 v9, v2, v10
	v_add_f32_e32 v61, v12, v23
	v_mul_f32_e32 v5, v13, v24
	v_dual_fmac_f32 v1, v2, v6 :: v_dual_add_f32 v4, v21, v16
	v_add_f32_e32 v16, v20, v19
	v_dual_mul_f32 v2, v13, v37 :: v_dual_fmac_f32 v5, v3, v11
	s_delay_alu instid0(VALU_DEP_3) | instskip(NEXT) | instid1(VALU_DEP_3)
	v_add_f32_e32 v4, v4, v8
	v_add_f32_e32 v0, v16, v0
	s_delay_alu instid0(VALU_DEP_2) | instskip(NEXT) | instid1(VALU_DEP_2)
	v_add_f32_e32 v4, v4, v9
	v_add_f32_e32 v0, v0, v1
	s_delay_alu instid0(VALU_DEP_2) | instskip(NEXT) | instid1(VALU_DEP_1)
	v_dual_fmac_f32 v2, v3, v7 :: v_dual_add_f32 v59, v4, v5
	v_add_f32_e32 v44, v0, v2
.LBB211_16:                             ;   in Loop: Header=BB211_17 Depth=2
	s_or_b32 exec_lo, exec_lo, s2
	s_addk_i32 s14, 0x400
	s_delay_alu instid0(SALU_CYCLE_1)
	s_cmp_ge_u32 s14, s16
	s_cbranch_scc1 .LBB211_29
.LBB211_17:                             ;   Parent Loop BB211_12 Depth=1
                                        ; =>  This Loop Header: Depth=2
                                        ;       Child Loop BB211_22 Depth 3
	s_cmp_eq_u32 s14, 0
	s_cselect_b32 s15, -1, 0
	s_add_i32 s2, s3, s24
	s_delay_alu instid0(SALU_CYCLE_1) | instskip(SKIP_1) | instid1(SALU_CYCLE_1)
	s_cmp_eq_u32 s14, s2
	s_cselect_b32 s36, -1, 0
	s_or_b32 s36, s15, s36
	s_delay_alu instid0(SALU_CYCLE_1)
	s_and_not1_b32 vcc_lo, exec_lo, s36
	s_cbranch_vccz .LBB211_19
; %bb.18:                               ;   in Loop: Header=BB211_17 Depth=2
	s_and_saveexec_b32 s2, s1
	s_cbranch_execz .LBB211_16
	s_branch .LBB211_26
.LBB211_19:                             ;   in Loop: Header=BB211_17 Depth=2
	s_and_b32 s15, s15, exec_lo
	s_cselect_b32 s3, s3, s2
	s_and_not1_b32 vcc_lo, exec_lo, s26
	s_waitcnt vmcnt(0)
	s_waitcnt_vscnt null, 0x0
	s_barrier
	buffer_gl0_inv
	s_cbranch_vccnz .LBB211_25
; %bb.20:                               ;   in Loop: Header=BB211_17 Depth=2
	v_add_nc_u32_e32 v0, s3, v56
	v_dual_mov_b32 v2, v55 :: v_dual_add_nc_u32 v1, s3, v54
	s_mov_b32 s15, 0
	s_mov_b32 s36, 0
                                        ; implicit-def: $sgpr37
	s_set_inst_prefetch_distance 0x1
	s_branch .LBB211_22
	.p2align	6
.LBB211_21:                             ;   in Loop: Header=BB211_22 Depth=3
	s_or_b32 exec_lo, exec_lo, s2
	s_delay_alu instid0(SALU_CYCLE_1) | instskip(NEXT) | instid1(SALU_CYCLE_1)
	s_and_b32 s2, exec_lo, s37
	s_or_b32 s15, s2, s15
	s_delay_alu instid0(SALU_CYCLE_1)
	s_and_not1_b32 exec_lo, exec_lo, s15
	s_cbranch_execz .LBB211_24
.LBB211_22:                             ;   Parent Loop BB211_12 Depth=1
                                        ;     Parent Loop BB211_17 Depth=2
                                        ; =>    This Inner Loop Header: Depth=3
	v_add_nc_u32_e32 v45, s36, v1
	v_add_nc_u32_e32 v3, s36, v54
	s_or_b32 s37, s37, exec_lo
	s_delay_alu instid0(VALU_DEP_2) | instskip(NEXT) | instid1(VALU_DEP_2)
	v_cmp_gt_u32_e32 vcc_lo, s18, v45
	v_cmp_gt_u32_e64 s2, s24, v3
	s_delay_alu instid0(VALU_DEP_1) | instskip(NEXT) | instid1(SALU_CYCLE_1)
	s_and_b32 s38, s2, vcc_lo
	s_and_saveexec_b32 s2, s38
	s_cbranch_execz .LBB211_21
; %bb.23:                               ;   in Loop: Header=BB211_22 Depth=3
	v_lshlrev_b64 v[3:4], 1, v[45:46]
	v_add_nc_u32_e32 v45, s36, v0
	s_add_i32 s36, s36, s27
	v_add_nc_u32_e32 v11, s35, v2
	s_cmp_ge_u32 s36, s24
	s_delay_alu instid0(VALU_DEP_2) | instskip(SKIP_3) | instid1(VALU_DEP_3)
	v_lshlrev_b64 v[7:8], 1, v[45:46]
	v_add_co_u32 v3, vcc_lo, s8, v3
	v_add_co_ci_u32_e32 v4, vcc_lo, s9, v4, vcc_lo
	s_cselect_b32 s38, -1, 0
	v_add_co_u32 v7, vcc_lo, s8, v7
	global_load_b128 v[3:6], v[3:4], off
	v_add_co_ci_u32_e32 v8, vcc_lo, s9, v8, vcc_lo
	s_and_not1_b32 s37, s37, exec_lo
	s_and_b32 s38, s38, exec_lo
	global_load_b128 v[7:10], v[7:8], off
	s_or_b32 s37, s37, s38
	s_waitcnt vmcnt(1)
	ds_store_b128 v2, v[3:6]
	v_add_nc_u32_e32 v2, s20, v2
	s_waitcnt vmcnt(0)
	ds_store_2addr_b64 v11, v[7:8], v[9:10] offset1:1
	s_branch .LBB211_21
.LBB211_24:                             ;   in Loop: Header=BB211_17 Depth=2
	s_set_inst_prefetch_distance 0x2
	s_or_b32 exec_lo, exec_lo, s15
.LBB211_25:                             ;   in Loop: Header=BB211_17 Depth=2
	s_waitcnt lgkmcnt(0)
	s_barrier
	buffer_gl0_inv
	s_and_saveexec_b32 s2, s1
	s_cbranch_execz .LBB211_16
.LBB211_26:                             ;   in Loop: Header=BB211_17 Depth=2
	v_dual_mov_b32 v19, 0 :: v_dual_add_nc_u32 v64, s14, v53
	v_dual_mov_b32 v18, 0 :: v_dual_mov_b32 v23, 0
	v_mov_b32_e32 v22, 0
	s_delay_alu instid0(VALU_DEP_3) | instskip(SKIP_3) | instid1(VALU_DEP_4)
	v_min_u32_e32 v45, s28, v64
	v_add_nc_u32_e32 v65, 0x200, v64
	v_dual_mov_b32 v21, 0 :: v_dual_mov_b32 v20, 0
	v_dual_mov_b32 v39, 0 :: v_dual_mov_b32 v38, 0
	v_lshlrev_b64 v[0:1], 1, v[45:46]
	s_delay_alu instid0(VALU_DEP_4) | instskip(SKIP_3) | instid1(VALU_DEP_3)
	v_min_u32_e32 v45, s28, v65
	v_dual_mov_b32 v37, 0 :: v_dual_mov_b32 v36, 0
	s_mov_b32 s15, exec_lo
	s_waitcnt vmcnt(0)
	v_add_co_u32 v6, vcc_lo, s6, v0
	v_add_co_ci_u32_e32 v7, vcc_lo, s7, v1, vcc_lo
	v_lshlrev_b64 v[0:1], 1, v[45:46]
	s_delay_alu instid0(VALU_DEP_3) | instskip(NEXT) | instid1(VALU_DEP_3)
	v_add_co_u32 v2, vcc_lo, v6, v47
	v_add_co_ci_u32_e32 v3, vcc_lo, v7, v48, vcc_lo
	v_add_co_u32 v4, vcc_lo, v6, v49
	v_add_co_ci_u32_e32 v5, vcc_lo, v7, v50, vcc_lo
	;; [unrolled: 2-line block ×4, first 2 shown]
	s_delay_alu instid0(VALU_DEP_4) | instskip(NEXT) | instid1(VALU_DEP_4)
	v_add_co_u32 v6, vcc_lo, v10, v47
	v_add_co_ci_u32_e32 v7, vcc_lo, v11, v48, vcc_lo
	v_add_co_u32 v8, vcc_lo, v10, v49
	v_add_co_ci_u32_e32 v9, vcc_lo, v11, v50, vcc_lo
	;; [unrolled: 2-line block ×3, first 2 shown]
	s_clause 0x5
	global_load_b128 v[32:35], v[2:3], off slc dlc
	global_load_b128 v[28:31], v[4:5], off slc dlc
	;; [unrolled: 1-line block ×6, first 2 shown]
	v_dual_mov_b32 v3, 0 :: v_dual_mov_b32 v2, 0
	v_dual_mov_b32 v1, 0 :: v_dual_mov_b32 v0, 0
	;; [unrolled: 1-line block ×3, first 2 shown]
	v_cmpx_gt_u32_e64 s16, v64
	s_cbranch_execz .LBB211_15
; %bb.27:                               ;   in Loop: Header=BB211_17 Depth=2
	v_subrev_nc_u32_e32 v0, s3, v64
	v_dual_mov_b32 v16, 0 :: v_dual_mov_b32 v19, 0
	v_dual_mov_b32 v18, 0 :: v_dual_mov_b32 v1, 0
	s_delay_alu instid0(VALU_DEP_3) | instskip(SKIP_2) | instid1(VALU_DEP_3)
	v_dual_mov_b32 v17, 0 :: v_dual_lshlrev_b32 v64, 1, v0
	v_dual_mov_b32 v0, 0 :: v_dual_mov_b32 v3, 0
	v_mov_b32_e32 v2, 0
	v_lshl_add_u32 v45, s24, 1, v64
	s_mov_b32 s36, exec_lo
	ds_load_b128 v[36:39], v64
	ds_load_b128 v[20:23], v45
	v_cmpx_gt_u32_e64 s16, v65
	s_cbranch_execz .LBB211_14
; %bb.28:                               ;   in Loop: Header=BB211_17 Depth=2
	ds_load_b128 v[16:19], v64 offset:1024
	ds_load_b128 v[0:3], v45 offset:1024
	s_branch .LBB211_14
.LBB211_29:                             ;   in Loop: Header=BB211_12 Depth=1
	s_mov_b32 s1, exec_lo
	v_cmpx_le_u32_e64 s19, v43
	s_xor_b32 s1, exec_lo, s1
; %bb.30:                               ;   in Loop: Header=BB211_12 Depth=1
	v_add_nc_u32_e32 v43, s21, v43
                                        ; implicit-def: $vgpr60
                                        ; implicit-def: $vgpr63
                                        ; implicit-def: $vgpr62
                                        ; implicit-def: $vgpr61
                                        ; implicit-def: $vgpr59
                                        ; implicit-def: $vgpr44
; %bb.31:                               ;   in Loop: Header=BB211_12 Depth=1
	s_and_not1_saveexec_b32 s36, s1
	s_cbranch_execz .LBB211_11
; %bb.32:                               ;   in Loop: Header=BB211_12 Depth=1
	v_cvt_i32_f32_e32 v0, v60
	s_waitcnt lgkmcnt(0)
	v_xor_b32_e32 v1, 16, v58
	v_cvt_i32_f32_e32 v5, v59
	s_waitcnt vmcnt(0)
	v_cvt_i32_f32_e32 v6, v44
	v_cvt_i32_f32_e32 v3, v62
	v_cvt_f32_i32_dpp v0, v0 row_shr:8 row_mask:0xf bank_mask:0xf bound_ctrl:1
	v_cmp_gt_i32_e32 vcc_lo, 32, v1
	v_cvt_f32_i32_dpp v5, v5 row_shr:8 row_mask:0xf bank_mask:0xf bound_ctrl:1
	v_cvt_f32_i32_dpp v6, v6 row_shr:8 row_mask:0xf bank_mask:0xf bound_ctrl:1
	v_cvt_i32_f32_e32 v4, v61
	v_dual_add_f32 v0, v60, v0 :: v_dual_cndmask_b32 v1, v58, v1
	s_delay_alu instid0(VALU_DEP_3) | instskip(SKIP_1) | instid1(VALU_DEP_3)
	v_dual_add_f32 v5, v59, v5 :: v_dual_add_f32 v6, v44, v6
	v_cvt_i32_f32_e32 v2, v63
	v_cvt_i32_f32_e32 v7, v0
	v_cvt_f32_i32_dpp v3, v3 row_shr:8 row_mask:0xf bank_mask:0xf bound_ctrl:1
	s_delay_alu instid0(VALU_DEP_4)
	v_cvt_i32_f32_e32 v10, v5
	v_cvt_f32_i32_dpp v4, v4 row_shr:8 row_mask:0xf bank_mask:0xf bound_ctrl:1
	v_cvt_f32_i32_dpp v2, v2 row_shr:8 row_mask:0xf bank_mask:0xf bound_ctrl:1
	;; [unrolled: 1-line block ×3, first 2 shown]
	v_add_f32_e32 v3, v62, v3
	v_cvt_f32_i32_dpp v10, v10 row_shr:4 row_mask:0xf bank_mask:0xf bound_ctrl:1
	v_add_f32_e32 v4, v61, v4
	v_cvt_i32_f32_e32 v11, v6
	v_dual_add_f32 v0, v0, v7 :: v_dual_lshlrev_b32 v1, 2, v1
	v_add_f32_e32 v2, v63, v2
	v_add_f32_e32 v5, v5, v10
	v_cvt_i32_f32_e32 v9, v4
	s_delay_alu instid0(VALU_DEP_4)
	v_cvt_i32_f32_e32 v12, v0
	v_cvt_f32_i32_dpp v11, v11 row_shr:4 row_mask:0xf bank_mask:0xf bound_ctrl:1
	v_cvt_i32_f32_e32 v8, v2
	v_cvt_i32_f32_e32 v7, v3
	v_cvt_f32_i32_dpp v9, v9 row_shr:4 row_mask:0xf bank_mask:0xf bound_ctrl:1
	v_cvt_f32_i32_dpp v12, v12 row_shr:2 row_mask:0xf bank_mask:0xf bound_ctrl:1
	s_delay_alu instid0(VALU_DEP_4) | instskip(NEXT) | instid1(VALU_DEP_4)
	v_cvt_f32_i32_dpp v8, v8 row_shr:4 row_mask:0xf bank_mask:0xf bound_ctrl:1
	v_cvt_f32_i32_dpp v7, v7 row_shr:4 row_mask:0xf bank_mask:0xf bound_ctrl:1
	s_delay_alu instid0(VALU_DEP_3) | instskip(SKIP_2) | instid1(VALU_DEP_4)
	v_add_f32_e32 v0, v0, v12
	v_add_f32_e32 v6, v6, v11
	v_cvt_i32_f32_e32 v11, v5
	v_dual_add_f32 v2, v2, v8 :: v_dual_add_f32 v3, v3, v7
	s_delay_alu instid0(VALU_DEP_2) | instskip(SKIP_2) | instid1(VALU_DEP_4)
	v_cvt_f32_i32_dpp v11, v11 row_shr:2 row_mask:0xf bank_mask:0xf bound_ctrl:1
	v_add_f32_e32 v4, v4, v9
	v_cvt_i32_f32_e32 v9, v0
	v_cvt_i32_f32_e32 v7, v2
	;; [unrolled: 1-line block ×3, first 2 shown]
	v_add_f32_e32 v5, v5, v11
	v_cvt_i32_f32_e32 v10, v4
	v_cvt_f32_i32_dpp v9, v9 row_shr:1 row_mask:0xf bank_mask:0xf bound_ctrl:1
	v_cvt_f32_i32_dpp v7, v7 row_shr:2 row_mask:0xf bank_mask:0xf bound_ctrl:1
	v_cvt_f32_i32_dpp v8, v8 row_shr:2 row_mask:0xf bank_mask:0xf bound_ctrl:1
	s_delay_alu instid0(VALU_DEP_4) | instskip(NEXT) | instid1(VALU_DEP_4)
	v_cvt_f32_i32_dpp v10, v10 row_shr:2 row_mask:0xf bank_mask:0xf bound_ctrl:1
	v_add_f32_e32 v13, v0, v9
	v_cvt_i32_f32_e32 v12, v6
	v_add_f32_e32 v0, v2, v7
	s_delay_alu instid0(VALU_DEP_4) | instskip(SKIP_1) | instid1(VALU_DEP_4)
	v_dual_add_f32 v2, v3, v8 :: v_dual_add_f32 v3, v4, v10
	v_cvt_i32_f32_e32 v9, v5
	v_cvt_f32_i32_dpp v12, v12 row_shr:2 row_mask:0xf bank_mask:0xf bound_ctrl:1
	s_delay_alu instid0(VALU_DEP_4) | instskip(NEXT) | instid1(VALU_DEP_4)
	v_cvt_i32_f32_e32 v4, v0
	v_cvt_i32_f32_e32 v7, v2
	v_cvt_i32_f32_e32 v8, v3
	v_cvt_f32_i32_dpp v9, v9 row_shr:1 row_mask:0xf bank_mask:0xf bound_ctrl:1
	v_add_f32_e32 v6, v6, v12
	v_cvt_f32_i32_dpp v4, v4 row_shr:1 row_mask:0xf bank_mask:0xf bound_ctrl:1
	v_cvt_f32_i32_dpp v7, v7 row_shr:1 row_mask:0xf bank_mask:0xf bound_ctrl:1
	v_cvt_f32_i32_dpp v8, v8 row_shr:1 row_mask:0xf bank_mask:0xf bound_ctrl:1
	ds_bpermute_b32 v14, v1, v13
	v_cvt_i32_f32_e32 v10, v6
	v_dual_add_f32 v7, v2, v7 :: v_dual_add_f32 v2, v5, v9
	s_delay_alu instid0(VALU_DEP_2)
	v_cvt_f32_i32_dpp v11, v10 row_shr:1 row_mask:0xf bank_mask:0xf bound_ctrl:1
	v_add_f32_e32 v10, v0, v4
	v_add_f32_e32 v4, v3, v8
	ds_bpermute_b32 v8, v1, v7
	ds_bpermute_b32 v3, v1, v2
	v_add_f32_e32 v0, v6, v11
	ds_bpermute_b32 v11, v1, v10
	ds_bpermute_b32 v5, v1, v4
	;; [unrolled: 1-line block ×3, first 2 shown]
	s_and_saveexec_b32 s14, s0
	s_cbranch_execz .LBB211_71
; %bb.33:                               ;   in Loop: Header=BB211_12 Depth=1
	v_dual_mov_b32 v17, 0 :: v_dual_mov_b32 v16, 0
	v_dual_mov_b32 v12, 0 :: v_dual_add_nc_u32 v45, 2, v43
	v_dual_mov_b32 v15, 0 :: v_dual_mov_b32 v6, 0
	v_mov_b32_e32 v9, 0
	s_and_not1_b32 vcc_lo, exec_lo, s30
	s_cbranch_vccnz .LBB211_35
; %bb.34:                               ;   in Loop: Header=BB211_12 Depth=1
	v_dual_mov_b32 v23, v46 :: v_dual_add_nc_u32 v6, 1, v43
	v_mul_hi_u32 v9, v43, v57
	v_mul_hi_u32 v12, v45, v57
	s_delay_alu instid0(VALU_DEP_3) | instskip(NEXT) | instid1(VALU_DEP_3)
	v_mul_hi_u32 v15, v6, v57
	v_mul_lo_u32 v9, v9, s4
	s_delay_alu instid0(VALU_DEP_3) | instskip(NEXT) | instid1(VALU_DEP_3)
	v_mul_lo_u32 v12, v12, s4
	v_mul_lo_u32 v15, v15, s4
	s_delay_alu instid0(VALU_DEP_3) | instskip(NEXT) | instid1(VALU_DEP_3)
	v_sub_nc_u32_e32 v9, v43, v9
	v_sub_nc_u32_e32 v12, v45, v12
	s_delay_alu instid0(VALU_DEP_3) | instskip(NEXT) | instid1(VALU_DEP_3)
	v_sub_nc_u32_e32 v6, v6, v15
	v_subrev_nc_u32_e32 v15, s4, v9
	v_cmp_le_u32_e32 vcc_lo, s4, v9
	v_mov_b32_e32 v16, v46
	v_subrev_nc_u32_e32 v17, s4, v12
	v_subrev_nc_u32_e32 v19, s4, v6
	v_cndmask_b32_e32 v9, v9, v15, vcc_lo
	v_cmp_le_u32_e32 vcc_lo, s4, v12
	s_delay_alu instid0(VALU_DEP_2) | instskip(SKIP_2) | instid1(VALU_DEP_2)
	v_subrev_nc_u32_e32 v15, s4, v9
	v_cndmask_b32_e32 v12, v12, v17, vcc_lo
	v_cmp_le_u32_e32 vcc_lo, s4, v6
	v_subrev_nc_u32_e32 v17, s4, v12
	v_cndmask_b32_e32 v6, v6, v19, vcc_lo
	v_cmp_le_u32_e32 vcc_lo, s4, v9
	v_mov_b32_e32 v18, v46
	s_delay_alu instid0(VALU_DEP_3)
	v_subrev_nc_u32_e32 v21, s4, v6
	v_cndmask_b32_e32 v15, v9, v15, vcc_lo
	v_cmp_le_u32_e32 vcc_lo, s4, v12
	v_dual_mov_b32 v20, v46 :: v_dual_cndmask_b32 v19, v12, v17
	v_cmp_le_u32_e32 vcc_lo, s4, v6
	v_mov_b32_e32 v22, v46
	s_delay_alu instid0(VALU_DEP_3) | instskip(SKIP_4) | instid1(VALU_DEP_4)
	v_lshlrev_b64 v[24:25], 1, v[19:20]
	v_add_nc_u32_e32 v19, s33, v19
	v_cndmask_b32_e32 v17, v6, v21, vcc_lo
	v_add_nc_u32_e32 v21, s33, v15
	v_lshlrev_b64 v[15:16], 1, v[15:16]
	v_lshlrev_b64 v[19:20], 1, v[19:20]
	s_delay_alu instid0(VALU_DEP_4) | instskip(NEXT) | instid1(VALU_DEP_4)
	v_lshlrev_b64 v[26:27], 1, v[17:18]
	v_lshlrev_b64 v[28:29], 1, v[21:22]
	v_add_nc_u32_e32 v22, s33, v17
	v_add_co_u32 v15, vcc_lo, s10, v15
	v_add_co_ci_u32_e32 v16, vcc_lo, s11, v16, vcc_lo
	v_add_co_u32 v24, vcc_lo, s10, v24
	v_add_co_ci_u32_e32 v25, vcc_lo, s11, v25, vcc_lo
	v_lshlrev_b64 v[17:18], 1, v[22:23]
	v_add_co_u32 v21, vcc_lo, s10, v26
	v_add_co_ci_u32_e32 v22, vcc_lo, s11, v27, vcc_lo
	v_add_co_u32 v26, vcc_lo, s10, v28
	v_add_co_ci_u32_e32 v27, vcc_lo, s11, v29, vcc_lo
	;; [unrolled: 2-line block ×4, first 2 shown]
	s_clause 0x5
	global_load_u16 v17, v[15:16], off
	global_load_u16 v16, v[21:22], off
	;; [unrolled: 1-line block ×6, first 2 shown]
.LBB211_35:                             ;   in Loop: Header=BB211_12 Depth=1
	v_cmp_ne_u32_e32 vcc_lo, 0, v40
	s_and_saveexec_b32 s2, vcc_lo
	s_cbranch_execnz .LBB211_41
; %bb.36:                               ;   in Loop: Header=BB211_12 Depth=1
	s_or_b32 exec_lo, exec_lo, s2
	v_cmp_ne_u32_e64 s1, 0, v41
	s_delay_alu instid0(VALU_DEP_1)
	s_and_saveexec_b32 s3, s1
	s_cbranch_execnz .LBB211_46
.LBB211_37:                             ;   in Loop: Header=BB211_12 Depth=1
	s_or_b32 exec_lo, exec_lo, s3
	v_cmp_ne_u32_e64 s2, 0, v42
	s_delay_alu instid0(VALU_DEP_1)
	s_and_saveexec_b32 s15, s2
	s_cbranch_execnz .LBB211_51
.LBB211_38:                             ;   in Loop: Header=BB211_12 Depth=1
	s_or_b32 exec_lo, exec_lo, s15
	v_add_nc_u32_e32 v45, s19, v43
	s_and_saveexec_b32 s3, vcc_lo
	s_cbranch_execnz .LBB211_56
.LBB211_39:                             ;   in Loop: Header=BB211_12 Depth=1
	s_or_b32 exec_lo, exec_lo, s3
	s_and_saveexec_b32 s3, s1
	s_cbranch_execnz .LBB211_61
.LBB211_40:                             ;   in Loop: Header=BB211_12 Depth=1
	s_or_b32 exec_lo, exec_lo, s3
	s_delay_alu instid0(SALU_CYCLE_1)
	s_and_b32 exec_lo, exec_lo, s2
	s_cbranch_execnz .LBB211_66
	s_branch .LBB211_71
.LBB211_41:                             ;   in Loop: Header=BB211_12 Depth=1
	s_waitcnt vmcnt(5) lgkmcnt(5)
	v_dual_add_f32 v13, v13, v14 :: v_dual_lshlrev_b32 v14, 16, v17
	s_delay_alu instid0(VALU_DEP_1) | instskip(NEXT) | instid1(VALU_DEP_1)
	v_add_f32_e32 v14, v13, v14
	v_and_b32_e32 v13, 0x7f800000, v14
	s_delay_alu instid0(VALU_DEP_1) | instskip(NEXT) | instid1(VALU_DEP_1)
	v_cmp_ne_u32_e64 s1, 0x7f800000, v13
                                        ; implicit-def: $vgpr13
	s_and_saveexec_b32 s3, s1
	s_delay_alu instid0(SALU_CYCLE_1)
	s_xor_b32 s1, exec_lo, s3
; %bb.42:                               ;   in Loop: Header=BB211_12 Depth=1
	v_bfe_u32 v13, v14, 16, 1
	s_delay_alu instid0(VALU_DEP_1)
	v_add3_u32 v13, v14, v13, 0x7fff
                                        ; implicit-def: $vgpr14
; %bb.43:                               ;   in Loop: Header=BB211_12 Depth=1
	s_and_not1_saveexec_b32 s3, s1
; %bb.44:                               ;   in Loop: Header=BB211_12 Depth=1
	v_and_b32_e32 v13, 0xffff, v14
	v_or_b32_e32 v17, 0x10000, v14
	s_delay_alu instid0(VALU_DEP_2) | instskip(NEXT) | instid1(VALU_DEP_1)
	v_cmp_eq_u32_e64 s1, 0, v13
	v_cndmask_b32_e64 v13, v17, v14, s1
; %bb.45:                               ;   in Loop: Header=BB211_12 Depth=1
	s_or_b32 exec_lo, exec_lo, s3
	v_mov_b32_e32 v44, v46
	s_delay_alu instid0(VALU_DEP_1) | instskip(NEXT) | instid1(VALU_DEP_1)
	v_lshlrev_b64 v[17:18], 1, v[43:44]
	v_add_co_u32 v17, s1, s12, v17
	s_delay_alu instid0(VALU_DEP_1) | instskip(SKIP_3) | instid1(VALU_DEP_1)
	v_add_co_ci_u32_e64 v18, s1, s13, v18, s1
	global_store_d16_hi_b16 v[17:18], v13, off
	s_or_b32 exec_lo, exec_lo, s2
	v_cmp_ne_u32_e64 s1, 0, v41
	s_and_saveexec_b32 s3, s1
	s_cbranch_execz .LBB211_37
.LBB211_46:                             ;   in Loop: Header=BB211_12 Depth=1
	s_waitcnt vmcnt(4) lgkmcnt(2)
	v_dual_add_f32 v10, v10, v11 :: v_dual_lshlrev_b32 v11, 16, v16
	s_delay_alu instid0(VALU_DEP_1) | instskip(NEXT) | instid1(VALU_DEP_1)
	v_add_f32_e32 v11, v10, v11
	v_and_b32_e32 v10, 0x7f800000, v11
	s_delay_alu instid0(VALU_DEP_1) | instskip(NEXT) | instid1(VALU_DEP_1)
	v_cmp_ne_u32_e64 s2, 0x7f800000, v10
                                        ; implicit-def: $vgpr10
	s_and_saveexec_b32 s15, s2
	s_delay_alu instid0(SALU_CYCLE_1)
	s_xor_b32 s2, exec_lo, s15
; %bb.47:                               ;   in Loop: Header=BB211_12 Depth=1
	v_bfe_u32 v10, v11, 16, 1
	s_delay_alu instid0(VALU_DEP_1)
	v_add3_u32 v10, v11, v10, 0x7fff
                                        ; implicit-def: $vgpr11
; %bb.48:                               ;   in Loop: Header=BB211_12 Depth=1
	s_and_not1_saveexec_b32 s15, s2
; %bb.49:                               ;   in Loop: Header=BB211_12 Depth=1
	v_and_b32_e32 v10, 0xffff, v11
	v_or_b32_e32 v13, 0x10000, v11
	s_delay_alu instid0(VALU_DEP_2) | instskip(NEXT) | instid1(VALU_DEP_1)
	v_cmp_eq_u32_e64 s2, 0, v10
	v_cndmask_b32_e64 v10, v13, v11, s2
; %bb.50:                               ;   in Loop: Header=BB211_12 Depth=1
	s_or_b32 exec_lo, exec_lo, s15
	v_mov_b32_e32 v44, v46
	s_delay_alu instid0(VALU_DEP_1) | instskip(NEXT) | instid1(VALU_DEP_1)
	v_lshlrev_b64 v[13:14], 1, v[43:44]
	v_add_co_u32 v13, s2, s31, v13
	s_delay_alu instid0(VALU_DEP_1) | instskip(SKIP_3) | instid1(VALU_DEP_1)
	v_add_co_ci_u32_e64 v14, s2, s34, v14, s2
	global_store_d16_hi_b16 v[13:14], v10, off
	s_or_b32 exec_lo, exec_lo, s3
	v_cmp_ne_u32_e64 s2, 0, v42
	s_and_saveexec_b32 s15, s2
	s_cbranch_execz .LBB211_38
.LBB211_51:                             ;   in Loop: Header=BB211_12 Depth=1
	s_waitcnt vmcnt(3) lgkmcnt(4)
	v_dual_add_f32 v7, v7, v8 :: v_dual_lshlrev_b32 v8, 16, v15
	s_delay_alu instid0(VALU_DEP_1) | instskip(NEXT) | instid1(VALU_DEP_1)
	v_add_f32_e32 v8, v7, v8
	v_and_b32_e32 v7, 0x7f800000, v8
	s_delay_alu instid0(VALU_DEP_1) | instskip(NEXT) | instid1(VALU_DEP_1)
	v_cmp_ne_u32_e64 s3, 0x7f800000, v7
                                        ; implicit-def: $vgpr7
	s_and_saveexec_b32 s37, s3
	s_delay_alu instid0(SALU_CYCLE_1)
	s_xor_b32 s3, exec_lo, s37
; %bb.52:                               ;   in Loop: Header=BB211_12 Depth=1
	v_bfe_u32 v7, v8, 16, 1
	s_delay_alu instid0(VALU_DEP_1)
	v_add3_u32 v7, v8, v7, 0x7fff
                                        ; implicit-def: $vgpr8
; %bb.53:                               ;   in Loop: Header=BB211_12 Depth=1
	s_and_not1_saveexec_b32 s37, s3
; %bb.54:                               ;   in Loop: Header=BB211_12 Depth=1
	v_and_b32_e32 v7, 0xffff, v8
	v_or_b32_e32 v10, 0x10000, v8
	s_delay_alu instid0(VALU_DEP_2) | instskip(NEXT) | instid1(VALU_DEP_1)
	v_cmp_eq_u32_e64 s3, 0, v7
	v_cndmask_b32_e64 v7, v10, v8, s3
; %bb.55:                               ;   in Loop: Header=BB211_12 Depth=1
	s_or_b32 exec_lo, exec_lo, s37
	s_waitcnt lgkmcnt(2)
	v_lshlrev_b64 v[10:11], 1, v[45:46]
	s_delay_alu instid0(VALU_DEP_1) | instskip(NEXT) | instid1(VALU_DEP_1)
	v_add_co_u32 v10, s3, s12, v10
	v_add_co_ci_u32_e64 v11, s3, s13, v11, s3
	global_store_d16_hi_b16 v[10:11], v7, off
	s_or_b32 exec_lo, exec_lo, s15
	v_add_nc_u32_e32 v45, s19, v43
	s_and_saveexec_b32 s3, vcc_lo
	s_cbranch_execz .LBB211_39
.LBB211_56:                             ;   in Loop: Header=BB211_12 Depth=1
	s_waitcnt vmcnt(2) lgkmcnt(1)
	v_dual_add_f32 v4, v4, v5 :: v_dual_lshlrev_b32 v5, 16, v12
	s_delay_alu instid0(VALU_DEP_1) | instskip(NEXT) | instid1(VALU_DEP_1)
	v_add_f32_e32 v5, v4, v5
	v_and_b32_e32 v4, 0x7f800000, v5
	s_delay_alu instid0(VALU_DEP_1) | instskip(SKIP_1) | instid1(SALU_CYCLE_1)
	v_cmp_ne_u32_e32 vcc_lo, 0x7f800000, v4
                                        ; implicit-def: $vgpr4
	s_and_saveexec_b32 s15, vcc_lo
	s_xor_b32 s15, exec_lo, s15
; %bb.57:                               ;   in Loop: Header=BB211_12 Depth=1
	v_bfe_u32 v4, v5, 16, 1
	s_delay_alu instid0(VALU_DEP_1)
	v_add3_u32 v4, v5, v4, 0x7fff
                                        ; implicit-def: $vgpr5
; %bb.58:                               ;   in Loop: Header=BB211_12 Depth=1
	s_and_not1_saveexec_b32 s15, s15
; %bb.59:                               ;   in Loop: Header=BB211_12 Depth=1
	v_and_b32_e32 v4, 0xffff, v5
	v_or_b32_e32 v7, 0x10000, v5
	s_delay_alu instid0(VALU_DEP_2) | instskip(NEXT) | instid1(VALU_DEP_2)
	v_cmp_eq_u32_e32 vcc_lo, 0, v4
	v_cndmask_b32_e32 v4, v7, v5, vcc_lo
; %bb.60:                               ;   in Loop: Header=BB211_12 Depth=1
	s_or_b32 exec_lo, exec_lo, s15
	v_lshlrev_b64 v[7:8], 1, v[45:46]
	s_delay_alu instid0(VALU_DEP_1) | instskip(NEXT) | instid1(VALU_DEP_2)
	v_add_co_u32 v7, vcc_lo, s12, v7
	v_add_co_ci_u32_e32 v8, vcc_lo, s13, v8, vcc_lo
	global_store_d16_hi_b16 v[7:8], v4, off
	s_or_b32 exec_lo, exec_lo, s3
	s_and_saveexec_b32 s3, s1
	s_cbranch_execz .LBB211_40
.LBB211_61:                             ;   in Loop: Header=BB211_12 Depth=1
	s_waitcnt vmcnt(1) lgkmcnt(3)
	v_dual_add_f32 v2, v2, v3 :: v_dual_lshlrev_b32 v3, 16, v9
	s_delay_alu instid0(VALU_DEP_1) | instskip(NEXT) | instid1(VALU_DEP_1)
	v_add_f32_e32 v3, v2, v3
	v_and_b32_e32 v2, 0x7f800000, v3
	s_delay_alu instid0(VALU_DEP_1) | instskip(SKIP_1) | instid1(SALU_CYCLE_1)
	v_cmp_ne_u32_e32 vcc_lo, 0x7f800000, v2
                                        ; implicit-def: $vgpr2
	s_and_saveexec_b32 s1, vcc_lo
	s_xor_b32 s1, exec_lo, s1
; %bb.62:                               ;   in Loop: Header=BB211_12 Depth=1
	v_bfe_u32 v2, v3, 16, 1
	s_delay_alu instid0(VALU_DEP_1)
	v_add3_u32 v2, v3, v2, 0x7fff
                                        ; implicit-def: $vgpr3
; %bb.63:                               ;   in Loop: Header=BB211_12 Depth=1
	s_and_not1_saveexec_b32 s1, s1
; %bb.64:                               ;   in Loop: Header=BB211_12 Depth=1
	v_and_b32_e32 v2, 0xffff, v3
	v_or_b32_e32 v4, 0x10000, v3
	s_delay_alu instid0(VALU_DEP_2) | instskip(NEXT) | instid1(VALU_DEP_2)
	v_cmp_eq_u32_e32 vcc_lo, 0, v2
	v_cndmask_b32_e32 v2, v4, v3, vcc_lo
; %bb.65:                               ;   in Loop: Header=BB211_12 Depth=1
	s_or_b32 exec_lo, exec_lo, s1
	v_dual_mov_b32 v4, v46 :: v_dual_add_nc_u32 v3, 1, v45
	s_delay_alu instid0(VALU_DEP_1) | instskip(NEXT) | instid1(VALU_DEP_1)
	v_lshlrev_b64 v[3:4], 1, v[3:4]
	v_add_co_u32 v3, vcc_lo, s12, v3
	s_delay_alu instid0(VALU_DEP_2) | instskip(SKIP_2) | instid1(SALU_CYCLE_1)
	v_add_co_ci_u32_e32 v4, vcc_lo, s13, v4, vcc_lo
	global_store_d16_hi_b16 v[3:4], v2, off
	s_or_b32 exec_lo, exec_lo, s3
	s_and_b32 exec_lo, exec_lo, s2
	s_cbranch_execz .LBB211_71
.LBB211_66:                             ;   in Loop: Header=BB211_12 Depth=1
	s_waitcnt vmcnt(0) lgkmcnt(0)
	v_dual_add_f32 v0, v0, v1 :: v_dual_lshlrev_b32 v1, 16, v6
	s_delay_alu instid0(VALU_DEP_1) | instskip(NEXT) | instid1(VALU_DEP_1)
	v_add_f32_e32 v1, v0, v1
	v_and_b32_e32 v0, 0x7f800000, v1
	s_delay_alu instid0(VALU_DEP_1) | instskip(SKIP_1) | instid1(SALU_CYCLE_1)
	v_cmp_ne_u32_e32 vcc_lo, 0x7f800000, v0
                                        ; implicit-def: $vgpr0
	s_and_saveexec_b32 s1, vcc_lo
	s_xor_b32 s1, exec_lo, s1
; %bb.67:                               ;   in Loop: Header=BB211_12 Depth=1
	v_bfe_u32 v0, v1, 16, 1
	s_delay_alu instid0(VALU_DEP_1)
	v_add3_u32 v0, v1, v0, 0x7fff
                                        ; implicit-def: $vgpr1
; %bb.68:                               ;   in Loop: Header=BB211_12 Depth=1
	s_and_not1_saveexec_b32 s1, s1
; %bb.69:                               ;   in Loop: Header=BB211_12 Depth=1
	v_and_b32_e32 v0, 0xffff, v1
	v_or_b32_e32 v2, 0x10000, v1
	s_delay_alu instid0(VALU_DEP_2) | instskip(NEXT) | instid1(VALU_DEP_2)
	v_cmp_eq_u32_e32 vcc_lo, 0, v0
	v_cndmask_b32_e32 v0, v2, v1, vcc_lo
; %bb.70:                               ;   in Loop: Header=BB211_12 Depth=1
	s_or_b32 exec_lo, exec_lo, s1
	v_add_nc_u32_e32 v45, 2, v45
	s_delay_alu instid0(VALU_DEP_1) | instskip(NEXT) | instid1(VALU_DEP_1)
	v_lshlrev_b64 v[1:2], 1, v[45:46]
	v_add_co_u32 v1, vcc_lo, s12, v1
	s_delay_alu instid0(VALU_DEP_2)
	v_add_co_ci_u32_e32 v2, vcc_lo, s13, v2, vcc_lo
	global_store_d16_hi_b16 v[1:2], v0, off
.LBB211_71:                             ;   in Loop: Header=BB211_12 Depth=1
	s_or_b32 exec_lo, exec_lo, s14
	v_add_nc_u32_e32 v43, s21, v43
	s_delay_alu instid0(VALU_DEP_1) | instskip(SKIP_1) | instid1(VALU_DEP_2)
	v_add_nc_u32_e32 v0, 3, v43
	v_cmp_gt_u32_e32 vcc_lo, s19, v43
	v_cmp_le_u32_e64 s1, s19, v0
	s_delay_alu instid0(VALU_DEP_1) | instskip(NEXT) | instid1(SALU_CYCLE_1)
	s_and_b32 s1, vcc_lo, s1
	s_and_saveexec_b32 s37, s1
	s_cbranch_execz .LBB211_10
; %bb.72:                               ;   in Loop: Header=BB211_12 Depth=1
	s_mov_b32 s38, exec_lo
	v_cmpx_ne_u32_e64 s5, v43
	s_cbranch_execz .LBB211_9
; %bb.73:                               ;   in Loop: Header=BB211_12 Depth=1
	v_subrev_nc_u32_e32 v0, s5, v43
	s_mov_b32 s39, 0
	s_mov_b64 s[14:15], 0
	s_delay_alu instid0(VALU_DEP_1)
	v_cmp_lt_u32_e32 vcc_lo, 1, v0
	v_cndmask_b32_e32 v0, 1, v0, vcc_lo
	.p2align	6
.LBB211_74:                             ;   Parent Loop BB211_12 Depth=1
                                        ; =>  This Inner Loop Header: Depth=2
	s_cmp_lg_u32 s14, 2
	s_cselect_b32 vcc_lo, -1, 0
	s_cmp_lg_u32 s14, 1
	v_cndmask_b32_e32 v42, 0, v42, vcc_lo
	s_cselect_b32 s1, -1, 0
	s_cmp_lg_u32 s14, 0
	v_cndmask_b32_e64 v41, 0, v41, s1
	s_cselect_b32 s2, -1, 0
	s_add_u32 s14, s14, 1
	v_cndmask_b32_e64 v40, 0, v40, s2
	v_cmp_eq_u32_e64 s3, s14, v0
	s_addc_u32 s15, s15, 0
	s_delay_alu instid0(VALU_DEP_1) | instskip(NEXT) | instid1(SALU_CYCLE_1)
	s_or_b32 s39, s3, s39
	s_and_not1_b32 exec_lo, exec_lo, s39
	s_cbranch_execnz .LBB211_74
; %bb.75:                               ;   in Loop: Header=BB211_12 Depth=1
	s_or_b32 exec_lo, exec_lo, s39
	s_branch .LBB211_9
.LBB211_76:
	s_nop 0
	s_sendmsg sendmsg(MSG_DEALLOC_VGPRS)
	s_endpgm
	.section	.rodata,"a",@progbits
	.p2align	6, 0x0
	.amdhsa_kernel _Z16wvSplitK_hf_big_I14__hip_bfloat16Li64ELi3ELi16ELi8ELi2ELi2EEviiiiiiPKT_S3_S3_PS1_ii
		.amdhsa_group_segment_fixed_size 65536
		.amdhsa_private_segment_fixed_size 0
		.amdhsa_kernarg_size 64
		.amdhsa_user_sgpr_count 15
		.amdhsa_user_sgpr_dispatch_ptr 0
		.amdhsa_user_sgpr_queue_ptr 0
		.amdhsa_user_sgpr_kernarg_segment_ptr 1
		.amdhsa_user_sgpr_dispatch_id 0
		.amdhsa_user_sgpr_private_segment_size 0
		.amdhsa_wavefront_size32 1
		.amdhsa_uses_dynamic_stack 0
		.amdhsa_enable_private_segment 0
		.amdhsa_system_sgpr_workgroup_id_x 1
		.amdhsa_system_sgpr_workgroup_id_y 0
		.amdhsa_system_sgpr_workgroup_id_z 0
		.amdhsa_system_sgpr_workgroup_info 0
		.amdhsa_system_vgpr_workitem_id 1
		.amdhsa_next_free_vgpr 78
		.amdhsa_next_free_sgpr 40
		.amdhsa_reserve_vcc 1
		.amdhsa_float_round_mode_32 0
		.amdhsa_float_round_mode_16_64 0
		.amdhsa_float_denorm_mode_32 3
		.amdhsa_float_denorm_mode_16_64 3
		.amdhsa_dx10_clamp 1
		.amdhsa_ieee_mode 1
		.amdhsa_fp16_overflow 0
		.amdhsa_workgroup_processor_mode 1
		.amdhsa_memory_ordered 1
		.amdhsa_forward_progress 0
		.amdhsa_shared_vgpr_count 0
		.amdhsa_exception_fp_ieee_invalid_op 0
		.amdhsa_exception_fp_denorm_src 0
		.amdhsa_exception_fp_ieee_div_zero 0
		.amdhsa_exception_fp_ieee_overflow 0
		.amdhsa_exception_fp_ieee_underflow 0
		.amdhsa_exception_fp_ieee_inexact 0
		.amdhsa_exception_int_div_zero 0
	.end_amdhsa_kernel
	.section	.text._Z16wvSplitK_hf_big_I14__hip_bfloat16Li64ELi3ELi16ELi8ELi2ELi2EEviiiiiiPKT_S3_S3_PS1_ii,"axG",@progbits,_Z16wvSplitK_hf_big_I14__hip_bfloat16Li64ELi3ELi16ELi8ELi2ELi2EEviiiiiiPKT_S3_S3_PS1_ii,comdat
.Lfunc_end211:
	.size	_Z16wvSplitK_hf_big_I14__hip_bfloat16Li64ELi3ELi16ELi8ELi2ELi2EEviiiiiiPKT_S3_S3_PS1_ii, .Lfunc_end211-_Z16wvSplitK_hf_big_I14__hip_bfloat16Li64ELi3ELi16ELi8ELi2ELi2EEviiiiiiPKT_S3_S3_PS1_ii
                                        ; -- End function
	.section	.AMDGPU.csdata,"",@progbits
; Kernel info:
; codeLenInByte = 5152
; NumSgprs: 42
; NumVgprs: 78
; ScratchSize: 0
; MemoryBound: 0
; FloatMode: 240
; IeeeMode: 1
; LDSByteSize: 65536 bytes/workgroup (compile time only)
; SGPRBlocks: 5
; VGPRBlocks: 9
; NumSGPRsForWavesPerEU: 42
; NumVGPRsForWavesPerEU: 78
; Occupancy: 16
; WaveLimiterHint : 0
; COMPUTE_PGM_RSRC2:SCRATCH_EN: 0
; COMPUTE_PGM_RSRC2:USER_SGPR: 15
; COMPUTE_PGM_RSRC2:TRAP_HANDLER: 0
; COMPUTE_PGM_RSRC2:TGID_X_EN: 1
; COMPUTE_PGM_RSRC2:TGID_Y_EN: 0
; COMPUTE_PGM_RSRC2:TGID_Z_EN: 0
; COMPUTE_PGM_RSRC2:TIDIG_COMP_CNT: 1
	.section	.text._Z16wvSplitK_hf_sml_I14__hip_bfloat16Li64ELi4ELi16ELi8ELi1ELi2EEviiiiiiPKT_S3_S3_PS1_ii,"axG",@progbits,_Z16wvSplitK_hf_sml_I14__hip_bfloat16Li64ELi4ELi16ELi8ELi1ELi2EEviiiiiiPKT_S3_S3_PS1_ii,comdat
	.protected	_Z16wvSplitK_hf_sml_I14__hip_bfloat16Li64ELi4ELi16ELi8ELi1ELi2EEviiiiiiPKT_S3_S3_PS1_ii ; -- Begin function _Z16wvSplitK_hf_sml_I14__hip_bfloat16Li64ELi4ELi16ELi8ELi1ELi2EEviiiiiiPKT_S3_S3_PS1_ii
	.globl	_Z16wvSplitK_hf_sml_I14__hip_bfloat16Li64ELi4ELi16ELi8ELi1ELi2EEviiiiiiPKT_S3_S3_PS1_ii
	.p2align	8
	.type	_Z16wvSplitK_hf_sml_I14__hip_bfloat16Li64ELi4ELi16ELi8ELi1ELi2EEviiiiiiPKT_S3_S3_PS1_ii,@function
_Z16wvSplitK_hf_sml_I14__hip_bfloat16Li64ELi4ELi16ELi8ELi1ELi2EEviiiiiiPKT_S3_S3_PS1_ii: ; @_Z16wvSplitK_hf_sml_I14__hip_bfloat16Li64ELi4ELi16ELi8ELi1ELi2EEviiiiiiPKT_S3_S3_PS1_ii
; %bb.0:
	s_clause 0x2
	s_load_b128 s[4:7], s[0:1], 0x0
	s_load_b64 s[8:9], s[0:1], 0x10
	s_load_b64 s[10:11], s[0:1], 0x28
	v_and_b32_e32 v2, 0x3ff, v0
	v_bfe_u32 v3, v0, 10, 10
	s_mov_b32 s12, exec_lo
	s_delay_alu instid0(VALU_DEP_2) | instskip(NEXT) | instid1(VALU_DEP_1)
	v_lshlrev_b32_e32 v35, 3, v2
	v_lshl_add_u32 v4, v3, 9, v35
	s_waitcnt lgkmcnt(0)
	s_lshl_b32 s6, s6, 1
	s_delay_alu instid0(SALU_CYCLE_1)
	s_min_u32 s3, s6, 0x8000
	s_delay_alu instid0(VALU_DEP_1) | instid1(SALU_CYCLE_1)
	v_cmpx_gt_u32_e64 s3, v4
	s_cbranch_execz .LBB212_3
; %bb.1:
	s_load_b64 s[16:17], s[0:1], 0x20
	v_lshlrev_b32_e32 v5, 10, v3
	v_lshlrev_b32_e32 v6, 4, v2
	s_mov_b32 s13, 0
	s_delay_alu instid0(VALU_DEP_1) | instskip(NEXT) | instid1(VALU_DEP_1)
	v_add_co_u32 v0, s2, v5, v6
	v_add_co_ci_u32_e64 v1, null, 0, 0, s2
	v_add_nc_u32_e32 v5, v5, v6
	s_waitcnt lgkmcnt(0)
	s_delay_alu instid0(VALU_DEP_3) | instskip(NEXT) | instid1(VALU_DEP_3)
	v_add_co_u32 v0, vcc_lo, s16, v0
	v_add_co_ci_u32_e32 v1, vcc_lo, s17, v1, vcc_lo
	.p2align	6
.LBB212_2:                              ; =>This Inner Loop Header: Depth=1
	global_load_b128 v[6:9], v[0:1], off
	v_add_nc_u32_e32 v4, 0x2000, v4
	v_add_co_u32 v0, vcc_lo, 0x4000, v0
	v_add_co_ci_u32_e32 v1, vcc_lo, 0, v1, vcc_lo
	s_delay_alu instid0(VALU_DEP_3) | instskip(NEXT) | instid1(VALU_DEP_1)
	v_cmp_le_u32_e64 s2, s3, v4
	s_or_b32 s13, s2, s13
	s_waitcnt vmcnt(0)
	ds_store_b128 v5, v[6:9]
	v_add_nc_u32_e32 v5, 0x4000, v5
	s_and_not1_b32 exec_lo, exec_lo, s13
	s_cbranch_execnz .LBB212_2
.LBB212_3:
	s_or_b32 exec_lo, exec_lo, s12
	s_load_b64 s[16:17], s[0:1], 0x38
	s_waitcnt lgkmcnt(0)
	s_barrier
	buffer_gl0_inv
	s_mov_b32 s2, exec_lo
	v_cmpx_gt_u32_e64 s16, v3
	s_cbranch_execz .LBB212_48
; %bb.4:
	s_mul_i32 s15, s15, s16
	s_delay_alu instid0(SALU_CYCLE_1) | instskip(NEXT) | instid1(VALU_DEP_1)
	v_add_lshl_u32 v24, s15, v3, 2
	v_cmp_gt_u32_e32 vcc_lo, s7, v24
	s_and_b32 exec_lo, exec_lo, vcc_lo
	s_cbranch_execz .LBB212_48
; %bb.5:
	v_cvt_f32_u32_e32 v0, s8
	v_mbcnt_lo_u32_b32 v1, -1, 0
	s_cmp_lg_u32 s4, 0
	s_clause 0x1
	s_load_b64 s[2:3], s[0:1], 0x18
	s_load_b64 s[12:13], s[0:1], 0x30
	s_cselect_b32 s1, -1, 0
	v_rcp_iflag_f32_e32 v0, v0
	v_xor_b32_e32 v4, 16, v1
	s_add_i32 s14, s4, -8
	s_add_i32 s15, s7, -1
	s_cmp_lg_u64 s[10:11], 0
	s_mul_i32 s16, s16, s17
	v_cmp_gt_i32_e32 vcc_lo, 32, v4
	v_mov_b32_e32 v26, 0
	s_cselect_b32 s18, -1, 0
	s_sub_i32 s0, 0, s8
	s_abs_i32 s17, s9
	v_cndmask_b32_e32 v1, v1, v4, vcc_lo
	s_waitcnt_depctr 0xfff
	v_mul_f32_e32 v0, 0x4f7ffffe, v0
	s_lshl_b32 s9, s16, 2
	s_sub_i32 s16, 1, s17
	s_cmp_lt_u32 s17, 2
	v_lshlrev_b32_e32 v37, 2, v1
	v_cvt_u32_f32_e32 v0, v0
	s_cselect_b32 s16, s16, 1
	v_lshlrev_b32_e32 v36, 4, v2
	s_sub_i32 s19, s16, s17
	s_cmp_ge_u32 s16, s17
	v_mul_lo_u32 v3, s0, v0
	v_cmp_eq_u32_e64 s0, 63, v2
	s_cselect_b32 s17, s19, s16
	s_mov_b32 s16, 0
	s_mul_i32 s17, s17, s8
	s_delay_alu instid0(VALU_DEP_2) | instskip(NEXT) | instid1(VALU_DEP_1)
	v_mul_hi_u32 v3, v0, v3
	v_add_nc_u32_e32 v38, v0, v3
	s_branch .LBB212_8
.LBB212_6:                              ;   in Loop: Header=BB212_8 Depth=1
	s_or_b32 exec_lo, exec_lo, s20
	v_add_nc_u32_e32 v25, 3, v25
	s_delay_alu instid0(VALU_DEP_1) | instskip(NEXT) | instid1(VALU_DEP_1)
	v_lshlrev_b64 v[1:2], 1, v[25:26]
	v_add_co_u32 v1, vcc_lo, s12, v1
	s_delay_alu instid0(VALU_DEP_2)
	v_add_co_ci_u32_e32 v2, vcc_lo, s13, v2, vcc_lo
	global_store_d16_hi_b16 v[1:2], v0, off
.LBB212_7:                              ;   in Loop: Header=BB212_8 Depth=1
	s_or_b32 exec_lo, exec_lo, s19
	v_add_nc_u32_e32 v24, s9, v24
	s_delay_alu instid0(VALU_DEP_1) | instskip(SKIP_1) | instid1(SALU_CYCLE_1)
	v_cmp_le_u32_e32 vcc_lo, s7, v24
	s_or_b32 s16, vcc_lo, s16
	s_and_not1_b32 exec_lo, exec_lo, s16
	s_cbranch_execz .LBB212_48
.LBB212_8:                              ; =>This Loop Header: Depth=1
                                        ;     Child Loop BB212_11 Depth 2
	v_mov_b32_e32 v39, v26
	v_mov_b32_e32 v40, v26
	;; [unrolled: 1-line block ×8, first 2 shown]
	s_and_not1_b32 vcc_lo, exec_lo, s1
	s_cbranch_vccnz .LBB212_13
; %bb.9:                                ;   in Loop: Header=BB212_8 Depth=1
	v_or_b32_e32 v0, 1, v24
	s_waitcnt lgkmcnt(0)
	v_or_b32_e32 v1, 2, v24
	v_or_b32_e32 v2, 3, v24
	v_min_u32_e32 v3, s15, v24
	v_dual_mov_b32 v5, v26 :: v_dual_mov_b32 v42, 0
	v_min_u32_e32 v0, s15, v0
	v_min_u32_e32 v1, s15, v1
	;; [unrolled: 1-line block ×3, first 2 shown]
	v_mul_lo_u32 v25, v3, s5
	v_dual_mov_b32 v3, v26 :: v_dual_mov_b32 v44, 0
	v_mul_lo_u32 v0, v0, s5
	v_mul_lo_u32 v2, v1, s5
	;; [unrolled: 1-line block ×3, first 2 shown]
	v_dual_mov_b32 v1, v26 :: v_dual_mov_b32 v46, v36
	v_lshlrev_b64 v[27:28], 1, v[25:26]
	v_dual_mov_b32 v47, 0 :: v_dual_mov_b32 v40, 0
	s_delay_alu instid0(VALU_DEP_3)
	v_lshlrev_b64 v[29:30], 1, v[0:1]
	v_lshlrev_b64 v[31:32], 1, v[2:3]
	;; [unrolled: 1-line block ×3, first 2 shown]
	v_mov_b32_e32 v45, 0
	v_mov_b32_e32 v43, 0
	v_mov_b32_e32 v41, 0
	v_mov_b32_e32 v39, 0
	s_mov_b32 s19, 0
	s_branch .LBB212_11
.LBB212_10:                             ;   in Loop: Header=BB212_11 Depth=2
	s_or_b32 exec_lo, exec_lo, s20
	s_waitcnt vmcnt(3)
	v_and_b32_e32 v48, 0xffff0000, v16
	v_and_b32_e32 v50, 0xffff0000, v17
	s_waitcnt lgkmcnt(1)
	v_and_b32_e32 v53, 0xffff0000, v22
	v_and_b32_e32 v60, 0xffff0000, v19
	s_waitcnt vmcnt(1)
	v_and_b32_e32 v61, 0xffff0000, v8
	s_waitcnt vmcnt(0)
	v_and_b32_e32 v67, 0xffff0000, v5
	v_and_b32_e32 v65, 0xffff0000, v4
	v_lshlrev_b32_e32 v8, 16, v8
	v_lshlrev_b32_e32 v19, 16, v19
	v_and_b32_e32 v59, 0xffff0000, v14
	v_and_b32_e32 v55, 0xffff0000, v12
	v_and_b32_e32 v49, 0xffff0000, v21
	v_and_b32_e32 v25, 0xffff0000, v20
	v_and_b32_e32 v54, 0xffff0000, v18
	v_lshlrev_b32_e32 v20, 16, v20
	v_lshlrev_b32_e32 v22, 16, v22
	v_mul_f32_e32 v52, v49, v50
	v_dual_mul_f32 v51, v25, v48 :: v_dual_lshlrev_b32 v18, 16, v18
	v_lshlrev_b32_e32 v16, 16, v16
	v_dual_mul_f32 v56, v25, v55 :: v_dual_lshlrev_b32 v17, 16, v17
	v_lshlrev_b32_e32 v12, 16, v12
	s_delay_alu instid0(VALU_DEP_3) | instskip(SKIP_2) | instid1(SALU_CYCLE_1)
	v_dual_fmac_f32 v51, v20, v16 :: v_dual_lshlrev_b32 v14, 16, v14
	v_add_nc_u32_e32 v46, 0x400, v46
	s_addk_i32 s19, 0x200
	s_cmp_ge_u32 s19, s4
	s_delay_alu instid0(VALU_DEP_2) | instskip(SKIP_2) | instid1(VALU_DEP_1)
	v_add_f32_e32 v47, v47, v51
	v_mul_f32_e32 v51, v53, v54
	v_dual_fmac_f32 v56, v20, v12 :: v_dual_lshlrev_b32 v21, 16, v21
	v_dual_fmac_f32 v52, v21, v17 :: v_dual_and_b32 v63, 0xffff0000, v15
	s_delay_alu instid0(VALU_DEP_2) | instskip(NEXT) | instid1(VALU_DEP_4)
	v_add_f32_e32 v45, v45, v56
	v_fmac_f32_e32 v51, v22, v18
	s_delay_alu instid0(VALU_DEP_3) | instskip(SKIP_1) | instid1(VALU_DEP_2)
	v_dual_add_f32 v47, v47, v52 :: v_dual_and_b32 v52, 0xffff0000, v13
	v_lshlrev_b32_e32 v13, 16, v13
	v_dual_add_f32 v47, v47, v51 :: v_dual_mul_f32 v58, v49, v52
	s_delay_alu instid0(VALU_DEP_1) | instskip(SKIP_2) | instid1(VALU_DEP_3)
	v_fmac_f32_e32 v58, v21, v13
	v_mul_f32_e32 v56, v53, v59
	v_and_b32_e32 v57, 0xffff0000, v23
	v_add_f32_e32 v45, v45, v58
	s_delay_alu instid0(VALU_DEP_3) | instskip(NEXT) | instid1(VALU_DEP_3)
	v_dual_fmac_f32 v56, v22, v14 :: v_dual_and_b32 v51, 0xffff0000, v9
	v_mul_f32_e32 v64, v57, v63
	s_delay_alu instid0(VALU_DEP_2) | instskip(NEXT) | instid1(VALU_DEP_3)
	v_add_f32_e32 v45, v45, v56
	v_mul_f32_e32 v56, v49, v51
	v_dual_mul_f32 v58, v25, v61 :: v_dual_lshlrev_b32 v23, 16, v23
	s_delay_alu instid0(VALU_DEP_1) | instskip(NEXT) | instid1(VALU_DEP_1)
	v_dual_mul_f32 v25, v25, v65 :: v_dual_fmac_f32 v58, v20, v8
	v_dual_add_f32 v43, v43, v58 :: v_dual_mul_f32 v62, v57, v60
	s_delay_alu instid0(VALU_DEP_1) | instskip(NEXT) | instid1(VALU_DEP_1)
	v_fmac_f32_e32 v62, v23, v19
	v_dual_add_f32 v47, v47, v62 :: v_dual_lshlrev_b32 v4, 16, v4
	s_delay_alu instid0(VALU_DEP_1) | instskip(SKIP_2) | instid1(VALU_DEP_3)
	v_dual_fmac_f32 v25, v20, v4 :: v_dual_and_b32 v58, 0xffff0000, v10
	v_lshlrev_b32_e32 v9, 16, v9
	v_lshlrev_b32_e32 v10, 16, v10
	v_dual_mul_f32 v66, v53, v58 :: v_dual_add_f32 v25, v44, v25
	s_delay_alu instid0(VALU_DEP_3) | instskip(NEXT) | instid1(VALU_DEP_2)
	v_dual_fmac_f32 v56, v21, v9 :: v_dual_lshlrev_b32 v15, 16, v15
	v_dual_fmac_f32 v66, v22, v10 :: v_dual_lshlrev_b32 v5, 16, v5
	s_delay_alu instid0(VALU_DEP_2) | instskip(NEXT) | instid1(VALU_DEP_3)
	v_add_f32_e32 v43, v43, v56
	v_fmac_f32_e32 v64, v23, v15
	s_delay_alu instid0(VALU_DEP_2) | instskip(NEXT) | instid1(VALU_DEP_2)
	v_dual_add_f32 v43, v43, v66 :: v_dual_and_b32 v56, 0xffff0000, v11
	v_add_f32_e32 v45, v45, v64
	s_delay_alu instid0(VALU_DEP_2) | instskip(SKIP_1) | instid1(VALU_DEP_1)
	v_mul_f32_e32 v68, v57, v56
	v_mul_f32_e32 v20, v49, v67
	v_dual_fmac_f32 v20, v21, v5 :: v_dual_lshlrev_b32 v11, 16, v11
	s_waitcnt lgkmcnt(0)
	s_delay_alu instid0(VALU_DEP_1) | instskip(NEXT) | instid1(VALU_DEP_2)
	v_dual_fmac_f32 v68, v23, v11 :: v_dual_and_b32 v21, 0xffff0000, v0
	v_dual_add_f32 v20, v25, v20 :: v_dual_and_b32 v25, 0xffff0000, v6
	s_delay_alu instid0(VALU_DEP_2) | instskip(SKIP_1) | instid1(VALU_DEP_4)
	v_dual_add_f32 v43, v43, v68 :: v_dual_lshlrev_b32 v6, 16, v6
	v_lshlrev_b32_e32 v0, 16, v0
	v_mul_f32_e32 v44, v21, v48
	s_delay_alu instid0(VALU_DEP_4) | instskip(SKIP_2) | instid1(VALU_DEP_4)
	v_mul_f32_e32 v49, v53, v25
	v_and_b32_e32 v53, 0xffff0000, v7
	v_and_b32_e32 v48, 0xffff0000, v1
	v_dual_fmac_f32 v44, v0, v16 :: v_dual_lshlrev_b32 v1, 16, v1
	s_delay_alu instid0(VALU_DEP_4) | instskip(NEXT) | instid1(VALU_DEP_4)
	v_fmac_f32_e32 v49, v22, v6
	v_dual_mul_f32 v22, v57, v53 :: v_dual_lshlrev_b32 v7, 16, v7
	s_delay_alu instid0(VALU_DEP_4) | instskip(NEXT) | instid1(VALU_DEP_4)
	v_mul_f32_e32 v16, v48, v50
	v_add_f32_e32 v42, v42, v44
	s_delay_alu instid0(VALU_DEP_2) | instskip(SKIP_3) | instid1(VALU_DEP_3)
	v_fmac_f32_e32 v16, v1, v17
	v_mul_f32_e32 v17, v21, v55
	v_dual_fmac_f32 v22, v23, v7 :: v_dual_and_b32 v23, 0xffff0000, v2
	v_add_f32_e32 v20, v20, v49
	v_dual_fmac_f32 v17, v0, v12 :: v_dual_lshlrev_b32 v2, 16, v2
	v_mul_f32_e32 v12, v48, v52
	v_add_f32_e32 v16, v42, v16
	v_and_b32_e32 v44, 0xffff0000, v3
	v_lshlrev_b32_e32 v3, 16, v3
	v_add_f32_e32 v17, v41, v17
	v_dual_fmac_f32 v12, v1, v13 :: v_dual_mul_f32 v13, v23, v59
	s_delay_alu instid0(VALU_DEP_1) | instskip(SKIP_1) | instid1(VALU_DEP_3)
	v_add_f32_e32 v12, v17, v12
	v_mul_f32_e32 v17, v21, v65
	v_dual_fmac_f32 v13, v2, v14 :: v_dual_mul_f32 v14, v21, v61
	s_delay_alu instid0(VALU_DEP_2) | instskip(NEXT) | instid1(VALU_DEP_2)
	v_dual_mul_f32 v42, v23, v54 :: v_dual_fmac_f32 v17, v0, v4
	v_fmac_f32_e32 v14, v0, v8
	v_mul_f32_e32 v8, v48, v51
	v_mul_f32_e32 v0, v48, v67
	s_delay_alu instid0(VALU_DEP_3) | instskip(NEXT) | instid1(VALU_DEP_3)
	v_add_f32_e32 v4, v40, v14
	v_dual_fmac_f32 v8, v1, v9 :: v_dual_mul_f32 v9, v23, v58
	v_add_f32_e32 v14, v39, v17
	s_delay_alu instid0(VALU_DEP_4)
	v_fmac_f32_e32 v0, v1, v5
	v_mul_f32_e32 v1, v23, v25
	v_mul_f32_e32 v5, v44, v56
	v_add_f32_e32 v12, v12, v13
	v_dual_mul_f32 v13, v44, v63 :: v_dual_fmac_f32 v42, v2, v18
	v_dual_mul_f32 v18, v44, v60 :: v_dual_fmac_f32 v9, v2, v10
	v_dual_fmac_f32 v1, v2, v6 :: v_dual_mul_f32 v2, v44, v53
	s_delay_alu instid0(VALU_DEP_3) | instskip(NEXT) | instid1(VALU_DEP_3)
	v_dual_add_f32 v16, v16, v42 :: v_dual_fmac_f32 v13, v3, v15
	v_fmac_f32_e32 v18, v3, v19
	v_dual_fmac_f32 v5, v3, v11 :: v_dual_add_f32 v0, v14, v0
	s_delay_alu instid0(VALU_DEP_3) | instskip(SKIP_1) | instid1(VALU_DEP_4)
	v_dual_fmac_f32 v2, v3, v7 :: v_dual_add_f32 v41, v12, v13
	v_add_f32_e32 v44, v20, v22
	v_add_f32_e32 v42, v16, v18
	s_delay_alu instid0(VALU_DEP_4) | instskip(NEXT) | instid1(VALU_DEP_1)
	v_add_f32_e32 v0, v0, v1
	v_add_f32_e32 v39, v0, v2
	;; [unrolled: 1-line block ×3, first 2 shown]
	s_delay_alu instid0(VALU_DEP_1) | instskip(NEXT) | instid1(VALU_DEP_1)
	v_add_f32_e32 v4, v4, v9
	v_add_f32_e32 v40, v4, v5
	s_cbranch_scc1 .LBB212_13
.LBB212_11:                             ;   Parent Loop BB212_8 Depth=1
                                        ; =>  This Inner Loop Header: Depth=2
	v_add_nc_u32_e32 v20, s19, v35
	v_dual_mov_b32 v22, 0 :: v_dual_mov_b32 v21, 0
	v_mov_b32_e32 v23, 0
	s_delay_alu instid0(VALU_DEP_3) | instskip(NEXT) | instid1(VALU_DEP_1)
	v_min_u32_e32 v25, s14, v20
	v_lshlrev_b64 v[0:1], 1, v[25:26]
	s_waitcnt lgkmcnt(0)
	s_delay_alu instid0(VALU_DEP_1) | instskip(NEXT) | instid1(VALU_DEP_2)
	v_add_co_u32 v6, vcc_lo, s2, v0
	v_add_co_ci_u32_e32 v7, vcc_lo, s3, v1, vcc_lo
	s_delay_alu instid0(VALU_DEP_2) | instskip(NEXT) | instid1(VALU_DEP_2)
	v_add_co_u32 v0, vcc_lo, v6, v27
	v_add_co_ci_u32_e32 v1, vcc_lo, v7, v28, vcc_lo
	v_add_co_u32 v2, vcc_lo, v6, v29
	v_add_co_ci_u32_e32 v3, vcc_lo, v7, v30, vcc_lo
	;; [unrolled: 2-line block ×4, first 2 shown]
	s_clause 0x3
	global_load_b128 v[16:19], v[0:1], off slc dlc
	global_load_b128 v[12:15], v[2:3], off slc dlc
	;; [unrolled: 1-line block ×4, first 2 shown]
	v_mov_b32_e32 v3, 0
	v_cmp_gt_u32_e32 vcc_lo, s4, v20
	v_dual_mov_b32 v2, 0 :: v_dual_mov_b32 v1, 0
	v_mov_b32_e32 v0, 0
	v_mov_b32_e32 v20, 0
	s_and_saveexec_b32 s20, vcc_lo
	s_cbranch_execz .LBB212_10
; %bb.12:                               ;   in Loop: Header=BB212_11 Depth=2
	v_add_nc_u32_e32 v0, s6, v46
	ds_load_b128 v[20:23], v46
	ds_load_b128 v[0:3], v0
	s_branch .LBB212_10
.LBB212_13:                             ;   in Loop: Header=BB212_8 Depth=1
	; sched_barrier mask(0x00000000)
	s_delay_alu instid0(VALU_DEP_1)
	v_cvt_i32_f32_e32 v0, v47
	s_waitcnt lgkmcnt(0)
	v_cvt_i32_f32_e32 v1, v45
	v_cvt_i32_f32_e32 v2, v43
	;; [unrolled: 1-line block ×4, first 2 shown]
	v_cvt_f32_i32_dpp v0, v0 row_shr:8 row_mask:0xf bank_mask:0xf bound_ctrl:1
	v_cvt_f32_i32_dpp v1, v1 row_shr:8 row_mask:0xf bank_mask:0xf bound_ctrl:1
	;; [unrolled: 1-line block ×3, first 2 shown]
	v_cvt_i32_f32_e32 v10, v39
	v_cvt_f32_i32_dpp v3, v3 row_shr:8 row_mask:0xf bank_mask:0xf bound_ctrl:1
	s_delay_alu instid0(VALU_DEP_4) | instskip(SKIP_3) | instid1(VALU_DEP_4)
	v_dual_add_f32 v0, v47, v0 :: v_dual_add_f32 v1, v45, v1
	v_cvt_f32_i32_dpp v5, v5 row_shr:8 row_mask:0xf bank_mask:0xf bound_ctrl:1
	v_cvt_i32_f32_e32 v4, v42
	v_cvt_i32_f32_e32 v6, v40
	v_cvt_i32_f32_e32 v7, v0
	v_cvt_i32_f32_e32 v8, v1
	v_add_f32_e32 v5, v41, v5
	v_cvt_f32_i32_dpp v4, v4 row_shr:8 row_mask:0xf bank_mask:0xf bound_ctrl:1
	v_cvt_f32_i32_dpp v6, v6 row_shr:8 row_mask:0xf bank_mask:0xf bound_ctrl:1
	v_cvt_f32_i32_dpp v7, v7 row_shr:4 row_mask:0xf bank_mask:0xf bound_ctrl:1
	v_cvt_f32_i32_dpp v8, v8 row_shr:4 row_mask:0xf bank_mask:0xf bound_ctrl:1
	v_add_f32_e32 v2, v43, v2
	v_cvt_i32_f32_e32 v14, v5
	v_add_f32_e32 v3, v44, v3
	s_delay_alu instid0(VALU_DEP_4) | instskip(NEXT) | instid1(VALU_DEP_4)
	v_dual_add_f32 v0, v0, v7 :: v_dual_add_f32 v1, v1, v8
	v_cvt_i32_f32_e32 v9, v2
	v_cvt_f32_i32_dpp v7, v10 row_shr:8 row_mask:0xf bank_mask:0xf bound_ctrl:1
	v_add_f32_e32 v6, v40, v6
	s_delay_alu instid0(VALU_DEP_4) | instskip(NEXT) | instid1(VALU_DEP_4)
	v_cvt_i32_f32_e32 v8, v0
	v_cvt_f32_i32_dpp v9, v9 row_shr:4 row_mask:0xf bank_mask:0xf bound_ctrl:1
	s_delay_alu instid0(VALU_DEP_4) | instskip(NEXT) | instid1(VALU_DEP_4)
	v_add_f32_e32 v7, v39, v7
	v_cvt_i32_f32_e32 v15, v6
	s_delay_alu instid0(VALU_DEP_4) | instskip(NEXT) | instid1(VALU_DEP_4)
	v_cvt_f32_i32_dpp v8, v8 row_shr:2 row_mask:0xf bank_mask:0xf bound_ctrl:1
	v_add_f32_e32 v2, v2, v9
	v_cvt_i32_f32_e32 v9, v1
	v_cvt_i32_f32_e32 v18, v7
	s_delay_alu instid0(VALU_DEP_4) | instskip(SKIP_4) | instid1(VALU_DEP_3)
	v_add_f32_e32 v0, v0, v8
	v_cvt_i32_f32_e32 v8, v3
	v_cvt_i32_f32_e32 v10, v2
	v_cvt_f32_i32_dpp v9, v9 row_shr:2 row_mask:0xf bank_mask:0xf bound_ctrl:1
	v_add_f32_e32 v4, v42, v4
	v_cvt_f32_i32_dpp v10, v10 row_shr:2 row_mask:0xf bank_mask:0xf bound_ctrl:1
	s_delay_alu instid0(VALU_DEP_3) | instskip(SKIP_1) | instid1(VALU_DEP_4)
	v_add_f32_e32 v1, v1, v9
	v_cvt_i32_f32_e32 v9, v0
	v_cvt_i32_f32_e32 v12, v4
	s_delay_alu instid0(VALU_DEP_4) | instskip(NEXT) | instid1(VALU_DEP_4)
	v_add_f32_e32 v2, v2, v10
	v_cvt_i32_f32_e32 v10, v1
	s_delay_alu instid0(VALU_DEP_4) | instskip(NEXT) | instid1(VALU_DEP_3)
	v_cvt_f32_i32_dpp v9, v9 row_shr:1 row_mask:0xf bank_mask:0xf bound_ctrl:1
	v_cvt_i32_f32_e32 v11, v2
	s_delay_alu instid0(VALU_DEP_3) | instskip(NEXT) | instid1(VALU_DEP_3)
	v_cvt_f32_i32_dpp v10, v10 row_shr:1 row_mask:0xf bank_mask:0xf bound_ctrl:1
	v_add_f32_e32 v16, v0, v9
	v_cvt_f32_i32_dpp v9, v14 row_shr:4 row_mask:0xf bank_mask:0xf bound_ctrl:1
	s_delay_alu instid0(VALU_DEP_4) | instskip(NEXT) | instid1(VALU_DEP_4)
	v_cvt_f32_i32_dpp v11, v11 row_shr:1 row_mask:0xf bank_mask:0xf bound_ctrl:1
	v_add_f32_e32 v0, v1, v10
	s_delay_alu instid0(VALU_DEP_2)
	v_add_f32_e32 v10, v2, v11
	v_cvt_f32_i32_dpp v2, v8 row_shr:4 row_mask:0xf bank_mask:0xf bound_ctrl:1
	v_cvt_f32_i32_dpp v8, v12 row_shr:4 row_mask:0xf bank_mask:0xf bound_ctrl:1
	;; [unrolled: 1-line block ×4, first 2 shown]
	ds_bpermute_b32 v13, v37, v10
	v_dual_add_f32 v2, v3, v2 :: v_dual_add_f32 v3, v4, v8
	v_dual_add_f32 v4, v5, v9 :: v_dual_add_f32 v5, v6, v11
	v_add_f32_e32 v6, v7, v12
	s_delay_alu instid0(VALU_DEP_3) | instskip(NEXT) | instid1(VALU_DEP_3)
	v_cvt_i32_f32_e32 v8, v3
	v_cvt_i32_f32_e32 v11, v5
	s_delay_alu instid0(VALU_DEP_3) | instskip(NEXT) | instid1(VALU_DEP_3)
	v_cvt_i32_f32_e32 v12, v6
	v_cvt_f32_i32_dpp v8, v8 row_shr:2 row_mask:0xf bank_mask:0xf bound_ctrl:1
	s_delay_alu instid0(VALU_DEP_3) | instskip(NEXT) | instid1(VALU_DEP_3)
	v_cvt_f32_i32_dpp v11, v11 row_shr:2 row_mask:0xf bank_mask:0xf bound_ctrl:1
	v_cvt_f32_i32_dpp v12, v12 row_shr:2 row_mask:0xf bank_mask:0xf bound_ctrl:1
	s_delay_alu instid0(VALU_DEP_3) | instskip(SKIP_4) | instid1(VALU_DEP_3)
	v_add_f32_e32 v3, v3, v8
	ds_bpermute_b32 v17, v37, v16
	v_add_f32_e32 v5, v5, v11
	v_cvt_i32_f32_e32 v7, v2
	v_cvt_i32_f32_e32 v8, v3
	;; [unrolled: 1-line block ×3, first 2 shown]
	s_delay_alu instid0(VALU_DEP_3) | instskip(NEXT) | instid1(VALU_DEP_3)
	v_cvt_f32_i32_dpp v7, v7 row_shr:2 row_mask:0xf bank_mask:0xf bound_ctrl:1
	v_cvt_f32_i32_dpp v8, v8 row_shr:1 row_mask:0xf bank_mask:0xf bound_ctrl:1
	s_delay_alu instid0(VALU_DEP_3) | instskip(NEXT) | instid1(VALU_DEP_3)
	v_cvt_f32_i32_dpp v14, v11 row_shr:1 row_mask:0xf bank_mask:0xf bound_ctrl:1
	v_add_f32_e32 v2, v2, v7
	v_add_f32_e32 v7, v6, v12
	s_delay_alu instid0(VALU_DEP_4) | instskip(SKIP_3) | instid1(VALU_DEP_2)
	v_add_f32_e32 v8, v3, v8
	ds_bpermute_b32 v1, v37, v0
	v_cvt_i32_f32_e32 v6, v2
	v_cvt_i32_f32_e32 v12, v7
	v_cvt_f32_i32_dpp v6, v6 row_shr:1 row_mask:0xf bank_mask:0xf bound_ctrl:1
	s_delay_alu instid0(VALU_DEP_2) | instskip(NEXT) | instid1(VALU_DEP_2)
	v_cvt_f32_i32_dpp v12, v12 row_shr:1 row_mask:0xf bank_mask:0xf bound_ctrl:1
	v_add_f32_e32 v11, v2, v6
	v_cvt_i32_f32_e32 v9, v4
	s_delay_alu instid0(VALU_DEP_3) | instskip(NEXT) | instid1(VALU_DEP_2)
	v_add_f32_e32 v2, v7, v12
	v_cvt_f32_i32_dpp v9, v9 row_shr:2 row_mask:0xf bank_mask:0xf bound_ctrl:1
	ds_bpermute_b32 v3, v37, v2
	v_add_f32_e32 v4, v4, v9
	s_delay_alu instid0(VALU_DEP_1) | instskip(NEXT) | instid1(VALU_DEP_1)
	v_cvt_i32_f32_e32 v9, v4
	v_cvt_f32_i32_dpp v9, v9 row_shr:1 row_mask:0xf bank_mask:0xf bound_ctrl:1
	s_delay_alu instid0(VALU_DEP_1)
	v_add_f32_e32 v6, v4, v9
	v_add_f32_e32 v4, v5, v14
	ds_bpermute_b32 v14, v37, v11
	ds_bpermute_b32 v9, v37, v8
	;; [unrolled: 1-line block ×4, first 2 shown]
	s_and_saveexec_b32 s19, s0
	s_cbranch_execz .LBB212_7
; %bb.14:                               ;   in Loop: Header=BB212_8 Depth=1
	v_dual_mov_b32 v23, 0 :: v_dual_mov_b32 v22, 0
	v_dual_mov_b32 v21, 0 :: v_dual_mov_b32 v20, 0
	;; [unrolled: 1-line block ×4, first 2 shown]
	s_and_not1_b32 vcc_lo, exec_lo, s18
	s_cbranch_vccnz .LBB212_16
; %bb.15:                               ;   in Loop: Header=BB212_8 Depth=1
	v_mul_hi_u32 v12, v24, v38
	v_or_b32_e32 v15, 1, v24
	v_or_b32_e32 v18, 2, v24
	;; [unrolled: 1-line block ×3, first 2 shown]
	s_delay_alu instid0(VALU_DEP_3) | instskip(NEXT) | instid1(VALU_DEP_3)
	v_mul_hi_u32 v19, v15, v38
	v_mul_hi_u32 v21, v18, v38
	v_mul_lo_u32 v12, v12, s8
	s_delay_alu instid0(VALU_DEP_4) | instskip(NEXT) | instid1(VALU_DEP_4)
	v_mul_hi_u32 v22, v20, v38
	v_mul_lo_u32 v23, v19, s8
	s_delay_alu instid0(VALU_DEP_4) | instskip(NEXT) | instid1(VALU_DEP_4)
	v_mul_lo_u32 v25, v21, s8
	v_sub_nc_u32_e32 v12, v24, v12
	s_delay_alu instid0(VALU_DEP_4) | instskip(NEXT) | instid1(VALU_DEP_2)
	v_mul_lo_u32 v22, v22, s8
	v_subrev_nc_u32_e32 v27, s8, v12
	v_sub_nc_u32_e32 v15, v15, v23
	v_cmp_le_u32_e32 vcc_lo, s8, v12
	v_mov_b32_e32 v19, v26
	v_sub_nc_u32_e32 v18, v18, v25
	v_sub_nc_u32_e32 v20, v20, v22
	v_subrev_nc_u32_e32 v22, s8, v15
	v_cndmask_b32_e32 v12, v12, v27, vcc_lo
	v_cmp_le_u32_e32 vcc_lo, s8, v15
	v_subrev_nc_u32_e32 v25, s8, v18
	v_subrev_nc_u32_e32 v27, s8, v20
	s_delay_alu instid0(VALU_DEP_4) | instskip(SKIP_4) | instid1(VALU_DEP_4)
	v_subrev_nc_u32_e32 v28, s8, v12
	v_cndmask_b32_e32 v15, v15, v22, vcc_lo
	v_cmp_le_u32_e32 vcc_lo, s8, v18
	v_cndmask_b32_e32 v22, v18, v25, vcc_lo
	v_cmp_le_u32_e32 vcc_lo, s8, v20
	v_subrev_nc_u32_e32 v18, s8, v15
	v_cndmask_b32_e32 v29, v20, v27, vcc_lo
	v_cmp_le_u32_e32 vcc_lo, s8, v12
	v_cndmask_b32_e32 v25, v12, v28, vcc_lo
	v_cmp_le_u32_e32 vcc_lo, s8, v15
	v_mov_b32_e32 v21, v26
	v_subrev_nc_u32_e32 v12, s8, v22
	s_delay_alu instid0(VALU_DEP_4) | instskip(SKIP_2) | instid1(VALU_DEP_4)
	v_lshlrev_b64 v[27:28], 1, v[25:26]
	v_cndmask_b32_e32 v18, v15, v18, vcc_lo
	v_cmp_le_u32_e32 vcc_lo, s8, v22
	v_dual_cndmask_b32 v20, v22, v12 :: v_dual_add_nc_u32 v25, s17, v25
	v_subrev_nc_u32_e32 v30, s8, v29
	v_cmp_le_u32_e32 vcc_lo, s8, v29
	v_mov_b32_e32 v23, v26
	s_delay_alu instid0(VALU_DEP_4)
	v_lshlrev_b64 v[39:40], 1, v[25:26]
	v_lshlrev_b64 v[31:32], 1, v[20:21]
	v_add_nc_u32_e32 v25, s17, v18
	v_cndmask_b32_e32 v22, v29, v30, vcc_lo
	v_lshlrev_b64 v[29:30], 1, v[18:19]
	v_add_co_u32 v27, vcc_lo, s10, v27
	v_add_co_ci_u32_e32 v28, vcc_lo, s11, v28, vcc_lo
	s_delay_alu instid0(VALU_DEP_4) | instskip(NEXT) | instid1(VALU_DEP_4)
	v_lshlrev_b64 v[33:34], 1, v[22:23]
	v_add_co_u32 v29, vcc_lo, s10, v29
	v_add_co_ci_u32_e32 v30, vcc_lo, s11, v30, vcc_lo
	v_add_co_u32 v31, vcc_lo, s10, v31
	v_add_co_ci_u32_e32 v32, vcc_lo, s11, v32, vcc_lo
	;; [unrolled: 2-line block ×3, first 2 shown]
	v_lshlrev_b64 v[33:34], 1, v[25:26]
	v_add_nc_u32_e32 v25, s17, v20
	v_add_co_u32 v39, vcc_lo, s10, v39
	v_add_co_ci_u32_e32 v40, vcc_lo, s11, v40, vcc_lo
	s_delay_alu instid0(VALU_DEP_3) | instskip(SKIP_3) | instid1(VALU_DEP_3)
	v_lshlrev_b64 v[20:21], 1, v[25:26]
	v_add_nc_u32_e32 v25, s17, v22
	v_add_co_u32 v33, vcc_lo, s10, v33
	v_add_co_ci_u32_e32 v34, vcc_lo, s11, v34, vcc_lo
	v_lshlrev_b64 v[22:23], 1, v[25:26]
	v_add_co_u32 v41, vcc_lo, s10, v20
	v_add_co_ci_u32_e32 v42, vcc_lo, s11, v21, vcc_lo
	s_delay_alu instid0(VALU_DEP_3) | instskip(NEXT) | instid1(VALU_DEP_4)
	v_add_co_u32 v43, vcc_lo, s10, v22
	v_add_co_ci_u32_e32 v44, vcc_lo, s11, v23, vcc_lo
	s_clause 0x7
	global_load_u16 v23, v[27:28], off
	global_load_u16 v22, v[29:30], off
	;; [unrolled: 1-line block ×8, first 2 shown]
.LBB212_16:                             ;   in Loop: Header=BB212_8 Depth=1
	s_waitcnt vmcnt(7) lgkmcnt(0)
	v_dual_add_f32 v16, v16, v17 :: v_dual_lshlrev_b32 v17, 16, v23
	s_delay_alu instid0(VALU_DEP_1) | instskip(NEXT) | instid1(VALU_DEP_1)
	v_add_f32_e32 v17, v16, v17
	v_and_b32_e32 v16, 0x7f800000, v17
	s_delay_alu instid0(VALU_DEP_1) | instskip(SKIP_1) | instid1(SALU_CYCLE_1)
	v_cmp_ne_u32_e32 vcc_lo, 0x7f800000, v16
                                        ; implicit-def: $vgpr16
	s_and_saveexec_b32 s20, vcc_lo
	s_xor_b32 s20, exec_lo, s20
; %bb.17:                               ;   in Loop: Header=BB212_8 Depth=1
	v_bfe_u32 v16, v17, 16, 1
	s_delay_alu instid0(VALU_DEP_1)
	v_add3_u32 v16, v17, v16, 0x7fff
                                        ; implicit-def: $vgpr17
; %bb.18:                               ;   in Loop: Header=BB212_8 Depth=1
	s_and_not1_saveexec_b32 s20, s20
; %bb.19:                               ;   in Loop: Header=BB212_8 Depth=1
	v_and_b32_e32 v16, 0xffff, v17
	v_or_b32_e32 v23, 0x10000, v17
	s_delay_alu instid0(VALU_DEP_2) | instskip(NEXT) | instid1(VALU_DEP_2)
	v_cmp_eq_u32_e32 vcc_lo, 0, v16
	v_cndmask_b32_e32 v16, v23, v17, vcc_lo
; %bb.20:                               ;   in Loop: Header=BB212_8 Depth=1
	s_or_b32 exec_lo, exec_lo, s20
	s_waitcnt vmcnt(6)
	v_dual_add_f32 v0, v0, v1 :: v_dual_lshlrev_b32 v1, 16, v22
	s_mov_b32 s20, exec_lo
	s_delay_alu instid0(VALU_DEP_1) | instskip(NEXT) | instid1(VALU_DEP_1)
	v_add_f32_e32 v17, v0, v1
	v_dual_mov_b32 v25, v26 :: v_dual_and_b32 v22, 0x7f800000, v17
	s_delay_alu instid0(VALU_DEP_1) | instskip(NEXT) | instid1(VALU_DEP_1)
	v_lshlrev_b64 v[0:1], 1, v[24:25]
	v_add_co_u32 v0, vcc_lo, s12, v0
	s_delay_alu instid0(VALU_DEP_2)
	v_add_co_ci_u32_e32 v1, vcc_lo, s13, v1, vcc_lo
	global_store_d16_hi_b16 v[0:1], v16, off
                                        ; implicit-def: $vgpr16
	v_cmpx_ne_u32_e32 0x7f800000, v22
	s_xor_b32 s20, exec_lo, s20
; %bb.21:                               ;   in Loop: Header=BB212_8 Depth=1
	v_bfe_u32 v16, v17, 16, 1
	s_delay_alu instid0(VALU_DEP_1)
	v_add3_u32 v16, v17, v16, 0x7fff
                                        ; implicit-def: $vgpr17
; %bb.22:                               ;   in Loop: Header=BB212_8 Depth=1
	s_and_not1_saveexec_b32 s20, s20
; %bb.23:                               ;   in Loop: Header=BB212_8 Depth=1
	v_and_b32_e32 v16, 0xffff, v17
	v_or_b32_e32 v22, 0x10000, v17
	s_delay_alu instid0(VALU_DEP_2) | instskip(NEXT) | instid1(VALU_DEP_2)
	v_cmp_eq_u32_e32 vcc_lo, 0, v16
	v_cndmask_b32_e32 v16, v22, v17, vcc_lo
; %bb.24:                               ;   in Loop: Header=BB212_8 Depth=1
	s_or_b32 exec_lo, exec_lo, s20
	v_add_f32_e32 v10, v10, v13
	s_waitcnt vmcnt(5)
	v_lshlrev_b32_e32 v13, 16, v21
	global_store_d16_hi_b16 v[0:1], v16, off offset:2
	v_add_f32_e32 v13, v10, v13
	s_delay_alu instid0(VALU_DEP_1) | instskip(NEXT) | instid1(VALU_DEP_1)
	v_and_b32_e32 v10, 0x7f800000, v13
	v_cmp_ne_u32_e32 vcc_lo, 0x7f800000, v10
                                        ; implicit-def: $vgpr10
	s_and_saveexec_b32 s20, vcc_lo
	s_delay_alu instid0(SALU_CYCLE_1)
	s_xor_b32 s20, exec_lo, s20
; %bb.25:                               ;   in Loop: Header=BB212_8 Depth=1
	v_bfe_u32 v10, v13, 16, 1
	s_delay_alu instid0(VALU_DEP_1)
	v_add3_u32 v10, v13, v10, 0x7fff
                                        ; implicit-def: $vgpr13
; %bb.26:                               ;   in Loop: Header=BB212_8 Depth=1
	s_and_not1_saveexec_b32 s20, s20
; %bb.27:                               ;   in Loop: Header=BB212_8 Depth=1
	v_and_b32_e32 v10, 0xffff, v13
	v_or_b32_e32 v16, 0x10000, v13
	s_delay_alu instid0(VALU_DEP_2) | instskip(NEXT) | instid1(VALU_DEP_2)
	v_cmp_eq_u32_e32 vcc_lo, 0, v10
	v_cndmask_b32_e32 v10, v16, v13, vcc_lo
; %bb.28:                               ;   in Loop: Header=BB212_8 Depth=1
	s_or_b32 exec_lo, exec_lo, s20
	v_add_f32_e32 v11, v11, v14
	s_waitcnt vmcnt(4)
	v_lshlrev_b32_e32 v13, 16, v20
	s_mov_b32 s20, exec_lo
	global_store_d16_hi_b16 v[0:1], v10, off offset:4
                                        ; implicit-def: $vgpr10
	v_add_f32_e32 v11, v11, v13
	s_delay_alu instid0(VALU_DEP_1) | instskip(NEXT) | instid1(VALU_DEP_1)
	v_and_b32_e32 v13, 0x7f800000, v11
	v_cmpx_ne_u32_e32 0x7f800000, v13
	s_xor_b32 s20, exec_lo, s20
; %bb.29:                               ;   in Loop: Header=BB212_8 Depth=1
	v_bfe_u32 v10, v11, 16, 1
	s_delay_alu instid0(VALU_DEP_1)
	v_add3_u32 v10, v11, v10, 0x7fff
                                        ; implicit-def: $vgpr11
; %bb.30:                               ;   in Loop: Header=BB212_8 Depth=1
	s_and_not1_saveexec_b32 s20, s20
; %bb.31:                               ;   in Loop: Header=BB212_8 Depth=1
	v_and_b32_e32 v10, 0xffff, v11
	v_or_b32_e32 v13, 0x10000, v11
	s_delay_alu instid0(VALU_DEP_2) | instskip(NEXT) | instid1(VALU_DEP_2)
	v_cmp_eq_u32_e32 vcc_lo, 0, v10
	v_cndmask_b32_e32 v10, v13, v11, vcc_lo
; %bb.32:                               ;   in Loop: Header=BB212_8 Depth=1
	s_or_b32 exec_lo, exec_lo, s20
	s_waitcnt vmcnt(3)
	v_dual_add_f32 v8, v8, v9 :: v_dual_lshlrev_b32 v9, 16, v19
	s_mov_b32 s20, exec_lo
	global_store_d16_hi_b16 v[0:1], v10, off offset:6
                                        ; implicit-def: $vgpr0
	v_add_f32_e32 v8, v8, v9
	s_delay_alu instid0(VALU_DEP_1) | instskip(NEXT) | instid1(VALU_DEP_1)
	v_and_b32_e32 v9, 0x7f800000, v8
	v_cmpx_ne_u32_e32 0x7f800000, v9
	s_xor_b32 s20, exec_lo, s20
; %bb.33:                               ;   in Loop: Header=BB212_8 Depth=1
	v_bfe_u32 v0, v8, 16, 1
	s_delay_alu instid0(VALU_DEP_1)
	v_add3_u32 v0, v8, v0, 0x7fff
                                        ; implicit-def: $vgpr8
; %bb.34:                               ;   in Loop: Header=BB212_8 Depth=1
	s_and_not1_saveexec_b32 s20, s20
; %bb.35:                               ;   in Loop: Header=BB212_8 Depth=1
	v_and_b32_e32 v0, 0xffff, v8
	v_or_b32_e32 v1, 0x10000, v8
	s_delay_alu instid0(VALU_DEP_2) | instskip(NEXT) | instid1(VALU_DEP_2)
	v_cmp_eq_u32_e32 vcc_lo, 0, v0
	v_cndmask_b32_e32 v0, v1, v8, vcc_lo
; %bb.36:                               ;   in Loop: Header=BB212_8 Depth=1
	s_or_b32 exec_lo, exec_lo, s20
	s_waitcnt vmcnt(2)
	v_dual_add_f32 v1, v6, v7 :: v_dual_lshlrev_b32 v6, 16, v18
	v_add_nc_u32_e32 v25, s7, v24
	s_mov_b32 s20, exec_lo
	s_delay_alu instid0(VALU_DEP_2) | instskip(NEXT) | instid1(VALU_DEP_2)
	v_add_f32_e32 v1, v1, v6
	v_lshlrev_b64 v[6:7], 1, v[25:26]
	s_delay_alu instid0(VALU_DEP_2) | instskip(NEXT) | instid1(VALU_DEP_2)
	v_and_b32_e32 v8, 0x7f800000, v1
	v_add_co_u32 v6, vcc_lo, s12, v6
	s_delay_alu instid0(VALU_DEP_3)
	v_add_co_ci_u32_e32 v7, vcc_lo, s13, v7, vcc_lo
	global_store_d16_hi_b16 v[6:7], v0, off
                                        ; implicit-def: $vgpr0
	v_cmpx_ne_u32_e32 0x7f800000, v8
	s_xor_b32 s20, exec_lo, s20
; %bb.37:                               ;   in Loop: Header=BB212_8 Depth=1
	v_bfe_u32 v0, v1, 16, 1
	s_delay_alu instid0(VALU_DEP_1)
	v_add3_u32 v0, v1, v0, 0x7fff
                                        ; implicit-def: $vgpr1
; %bb.38:                               ;   in Loop: Header=BB212_8 Depth=1
	s_and_not1_saveexec_b32 s20, s20
; %bb.39:                               ;   in Loop: Header=BB212_8 Depth=1
	v_and_b32_e32 v0, 0xffff, v1
	v_or_b32_e32 v6, 0x10000, v1
	s_delay_alu instid0(VALU_DEP_2) | instskip(NEXT) | instid1(VALU_DEP_2)
	v_cmp_eq_u32_e32 vcc_lo, 0, v0
	v_cndmask_b32_e32 v0, v6, v1, vcc_lo
; %bb.40:                               ;   in Loop: Header=BB212_8 Depth=1
	s_or_b32 exec_lo, exec_lo, s20
	s_waitcnt vmcnt(1)
	v_dual_add_f32 v1, v4, v5 :: v_dual_lshlrev_b32 v6, 16, v15
	v_dual_mov_b32 v5, v26 :: v_dual_add_nc_u32 v4, 1, v25
	s_mov_b32 s20, exec_lo
	s_delay_alu instid0(VALU_DEP_2) | instskip(NEXT) | instid1(VALU_DEP_2)
	v_add_f32_e32 v1, v1, v6
	v_lshlrev_b64 v[4:5], 1, v[4:5]
	s_delay_alu instid0(VALU_DEP_2) | instskip(NEXT) | instid1(VALU_DEP_2)
	v_and_b32_e32 v6, 0x7f800000, v1
	v_add_co_u32 v4, vcc_lo, s12, v4
	s_delay_alu instid0(VALU_DEP_3)
	v_add_co_ci_u32_e32 v5, vcc_lo, s13, v5, vcc_lo
	global_store_d16_hi_b16 v[4:5], v0, off
                                        ; implicit-def: $vgpr0
	v_cmpx_ne_u32_e32 0x7f800000, v6
	s_xor_b32 s20, exec_lo, s20
; %bb.41:                               ;   in Loop: Header=BB212_8 Depth=1
	v_bfe_u32 v0, v1, 16, 1
	s_delay_alu instid0(VALU_DEP_1)
	v_add3_u32 v0, v1, v0, 0x7fff
                                        ; implicit-def: $vgpr1
; %bb.42:                               ;   in Loop: Header=BB212_8 Depth=1
	s_and_not1_saveexec_b32 s20, s20
; %bb.43:                               ;   in Loop: Header=BB212_8 Depth=1
	v_and_b32_e32 v0, 0xffff, v1
	v_or_b32_e32 v4, 0x10000, v1
	s_delay_alu instid0(VALU_DEP_2) | instskip(NEXT) | instid1(VALU_DEP_2)
	v_cmp_eq_u32_e32 vcc_lo, 0, v0
	v_cndmask_b32_e32 v0, v4, v1, vcc_lo
; %bb.44:                               ;   in Loop: Header=BB212_8 Depth=1
	s_or_b32 exec_lo, exec_lo, s20
	v_dual_add_f32 v1, v2, v3 :: v_dual_add_nc_u32 v2, 2, v25
	s_waitcnt vmcnt(0)
	v_dual_mov_b32 v3, v26 :: v_dual_lshlrev_b32 v4, 16, v12
	s_mov_b32 s20, exec_lo
	s_delay_alu instid0(VALU_DEP_1) | instskip(NEXT) | instid1(VALU_DEP_2)
	v_add_f32_e32 v1, v1, v4
	v_lshlrev_b64 v[2:3], 1, v[2:3]
	s_delay_alu instid0(VALU_DEP_2) | instskip(NEXT) | instid1(VALU_DEP_2)
	v_and_b32_e32 v4, 0x7f800000, v1
	v_add_co_u32 v2, vcc_lo, s12, v2
	s_delay_alu instid0(VALU_DEP_3)
	v_add_co_ci_u32_e32 v3, vcc_lo, s13, v3, vcc_lo
	global_store_d16_hi_b16 v[2:3], v0, off
                                        ; implicit-def: $vgpr0
	v_cmpx_ne_u32_e32 0x7f800000, v4
	s_xor_b32 s20, exec_lo, s20
; %bb.45:                               ;   in Loop: Header=BB212_8 Depth=1
	v_bfe_u32 v0, v1, 16, 1
	s_delay_alu instid0(VALU_DEP_1)
	v_add3_u32 v0, v1, v0, 0x7fff
                                        ; implicit-def: $vgpr1
; %bb.46:                               ;   in Loop: Header=BB212_8 Depth=1
	s_and_not1_saveexec_b32 s20, s20
	s_cbranch_execz .LBB212_6
; %bb.47:                               ;   in Loop: Header=BB212_8 Depth=1
	v_and_b32_e32 v0, 0xffff, v1
	v_or_b32_e32 v2, 0x10000, v1
	s_delay_alu instid0(VALU_DEP_2) | instskip(NEXT) | instid1(VALU_DEP_2)
	v_cmp_eq_u32_e32 vcc_lo, 0, v0
	v_cndmask_b32_e32 v0, v2, v1, vcc_lo
	s_branch .LBB212_6
.LBB212_48:
	s_nop 0
	s_sendmsg sendmsg(MSG_DEALLOC_VGPRS)
	s_endpgm
	.section	.rodata,"a",@progbits
	.p2align	6, 0x0
	.amdhsa_kernel _Z16wvSplitK_hf_sml_I14__hip_bfloat16Li64ELi4ELi16ELi8ELi1ELi2EEviiiiiiPKT_S3_S3_PS1_ii
		.amdhsa_group_segment_fixed_size 65536
		.amdhsa_private_segment_fixed_size 0
		.amdhsa_kernarg_size 64
		.amdhsa_user_sgpr_count 15
		.amdhsa_user_sgpr_dispatch_ptr 0
		.amdhsa_user_sgpr_queue_ptr 0
		.amdhsa_user_sgpr_kernarg_segment_ptr 1
		.amdhsa_user_sgpr_dispatch_id 0
		.amdhsa_user_sgpr_private_segment_size 0
		.amdhsa_wavefront_size32 1
		.amdhsa_uses_dynamic_stack 0
		.amdhsa_enable_private_segment 0
		.amdhsa_system_sgpr_workgroup_id_x 1
		.amdhsa_system_sgpr_workgroup_id_y 0
		.amdhsa_system_sgpr_workgroup_id_z 0
		.amdhsa_system_sgpr_workgroup_info 0
		.amdhsa_system_vgpr_workitem_id 1
		.amdhsa_next_free_vgpr 69
		.amdhsa_next_free_sgpr 21
		.amdhsa_reserve_vcc 1
		.amdhsa_float_round_mode_32 0
		.amdhsa_float_round_mode_16_64 0
		.amdhsa_float_denorm_mode_32 3
		.amdhsa_float_denorm_mode_16_64 3
		.amdhsa_dx10_clamp 1
		.amdhsa_ieee_mode 1
		.amdhsa_fp16_overflow 0
		.amdhsa_workgroup_processor_mode 1
		.amdhsa_memory_ordered 1
		.amdhsa_forward_progress 0
		.amdhsa_shared_vgpr_count 0
		.amdhsa_exception_fp_ieee_invalid_op 0
		.amdhsa_exception_fp_denorm_src 0
		.amdhsa_exception_fp_ieee_div_zero 0
		.amdhsa_exception_fp_ieee_overflow 0
		.amdhsa_exception_fp_ieee_underflow 0
		.amdhsa_exception_fp_ieee_inexact 0
		.amdhsa_exception_int_div_zero 0
	.end_amdhsa_kernel
	.section	.text._Z16wvSplitK_hf_sml_I14__hip_bfloat16Li64ELi4ELi16ELi8ELi1ELi2EEviiiiiiPKT_S3_S3_PS1_ii,"axG",@progbits,_Z16wvSplitK_hf_sml_I14__hip_bfloat16Li64ELi4ELi16ELi8ELi1ELi2EEviiiiiiPKT_S3_S3_PS1_ii,comdat
.Lfunc_end212:
	.size	_Z16wvSplitK_hf_sml_I14__hip_bfloat16Li64ELi4ELi16ELi8ELi1ELi2EEviiiiiiPKT_S3_S3_PS1_ii, .Lfunc_end212-_Z16wvSplitK_hf_sml_I14__hip_bfloat16Li64ELi4ELi16ELi8ELi1ELi2EEviiiiiiPKT_S3_S3_PS1_ii
                                        ; -- End function
	.section	.AMDGPU.csdata,"",@progbits
; Kernel info:
; codeLenInByte = 4044
; NumSgprs: 23
; NumVgprs: 69
; ScratchSize: 0
; MemoryBound: 0
; FloatMode: 240
; IeeeMode: 1
; LDSByteSize: 65536 bytes/workgroup (compile time only)
; SGPRBlocks: 2
; VGPRBlocks: 8
; NumSGPRsForWavesPerEU: 23
; NumVGPRsForWavesPerEU: 69
; Occupancy: 16
; WaveLimiterHint : 0
; COMPUTE_PGM_RSRC2:SCRATCH_EN: 0
; COMPUTE_PGM_RSRC2:USER_SGPR: 15
; COMPUTE_PGM_RSRC2:TRAP_HANDLER: 0
; COMPUTE_PGM_RSRC2:TGID_X_EN: 1
; COMPUTE_PGM_RSRC2:TGID_Y_EN: 0
; COMPUTE_PGM_RSRC2:TGID_Z_EN: 0
; COMPUTE_PGM_RSRC2:TIDIG_COMP_CNT: 1
	.section	.text._Z12wvSplitK_hf_I14__hip_bfloat16Li64ELi4ELi16ELi8ELi1ELi2EEviiiiiiPKT_S3_S3_PS1_ii,"axG",@progbits,_Z12wvSplitK_hf_I14__hip_bfloat16Li64ELi4ELi16ELi8ELi1ELi2EEviiiiiiPKT_S3_S3_PS1_ii,comdat
	.protected	_Z12wvSplitK_hf_I14__hip_bfloat16Li64ELi4ELi16ELi8ELi1ELi2EEviiiiiiPKT_S3_S3_PS1_ii ; -- Begin function _Z12wvSplitK_hf_I14__hip_bfloat16Li64ELi4ELi16ELi8ELi1ELi2EEviiiiiiPKT_S3_S3_PS1_ii
	.globl	_Z12wvSplitK_hf_I14__hip_bfloat16Li64ELi4ELi16ELi8ELi1ELi2EEviiiiiiPKT_S3_S3_PS1_ii
	.p2align	8
	.type	_Z12wvSplitK_hf_I14__hip_bfloat16Li64ELi4ELi16ELi8ELi1ELi2EEviiiiiiPKT_S3_S3_PS1_ii,@function
_Z12wvSplitK_hf_I14__hip_bfloat16Li64ELi4ELi16ELi8ELi1ELi2EEviiiiiiPKT_S3_S3_PS1_ii: ; @_Z12wvSplitK_hf_I14__hip_bfloat16Li64ELi4ELi16ELi8ELi1ELi2EEviiiiiiPKT_S3_S3_PS1_ii
; %bb.0:
	s_clause 0x1
	s_load_b64 s[20:21], s[0:1], 0x38
	s_load_b128 s[8:11], s[0:1], 0x0
	v_bfe_u32 v7, v0, 10, 10
	s_clause 0x1
	s_load_b64 s[12:13], s[0:1], 0x20
	s_load_b64 s[16:17], s[0:1], 0x10
	s_mov_b32 s4, 1
	s_delay_alu instid0(SALU_CYCLE_1) | instskip(SKIP_4) | instid1(SALU_CYCLE_1)
	s_mov_b32 s5, s4
	s_mov_b32 s6, s4
	;; [unrolled: 1-line block ×3, first 2 shown]
	s_waitcnt lgkmcnt(0)
	s_mul_i32 s15, s15, s20
	v_add_lshl_u32 v29, s15, v7, 2
	s_delay_alu instid0(VALU_DEP_1) | instskip(SKIP_1) | instid1(VALU_DEP_2)
	v_add_nc_u32_e32 v1, 4, v29
	v_cmp_gt_u32_e32 vcc_lo, s11, v29
	v_cmp_le_u32_e64 s2, s11, v1
	v_dual_mov_b32 v1, s4 :: v_dual_mov_b32 v4, s7
	v_dual_mov_b32 v2, s5 :: v_dual_mov_b32 v3, s6
	s_delay_alu instid0(VALU_DEP_3) | instskip(NEXT) | instid1(SALU_CYCLE_1)
	s_and_b32 s2, vcc_lo, s2
	s_and_saveexec_b32 s14, s2
	s_cbranch_execz .LBB213_6
; %bb.1:
	v_dual_mov_b32 v1, s4 :: v_dual_mov_b32 v2, s5
	v_dual_mov_b32 v3, s6 :: v_dual_mov_b32 v4, s7
	s_add_i32 s15, s11, -4
	s_mov_b32 s18, exec_lo
	v_cmpx_ne_u32_e64 s15, v29
	s_cbranch_execz .LBB213_5
; %bb.2:
	v_subrev_nc_u32_e32 v1, s15, v29
	s_mov_b32 s19, 0
	s_mov_b64 s[2:3], 0
	s_mov_b32 s5, s4
	s_mov_b32 s6, s4
	v_cmp_lt_u32_e32 vcc_lo, 1, v1
	s_mov_b32 s7, s4
	v_cndmask_b32_e32 v5, 1, v1, vcc_lo
	.p2align	6
.LBB213_3:                              ; =>This Inner Loop Header: Depth=1
	s_cmp_lg_u32 s2, 3
	s_cselect_b32 s7, s7, 0
	s_cmp_lg_u32 s2, 2
	s_cselect_b32 s6, s6, 0
	;; [unrolled: 2-line block ×4, first 2 shown]
	s_add_u32 s2, s2, 1
	v_dual_mov_b32 v1, s4 :: v_dual_mov_b32 v2, s5
	v_cmp_eq_u32_e32 vcc_lo, s2, v5
	v_dual_mov_b32 v3, s6 :: v_dual_mov_b32 v4, s7
	s_addc_u32 s3, s3, 0
	s_or_b32 s19, vcc_lo, s19
	s_delay_alu instid0(SALU_CYCLE_1)
	s_and_not1_b32 exec_lo, exec_lo, s19
	s_cbranch_execnz .LBB213_3
; %bb.4:
	s_or_b32 exec_lo, exec_lo, s19
	v_mov_b32_e32 v29, s15
.LBB213_5:
	s_or_b32 exec_lo, exec_lo, s18
.LBB213_6:
	s_delay_alu instid0(SALU_CYCLE_1)
	s_or_b32 exec_lo, exec_lo, s14
	s_load_b64 s[6:7], s[0:1], 0x28
	v_and_b32_e32 v8, 0x3ff, v0
	s_lshl_b32 s22, s10, 1
	s_mov_b32 s4, exec_lo
	s_min_u32 s3, s22, 0x8000
	s_delay_alu instid0(VALU_DEP_1) | instskip(NEXT) | instid1(VALU_DEP_1)
	v_lshlrev_b32_e32 v0, 3, v8
	v_lshl_add_u32 v9, v7, 9, v0
	s_delay_alu instid0(VALU_DEP_1)
	v_cmpx_gt_u32_e64 s3, v9
	s_cbranch_execz .LBB213_9
; %bb.7:
	v_lshlrev_b32_e32 v10, 10, v7
	v_lshlrev_b32_e32 v11, 4, v8
	s_mov_b32 s5, 0
	s_delay_alu instid0(VALU_DEP_1) | instskip(NEXT) | instid1(VALU_DEP_1)
	v_add_co_u32 v5, s2, v10, v11
	v_add_co_ci_u32_e64 v6, null, 0, 0, s2
	v_add_nc_u32_e32 v10, v10, v11
	s_delay_alu instid0(VALU_DEP_3) | instskip(NEXT) | instid1(VALU_DEP_3)
	v_add_co_u32 v5, vcc_lo, s12, v5
	v_add_co_ci_u32_e32 v6, vcc_lo, s13, v6, vcc_lo
	.p2align	6
.LBB213_8:                              ; =>This Inner Loop Header: Depth=1
	global_load_b128 v[11:14], v[5:6], off
	v_add_nc_u32_e32 v9, 0x2000, v9
	v_add_co_u32 v5, vcc_lo, 0x4000, v5
	v_add_co_ci_u32_e32 v6, vcc_lo, 0, v6, vcc_lo
	s_delay_alu instid0(VALU_DEP_3) | instskip(NEXT) | instid1(VALU_DEP_1)
	v_cmp_le_u32_e64 s2, s3, v9
	s_or_b32 s5, s2, s5
	s_waitcnt vmcnt(0)
	ds_store_b128 v10, v[11:14]
	v_add_nc_u32_e32 v10, 0x4000, v10
	s_and_not1_b32 exec_lo, exec_lo, s5
	s_cbranch_execnz .LBB213_8
.LBB213_9:
	s_or_b32 exec_lo, exec_lo, s4
	v_cmp_gt_u32_e32 vcc_lo, s20, v7
	v_cmp_gt_u32_e64 s2, s11, v29
	s_waitcnt lgkmcnt(0)
	s_barrier
	buffer_gl0_inv
	s_and_b32 s2, vcc_lo, s2
	s_delay_alu instid0(SALU_CYCLE_1)
	s_and_saveexec_b32 s3, s2
	s_cbranch_execz .LBB213_82
; %bb.10:
	v_cvt_f32_u32_e32 v5, s16
	v_mbcnt_lo_u32_b32 v6, -1, 0
	s_clause 0x1
	s_load_b64 s[14:15], s[0:1], 0x18
	s_load_b64 s[18:19], s[0:1], 0x30
	v_cmp_eq_u32_e64 s0, 63, v8
	v_lshlrev_b32_e32 v45, 4, v8
	v_rcp_iflag_f32_e32 v5, v5
	v_xor_b32_e32 v8, 16, v6
	s_cmp_lg_u32 s8, 0
	s_mul_i32 s1, s20, s21
	s_cselect_b32 s20, -1, 0
	s_add_i32 s21, s8, -8
	v_cmp_gt_i32_e32 vcc_lo, 32, v8
	s_add_i32 s23, s11, -1
	s_cmp_lg_u64 s[6:7], 0
	v_dual_mov_b32 v31, 0 :: v_dual_add_nc_u32 v46, s10, v0
	s_waitcnt_depctr 0xfff
	v_dual_mul_f32 v5, 0x4f7ffffe, v5 :: v_dual_cndmask_b32 v6, v6, v8
	s_cselect_b32 s24, -1, 0
	s_sub_i32 s2, 0, s16
	s_lshl_b32 s25, s1, 2
	s_delay_alu instid0(VALU_DEP_1)
	v_cvt_u32_f32_e32 v5, v5
	s_abs_i32 s1, s17
	s_add_i32 s17, s11, -4
	v_lshlrev_b32_e32 v47, 2, v6
	s_mov_b32 s10, 0
	v_mul_lo_u32 v7, s2, v5
	s_sub_i32 s2, 1, s1
	s_cmp_lt_u32 s1, 2
	s_cselect_b32 s2, s2, 1
	s_delay_alu instid0(SALU_CYCLE_1) | instskip(SKIP_1) | instid1(VALU_DEP_1)
	s_sub_i32 s3, s2, s1
	s_cmp_ge_u32 s2, s1
	v_mul_hi_u32 v7, v5, v7
	s_cselect_b32 s26, s3, s2
	s_delay_alu instid0(SALU_CYCLE_1) | instskip(NEXT) | instid1(VALU_DEP_1)
	s_mul_i32 s26, s26, s16
	v_add_nc_u32_e32 v48, v5, v7
	s_branch .LBB213_13
.LBB213_11:                             ;   in Loop: Header=BB213_13 Depth=1
	s_or_b32 exec_lo, exec_lo, s28
	v_mov_b32_e32 v29, s17
.LBB213_12:                             ;   in Loop: Header=BB213_13 Depth=1
	s_or_b32 exec_lo, exec_lo, s27
	s_delay_alu instid0(VALU_DEP_1) | instskip(SKIP_1) | instid1(SALU_CYCLE_1)
	v_cmp_le_u32_e32 vcc_lo, s11, v29
	s_or_b32 s10, vcc_lo, s10
	s_and_not1_b32 exec_lo, exec_lo, s10
	s_cbranch_execz .LBB213_82
.LBB213_13:                             ; =>This Loop Header: Depth=1
                                        ;     Child Loop BB213_17 Depth 2
                                        ;     Child Loop BB213_80 Depth 2
	v_dual_mov_b32 v49, v31 :: v_dual_add_nc_u32 v34, 1, v29
	v_dual_mov_b32 v50, v31 :: v_dual_add_nc_u32 v33, 2, v29
	;; [unrolled: 1-line block ×3, first 2 shown]
	v_mov_b32_e32 v52, v31
	v_mov_b32_e32 v54, v31
	;; [unrolled: 1-line block ×5, first 2 shown]
	s_and_not1_b32 vcc_lo, exec_lo, s20
	s_cbranch_vccnz .LBB213_26
; %bb.14:                               ;   in Loop: Header=BB213_13 Depth=1
	v_min_u32_e32 v5, s23, v29
	s_waitcnt lgkmcnt(0)
	v_min_u32_e32 v6, s23, v34
	v_min_u32_e32 v7, s23, v33
	;; [unrolled: 1-line block ×3, first 2 shown]
	v_dual_mov_b32 v10, v31 :: v_dual_mov_b32 v53, 0
	v_mul_lo_u32 v30, v5, s9
	v_mul_lo_u32 v5, v6, s9
	v_mul_lo_u32 v7, v7, s9
	v_mul_lo_u32 v9, v8, s9
	v_dual_mov_b32 v6, v31 :: v_dual_mov_b32 v57, 0
	v_dual_mov_b32 v8, v31 :: v_dual_mov_b32 v55, 0
	v_lshlrev_b64 v[35:36], 1, v[30:31]
	s_delay_alu instid0(VALU_DEP_3) | instskip(SKIP_1) | instid1(VALU_DEP_4)
	v_lshlrev_b64 v[37:38], 1, v[5:6]
	v_dual_mov_b32 v56, v45 :: v_dual_mov_b32 v51, 0
	v_lshlrev_b64 v[39:40], 1, v[7:8]
	v_lshlrev_b64 v[41:42], 1, v[9:10]
	v_dual_mov_b32 v54, 0 :: v_dual_mov_b32 v49, 0
	v_mov_b32_e32 v52, 0
	v_mov_b32_e32 v50, 0
	s_mov_b32 s1, 0
	s_branch .LBB213_17
.LBB213_15:                             ;   in Loop: Header=BB213_17 Depth=2
	s_or_b32 exec_lo, exec_lo, s3
.LBB213_16:                             ;   in Loop: Header=BB213_17 Depth=2
	s_delay_alu instid0(SALU_CYCLE_1)
	s_or_b32 exec_lo, exec_lo, s2
	s_waitcnt vmcnt(0) lgkmcnt(0)
	v_and_b32_e32 v30, 0xffff0000, v25
	v_and_b32_e32 v44, 0xffff0000, v26
	;; [unrolled: 1-line block ×4, first 2 shown]
	v_lshlrev_b32_e32 v26, 16, v26
	v_and_b32_e32 v68, 0xffff0000, v24
	v_lshlrev_b32_e32 v24, 16, v24
	s_delay_alu instid0(VALU_DEP_4)
	v_dual_mul_f32 v60, v44, v58 :: v_dual_mul_f32 v59, v30, v43
	v_and_b32_e32 v63, 0xffff0000, v17
	v_and_b32_e32 v69, 0xffff0000, v13
	;; [unrolled: 1-line block ×3, first 2 shown]
	v_lshlrev_b32_e32 v17, 16, v17
	v_and_b32_e32 v61, 0xffff0000, v27
	v_lshlrev_b32_e32 v27, 16, v27
	v_lshlrev_b32_e32 v19, 16, v19
	v_and_b32_e32 v65, 0xffff0000, v28
	v_lshlrev_b32_e32 v21, 16, v21
	v_and_b32_e32 v62, 0xffff0000, v23
	v_lshlrev_b32_e32 v23, 16, v23
	s_addk_i32 s1, 0x200
	v_mul_f32_e32 v70, v65, v68
	v_lshlrev_b32_e32 v22, 16, v22
	v_lshlrev_b32_e32 v25, 16, v25
	s_cmp_ge_u32 s1, s8
	v_lshlrev_b32_e32 v28, 16, v28
	v_add_nc_u32_e32 v56, 0x400, v56
	s_delay_alu instid0(VALU_DEP_3) | instskip(NEXT) | instid1(VALU_DEP_1)
	v_dual_fmac_f32 v60, v26, v22 :: v_dual_fmac_f32 v59, v25, v21
	v_add_f32_e32 v57, v57, v59
	s_delay_alu instid0(VALU_DEP_1) | instskip(SKIP_1) | instid1(VALU_DEP_2)
	v_dual_add_f32 v57, v57, v60 :: v_dual_and_b32 v60, 0xffff0000, v18
	v_lshlrev_b32_e32 v18, 16, v18
	v_mul_f32_e32 v66, v44, v60
	v_mul_f32_e32 v64, v30, v63
	s_delay_alu instid0(VALU_DEP_2) | instskip(NEXT) | instid1(VALU_DEP_2)
	v_fmac_f32_e32 v66, v26, v18
	v_fmac_f32_e32 v64, v25, v17
	v_and_b32_e32 v73, 0xffff0000, v5
	s_delay_alu instid0(VALU_DEP_2) | instskip(SKIP_1) | instid1(VALU_DEP_2)
	v_add_f32_e32 v55, v55, v64
	v_mul_f32_e32 v59, v61, v62
	v_add_f32_e32 v55, v55, v66
	s_delay_alu instid0(VALU_DEP_2) | instskip(SKIP_1) | instid1(VALU_DEP_2)
	v_dual_fmac_f32 v59, v27, v23 :: v_dual_mul_f32 v66, v30, v69
	v_mul_f32_e32 v64, v61, v67
	v_dual_mul_f32 v30, v30, v73 :: v_dual_add_f32 v57, v57, v59
	v_and_b32_e32 v59, 0xffff0000, v14
	v_lshlrev_b32_e32 v14, 16, v14
	v_lshlrev_b32_e32 v13, 16, v13
	s_delay_alu instid0(VALU_DEP_1) | instskip(NEXT) | instid1(VALU_DEP_1)
	v_fmac_f32_e32 v66, v25, v13
	v_dual_add_f32 v53, v53, v66 :: v_dual_fmac_f32 v70, v28, v24
	s_delay_alu instid0(VALU_DEP_1) | instskip(NEXT) | instid1(VALU_DEP_1)
	v_dual_fmac_f32 v64, v27, v19 :: v_dual_add_f32 v57, v57, v70
	v_dual_add_f32 v55, v55, v64 :: v_dual_mul_f32 v64, v44, v59
	s_delay_alu instid0(VALU_DEP_1) | instskip(NEXT) | instid1(VALU_DEP_1)
	v_fmac_f32_e32 v64, v26, v14
	v_add_f32_e32 v53, v53, v64
	v_and_b32_e32 v64, 0xffff0000, v16
	s_delay_alu instid0(VALU_DEP_1) | instskip(NEXT) | instid1(VALU_DEP_1)
	v_dual_mul_f32 v76, v65, v64 :: v_dual_lshlrev_b32 v5, 16, v5
	v_dual_fmac_f32 v30, v25, v5 :: v_dual_and_b32 v75, 0xffff0000, v6
	v_lshlrev_b32_e32 v6, 16, v6
	v_and_b32_e32 v66, 0xffff0000, v15
	v_lshlrev_b32_e32 v15, 16, v15
	v_and_b32_e32 v71, 0xffff0000, v20
	v_dual_mul_f32 v25, v44, v75 :: v_dual_lshlrev_b32 v20, 16, v20
	v_add_f32_e32 v30, v54, v30
	s_delay_alu instid0(VALU_DEP_2) | instskip(SKIP_4) | instid1(VALU_DEP_4)
	v_fmac_f32_e32 v25, v26, v6
	v_mul_f32_e32 v74, v61, v66
	v_lshlrev_b32_e32 v16, 16, v16
	v_and_b32_e32 v26, 0xffff0000, v9
	v_lshlrev_b32_e32 v9, 16, v9
	v_dual_add_f32 v25, v30, v25 :: v_dual_fmac_f32 v74, v27, v15
	s_delay_alu instid0(VALU_DEP_3) | instskip(SKIP_1) | instid1(VALU_DEP_3)
	v_dual_fmac_f32 v76, v28, v16 :: v_dual_mul_f32 v43, v26, v43
	v_and_b32_e32 v30, 0xffff0000, v7
	v_dual_add_f32 v44, v53, v74 :: v_dual_lshlrev_b32 v7, 16, v7
	v_mul_f32_e32 v72, v65, v71
	s_delay_alu instid0(VALU_DEP_4) | instskip(NEXT) | instid1(VALU_DEP_4)
	v_fmac_f32_e32 v43, v9, v21
	v_dual_mul_f32 v54, v61, v30 :: v_dual_and_b32 v61, 0xffff0000, v8
	s_delay_alu instid0(VALU_DEP_4) | instskip(NEXT) | instid1(VALU_DEP_4)
	v_add_f32_e32 v53, v44, v76
	v_fmac_f32_e32 v72, v28, v20
	s_delay_alu instid0(VALU_DEP_4) | instskip(NEXT) | instid1(VALU_DEP_4)
	v_dual_add_f32 v43, v52, v43 :: v_dual_and_b32 v44, 0xffff0000, v10
	v_fmac_f32_e32 v54, v27, v7
	v_dual_mul_f32 v27, v65, v61 :: v_dual_lshlrev_b32 v8, 16, v8
	v_lshlrev_b32_e32 v10, 16, v10
	s_delay_alu instid0(VALU_DEP_4) | instskip(SKIP_1) | instid1(VALU_DEP_4)
	v_dual_mul_f32 v21, v44, v58 :: v_dual_and_b32 v52, 0xffff0000, v12
	v_lshlrev_b32_e32 v12, 16, v12
	v_dual_fmac_f32 v27, v28, v8 :: v_dual_and_b32 v28, 0xffff0000, v11
	s_delay_alu instid0(VALU_DEP_3)
	v_fmac_f32_e32 v21, v10, v22
	v_mul_f32_e32 v22, v26, v63
	v_lshlrev_b32_e32 v11, 16, v11
	v_add_f32_e32 v55, v55, v72
	v_add_f32_e32 v25, v25, v54
	;; [unrolled: 1-line block ×3, first 2 shown]
	v_dual_fmac_f32 v22, v9, v17 :: v_dual_mul_f32 v17, v44, v60
	s_delay_alu instid0(VALU_DEP_3) | instskip(NEXT) | instid1(VALU_DEP_2)
	v_dual_mul_f32 v43, v28, v62 :: v_dual_add_f32 v54, v25, v27
	v_add_f32_e32 v22, v51, v22
	s_delay_alu instid0(VALU_DEP_3) | instskip(NEXT) | instid1(VALU_DEP_3)
	v_dual_fmac_f32 v17, v10, v18 :: v_dual_mul_f32 v18, v28, v67
	v_fmac_f32_e32 v43, v11, v23
	v_mul_f32_e32 v23, v52, v68
	s_delay_alu instid0(VALU_DEP_3) | instskip(SKIP_1) | instid1(VALU_DEP_4)
	v_dual_add_f32 v17, v22, v17 :: v_dual_fmac_f32 v18, v11, v19
	v_mul_f32_e32 v19, v26, v69
	v_dual_add_f32 v21, v21, v43 :: v_dual_mul_f32 v22, v26, v73
	s_delay_alu instid0(VALU_DEP_4) | instskip(NEXT) | instid1(VALU_DEP_4)
	v_fmac_f32_e32 v23, v12, v24
	v_dual_add_f32 v17, v17, v18 :: v_dual_mul_f32 v18, v52, v71
	s_delay_alu instid0(VALU_DEP_4) | instskip(NEXT) | instid1(VALU_DEP_4)
	v_fmac_f32_e32 v19, v9, v13
	v_dual_mul_f32 v13, v44, v59 :: v_dual_fmac_f32 v22, v9, v5
	v_mul_f32_e32 v5, v44, v75
	s_delay_alu instid0(VALU_DEP_2) | instskip(NEXT) | instid1(VALU_DEP_4)
	v_dual_fmac_f32 v18, v12, v20 :: v_dual_fmac_f32 v13, v10, v14
	v_dual_mul_f32 v14, v28, v66 :: v_dual_add_f32 v9, v50, v19
	s_delay_alu instid0(VALU_DEP_3) | instskip(SKIP_1) | instid1(VALU_DEP_3)
	v_fmac_f32_e32 v5, v10, v6
	v_mul_f32_e32 v6, v28, v30
	v_dual_add_f32 v19, v49, v22 :: v_dual_fmac_f32 v14, v11, v15
	s_delay_alu instid0(VALU_DEP_4) | instskip(NEXT) | instid1(VALU_DEP_3)
	v_dual_mul_f32 v10, v52, v64 :: v_dual_add_f32 v9, v9, v13
	v_fmac_f32_e32 v6, v11, v7
	s_delay_alu instid0(VALU_DEP_3) | instskip(SKIP_1) | instid1(VALU_DEP_4)
	v_add_f32_e32 v5, v19, v5
	v_dual_mul_f32 v7, v52, v61 :: v_dual_add_f32 v52, v21, v23
	v_dual_fmac_f32 v10, v12, v16 :: v_dual_add_f32 v9, v9, v14
	s_delay_alu instid0(VALU_DEP_3) | instskip(NEXT) | instid1(VALU_DEP_3)
	v_add_f32_e32 v5, v5, v6
	v_fmac_f32_e32 v7, v12, v8
	v_add_f32_e32 v51, v17, v18
	s_delay_alu instid0(VALU_DEP_4) | instskip(NEXT) | instid1(VALU_DEP_3)
	v_add_f32_e32 v50, v9, v10
	v_add_f32_e32 v49, v5, v7
	s_cbranch_scc1 .LBB213_26
.LBB213_17:                             ;   Parent Loop BB213_13 Depth=1
                                        ; =>  This Inner Loop Header: Depth=2
	v_add_nc_u32_e32 v43, s1, v0
	s_waitcnt vmcnt(5)
	v_dual_mov_b32 v27, 0 :: v_dual_mov_b32 v26, 0
	s_waitcnt vmcnt(4)
	v_mov_b32_e32 v25, 0
	s_mov_b32 s2, exec_lo
	v_min_u32_e32 v30, s21, v43
	v_mov_b32_e32 v28, 0
	s_delay_alu instid0(VALU_DEP_2) | instskip(SKIP_1) | instid1(VALU_DEP_1)
	v_lshlrev_b64 v[5:6], 1, v[30:31]
	s_waitcnt lgkmcnt(0)
	v_add_co_u32 v11, vcc_lo, s14, v5
	s_delay_alu instid0(VALU_DEP_2) | instskip(NEXT) | instid1(VALU_DEP_2)
	v_add_co_ci_u32_e32 v12, vcc_lo, s15, v6, vcc_lo
	v_add_co_u32 v5, vcc_lo, v11, v35
	s_delay_alu instid0(VALU_DEP_2)
	v_add_co_ci_u32_e32 v6, vcc_lo, v12, v36, vcc_lo
	v_add_co_u32 v7, vcc_lo, v11, v37
	v_add_co_ci_u32_e32 v8, vcc_lo, v12, v38, vcc_lo
	v_add_co_u32 v9, vcc_lo, v11, v39
	;; [unrolled: 2-line block ×3, first 2 shown]
	v_add_co_ci_u32_e32 v12, vcc_lo, v12, v42, vcc_lo
	s_clause 0x3
	global_load_b128 v[21:24], v[5:6], off slc dlc
	global_load_b128 v[17:20], v[7:8], off slc dlc
	;; [unrolled: 1-line block ×4, first 2 shown]
	v_dual_mov_b32 v12, 0 :: v_dual_mov_b32 v11, 0
	v_dual_mov_b32 v10, 0 :: v_dual_mov_b32 v9, 0
	v_cmpx_gt_u32_e64 s8, v43
	s_cbranch_execz .LBB213_16
; %bb.18:                               ;   in Loop: Header=BB213_17 Depth=2
	s_mov_b32 s3, exec_lo
                                        ; implicit-def: $vgpr28
	v_cmpx_lt_u32_e32 0x7fff, v43
	s_xor_b32 s3, exec_lo, s3
	s_cbranch_execz .LBB213_20
; %bb.19:                               ;   in Loop: Header=BB213_17 Depth=2
	v_mov_b32_e32 v44, v31
	s_delay_alu instid0(VALU_DEP_1) | instskip(NEXT) | instid1(VALU_DEP_1)
	v_lshlrev_b64 v[9:10], 1, v[43:44]
	v_add_co_u32 v9, vcc_lo, s12, v9
	s_delay_alu instid0(VALU_DEP_2)
	v_add_co_ci_u32_e32 v10, vcc_lo, s13, v10, vcc_lo
	global_load_b128 v[25:28], v[9:10], off
.LBB213_20:                             ;   in Loop: Header=BB213_17 Depth=2
	s_and_not1_saveexec_b32 s3, s3
	s_cbranch_execz .LBB213_22
; %bb.21:                               ;   in Loop: Header=BB213_17 Depth=2
	s_waitcnt vmcnt(0)
	ds_load_b128 v[25:28], v56
.LBB213_22:                             ;   in Loop: Header=BB213_17 Depth=2
	s_or_b32 exec_lo, exec_lo, s3
	v_add_nc_u32_e32 v30, s1, v46
	s_mov_b32 s3, exec_lo
                                        ; implicit-def: $vgpr12
	s_delay_alu instid0(VALU_DEP_1)
	v_cmpx_lt_u32_e32 0x7fff, v30
	s_xor_b32 s3, exec_lo, s3
	s_cbranch_execz .LBB213_24
; %bb.23:                               ;   in Loop: Header=BB213_17 Depth=2
	v_lshlrev_b64 v[9:10], 1, v[30:31]
	s_delay_alu instid0(VALU_DEP_1) | instskip(NEXT) | instid1(VALU_DEP_2)
	v_add_co_u32 v9, vcc_lo, s12, v9
	v_add_co_ci_u32_e32 v10, vcc_lo, s13, v10, vcc_lo
	global_load_b128 v[9:12], v[9:10], off
.LBB213_24:                             ;   in Loop: Header=BB213_17 Depth=2
	s_and_not1_saveexec_b32 s3, s3
	s_cbranch_execz .LBB213_15
; %bb.25:                               ;   in Loop: Header=BB213_17 Depth=2
	s_waitcnt vmcnt(0)
	v_add_nc_u32_e32 v9, s22, v56
	ds_load_b128 v[9:12], v9
	s_branch .LBB213_15
.LBB213_26:                             ;   in Loop: Header=BB213_13 Depth=1
	s_delay_alu instid0(VALU_DEP_1)
	v_cvt_i32_f32_e32 v5, v57
	s_waitcnt lgkmcnt(0)
	v_cvt_i32_f32_e32 v6, v55
	v_cvt_i32_f32_e32 v7, v53
	;; [unrolled: 1-line block ×4, first 2 shown]
	v_cvt_f32_i32_dpp v5, v5 row_shr:8 row_mask:0xf bank_mask:0xf bound_ctrl:1
	v_cvt_f32_i32_dpp v6, v6 row_shr:8 row_mask:0xf bank_mask:0xf bound_ctrl:1
	;; [unrolled: 1-line block ×3, first 2 shown]
	v_cvt_i32_f32_e32 v10, v51
	v_cvt_i32_f32_e32 v15, v49
	s_delay_alu instid0(VALU_DEP_4) | instskip(SKIP_3) | instid1(VALU_DEP_4)
	v_dual_add_f32 v5, v57, v5 :: v_dual_add_f32 v6, v55, v6
	v_cvt_f32_i32_dpp v8, v8 row_shr:8 row_mask:0xf bank_mask:0xf bound_ctrl:1
	v_cvt_f32_i32_dpp v9, v9 row_shr:8 row_mask:0xf bank_mask:0xf bound_ctrl:1
	;; [unrolled: 1-line block ×3, first 2 shown]
	v_cvt_i32_f32_e32 v12, v5
	s_waitcnt vmcnt(0)
	v_cvt_i32_f32_e32 v13, v6
	v_cvt_i32_f32_e32 v11, v50
	v_add_f32_e32 v8, v54, v8
	v_add_f32_e32 v10, v51, v10
	v_cvt_f32_i32_dpp v12, v12 row_shr:4 row_mask:0xf bank_mask:0xf bound_ctrl:1
	v_cvt_f32_i32_dpp v13, v13 row_shr:4 row_mask:0xf bank_mask:0xf bound_ctrl:1
	v_add_f32_e32 v7, v53, v7
	v_cvt_f32_i32_dpp v11, v11 row_shr:8 row_mask:0xf bank_mask:0xf bound_ctrl:1
	v_cvt_i32_f32_e32 v19, v10
	s_delay_alu instid0(VALU_DEP_4) | instskip(NEXT) | instid1(VALU_DEP_4)
	v_dual_add_f32 v5, v5, v12 :: v_dual_add_f32 v6, v6, v13
	v_cvt_i32_f32_e32 v14, v7
	v_cvt_f32_i32_dpp v12, v15 row_shr:8 row_mask:0xf bank_mask:0xf bound_ctrl:1
	v_add_f32_e32 v11, v50, v11
	s_delay_alu instid0(VALU_DEP_4) | instskip(NEXT) | instid1(VALU_DEP_4)
	v_cvt_i32_f32_e32 v13, v5
	v_cvt_f32_i32_dpp v14, v14 row_shr:4 row_mask:0xf bank_mask:0xf bound_ctrl:1
	s_delay_alu instid0(VALU_DEP_4) | instskip(NEXT) | instid1(VALU_DEP_4)
	v_add_f32_e32 v12, v49, v12
	v_cvt_i32_f32_e32 v22, v11
	s_delay_alu instid0(VALU_DEP_4) | instskip(NEXT) | instid1(VALU_DEP_4)
	v_cvt_f32_i32_dpp v13, v13 row_shr:2 row_mask:0xf bank_mask:0xf bound_ctrl:1
	v_add_f32_e32 v7, v7, v14
	v_cvt_i32_f32_e32 v14, v6
	v_cvt_i32_f32_e32 v25, v12
	s_delay_alu instid0(VALU_DEP_3) | instskip(NEXT) | instid1(VALU_DEP_3)
	v_cvt_i32_f32_e32 v15, v7
	v_cvt_f32_i32_dpp v14, v14 row_shr:2 row_mask:0xf bank_mask:0xf bound_ctrl:1
	v_add_f32_e32 v9, v52, v9
	s_delay_alu instid0(VALU_DEP_3) | instskip(NEXT) | instid1(VALU_DEP_3)
	v_cvt_f32_i32_dpp v15, v15 row_shr:2 row_mask:0xf bank_mask:0xf bound_ctrl:1
	v_add_f32_e32 v6, v6, v14
	s_delay_alu instid0(VALU_DEP_3) | instskip(NEXT) | instid1(VALU_DEP_3)
	v_cvt_i32_f32_e32 v18, v9
	v_add_f32_e32 v7, v7, v15
	s_delay_alu instid0(VALU_DEP_3) | instskip(NEXT) | instid1(VALU_DEP_1)
	v_cvt_i32_f32_e32 v15, v6
	v_cvt_f32_i32_dpp v15, v15 row_shr:1 row_mask:0xf bank_mask:0xf bound_ctrl:1
	v_add_f32_e32 v5, v5, v13
	v_cvt_i32_f32_e32 v13, v8
	s_delay_alu instid0(VALU_DEP_3) | instskip(NEXT) | instid1(VALU_DEP_3)
	v_add_f32_e32 v20, v6, v15
	v_cvt_i32_f32_e32 v14, v5
	v_cvt_f32_i32_dpp v6, v18 row_shr:4 row_mask:0xf bank_mask:0xf bound_ctrl:1
	ds_bpermute_b32 v21, v47, v20
	v_cvt_f32_i32_dpp v14, v14 row_shr:1 row_mask:0xf bank_mask:0xf bound_ctrl:1
	v_add_f32_e32 v6, v9, v6
	v_cvt_i32_f32_e32 v16, v7
	s_delay_alu instid0(VALU_DEP_3) | instskip(SKIP_4) | instid1(VALU_DEP_4)
	v_add_f32_e32 v23, v5, v14
	v_cvt_f32_i32_dpp v14, v25 row_shr:4 row_mask:0xf bank_mask:0xf bound_ctrl:1
	v_cvt_f32_i32_dpp v5, v13 row_shr:4 row_mask:0xf bank_mask:0xf bound_ctrl:1
	;; [unrolled: 1-line block ×4, first 2 shown]
	v_add_f32_e32 v9, v12, v14
	s_delay_alu instid0(VALU_DEP_1) | instskip(NEXT) | instid1(VALU_DEP_1)
	v_cvt_i32_f32_e32 v14, v9
	v_cvt_f32_i32_dpp v14, v14 row_shr:2 row_mask:0xf bank_mask:0xf bound_ctrl:1
	v_add_f32_e32 v5, v8, v5
	v_add_f32_e32 v8, v11, v13
	v_cvt_i32_f32_e32 v11, v6
	ds_bpermute_b32 v24, v47, v23
	v_cvt_i32_f32_e32 v13, v8
	v_cvt_f32_i32_dpp v11, v11 row_shr:2 row_mask:0xf bank_mask:0xf bound_ctrl:1
	v_add_f32_e32 v17, v7, v16
	v_cvt_f32_i32_dpp v7, v19 row_shr:4 row_mask:0xf bank_mask:0xf bound_ctrl:1
	s_delay_alu instid0(VALU_DEP_4) | instskip(NEXT) | instid1(VALU_DEP_4)
	v_cvt_f32_i32_dpp v13, v13 row_shr:2 row_mask:0xf bank_mask:0xf bound_ctrl:1
	v_add_f32_e32 v6, v6, v11
	ds_bpermute_b32 v18, v47, v17
	v_add_f32_e32 v7, v10, v7
	v_cvt_i32_f32_e32 v10, v5
	v_add_f32_e32 v8, v8, v13
	v_cvt_i32_f32_e32 v11, v6
	s_delay_alu instid0(VALU_DEP_4) | instskip(NEXT) | instid1(VALU_DEP_4)
	v_cvt_i32_f32_e32 v12, v7
	v_cvt_f32_i32_dpp v10, v10 row_shr:2 row_mask:0xf bank_mask:0xf bound_ctrl:1
	s_delay_alu instid0(VALU_DEP_4) | instskip(NEXT) | instid1(VALU_DEP_4)
	v_cvt_i32_f32_e32 v13, v8
	v_cvt_f32_i32_dpp v11, v11 row_shr:1 row_mask:0xf bank_mask:0xf bound_ctrl:1
	s_delay_alu instid0(VALU_DEP_4) | instskip(NEXT) | instid1(VALU_DEP_4)
	v_cvt_f32_i32_dpp v12, v12 row_shr:2 row_mask:0xf bank_mask:0xf bound_ctrl:1
	v_add_f32_e32 v5, v5, v10
	v_add_f32_e32 v10, v9, v14
	v_cvt_f32_i32_dpp v13, v13 row_shr:1 row_mask:0xf bank_mask:0xf bound_ctrl:1
	v_add_f32_e32 v11, v6, v11
	s_delay_alu instid0(VALU_DEP_4) | instskip(NEXT) | instid1(VALU_DEP_4)
	v_cvt_i32_f32_e32 v9, v5
	v_cvt_i32_f32_e32 v14, v10
	s_delay_alu instid0(VALU_DEP_2) | instskip(SKIP_1) | instid1(VALU_DEP_3)
	v_cvt_f32_i32_dpp v9, v9 row_shr:1 row_mask:0xf bank_mask:0xf bound_ctrl:1
	v_add_f32_e32 v7, v7, v12
	v_cvt_f32_i32_dpp v15, v14 row_shr:1 row_mask:0xf bank_mask:0xf bound_ctrl:1
	s_delay_alu instid0(VALU_DEP_3) | instskip(NEXT) | instid1(VALU_DEP_3)
	v_add_f32_e32 v14, v5, v9
	v_cvt_i32_f32_e32 v12, v7
	s_delay_alu instid0(VALU_DEP_3)
	v_add_f32_e32 v5, v10, v15
	ds_bpermute_b32 v15, v47, v14
	v_cvt_f32_i32_dpp v12, v12 row_shr:1 row_mask:0xf bank_mask:0xf bound_ctrl:1
	ds_bpermute_b32 v6, v47, v5
	v_add_f32_e32 v9, v7, v12
	v_add_f32_e32 v7, v8, v13
	ds_bpermute_b32 v12, v47, v11
	ds_bpermute_b32 v10, v47, v9
	;; [unrolled: 1-line block ×3, first 2 shown]
	s_and_saveexec_b32 s5, s0
	s_cbranch_execz .LBB213_77
; %bb.27:                               ;   in Loop: Header=BB213_13 Depth=1
	v_dual_mov_b32 v28, 0 :: v_dual_mov_b32 v27, 0
	v_dual_mov_b32 v26, 0 :: v_dual_mov_b32 v25, 0
	;; [unrolled: 1-line block ×4, first 2 shown]
	s_and_not1_b32 vcc_lo, exec_lo, s24
	s_cbranch_vccnz .LBB213_29
; %bb.28:                               ;   in Loop: Header=BB213_13 Depth=1
	v_mul_hi_u32 v13, v29, v48
	v_mul_hi_u32 v16, v34, v48
	;; [unrolled: 1-line block ×4, first 2 shown]
	s_delay_alu instid0(VALU_DEP_4) | instskip(NEXT) | instid1(VALU_DEP_4)
	v_mul_lo_u32 v13, v13, s16
	v_mul_lo_u32 v16, v16, s16
	s_delay_alu instid0(VALU_DEP_4) | instskip(NEXT) | instid1(VALU_DEP_4)
	v_mul_lo_u32 v19, v19, s16
	v_mul_lo_u32 v22, v22, s16
	s_delay_alu instid0(VALU_DEP_4) | instskip(NEXT) | instid1(VALU_DEP_4)
	v_sub_nc_u32_e32 v13, v29, v13
	v_sub_nc_u32_e32 v16, v34, v16
	s_delay_alu instid0(VALU_DEP_4) | instskip(NEXT) | instid1(VALU_DEP_4)
	v_sub_nc_u32_e32 v19, v33, v19
	v_sub_nc_u32_e32 v22, v32, v22
	s_delay_alu instid0(VALU_DEP_4)
	v_subrev_nc_u32_e32 v25, s16, v13
	v_cmp_le_u32_e32 vcc_lo, s16, v13
	v_mov_b32_e32 v26, v31
	v_subrev_nc_u32_e32 v27, s16, v16
	v_subrev_nc_u32_e32 v30, s16, v19
	;; [unrolled: 1-line block ×3, first 2 shown]
	v_cndmask_b32_e32 v13, v13, v25, vcc_lo
	v_cmp_le_u32_e32 vcc_lo, s16, v16
	s_delay_alu instid0(VALU_DEP_2) | instskip(SKIP_4) | instid1(VALU_DEP_4)
	v_subrev_nc_u32_e32 v25, s16, v13
	v_cndmask_b32_e32 v16, v16, v27, vcc_lo
	v_cmp_le_u32_e32 vcc_lo, s16, v19
	v_cndmask_b32_e32 v19, v19, v30, vcc_lo
	v_cmp_le_u32_e32 vcc_lo, s16, v22
	v_subrev_nc_u32_e32 v27, s16, v16
	v_cndmask_b32_e32 v22, v22, v35, vcc_lo
	v_cmp_le_u32_e32 vcc_lo, s16, v13
	v_subrev_nc_u32_e32 v35, s16, v19
	s_delay_alu instid0(VALU_DEP_3)
	v_subrev_nc_u32_e32 v39, s16, v22
	v_cndmask_b32_e32 v30, v13, v25, vcc_lo
	v_cmp_le_u32_e32 vcc_lo, s16, v16
	v_dual_mov_b32 v28, v31 :: v_dual_cndmask_b32 v25, v16, v27
	v_cmp_le_u32_e32 vcc_lo, s16, v19
	v_cndmask_b32_e32 v27, v19, v35, vcc_lo
	v_cmp_le_u32_e32 vcc_lo, s16, v22
	v_lshlrev_b64 v[37:38], 1, v[30:31]
	v_mov_b32_e32 v36, v31
	v_add_nc_u32_e32 v30, s26, v30
	v_lshlrev_b64 v[41:42], 1, v[27:28]
	v_cndmask_b32_e32 v35, v22, v39, vcc_lo
	v_lshlrev_b64 v[39:40], 1, v[25:26]
	v_add_co_u32 v37, vcc_lo, s6, v37
	v_add_co_ci_u32_e32 v38, vcc_lo, s7, v38, vcc_lo
	v_lshlrev_b64 v[49:50], 1, v[30:31]
	v_add_nc_u32_e32 v30, s26, v25
	v_add_co_u32 v39, vcc_lo, s6, v39
	v_lshlrev_b64 v[43:44], 1, v[35:36]
	v_add_co_ci_u32_e32 v40, vcc_lo, s7, v40, vcc_lo
	v_add_co_u32 v41, vcc_lo, s6, v41
	v_lshlrev_b64 v[25:26], 1, v[30:31]
	v_add_nc_u32_e32 v30, s26, v27
	v_add_co_ci_u32_e32 v42, vcc_lo, s7, v42, vcc_lo
	v_add_co_u32 v43, vcc_lo, s6, v43
	v_add_co_ci_u32_e32 v44, vcc_lo, s7, v44, vcc_lo
	v_add_co_u32 v49, vcc_lo, s6, v49
	v_lshlrev_b64 v[27:28], 1, v[30:31]
	v_add_nc_u32_e32 v30, s26, v35
	v_add_co_ci_u32_e32 v50, vcc_lo, s7, v50, vcc_lo
	v_add_co_u32 v35, vcc_lo, s6, v25
	v_add_co_ci_u32_e32 v36, vcc_lo, s7, v26, vcc_lo
	s_delay_alu instid0(VALU_DEP_4) | instskip(SKIP_2) | instid1(VALU_DEP_3)
	v_lshlrev_b64 v[25:26], 1, v[30:31]
	v_add_co_u32 v51, vcc_lo, s6, v27
	v_add_co_ci_u32_e32 v52, vcc_lo, s7, v28, vcc_lo
	v_add_co_u32 v53, vcc_lo, s6, v25
	s_delay_alu instid0(VALU_DEP_4)
	v_add_co_ci_u32_e32 v54, vcc_lo, s7, v26, vcc_lo
	s_clause 0x7
	global_load_u16 v28, v[37:38], off
	global_load_u16 v27, v[39:40], off
	;; [unrolled: 1-line block ×8, first 2 shown]
.LBB213_29:                             ;   in Loop: Header=BB213_13 Depth=1
	v_cmp_ne_u32_e32 vcc_lo, 0, v1
	s_and_saveexec_b32 s2, vcc_lo
	s_cbranch_execnz .LBB213_37
; %bb.30:                               ;   in Loop: Header=BB213_13 Depth=1
	s_or_b32 exec_lo, exec_lo, s2
	v_cmp_ne_u32_e64 s1, 0, v2
	s_delay_alu instid0(VALU_DEP_1)
	s_and_saveexec_b32 s3, s1
	s_cbranch_execnz .LBB213_42
.LBB213_31:                             ;   in Loop: Header=BB213_13 Depth=1
	s_or_b32 exec_lo, exec_lo, s3
	v_cmp_ne_u32_e64 s2, 0, v3
	s_delay_alu instid0(VALU_DEP_1)
	s_and_saveexec_b32 s4, s2
	s_cbranch_execnz .LBB213_47
.LBB213_32:                             ;   in Loop: Header=BB213_13 Depth=1
	s_or_b32 exec_lo, exec_lo, s4
	v_cmp_ne_u32_e64 s3, 0, v4
	s_delay_alu instid0(VALU_DEP_1)
	s_and_saveexec_b32 s27, s3
	s_cbranch_execnz .LBB213_52
.LBB213_33:                             ;   in Loop: Header=BB213_13 Depth=1
	s_or_b32 exec_lo, exec_lo, s27
	v_add_nc_u32_e32 v30, s11, v29
	s_and_saveexec_b32 s4, vcc_lo
	s_cbranch_execnz .LBB213_57
.LBB213_34:                             ;   in Loop: Header=BB213_13 Depth=1
	s_or_b32 exec_lo, exec_lo, s4
	s_and_saveexec_b32 s4, s1
	s_cbranch_execnz .LBB213_62
.LBB213_35:                             ;   in Loop: Header=BB213_13 Depth=1
	s_or_b32 exec_lo, exec_lo, s4
	s_and_saveexec_b32 s1, s2
	s_cbranch_execnz .LBB213_67
.LBB213_36:                             ;   in Loop: Header=BB213_13 Depth=1
	s_or_b32 exec_lo, exec_lo, s1
	s_delay_alu instid0(SALU_CYCLE_1)
	s_and_b32 exec_lo, exec_lo, s3
	s_cbranch_execnz .LBB213_72
	s_branch .LBB213_77
.LBB213_37:                             ;   in Loop: Header=BB213_13 Depth=1
	s_waitcnt lgkmcnt(0)
	v_add_f32_e32 v23, v23, v24
	s_waitcnt vmcnt(7)
	v_lshlrev_b32_e32 v24, 16, v28
	s_delay_alu instid0(VALU_DEP_1) | instskip(NEXT) | instid1(VALU_DEP_1)
	v_add_f32_e32 v24, v23, v24
	v_and_b32_e32 v23, 0x7f800000, v24
	s_delay_alu instid0(VALU_DEP_1) | instskip(NEXT) | instid1(VALU_DEP_1)
	v_cmp_ne_u32_e64 s1, 0x7f800000, v23
                                        ; implicit-def: $vgpr23
	s_and_saveexec_b32 s3, s1
	s_delay_alu instid0(SALU_CYCLE_1)
	s_xor_b32 s1, exec_lo, s3
; %bb.38:                               ;   in Loop: Header=BB213_13 Depth=1
	v_bfe_u32 v23, v24, 16, 1
	s_delay_alu instid0(VALU_DEP_1)
	v_add3_u32 v23, v24, v23, 0x7fff
                                        ; implicit-def: $vgpr24
; %bb.39:                               ;   in Loop: Header=BB213_13 Depth=1
	s_and_not1_saveexec_b32 s3, s1
; %bb.40:                               ;   in Loop: Header=BB213_13 Depth=1
	v_and_b32_e32 v23, 0xffff, v24
	v_or_b32_e32 v28, 0x10000, v24
	s_delay_alu instid0(VALU_DEP_2) | instskip(NEXT) | instid1(VALU_DEP_1)
	v_cmp_eq_u32_e64 s1, 0, v23
	v_cndmask_b32_e64 v23, v28, v24, s1
; %bb.41:                               ;   in Loop: Header=BB213_13 Depth=1
	s_or_b32 exec_lo, exec_lo, s3
	v_mov_b32_e32 v30, v31
	s_delay_alu instid0(VALU_DEP_1) | instskip(NEXT) | instid1(VALU_DEP_1)
	v_lshlrev_b64 v[35:36], 1, v[29:30]
	v_add_co_u32 v35, s1, s18, v35
	s_delay_alu instid0(VALU_DEP_1) | instskip(SKIP_3) | instid1(VALU_DEP_1)
	v_add_co_ci_u32_e64 v36, s1, s19, v36, s1
	global_store_d16_hi_b16 v[35:36], v23, off
	s_or_b32 exec_lo, exec_lo, s2
	v_cmp_ne_u32_e64 s1, 0, v2
	s_and_saveexec_b32 s3, s1
	s_cbranch_execz .LBB213_31
.LBB213_42:                             ;   in Loop: Header=BB213_13 Depth=1
	s_waitcnt vmcnt(6) lgkmcnt(0)
	v_dual_add_f32 v20, v20, v21 :: v_dual_lshlrev_b32 v21, 16, v27
	s_delay_alu instid0(VALU_DEP_1) | instskip(NEXT) | instid1(VALU_DEP_1)
	v_add_f32_e32 v21, v20, v21
	v_and_b32_e32 v20, 0x7f800000, v21
	s_delay_alu instid0(VALU_DEP_1) | instskip(NEXT) | instid1(VALU_DEP_1)
	v_cmp_ne_u32_e64 s2, 0x7f800000, v20
                                        ; implicit-def: $vgpr20
	s_and_saveexec_b32 s4, s2
	s_delay_alu instid0(SALU_CYCLE_1)
	s_xor_b32 s2, exec_lo, s4
; %bb.43:                               ;   in Loop: Header=BB213_13 Depth=1
	v_bfe_u32 v20, v21, 16, 1
	s_delay_alu instid0(VALU_DEP_1)
	v_add3_u32 v20, v21, v20, 0x7fff
                                        ; implicit-def: $vgpr21
; %bb.44:                               ;   in Loop: Header=BB213_13 Depth=1
	s_and_not1_saveexec_b32 s4, s2
; %bb.45:                               ;   in Loop: Header=BB213_13 Depth=1
	v_and_b32_e32 v20, 0xffff, v21
	v_or_b32_e32 v23, 0x10000, v21
	s_delay_alu instid0(VALU_DEP_2) | instskip(NEXT) | instid1(VALU_DEP_1)
	v_cmp_eq_u32_e64 s2, 0, v20
	v_cndmask_b32_e64 v20, v23, v21, s2
; %bb.46:                               ;   in Loop: Header=BB213_13 Depth=1
	s_or_b32 exec_lo, exec_lo, s4
	v_mov_b32_e32 v35, v31
	s_delay_alu instid0(VALU_DEP_1) | instskip(NEXT) | instid1(VALU_DEP_1)
	v_lshlrev_b64 v[23:24], 1, v[34:35]
	v_add_co_u32 v23, s2, s18, v23
	s_delay_alu instid0(VALU_DEP_1) | instskip(SKIP_3) | instid1(VALU_DEP_1)
	v_add_co_ci_u32_e64 v24, s2, s19, v24, s2
	global_store_d16_hi_b16 v[23:24], v20, off
	s_or_b32 exec_lo, exec_lo, s3
	v_cmp_ne_u32_e64 s2, 0, v3
	s_and_saveexec_b32 s4, s2
	s_cbranch_execz .LBB213_32
.LBB213_47:                             ;   in Loop: Header=BB213_13 Depth=1
	s_waitcnt lgkmcnt(0)
	v_add_f32_e32 v17, v17, v18
	s_waitcnt vmcnt(5)
	v_lshlrev_b32_e32 v18, 16, v26
	s_delay_alu instid0(VALU_DEP_1) | instskip(NEXT) | instid1(VALU_DEP_1)
	v_add_f32_e32 v18, v17, v18
	v_and_b32_e32 v17, 0x7f800000, v18
	s_delay_alu instid0(VALU_DEP_1) | instskip(NEXT) | instid1(VALU_DEP_1)
	v_cmp_ne_u32_e64 s3, 0x7f800000, v17
                                        ; implicit-def: $vgpr17
	s_and_saveexec_b32 s27, s3
	s_delay_alu instid0(SALU_CYCLE_1)
	s_xor_b32 s3, exec_lo, s27
; %bb.48:                               ;   in Loop: Header=BB213_13 Depth=1
	v_bfe_u32 v17, v18, 16, 1
	s_delay_alu instid0(VALU_DEP_1)
	v_add3_u32 v17, v18, v17, 0x7fff
                                        ; implicit-def: $vgpr18
; %bb.49:                               ;   in Loop: Header=BB213_13 Depth=1
	s_and_not1_saveexec_b32 s27, s3
; %bb.50:                               ;   in Loop: Header=BB213_13 Depth=1
	v_and_b32_e32 v17, 0xffff, v18
	v_or_b32_e32 v20, 0x10000, v18
	s_delay_alu instid0(VALU_DEP_2) | instskip(NEXT) | instid1(VALU_DEP_1)
	v_cmp_eq_u32_e64 s3, 0, v17
	v_cndmask_b32_e64 v17, v20, v18, s3
; %bb.51:                               ;   in Loop: Header=BB213_13 Depth=1
	s_or_b32 exec_lo, exec_lo, s27
	v_mov_b32_e32 v34, v31
	s_delay_alu instid0(VALU_DEP_1) | instskip(NEXT) | instid1(VALU_DEP_1)
	v_lshlrev_b64 v[20:21], 1, v[33:34]
	v_add_co_u32 v20, s3, s18, v20
	s_delay_alu instid0(VALU_DEP_1) | instskip(SKIP_3) | instid1(VALU_DEP_1)
	v_add_co_ci_u32_e64 v21, s3, s19, v21, s3
	global_store_d16_hi_b16 v[20:21], v17, off
	s_or_b32 exec_lo, exec_lo, s4
	v_cmp_ne_u32_e64 s3, 0, v4
	s_and_saveexec_b32 s27, s3
	s_cbranch_execz .LBB213_33
.LBB213_52:                             ;   in Loop: Header=BB213_13 Depth=1
	s_waitcnt vmcnt(4) lgkmcnt(0)
	v_dual_add_f32 v14, v14, v15 :: v_dual_lshlrev_b32 v15, 16, v25
	s_delay_alu instid0(VALU_DEP_1) | instskip(NEXT) | instid1(VALU_DEP_1)
	v_add_f32_e32 v15, v14, v15
	v_and_b32_e32 v14, 0x7f800000, v15
	s_delay_alu instid0(VALU_DEP_1) | instskip(NEXT) | instid1(VALU_DEP_1)
	v_cmp_ne_u32_e64 s4, 0x7f800000, v14
                                        ; implicit-def: $vgpr14
	s_and_saveexec_b32 s28, s4
	s_delay_alu instid0(SALU_CYCLE_1)
	s_xor_b32 s4, exec_lo, s28
; %bb.53:                               ;   in Loop: Header=BB213_13 Depth=1
	v_bfe_u32 v14, v15, 16, 1
	s_delay_alu instid0(VALU_DEP_1)
	v_add3_u32 v14, v15, v14, 0x7fff
                                        ; implicit-def: $vgpr15
; %bb.54:                               ;   in Loop: Header=BB213_13 Depth=1
	s_and_not1_saveexec_b32 s28, s4
; %bb.55:                               ;   in Loop: Header=BB213_13 Depth=1
	v_and_b32_e32 v14, 0xffff, v15
	v_or_b32_e32 v17, 0x10000, v15
	s_delay_alu instid0(VALU_DEP_2) | instskip(NEXT) | instid1(VALU_DEP_1)
	v_cmp_eq_u32_e64 s4, 0, v14
	v_cndmask_b32_e64 v14, v17, v15, s4
; %bb.56:                               ;   in Loop: Header=BB213_13 Depth=1
	s_or_b32 exec_lo, exec_lo, s28
	v_mov_b32_e32 v33, v31
	s_delay_alu instid0(VALU_DEP_1) | instskip(NEXT) | instid1(VALU_DEP_1)
	v_lshlrev_b64 v[17:18], 1, v[32:33]
	v_add_co_u32 v17, s4, s18, v17
	s_delay_alu instid0(VALU_DEP_1)
	v_add_co_ci_u32_e64 v18, s4, s19, v18, s4
	global_store_d16_hi_b16 v[17:18], v14, off
	s_or_b32 exec_lo, exec_lo, s27
	v_add_nc_u32_e32 v30, s11, v29
	s_and_saveexec_b32 s4, vcc_lo
	s_cbranch_execz .LBB213_34
.LBB213_57:                             ;   in Loop: Header=BB213_13 Depth=1
	s_waitcnt vmcnt(3) lgkmcnt(0)
	v_dual_add_f32 v11, v11, v12 :: v_dual_lshlrev_b32 v12, 16, v22
	s_delay_alu instid0(VALU_DEP_1) | instskip(NEXT) | instid1(VALU_DEP_1)
	v_add_f32_e32 v12, v11, v12
	v_and_b32_e32 v11, 0x7f800000, v12
	s_delay_alu instid0(VALU_DEP_1) | instskip(SKIP_1) | instid1(SALU_CYCLE_1)
	v_cmp_ne_u32_e32 vcc_lo, 0x7f800000, v11
                                        ; implicit-def: $vgpr11
	s_and_saveexec_b32 s27, vcc_lo
	s_xor_b32 s27, exec_lo, s27
; %bb.58:                               ;   in Loop: Header=BB213_13 Depth=1
	v_bfe_u32 v11, v12, 16, 1
	s_delay_alu instid0(VALU_DEP_1)
	v_add3_u32 v11, v12, v11, 0x7fff
                                        ; implicit-def: $vgpr12
; %bb.59:                               ;   in Loop: Header=BB213_13 Depth=1
	s_and_not1_saveexec_b32 s27, s27
; %bb.60:                               ;   in Loop: Header=BB213_13 Depth=1
	v_and_b32_e32 v11, 0xffff, v12
	v_or_b32_e32 v14, 0x10000, v12
	s_delay_alu instid0(VALU_DEP_2) | instskip(NEXT) | instid1(VALU_DEP_2)
	v_cmp_eq_u32_e32 vcc_lo, 0, v11
	v_cndmask_b32_e32 v11, v14, v12, vcc_lo
; %bb.61:                               ;   in Loop: Header=BB213_13 Depth=1
	s_or_b32 exec_lo, exec_lo, s27
	v_lshlrev_b64 v[14:15], 1, v[30:31]
	s_delay_alu instid0(VALU_DEP_1) | instskip(NEXT) | instid1(VALU_DEP_2)
	v_add_co_u32 v14, vcc_lo, s18, v14
	v_add_co_ci_u32_e32 v15, vcc_lo, s19, v15, vcc_lo
	global_store_d16_hi_b16 v[14:15], v11, off
	s_or_b32 exec_lo, exec_lo, s4
	s_and_saveexec_b32 s4, s1
	s_cbranch_execz .LBB213_35
.LBB213_62:                             ;   in Loop: Header=BB213_13 Depth=1
	s_waitcnt vmcnt(2) lgkmcnt(0)
	v_dual_add_f32 v9, v9, v10 :: v_dual_lshlrev_b32 v10, 16, v19
	s_delay_alu instid0(VALU_DEP_1) | instskip(NEXT) | instid1(VALU_DEP_1)
	v_add_f32_e32 v10, v9, v10
	v_and_b32_e32 v9, 0x7f800000, v10
	s_delay_alu instid0(VALU_DEP_1) | instskip(SKIP_1) | instid1(SALU_CYCLE_1)
	v_cmp_ne_u32_e32 vcc_lo, 0x7f800000, v9
                                        ; implicit-def: $vgpr9
	s_and_saveexec_b32 s1, vcc_lo
	s_xor_b32 s1, exec_lo, s1
; %bb.63:                               ;   in Loop: Header=BB213_13 Depth=1
	v_bfe_u32 v9, v10, 16, 1
	s_delay_alu instid0(VALU_DEP_1)
	v_add3_u32 v9, v10, v9, 0x7fff
                                        ; implicit-def: $vgpr10
; %bb.64:                               ;   in Loop: Header=BB213_13 Depth=1
	s_and_not1_saveexec_b32 s1, s1
; %bb.65:                               ;   in Loop: Header=BB213_13 Depth=1
	v_and_b32_e32 v9, 0xffff, v10
	v_or_b32_e32 v11, 0x10000, v10
	s_delay_alu instid0(VALU_DEP_2) | instskip(NEXT) | instid1(VALU_DEP_2)
	v_cmp_eq_u32_e32 vcc_lo, 0, v9
	v_cndmask_b32_e32 v9, v11, v10, vcc_lo
; %bb.66:                               ;   in Loop: Header=BB213_13 Depth=1
	s_or_b32 exec_lo, exec_lo, s1
	v_dual_mov_b32 v11, v31 :: v_dual_add_nc_u32 v10, 1, v30
	s_delay_alu instid0(VALU_DEP_1) | instskip(NEXT) | instid1(VALU_DEP_1)
	v_lshlrev_b64 v[10:11], 1, v[10:11]
	v_add_co_u32 v10, vcc_lo, s18, v10
	s_delay_alu instid0(VALU_DEP_2)
	v_add_co_ci_u32_e32 v11, vcc_lo, s19, v11, vcc_lo
	global_store_d16_hi_b16 v[10:11], v9, off
	s_or_b32 exec_lo, exec_lo, s4
	s_and_saveexec_b32 s1, s2
	s_cbranch_execz .LBB213_36
.LBB213_67:                             ;   in Loop: Header=BB213_13 Depth=1
	s_waitcnt lgkmcnt(0)
	v_add_f32_e32 v7, v7, v8
	s_waitcnt vmcnt(1)
	v_lshlrev_b32_e32 v8, 16, v16
	s_delay_alu instid0(VALU_DEP_1) | instskip(NEXT) | instid1(VALU_DEP_1)
	v_add_f32_e32 v8, v7, v8
	v_and_b32_e32 v7, 0x7f800000, v8
	s_delay_alu instid0(VALU_DEP_1) | instskip(SKIP_1) | instid1(SALU_CYCLE_1)
	v_cmp_ne_u32_e32 vcc_lo, 0x7f800000, v7
                                        ; implicit-def: $vgpr7
	s_and_saveexec_b32 s2, vcc_lo
	s_xor_b32 s2, exec_lo, s2
; %bb.68:                               ;   in Loop: Header=BB213_13 Depth=1
	v_bfe_u32 v7, v8, 16, 1
	s_delay_alu instid0(VALU_DEP_1)
	v_add3_u32 v7, v8, v7, 0x7fff
                                        ; implicit-def: $vgpr8
; %bb.69:                               ;   in Loop: Header=BB213_13 Depth=1
	s_and_not1_saveexec_b32 s2, s2
; %bb.70:                               ;   in Loop: Header=BB213_13 Depth=1
	v_and_b32_e32 v7, 0xffff, v8
	v_or_b32_e32 v9, 0x10000, v8
	s_delay_alu instid0(VALU_DEP_2) | instskip(NEXT) | instid1(VALU_DEP_2)
	v_cmp_eq_u32_e32 vcc_lo, 0, v7
	v_cndmask_b32_e32 v7, v9, v8, vcc_lo
; %bb.71:                               ;   in Loop: Header=BB213_13 Depth=1
	s_or_b32 exec_lo, exec_lo, s2
	v_dual_mov_b32 v9, v31 :: v_dual_add_nc_u32 v8, 2, v30
	s_delay_alu instid0(VALU_DEP_1) | instskip(NEXT) | instid1(VALU_DEP_1)
	v_lshlrev_b64 v[8:9], 1, v[8:9]
	v_add_co_u32 v8, vcc_lo, s18, v8
	s_delay_alu instid0(VALU_DEP_2) | instskip(SKIP_2) | instid1(SALU_CYCLE_1)
	v_add_co_ci_u32_e32 v9, vcc_lo, s19, v9, vcc_lo
	global_store_d16_hi_b16 v[8:9], v7, off
	s_or_b32 exec_lo, exec_lo, s1
	s_and_b32 exec_lo, exec_lo, s3
	s_cbranch_execz .LBB213_77
.LBB213_72:                             ;   in Loop: Header=BB213_13 Depth=1
	s_waitcnt vmcnt(0) lgkmcnt(0)
	v_dual_add_f32 v5, v5, v6 :: v_dual_lshlrev_b32 v6, 16, v13
	s_delay_alu instid0(VALU_DEP_1) | instskip(NEXT) | instid1(VALU_DEP_1)
	v_add_f32_e32 v6, v5, v6
	v_and_b32_e32 v5, 0x7f800000, v6
	s_delay_alu instid0(VALU_DEP_1) | instskip(SKIP_1) | instid1(SALU_CYCLE_1)
	v_cmp_ne_u32_e32 vcc_lo, 0x7f800000, v5
                                        ; implicit-def: $vgpr5
	s_and_saveexec_b32 s1, vcc_lo
	s_xor_b32 s1, exec_lo, s1
; %bb.73:                               ;   in Loop: Header=BB213_13 Depth=1
	v_bfe_u32 v5, v6, 16, 1
	s_delay_alu instid0(VALU_DEP_1)
	v_add3_u32 v5, v6, v5, 0x7fff
                                        ; implicit-def: $vgpr6
; %bb.74:                               ;   in Loop: Header=BB213_13 Depth=1
	s_and_not1_saveexec_b32 s1, s1
; %bb.75:                               ;   in Loop: Header=BB213_13 Depth=1
	v_and_b32_e32 v5, 0xffff, v6
	v_or_b32_e32 v7, 0x10000, v6
	s_delay_alu instid0(VALU_DEP_2) | instskip(NEXT) | instid1(VALU_DEP_2)
	v_cmp_eq_u32_e32 vcc_lo, 0, v5
	v_cndmask_b32_e32 v5, v7, v6, vcc_lo
; %bb.76:                               ;   in Loop: Header=BB213_13 Depth=1
	s_or_b32 exec_lo, exec_lo, s1
	v_add_nc_u32_e32 v30, 3, v30
	s_delay_alu instid0(VALU_DEP_1) | instskip(NEXT) | instid1(VALU_DEP_1)
	v_lshlrev_b64 v[6:7], 1, v[30:31]
	v_add_co_u32 v6, vcc_lo, s18, v6
	s_delay_alu instid0(VALU_DEP_2)
	v_add_co_ci_u32_e32 v7, vcc_lo, s19, v7, vcc_lo
	global_store_d16_hi_b16 v[6:7], v5, off
.LBB213_77:                             ;   in Loop: Header=BB213_13 Depth=1
	s_or_b32 exec_lo, exec_lo, s5
	v_add_nc_u32_e32 v29, s25, v29
	s_delay_alu instid0(VALU_DEP_1) | instskip(SKIP_1) | instid1(VALU_DEP_2)
	v_add_nc_u32_e32 v5, 4, v29
	v_cmp_gt_u32_e32 vcc_lo, s11, v29
	v_cmp_le_u32_e64 s1, s11, v5
	s_delay_alu instid0(VALU_DEP_1) | instskip(NEXT) | instid1(SALU_CYCLE_1)
	s_and_b32 s1, vcc_lo, s1
	s_and_saveexec_b32 s27, s1
	s_cbranch_execz .LBB213_12
; %bb.78:                               ;   in Loop: Header=BB213_13 Depth=1
	s_mov_b32 s28, exec_lo
	v_cmpx_ne_u32_e64 s17, v29
	s_cbranch_execz .LBB213_11
; %bb.79:                               ;   in Loop: Header=BB213_13 Depth=1
	v_subrev_nc_u32_e32 v5, s17, v29
	s_mov_b32 s29, 0
	s_mov_b64 s[4:5], 0
	s_delay_alu instid0(VALU_DEP_1)
	v_cmp_lt_u32_e32 vcc_lo, 1, v5
	v_cndmask_b32_e32 v5, 1, v5, vcc_lo
	.p2align	6
.LBB213_80:                             ;   Parent Loop BB213_13 Depth=1
                                        ; =>  This Inner Loop Header: Depth=2
	s_cmp_lg_u32 s4, 3
	s_cselect_b32 vcc_lo, -1, 0
	s_cmp_lg_u32 s4, 2
	v_cndmask_b32_e32 v4, 0, v4, vcc_lo
	s_cselect_b32 s1, -1, 0
	s_cmp_lg_u32 s4, 1
	v_cndmask_b32_e64 v3, 0, v3, s1
	s_cselect_b32 s2, -1, 0
	s_cmp_lg_u32 s4, 0
	v_cndmask_b32_e64 v2, 0, v2, s2
	s_cselect_b32 s3, -1, 0
	s_add_u32 s4, s4, 1
	v_cndmask_b32_e64 v1, 0, v1, s3
	v_cmp_eq_u32_e32 vcc_lo, s4, v5
	s_addc_u32 s5, s5, 0
	s_or_b32 s29, vcc_lo, s29
	s_delay_alu instid0(SALU_CYCLE_1)
	s_and_not1_b32 exec_lo, exec_lo, s29
	s_cbranch_execnz .LBB213_80
; %bb.81:                               ;   in Loop: Header=BB213_13 Depth=1
	s_or_b32 exec_lo, exec_lo, s29
	s_branch .LBB213_11
.LBB213_82:
	s_nop 0
	s_sendmsg sendmsg(MSG_DEALLOC_VGPRS)
	s_endpgm
	.section	.rodata,"a",@progbits
	.p2align	6, 0x0
	.amdhsa_kernel _Z12wvSplitK_hf_I14__hip_bfloat16Li64ELi4ELi16ELi8ELi1ELi2EEviiiiiiPKT_S3_S3_PS1_ii
		.amdhsa_group_segment_fixed_size 65536
		.amdhsa_private_segment_fixed_size 0
		.amdhsa_kernarg_size 64
		.amdhsa_user_sgpr_count 15
		.amdhsa_user_sgpr_dispatch_ptr 0
		.amdhsa_user_sgpr_queue_ptr 0
		.amdhsa_user_sgpr_kernarg_segment_ptr 1
		.amdhsa_user_sgpr_dispatch_id 0
		.amdhsa_user_sgpr_private_segment_size 0
		.amdhsa_wavefront_size32 1
		.amdhsa_uses_dynamic_stack 0
		.amdhsa_enable_private_segment 0
		.amdhsa_system_sgpr_workgroup_id_x 1
		.amdhsa_system_sgpr_workgroup_id_y 0
		.amdhsa_system_sgpr_workgroup_id_z 0
		.amdhsa_system_sgpr_workgroup_info 0
		.amdhsa_system_vgpr_workitem_id 1
		.amdhsa_next_free_vgpr 77
		.amdhsa_next_free_sgpr 30
		.amdhsa_reserve_vcc 1
		.amdhsa_float_round_mode_32 0
		.amdhsa_float_round_mode_16_64 0
		.amdhsa_float_denorm_mode_32 3
		.amdhsa_float_denorm_mode_16_64 3
		.amdhsa_dx10_clamp 1
		.amdhsa_ieee_mode 1
		.amdhsa_fp16_overflow 0
		.amdhsa_workgroup_processor_mode 1
		.amdhsa_memory_ordered 1
		.amdhsa_forward_progress 0
		.amdhsa_shared_vgpr_count 0
		.amdhsa_exception_fp_ieee_invalid_op 0
		.amdhsa_exception_fp_denorm_src 0
		.amdhsa_exception_fp_ieee_div_zero 0
		.amdhsa_exception_fp_ieee_overflow 0
		.amdhsa_exception_fp_ieee_underflow 0
		.amdhsa_exception_fp_ieee_inexact 0
		.amdhsa_exception_int_div_zero 0
	.end_amdhsa_kernel
	.section	.text._Z12wvSplitK_hf_I14__hip_bfloat16Li64ELi4ELi16ELi8ELi1ELi2EEviiiiiiPKT_S3_S3_PS1_ii,"axG",@progbits,_Z12wvSplitK_hf_I14__hip_bfloat16Li64ELi4ELi16ELi8ELi1ELi2EEviiiiiiPKT_S3_S3_PS1_ii,comdat
.Lfunc_end213:
	.size	_Z12wvSplitK_hf_I14__hip_bfloat16Li64ELi4ELi16ELi8ELi1ELi2EEviiiiiiPKT_S3_S3_PS1_ii, .Lfunc_end213-_Z12wvSplitK_hf_I14__hip_bfloat16Li64ELi4ELi16ELi8ELi1ELi2EEviiiiiiPKT_S3_S3_PS1_ii
                                        ; -- End function
	.section	.AMDGPU.csdata,"",@progbits
; Kernel info:
; codeLenInByte = 5052
; NumSgprs: 32
; NumVgprs: 77
; ScratchSize: 0
; MemoryBound: 0
; FloatMode: 240
; IeeeMode: 1
; LDSByteSize: 65536 bytes/workgroup (compile time only)
; SGPRBlocks: 3
; VGPRBlocks: 9
; NumSGPRsForWavesPerEU: 32
; NumVGPRsForWavesPerEU: 77
; Occupancy: 16
; WaveLimiterHint : 0
; COMPUTE_PGM_RSRC2:SCRATCH_EN: 0
; COMPUTE_PGM_RSRC2:USER_SGPR: 15
; COMPUTE_PGM_RSRC2:TRAP_HANDLER: 0
; COMPUTE_PGM_RSRC2:TGID_X_EN: 1
; COMPUTE_PGM_RSRC2:TGID_Y_EN: 0
; COMPUTE_PGM_RSRC2:TGID_Z_EN: 0
; COMPUTE_PGM_RSRC2:TIDIG_COMP_CNT: 1
	.section	.text._Z16wvSplitK_hf_big_I14__hip_bfloat16Li64ELi4ELi16ELi8ELi1ELi2EEviiiiiiPKT_S3_S3_PS1_ii,"axG",@progbits,_Z16wvSplitK_hf_big_I14__hip_bfloat16Li64ELi4ELi16ELi8ELi1ELi2EEviiiiiiPKT_S3_S3_PS1_ii,comdat
	.protected	_Z16wvSplitK_hf_big_I14__hip_bfloat16Li64ELi4ELi16ELi8ELi1ELi2EEviiiiiiPKT_S3_S3_PS1_ii ; -- Begin function _Z16wvSplitK_hf_big_I14__hip_bfloat16Li64ELi4ELi16ELi8ELi1ELi2EEviiiiiiPKT_S3_S3_PS1_ii
	.globl	_Z16wvSplitK_hf_big_I14__hip_bfloat16Li64ELi4ELi16ELi8ELi1ELi2EEviiiiiiPKT_S3_S3_PS1_ii
	.p2align	8
	.type	_Z16wvSplitK_hf_big_I14__hip_bfloat16Li64ELi4ELi16ELi8ELi1ELi2EEviiiiiiPKT_S3_S3_PS1_ii,@function
_Z16wvSplitK_hf_big_I14__hip_bfloat16Li64ELi4ELi16ELi8ELi1ELi2EEviiiiiiPKT_S3_S3_PS1_ii: ; @_Z16wvSplitK_hf_big_I14__hip_bfloat16Li64ELi4ELi16ELi8ELi1ELi2EEviiiiiiPKT_S3_S3_PS1_ii
; %bb.0:
	s_load_b64 s[20:21], s[0:1], 0x38
	v_bfe_u32 v5, v0, 10, 10
	s_mov_b32 s2, exec_lo
	s_waitcnt lgkmcnt(0)
	s_delay_alu instid0(VALU_DEP_1)
	v_cmpx_gt_u32_e64 s20, v5
	s_cbranch_execz .LBB214_86
; %bb.1:
	s_load_b128 s[16:19], s[0:1], 0x0
	s_mul_i32 s15, s15, s20
	s_mov_b32 s4, 1
	v_add_lshl_u32 v29, s15, v5, 2
	s_mov_b32 s5, s4
	s_mov_b32 s6, s4
	;; [unrolled: 1-line block ×3, first 2 shown]
	s_delay_alu instid0(VALU_DEP_1) | instskip(SKIP_2) | instid1(VALU_DEP_2)
	v_add_nc_u32_e32 v1, 4, v29
	s_waitcnt lgkmcnt(0)
	v_cmp_gt_u32_e32 vcc_lo, s19, v29
	v_cmp_le_u32_e64 s2, s19, v1
	v_dual_mov_b32 v1, s4 :: v_dual_mov_b32 v4, s7
	v_dual_mov_b32 v2, s5 :: v_dual_mov_b32 v3, s6
	s_delay_alu instid0(VALU_DEP_3) | instskip(NEXT) | instid1(SALU_CYCLE_1)
	s_and_b32 s2, vcc_lo, s2
	s_and_saveexec_b32 s8, s2
	s_cbranch_execz .LBB214_7
; %bb.2:
	v_dual_mov_b32 v1, s4 :: v_dual_mov_b32 v2, s5
	v_dual_mov_b32 v3, s6 :: v_dual_mov_b32 v4, s7
	s_add_i32 s9, s19, -4
	s_mov_b32 s10, exec_lo
	v_cmpx_ne_u32_e64 s9, v29
	s_cbranch_execz .LBB214_6
; %bb.3:
	v_subrev_nc_u32_e32 v1, s9, v29
	s_mov_b32 s11, 0
	s_mov_b64 s[2:3], 0
	s_mov_b32 s5, s4
	s_mov_b32 s6, s4
	v_cmp_lt_u32_e32 vcc_lo, 1, v1
	s_mov_b32 s7, s4
	v_cndmask_b32_e32 v6, 1, v1, vcc_lo
	.p2align	6
.LBB214_4:                              ; =>This Inner Loop Header: Depth=1
	s_cmp_lg_u32 s2, 3
	s_cselect_b32 s7, s7, 0
	s_cmp_lg_u32 s2, 2
	s_cselect_b32 s6, s6, 0
	;; [unrolled: 2-line block ×4, first 2 shown]
	s_add_u32 s2, s2, 1
	v_dual_mov_b32 v1, s4 :: v_dual_mov_b32 v2, s5
	v_cmp_eq_u32_e32 vcc_lo, s2, v6
	v_dual_mov_b32 v3, s6 :: v_dual_mov_b32 v4, s7
	s_addc_u32 s3, s3, 0
	s_or_b32 s11, vcc_lo, s11
	s_delay_alu instid0(SALU_CYCLE_1)
	s_and_not1_b32 exec_lo, exec_lo, s11
	s_cbranch_execnz .LBB214_4
; %bb.5:
	s_or_b32 exec_lo, exec_lo, s11
	v_mov_b32_e32 v29, s9
.LBB214_6:
	s_or_b32 exec_lo, exec_lo, s10
.LBB214_7:
	s_delay_alu instid0(SALU_CYCLE_1)
	s_or_b32 exec_lo, exec_lo, s8
	s_lshl_b32 s2, s20, 2
	s_abs_i32 s6, s19
	s_abs_i32 s3, s2
	s_mov_b32 s23, 0
	v_cvt_f32_u32_e32 v6, s3
	s_sub_i32 s5, 0, s3
	s_delay_alu instid0(VALU_DEP_1) | instskip(SKIP_2) | instid1(VALU_DEP_1)
	v_rcp_iflag_f32_e32 v6, v6
	s_waitcnt_depctr 0xfff
	v_mul_f32_e32 v6, 0x4f7ffffe, v6
	v_cvt_u32_f32_e32 v6, v6
	s_delay_alu instid0(VALU_DEP_1) | instskip(NEXT) | instid1(VALU_DEP_1)
	v_readfirstlane_b32 s4, v6
	s_mul_i32 s5, s5, s4
	s_delay_alu instid0(SALU_CYCLE_1) | instskip(NEXT) | instid1(SALU_CYCLE_1)
	s_mul_hi_u32 s5, s4, s5
	s_add_i32 s4, s4, s5
	s_ashr_i32 s5, s19, 31
	s_mul_hi_u32 s4, s6, s4
	s_delay_alu instid0(SALU_CYCLE_1) | instskip(NEXT) | instid1(SALU_CYCLE_1)
	s_mul_i32 s4, s4, s3
	s_sub_i32 s4, s6, s4
	s_delay_alu instid0(SALU_CYCLE_1) | instskip(SKIP_2) | instid1(SALU_CYCLE_1)
	s_sub_i32 s6, s4, s3
	s_cmp_ge_u32 s4, s3
	s_cselect_b32 s4, s6, s4
	s_sub_i32 s6, s4, s3
	s_cmp_ge_u32 s4, s3
	s_cselect_b32 s3, s6, s4
	s_add_i32 s2, s2, s19
	s_xor_b32 s3, s3, s5
	s_delay_alu instid0(SALU_CYCLE_1) | instskip(NEXT) | instid1(SALU_CYCLE_1)
	s_sub_i32 s3, s3, s5
	s_sub_i32 s2, s2, s3
	s_cmp_eq_u32 s3, 0
	s_cselect_b32 s22, s19, s2
	s_delay_alu instid0(SALU_CYCLE_1)
	v_cmp_gt_u32_e32 vcc_lo, s22, v29
	s_and_b32 exec_lo, exec_lo, vcc_lo
	s_cbranch_execz .LBB214_86
; %bb.8:
	s_load_b256 s[8:15], s[0:1], 0x10
	s_min_u32 s24, s18, 0x4000
	v_dual_mov_b32 v32, 0 :: v_dual_and_b32 v7, 0x3ff, v0
	s_cmp_lg_u32 s16, 0
	s_load_b64 s[6:7], s[0:1], 0x30
	s_mul_i32 s0, s21, s20
	s_cselect_b32 s21, -1, 0
	s_cmp_lg_u32 s18, 0
	v_lshlrev_b32_e32 v0, 3, v7
	s_cselect_b32 s25, -1, 0
	s_lshl_b32 s26, s20, 9
	s_add_i32 s27, s16, -8
	s_add_i32 s28, s19, -1
	s_lshl_b32 s29, s0, 2
	v_cmp_eq_u32_e64 s0, 63, v7
	v_lshl_add_u32 v41, v5, 9, v0
	v_mbcnt_lo_u32_b32 v45, -1, 0
	v_lshlrev_b32_e32 v7, 4, v7
	s_waitcnt lgkmcnt(0)
	v_cvt_f32_u32_e32 v6, s8
	s_cmp_lg_u64 s[14:15], 0
	v_add_nc_u32_e32 v43, s18, v41
	s_cselect_b32 s30, -1, 0
	s_sub_i32 s1, 0, s8
	v_rcp_iflag_f32_e32 v6, v6
	v_lshl_add_u32 v42, v5, 10, v7
	s_waitcnt_depctr 0xfff
	v_mul_f32_e32 v6, 0x4f7ffffe, v6
	s_delay_alu instid0(VALU_DEP_1) | instskip(NEXT) | instid1(VALU_DEP_1)
	v_cvt_u32_f32_e32 v6, v6
	v_mul_lo_u32 v8, s1, v6
	s_abs_i32 s1, s9
	s_add_i32 s9, s19, -4
	s_sub_i32 s2, 1, s1
	s_cmp_lt_u32 s1, 2
	s_cselect_b32 s2, s2, 1
	s_delay_alu instid0(SALU_CYCLE_1) | instskip(NEXT) | instid1(VALU_DEP_1)
	s_sub_i32 s3, s2, s1
	v_mul_hi_u32 v8, v6, v8
	s_cmp_ge_u32 s2, s1
	s_cselect_b32 s33, s3, s2
	s_add_u32 s31, s6, 2
	s_mul_i32 s33, s33, s8
	s_addc_u32 s34, s7, 0
	s_lshl_b32 s35, s24, 1
	s_delay_alu instid0(VALU_DEP_1)
	v_add_nc_u32_e32 v44, v6, v8
	s_lshl_b32 s20, s20, 10
	s_branch .LBB214_12
.LBB214_9:                              ;   in Loop: Header=BB214_12 Depth=1
	s_or_b32 exec_lo, exec_lo, s38
	v_mov_b32_e32 v29, s9
.LBB214_10:                             ;   in Loop: Header=BB214_12 Depth=1
	s_or_b32 exec_lo, exec_lo, s37
.LBB214_11:                             ;   in Loop: Header=BB214_12 Depth=1
	s_delay_alu instid0(SALU_CYCLE_1) | instskip(NEXT) | instid1(VALU_DEP_1)
	s_or_b32 exec_lo, exec_lo, s36
	v_cmp_le_u32_e32 vcc_lo, s22, v29
	s_or_b32 s23, vcc_lo, s23
	s_delay_alu instid0(SALU_CYCLE_1)
	s_and_not1_b32 exec_lo, exec_lo, s23
	s_cbranch_execz .LBB214_86
.LBB214_12:                             ; =>This Loop Header: Depth=1
                                        ;     Child Loop BB214_16 Depth 2
                                        ;       Child Loop BB214_21 Depth 3
                                        ;     Child Loop BB214_84 Depth 2
	s_waitcnt vmcnt(7)
	v_mov_b32_e32 v30, v32
	v_mov_b32_e32 v46, v32
	;; [unrolled: 1-line block ×8, first 2 shown]
	s_and_not1_b32 vcc_lo, exec_lo, s21
	s_mov_b32 s3, 0
	s_cbranch_vccnz .LBB214_27
; %bb.13:                               ;   in Loop: Header=BB214_12 Depth=1
	v_dual_mov_b32 v51, 0 :: v_dual_add_nc_u32 v6, 2, v29
	v_add_nc_u32_e32 v5, 1, v29
	v_add_nc_u32_e32 v7, 3, v29
	s_waitcnt lgkmcnt(0)
	v_min_u32_e32 v8, s28, v29
	v_min_u32_e32 v6, s28, v6
	v_dual_mov_b32 v10, v32 :: v_dual_mov_b32 v49, 0
	v_cmp_gt_u32_e64 s1, s19, v29
	s_delay_alu instid0(VALU_DEP_4)
	v_mul_lo_u32 v31, v8, s17
	v_mov_b32_e32 v8, v32
	v_min_u32_e32 v9, s28, v7
	v_mul_lo_u32 v7, v6, s17
	v_mov_b32_e32 v6, v32
	v_min_u32_e32 v5, s28, v5
	v_dual_mov_b32 v52, 0 :: v_dual_mov_b32 v47, 0
	v_mul_lo_u32 v9, v9, s17
	v_lshlrev_b64 v[33:34], 1, v[31:32]
	s_delay_alu instid0(VALU_DEP_4)
	v_mul_lo_u32 v5, v5, s17
	v_lshlrev_b64 v[37:38], 1, v[7:8]
	v_mov_b32_e32 v50, 0
	v_mov_b32_e32 v48, 0
	v_mov_b32_e32 v46, 0
	v_mov_b32_e32 v30, 0
	v_lshlrev_b64 v[39:40], 1, v[9:10]
	s_mov_b32 s4, 0
	v_lshlrev_b64 v[35:36], 1, v[5:6]
	s_branch .LBB214_16
.LBB214_14:                             ;   in Loop: Header=BB214_16 Depth=2
	s_or_b32 exec_lo, exec_lo, s5
	s_waitcnt lgkmcnt(1)
	v_and_b32_e32 v31, 0xffff0000, v25
	v_and_b32_e32 v58, 0xffff0000, v27
	s_waitcnt vmcnt(3)
	v_and_b32_e32 v59, 0xffff0000, v23
	v_and_b32_e32 v53, 0xffff0000, v21
	v_lshlrev_b32_e32 v21, 16, v21
	v_and_b32_e32 v55, 0xffff0000, v22
	v_lshlrev_b32_e32 v27, 16, v27
	v_lshlrev_b32_e32 v23, 16, v23
	;; [unrolled: 1-line block ×3, first 2 shown]
	v_mul_f32_e32 v56, v31, v53
	s_waitcnt vmcnt(2)
	v_and_b32_e32 v60, 0xffff0000, v17
	v_lshlrev_b32_e32 v17, 16, v17
	s_waitcnt vmcnt(1)
	v_and_b32_e32 v66, 0xffff0000, v13
	v_lshlrev_b32_e32 v13, 16, v13
	v_fmac_f32_e32 v56, v25, v21
	v_and_b32_e32 v68, 0xffff0000, v20
	s_waitcnt vmcnt(0)
	v_and_b32_e32 v70, 0xffff0000, v9
	v_and_b32_e32 v72, 0xffff0000, v10
	v_lshlrev_b32_e32 v10, 16, v10
	v_add_f32_e32 v52, v52, v56
	v_dual_mul_f32 v61, v31, v60 :: v_dual_and_b32 v54, 0xffff0000, v26
	v_mul_f32_e32 v56, v58, v59
	v_lshlrev_b32_e32 v26, 16, v26
	v_and_b32_e32 v64, 0xffff0000, v19
	s_delay_alu instid0(VALU_DEP_4) | instskip(SKIP_3) | instid1(VALU_DEP_1)
	v_mul_f32_e32 v57, v54, v55
	v_lshlrev_b32_e32 v19, 16, v19
	v_fmac_f32_e32 v56, v27, v23
	v_dual_fmac_f32 v61, v25, v17 :: v_dual_lshlrev_b32 v22, 16, v22
	v_dual_fmac_f32 v57, v26, v22 :: v_dual_and_b32 v62, 0xffff0000, v28
	s_delay_alu instid0(VALU_DEP_2) | instskip(NEXT) | instid1(VALU_DEP_2)
	v_add_f32_e32 v51, v51, v61
	v_dual_mul_f32 v69, v62, v68 :: v_dual_add_f32 v52, v52, v57
	v_and_b32_e32 v57, 0xffff0000, v18
	s_delay_alu instid0(VALU_DEP_2) | instskip(NEXT) | instid1(VALU_DEP_2)
	v_dual_add_f32 v52, v52, v56 :: v_dual_lshlrev_b32 v9, 16, v9
	v_dual_mul_f32 v63, v54, v57 :: v_dual_lshlrev_b32 v18, 16, v18
	v_mul_f32_e32 v61, v58, v64
	v_and_b32_e32 v65, 0xffff0000, v24
	s_delay_alu instid0(VALU_DEP_3) | instskip(NEXT) | instid1(VALU_DEP_2)
	v_dual_fmac_f32 v63, v26, v18 :: v_dual_lshlrev_b32 v28, 16, v28
	v_dual_mul_f32 v67, v62, v65 :: v_dual_lshlrev_b32 v24, 16, v24
	s_delay_alu instid0(VALU_DEP_4) | instskip(NEXT) | instid1(VALU_DEP_3)
	v_fmac_f32_e32 v61, v27, v19
	v_add_f32_e32 v51, v51, v63
	v_mul_f32_e32 v63, v31, v66
	s_delay_alu instid0(VALU_DEP_4) | instskip(SKIP_1) | instid1(VALU_DEP_4)
	v_dual_fmac_f32 v67, v28, v24 :: v_dual_and_b32 v56, 0xffff0000, v14
	v_mul_f32_e32 v31, v31, v70
	v_dual_add_f32 v51, v51, v61 :: v_dual_lshlrev_b32 v14, 16, v14
	s_delay_alu instid0(VALU_DEP_4) | instskip(NEXT) | instid1(VALU_DEP_4)
	v_fmac_f32_e32 v63, v25, v13
	v_mul_f32_e32 v61, v54, v56
	s_delay_alu instid0(VALU_DEP_4)
	v_fmac_f32_e32 v31, v25, v9
	v_mul_f32_e32 v25, v54, v72
	v_lshlrev_b32_e32 v20, 16, v20
	v_add_f32_e32 v50, v50, v63
	v_fmac_f32_e32 v61, v26, v14
	v_add_f32_e32 v31, v49, v31
	s_waitcnt lgkmcnt(0)
	v_dual_fmac_f32 v25, v26, v10 :: v_dual_and_b32 v26, 0xffff0000, v5
	v_and_b32_e32 v63, 0xffff0000, v15
	v_lshlrev_b32_e32 v5, 16, v5
	v_add_f32_e32 v50, v50, v61
	s_delay_alu instid0(VALU_DEP_4) | instskip(SKIP_1) | instid1(VALU_DEP_1)
	v_add_f32_e32 v25, v31, v25
	v_dual_mul_f32 v49, v26, v53 :: v_dual_add_f32 v52, v52, v67
	v_fmac_f32_e32 v49, v5, v21
	s_delay_alu instid0(VALU_DEP_1)
	v_dual_add_f32 v48, v48, v49 :: v_dual_and_b32 v49, 0xffff0000, v8
	v_and_b32_e32 v31, 0xffff0000, v11
	v_lshlrev_b32_e32 v11, 16, v11
	v_and_b32_e32 v53, 0xffff0000, v6
	v_lshlrev_b32_e32 v6, 16, v6
	v_lshlrev_b32_e32 v8, 16, v8
	v_dual_mul_f32 v54, v58, v31 :: v_dual_and_b32 v61, 0xffff0000, v16
	s_delay_alu instid0(VALU_DEP_4) | instskip(NEXT) | instid1(VALU_DEP_2)
	v_dual_mul_f32 v21, v53, v55 :: v_dual_lshlrev_b32 v16, 16, v16
	v_dual_fmac_f32 v54, v27, v11 :: v_dual_mul_f32 v73, v62, v61
	s_delay_alu instid0(VALU_DEP_2) | instskip(SKIP_3) | instid1(VALU_DEP_3)
	v_fmac_f32_e32 v21, v6, v22
	v_dual_mul_f32 v22, v26, v60 :: v_dual_lshlrev_b32 v15, 16, v15
	v_dual_mul_f32 v71, v58, v63 :: v_dual_and_b32 v58, 0xffff0000, v12
	v_lshlrev_b32_e32 v12, 16, v12
	v_dual_fmac_f32 v22, v5, v17 :: v_dual_fmac_f32 v69, v28, v20
	s_delay_alu instid0(VALU_DEP_3) | instskip(NEXT) | instid1(VALU_DEP_4)
	v_fmac_f32_e32 v71, v27, v15
	v_mul_f32_e32 v27, v62, v58
	s_delay_alu instid0(VALU_DEP_3) | instskip(NEXT) | instid1(VALU_DEP_3)
	v_dual_fmac_f32 v73, v28, v16 :: v_dual_add_f32 v22, v47, v22
	v_dual_add_f32 v21, v48, v21 :: v_dual_add_f32 v50, v50, v71
	s_delay_alu instid0(VALU_DEP_3) | instskip(SKIP_4) | instid1(VALU_DEP_4)
	v_dual_fmac_f32 v27, v28, v12 :: v_dual_and_b32 v28, 0xffff0000, v7
	v_mul_f32_e32 v17, v53, v57
	v_lshlrev_b32_e32 v7, 16, v7
	v_add_f32_e32 v51, v51, v69
	v_add_f32_e32 v50, v50, v73
	v_dual_mul_f32 v48, v28, v59 :: v_dual_fmac_f32 v17, v6, v18
	v_mul_f32_e32 v18, v28, v64
	s_delay_alu instid0(VALU_DEP_2) | instskip(NEXT) | instid1(VALU_DEP_2)
	v_dual_fmac_f32 v48, v7, v23 :: v_dual_add_f32 v17, v22, v17
	v_dual_fmac_f32 v18, v7, v19 :: v_dual_mul_f32 v19, v26, v66
	v_mul_f32_e32 v22, v26, v70
	s_delay_alu instid0(VALU_DEP_2) | instskip(NEXT) | instid1(VALU_DEP_3)
	v_add_f32_e32 v17, v17, v18
	v_fmac_f32_e32 v19, v5, v13
	v_mul_f32_e32 v13, v53, v56
	s_delay_alu instid0(VALU_DEP_4) | instskip(SKIP_1) | instid1(VALU_DEP_4)
	v_fmac_f32_e32 v22, v5, v9
	v_mul_f32_e32 v5, v53, v72
	v_dual_mul_f32 v18, v49, v68 :: v_dual_add_f32 v9, v46, v19
	s_delay_alu instid0(VALU_DEP_4) | instskip(NEXT) | instid1(VALU_DEP_4)
	v_dual_fmac_f32 v13, v6, v14 :: v_dual_mul_f32 v14, v28, v63
	v_add_f32_e32 v19, v30, v22
	s_delay_alu instid0(VALU_DEP_4) | instskip(NEXT) | instid1(VALU_DEP_3)
	v_dual_fmac_f32 v5, v6, v10 :: v_dual_mul_f32 v6, v28, v31
	v_dual_add_f32 v9, v9, v13 :: v_dual_fmac_f32 v14, v7, v15
	s_delay_alu instid0(VALU_DEP_2) | instskip(NEXT) | instid1(VALU_DEP_3)
	v_dual_fmac_f32 v18, v8, v20 :: v_dual_add_f32 v5, v19, v5
	v_dual_fmac_f32 v6, v7, v11 :: v_dual_mul_f32 v7, v49, v58
	s_delay_alu instid0(VALU_DEP_3) | instskip(NEXT) | instid1(VALU_DEP_3)
	v_add_f32_e32 v9, v9, v14
	v_add_f32_e32 v47, v17, v18
	s_delay_alu instid0(VALU_DEP_3) | instskip(NEXT) | instid1(VALU_DEP_4)
	v_add_f32_e32 v5, v5, v6
	v_fmac_f32_e32 v7, v8, v12
	s_delay_alu instid0(VALU_DEP_1) | instskip(SKIP_2) | instid1(VALU_DEP_2)
	v_add_f32_e32 v30, v5, v7
	v_mul_f32_e32 v10, v49, v61
	v_add_f32_e32 v25, v25, v54
	v_dual_mul_f32 v23, v49, v65 :: v_dual_fmac_f32 v10, v8, v16
	s_delay_alu instid0(VALU_DEP_1) | instskip(SKIP_1) | instid1(VALU_DEP_1)
	v_dual_fmac_f32 v23, v8, v24 :: v_dual_add_f32 v46, v9, v10
	v_add_f32_e32 v21, v21, v48
	v_add_f32_e32 v48, v21, v23
	;; [unrolled: 1-line block ×3, first 2 shown]
.LBB214_15:                             ;   in Loop: Header=BB214_16 Depth=2
	s_or_b32 exec_lo, exec_lo, s2
	s_addk_i32 s4, 0x200
	s_delay_alu instid0(SALU_CYCLE_1)
	s_cmp_ge_u32 s4, s16
	s_cbranch_scc1 .LBB214_27
.LBB214_16:                             ;   Parent Loop BB214_12 Depth=1
                                        ; =>  This Loop Header: Depth=2
                                        ;       Child Loop BB214_21 Depth 3
	s_cmp_eq_u32 s4, 0
	s_cselect_b32 s5, -1, 0
	s_add_i32 s2, s3, s24
	s_delay_alu instid0(SALU_CYCLE_1) | instskip(SKIP_1) | instid1(SALU_CYCLE_1)
	s_cmp_eq_u32 s4, s2
	s_cselect_b32 s36, -1, 0
	s_or_b32 s36, s5, s36
	s_delay_alu instid0(SALU_CYCLE_1)
	s_and_not1_b32 vcc_lo, exec_lo, s36
	s_cbranch_vccz .LBB214_18
; %bb.17:                               ;   in Loop: Header=BB214_16 Depth=2
	s_and_saveexec_b32 s2, s1
	s_cbranch_execz .LBB214_15
	s_branch .LBB214_25
.LBB214_18:                             ;   in Loop: Header=BB214_16 Depth=2
	s_and_b32 s5, s5, exec_lo
	s_cselect_b32 s3, s3, s2
	s_and_not1_b32 vcc_lo, exec_lo, s25
	s_waitcnt vmcnt(0)
	s_waitcnt_vscnt null, 0x0
	s_barrier
	buffer_gl0_inv
	s_cbranch_vccnz .LBB214_24
; %bb.19:                               ;   in Loop: Header=BB214_16 Depth=2
	v_add_nc_u32_e32 v5, s3, v43
	v_dual_mov_b32 v7, v42 :: v_dual_add_nc_u32 v6, s3, v41
	s_mov_b32 s5, 0
	s_mov_b32 s36, 0
                                        ; implicit-def: $sgpr37
	s_set_inst_prefetch_distance 0x1
	s_branch .LBB214_21
	.p2align	6
.LBB214_20:                             ;   in Loop: Header=BB214_21 Depth=3
	s_or_b32 exec_lo, exec_lo, s2
	s_delay_alu instid0(SALU_CYCLE_1) | instskip(NEXT) | instid1(SALU_CYCLE_1)
	s_and_b32 s2, exec_lo, s37
	s_or_b32 s5, s2, s5
	s_delay_alu instid0(SALU_CYCLE_1)
	s_and_not1_b32 exec_lo, exec_lo, s5
	s_cbranch_execz .LBB214_23
.LBB214_21:                             ;   Parent Loop BB214_12 Depth=1
                                        ;     Parent Loop BB214_16 Depth=2
                                        ; =>    This Inner Loop Header: Depth=3
	v_add_nc_u32_e32 v31, s36, v6
	v_add_nc_u32_e32 v8, s36, v41
	s_or_b32 s37, s37, exec_lo
	s_delay_alu instid0(VALU_DEP_2) | instskip(NEXT) | instid1(VALU_DEP_2)
	v_cmp_gt_u32_e32 vcc_lo, s18, v31
	v_cmp_gt_u32_e64 s2, s24, v8
	s_delay_alu instid0(VALU_DEP_1) | instskip(NEXT) | instid1(SALU_CYCLE_1)
	s_and_b32 s38, s2, vcc_lo
	s_and_saveexec_b32 s2, s38
	s_cbranch_execz .LBB214_20
; %bb.22:                               ;   in Loop: Header=BB214_21 Depth=3
	v_lshlrev_b64 v[8:9], 1, v[31:32]
	v_add_nc_u32_e32 v31, s36, v5
	s_add_i32 s36, s36, s26
	v_add_nc_u32_e32 v16, s35, v7
	s_cmp_ge_u32 s36, s24
	s_delay_alu instid0(VALU_DEP_2) | instskip(SKIP_3) | instid1(VALU_DEP_3)
	v_lshlrev_b64 v[12:13], 1, v[31:32]
	v_add_co_u32 v8, vcc_lo, s12, v8
	v_add_co_ci_u32_e32 v9, vcc_lo, s13, v9, vcc_lo
	s_cselect_b32 s38, -1, 0
	v_add_co_u32 v12, vcc_lo, s12, v12
	global_load_b128 v[8:11], v[8:9], off
	v_add_co_ci_u32_e32 v13, vcc_lo, s13, v13, vcc_lo
	s_and_not1_b32 s37, s37, exec_lo
	s_and_b32 s38, s38, exec_lo
	global_load_b128 v[12:15], v[12:13], off
	s_or_b32 s37, s37, s38
	s_waitcnt vmcnt(1)
	ds_store_b128 v7, v[8:11]
	v_add_nc_u32_e32 v7, s20, v7
	s_waitcnt vmcnt(0)
	ds_store_2addr_b64 v16, v[12:13], v[14:15] offset1:1
	s_branch .LBB214_20
.LBB214_23:                             ;   in Loop: Header=BB214_16 Depth=2
	s_set_inst_prefetch_distance 0x2
	s_or_b32 exec_lo, exec_lo, s5
.LBB214_24:                             ;   in Loop: Header=BB214_16 Depth=2
	s_waitcnt lgkmcnt(0)
	s_barrier
	buffer_gl0_inv
	s_and_saveexec_b32 s2, s1
	s_cbranch_execz .LBB214_15
.LBB214_25:                             ;   in Loop: Header=BB214_16 Depth=2
	v_add_nc_u32_e32 v53, s4, v0
	s_waitcnt vmcnt(4)
	v_dual_mov_b32 v27, 0 :: v_dual_mov_b32 v26, 0
	v_mov_b32_e32 v25, 0
	s_mov_b32 s5, exec_lo
	v_min_u32_e32 v31, s27, v53
	v_mov_b32_e32 v28, 0
	s_delay_alu instid0(VALU_DEP_2) | instskip(NEXT) | instid1(VALU_DEP_1)
	v_lshlrev_b64 v[5:6], 1, v[31:32]
	v_add_co_u32 v11, vcc_lo, s10, v5
	s_delay_alu instid0(VALU_DEP_2) | instskip(NEXT) | instid1(VALU_DEP_2)
	v_add_co_ci_u32_e32 v12, vcc_lo, s11, v6, vcc_lo
	v_add_co_u32 v5, vcc_lo, v11, v33
	s_delay_alu instid0(VALU_DEP_2)
	v_add_co_ci_u32_e32 v6, vcc_lo, v12, v34, vcc_lo
	v_add_co_u32 v7, vcc_lo, v11, v35
	v_add_co_ci_u32_e32 v8, vcc_lo, v12, v36, vcc_lo
	v_add_co_u32 v9, vcc_lo, v11, v37
	;; [unrolled: 2-line block ×3, first 2 shown]
	v_add_co_ci_u32_e32 v12, vcc_lo, v12, v40, vcc_lo
	s_clause 0x3
	global_load_b128 v[21:24], v[5:6], off slc dlc
	global_load_b128 v[17:20], v[7:8], off slc dlc
	;; [unrolled: 1-line block ×4, first 2 shown]
	v_dual_mov_b32 v8, 0 :: v_dual_mov_b32 v7, 0
	v_dual_mov_b32 v6, 0 :: v_dual_mov_b32 v5, 0
	v_cmpx_gt_u32_e64 s16, v53
	s_cbranch_execz .LBB214_14
; %bb.26:                               ;   in Loop: Header=BB214_16 Depth=2
	v_subrev_nc_u32_e32 v5, s3, v53
	s_delay_alu instid0(VALU_DEP_1) | instskip(NEXT) | instid1(VALU_DEP_1)
	v_lshlrev_b32_e32 v5, 1, v5
	v_lshl_add_u32 v6, s24, 1, v5
	ds_load_b128 v[25:28], v5
	ds_load_b128 v[5:8], v6
	s_branch .LBB214_14
.LBB214_27:                             ;   in Loop: Header=BB214_12 Depth=1
	s_mov_b32 s1, exec_lo
	v_cmpx_le_u32_e64 s19, v29
	s_xor_b32 s1, exec_lo, s1
; %bb.28:                               ;   in Loop: Header=BB214_12 Depth=1
	v_add_nc_u32_e32 v29, s29, v29
                                        ; implicit-def: $vgpr30
                                        ; implicit-def: $vgpr46
                                        ; implicit-def: $vgpr47
                                        ; implicit-def: $vgpr48
                                        ; implicit-def: $vgpr49
                                        ; implicit-def: $vgpr50
                                        ; implicit-def: $vgpr51
                                        ; implicit-def: $vgpr52
; %bb.29:                               ;   in Loop: Header=BB214_12 Depth=1
	s_and_not1_saveexec_b32 s36, s1
	s_cbranch_execz .LBB214_11
; %bb.30:                               ;   in Loop: Header=BB214_12 Depth=1
	v_cvt_i32_f32_e32 v5, v52
	v_cvt_i32_f32_e32 v6, v51
	;; [unrolled: 1-line block ×3, first 2 shown]
	s_waitcnt lgkmcnt(0)
	v_xor_b32_e32 v8, 16, v45
	v_cvt_i32_f32_e32 v9, v49
	v_cvt_f32_i32_dpp v5, v5 row_shr:8 row_mask:0xf bank_mask:0xf bound_ctrl:1
	v_cvt_f32_i32_dpp v6, v6 row_shr:8 row_mask:0xf bank_mask:0xf bound_ctrl:1
	;; [unrolled: 1-line block ×3, first 2 shown]
	v_cmp_gt_i32_e32 vcc_lo, 32, v8
	v_cvt_i32_f32_e32 v16, v30
	s_delay_alu instid0(VALU_DEP_4) | instskip(NEXT) | instid1(VALU_DEP_4)
	v_dual_add_f32 v5, v52, v5 :: v_dual_add_f32 v6, v51, v6
	v_dual_add_f32 v7, v50, v7 :: v_dual_cndmask_b32 v8, v45, v8
	v_cvt_i32_f32_e32 v10, v48
	s_delay_alu instid0(VALU_DEP_3) | instskip(NEXT) | instid1(VALU_DEP_4)
	v_cvt_i32_f32_e32 v12, v5
	v_cvt_i32_f32_e32 v13, v6
	s_delay_alu instid0(VALU_DEP_4)
	v_cvt_i32_f32_e32 v14, v7
	v_cvt_i32_f32_e32 v11, v47
	v_cvt_f32_i32_dpp v9, v9 row_shr:8 row_mask:0xf bank_mask:0xf bound_ctrl:1
	v_cvt_f32_i32_dpp v12, v12 row_shr:4 row_mask:0xf bank_mask:0xf bound_ctrl:1
	;; [unrolled: 1-line block ×6, first 2 shown]
	s_delay_alu instid0(VALU_DEP_4) | instskip(NEXT) | instid1(VALU_DEP_4)
	v_dual_add_f32 v5, v5, v12 :: v_dual_add_f32 v6, v6, v13
	v_dual_add_f32 v7, v7, v14 :: v_dual_lshlrev_b32 v8, 2, v8
	v_cvt_f32_i32_dpp v11, v11 row_shr:8 row_mask:0xf bank_mask:0xf bound_ctrl:1
	s_delay_alu instid0(VALU_DEP_3) | instskip(NEXT) | instid1(VALU_DEP_4)
	v_cvt_i32_f32_e32 v12, v5
	v_cvt_i32_f32_e32 v13, v6
	s_delay_alu instid0(VALU_DEP_4) | instskip(SKIP_1) | instid1(VALU_DEP_4)
	v_cvt_i32_f32_e32 v14, v7
	v_dual_add_f32 v9, v49, v9 :: v_dual_add_f32 v10, v48, v10
	v_cvt_f32_i32_dpp v12, v12 row_shr:2 row_mask:0xf bank_mask:0xf bound_ctrl:1
	s_delay_alu instid0(VALU_DEP_4) | instskip(NEXT) | instid1(VALU_DEP_4)
	v_cvt_f32_i32_dpp v13, v13 row_shr:2 row_mask:0xf bank_mask:0xf bound_ctrl:1
	v_cvt_f32_i32_dpp v14, v14 row_shr:2 row_mask:0xf bank_mask:0xf bound_ctrl:1
	s_waitcnt vmcnt(1)
	v_cvt_i32_f32_e32 v18, v9
	s_waitcnt vmcnt(0)
	v_cvt_i32_f32_e32 v15, v46
	v_dual_add_f32 v5, v5, v12 :: v_dual_add_f32 v6, v6, v13
	v_dual_add_f32 v7, v7, v14 :: v_dual_add_f32 v16, v30, v16
	s_delay_alu instid0(VALU_DEP_3) | instskip(NEXT) | instid1(VALU_DEP_3)
	v_cvt_f32_i32_dpp v15, v15 row_shr:8 row_mask:0xf bank_mask:0xf bound_ctrl:1
	v_cvt_i32_f32_e32 v12, v5
	s_delay_alu instid0(VALU_DEP_4) | instskip(NEXT) | instid1(VALU_DEP_4)
	v_cvt_i32_f32_e32 v13, v6
	v_cvt_i32_f32_e32 v14, v7
	s_delay_alu instid0(VALU_DEP_3) | instskip(SKIP_1) | instid1(VALU_DEP_4)
	v_cvt_f32_i32_dpp v12, v12 row_shr:1 row_mask:0xf bank_mask:0xf bound_ctrl:1
	v_add_f32_e32 v11, v47, v11
	v_cvt_f32_i32_dpp v13, v13 row_shr:1 row_mask:0xf bank_mask:0xf bound_ctrl:1
	s_delay_alu instid0(VALU_DEP_4) | instskip(NEXT) | instid1(VALU_DEP_4)
	v_cvt_f32_i32_dpp v14, v14 row_shr:1 row_mask:0xf bank_mask:0xf bound_ctrl:1
	v_add_f32_e32 v24, v5, v12
	v_cvt_i32_f32_e32 v12, v16
	v_cvt_i32_f32_e32 v5, v10
	ds_bpermute_b32 v25, v8, v24
	v_cvt_f32_i32_dpp v12, v12 row_shr:4 row_mask:0xf bank_mask:0xf bound_ctrl:1
	v_add_f32_e32 v21, v6, v13
	v_cvt_i32_f32_e32 v6, v11
	v_cvt_f32_i32_dpp v13, v18 row_shr:4 row_mask:0xf bank_mask:0xf bound_ctrl:1
	v_cvt_f32_i32_dpp v5, v5 row_shr:4 row_mask:0xf bank_mask:0xf bound_ctrl:1
	s_delay_alu instid0(VALU_DEP_3) | instskip(NEXT) | instid1(VALU_DEP_3)
	v_cvt_f32_i32_dpp v6, v6 row_shr:4 row_mask:0xf bank_mask:0xf bound_ctrl:1
	v_add_f32_e32 v9, v9, v13
	s_delay_alu instid0(VALU_DEP_2) | instskip(NEXT) | instid1(VALU_DEP_2)
	v_dual_add_f32 v15, v46, v15 :: v_dual_add_f32 v6, v11, v6
	v_cvt_i32_f32_e32 v11, v9
	s_delay_alu instid0(VALU_DEP_2) | instskip(NEXT) | instid1(VALU_DEP_2)
	v_cvt_i32_f32_e32 v13, v6
	v_cvt_f32_i32_dpp v11, v11 row_shr:2 row_mask:0xf bank_mask:0xf bound_ctrl:1
	s_delay_alu instid0(VALU_DEP_2) | instskip(NEXT) | instid1(VALU_DEP_2)
	v_cvt_f32_i32_dpp v13, v13 row_shr:2 row_mask:0xf bank_mask:0xf bound_ctrl:1
	v_add_f32_e32 v9, v9, v11
	s_delay_alu instid0(VALU_DEP_2) | instskip(NEXT) | instid1(VALU_DEP_2)
	v_add_f32_e32 v11, v6, v13
	v_cvt_i32_f32_e32 v6, v9
	s_delay_alu instid0(VALU_DEP_2) | instskip(NEXT) | instid1(VALU_DEP_2)
	v_cvt_i32_f32_e32 v13, v11
	v_cvt_f32_i32_dpp v6, v6 row_shr:1 row_mask:0xf bank_mask:0xf bound_ctrl:1
	v_dual_add_f32 v5, v10, v5 :: v_dual_add_f32 v10, v16, v12
	v_add_f32_e32 v17, v7, v14
	v_cvt_i32_f32_e32 v7, v15
	s_delay_alu instid0(VALU_DEP_4) | instskip(NEXT) | instid1(VALU_DEP_4)
	v_add_f32_e32 v6, v9, v6
	v_cvt_i32_f32_e32 v12, v5
	v_cvt_f32_i32_dpp v16, v13 row_shr:1 row_mask:0xf bank_mask:0xf bound_ctrl:1
	ds_bpermute_b32 v22, v8, v21
	v_cvt_f32_i32_dpp v7, v7 row_shr:4 row_mask:0xf bank_mask:0xf bound_ctrl:1
	v_cvt_f32_i32_dpp v12, v12 row_shr:2 row_mask:0xf bank_mask:0xf bound_ctrl:1
	v_add_f32_e32 v11, v11, v16
	ds_bpermute_b32 v16, v8, v6
	v_add_f32_e32 v7, v15, v7
	v_cvt_i32_f32_e32 v15, v10
	v_add_f32_e32 v5, v5, v12
	s_delay_alu instid0(VALU_DEP_3) | instskip(NEXT) | instid1(VALU_DEP_3)
	v_cvt_i32_f32_e32 v14, v7
	v_cvt_f32_i32_dpp v15, v15 row_shr:2 row_mask:0xf bank_mask:0xf bound_ctrl:1
	s_delay_alu instid0(VALU_DEP_3) | instskip(NEXT) | instid1(VALU_DEP_3)
	v_cvt_i32_f32_e32 v12, v5
	v_cvt_f32_i32_dpp v14, v14 row_shr:2 row_mask:0xf bank_mask:0xf bound_ctrl:1
	s_delay_alu instid0(VALU_DEP_3) | instskip(NEXT) | instid1(VALU_DEP_3)
	v_add_f32_e32 v10, v10, v15
	v_cvt_f32_i32_dpp v12, v12 row_shr:1 row_mask:0xf bank_mask:0xf bound_ctrl:1
	ds_bpermute_b32 v19, v8, v17
	v_add_f32_e32 v7, v7, v14
	v_cvt_i32_f32_e32 v15, v10
	v_add_f32_e32 v13, v5, v12
	ds_bpermute_b32 v12, v8, v11
	v_cvt_i32_f32_e32 v14, v7
	v_cvt_f32_i32_dpp v15, v15 row_shr:1 row_mask:0xf bank_mask:0xf bound_ctrl:1
	s_delay_alu instid0(VALU_DEP_2) | instskip(NEXT) | instid1(VALU_DEP_1)
	v_cvt_f32_i32_dpp v14, v14 row_shr:1 row_mask:0xf bank_mask:0xf bound_ctrl:1
	v_add_f32_e32 v9, v7, v14
	s_delay_alu instid0(VALU_DEP_3)
	v_add_f32_e32 v7, v10, v15
	ds_bpermute_b32 v14, v8, v13
	ds_bpermute_b32 v10, v8, v9
	;; [unrolled: 1-line block ×3, first 2 shown]
	s_and_saveexec_b32 s5, s0
	s_cbranch_execz .LBB214_81
; %bb.31:                               ;   in Loop: Header=BB214_12 Depth=1
	v_dual_mov_b32 v30, 0 :: v_dual_add_nc_u32 v31, 2, v29
	v_dual_mov_b32 v28, 0 :: v_dual_add_nc_u32 v5, 3, v29
	v_dual_mov_b32 v27, 0 :: v_dual_mov_b32 v26, 0
	v_dual_mov_b32 v23, 0 :: v_dual_mov_b32 v20, 0
	;; [unrolled: 1-line block ×3, first 2 shown]
	s_and_not1_b32 vcc_lo, exec_lo, s30
	s_cbranch_vccnz .LBB214_33
; %bb.32:                               ;   in Loop: Header=BB214_12 Depth=1
	v_mul_hi_u32 v15, v29, v44
	v_dual_mov_b32 v27, v32 :: v_dual_add_nc_u32 v18, 1, v29
	v_mul_hi_u32 v20, v31, v44
	v_mul_hi_u32 v23, v5, v44
	v_mov_b32_e32 v51, v32
	s_delay_alu instid0(VALU_DEP_4)
	v_mul_hi_u32 v26, v18, v44
	v_mov_b32_e32 v53, v32
	v_mul_lo_u32 v15, v15, s8
	v_mul_lo_u32 v20, v20, s8
	;; [unrolled: 1-line block ×4, first 2 shown]
	s_delay_alu instid0(VALU_DEP_4) | instskip(NEXT) | instid1(VALU_DEP_4)
	v_sub_nc_u32_e32 v15, v29, v15
	v_sub_nc_u32_e32 v20, v31, v20
	s_delay_alu instid0(VALU_DEP_4) | instskip(NEXT) | instid1(VALU_DEP_3)
	v_sub_nc_u32_e32 v23, v5, v23
	v_subrev_nc_u32_e32 v28, s8, v15
	v_cmp_le_u32_e32 vcc_lo, s8, v15
	v_mov_b32_e32 v34, v32
	v_sub_nc_u32_e32 v18, v18, v26
	v_subrev_nc_u32_e32 v26, s8, v20
	v_subrev_nc_u32_e32 v30, s8, v23
	v_cndmask_b32_e32 v15, v15, v28, vcc_lo
	v_cmp_le_u32_e32 vcc_lo, s8, v20
	v_subrev_nc_u32_e32 v28, s8, v18
	v_cndmask_b32_e32 v20, v20, v26, vcc_lo
	v_cmp_le_u32_e32 vcc_lo, s8, v23
	v_mov_b32_e32 v36, v32
	v_subrev_nc_u32_e32 v26, s8, v15
	v_cndmask_b32_e32 v23, v23, v30, vcc_lo
	v_cmp_le_u32_e32 vcc_lo, s8, v18
	s_delay_alu instid0(VALU_DEP_2)
	v_subrev_nc_u32_e32 v30, s8, v23
	v_cndmask_b32_e32 v18, v18, v28, vcc_lo
	v_cmp_le_u32_e32 vcc_lo, s8, v15
	v_subrev_nc_u32_e32 v28, s8, v20
	v_cndmask_b32_e32 v26, v15, v26, vcc_lo
	v_cmp_le_u32_e32 vcc_lo, s8, v20
	v_subrev_nc_u32_e32 v15, s8, v18
	s_delay_alu instid0(VALU_DEP_4)
	v_cndmask_b32_e32 v35, v20, v28, vcc_lo
	v_cmp_le_u32_e32 vcc_lo, s8, v23
	v_mov_b32_e32 v38, v32
	v_lshlrev_b64 v[27:28], 1, v[26:27]
	v_add_nc_u32_e32 v50, s33, v26
	v_lshlrev_b64 v[39:40], 1, v[35:36]
	v_cndmask_b32_e32 v37, v23, v30, vcc_lo
	v_cmp_le_u32_e32 vcc_lo, s8, v18
	v_add_nc_u32_e32 v35, s33, v35
	v_lshlrev_b64 v[50:51], 1, v[50:51]
	s_delay_alu instid0(VALU_DEP_4) | instskip(SKIP_3) | instid1(VALU_DEP_3)
	v_lshlrev_b64 v[46:47], 1, v[37:38]
	v_cndmask_b32_e32 v33, v18, v15, vcc_lo
	v_add_co_u32 v27, vcc_lo, s14, v27
	v_add_co_ci_u32_e32 v28, vcc_lo, s15, v28, vcc_lo
	v_lshlrev_b64 v[48:49], 1, v[33:34]
	v_add_nc_u32_e32 v33, s33, v33
	v_add_nc_u32_e32 v52, s33, v37
	v_lshlrev_b64 v[35:36], 1, v[35:36]
	s_delay_alu instid0(VALU_DEP_4)
	v_add_co_u32 v48, vcc_lo, s14, v48
	v_add_co_ci_u32_e32 v49, vcc_lo, s15, v49, vcc_lo
	v_add_co_u32 v38, vcc_lo, s14, v39
	v_add_co_ci_u32_e32 v39, vcc_lo, s15, v40, vcc_lo
	v_add_co_u32 v46, vcc_lo, s14, v46
	v_lshlrev_b64 v[33:34], 1, v[33:34]
	v_add_co_ci_u32_e32 v47, vcc_lo, s15, v47, vcc_lo
	v_add_co_u32 v50, vcc_lo, s14, v50
	v_add_co_ci_u32_e32 v51, vcc_lo, s15, v51, vcc_lo
	s_delay_alu instid0(VALU_DEP_4) | instskip(SKIP_4) | instid1(VALU_DEP_4)
	v_add_co_u32 v33, vcc_lo, s14, v33
	v_lshlrev_b64 v[52:53], 1, v[52:53]
	v_add_co_ci_u32_e32 v34, vcc_lo, s15, v34, vcc_lo
	v_add_co_u32 v35, vcc_lo, s14, v35
	v_add_co_ci_u32_e32 v36, vcc_lo, s15, v36, vcc_lo
	v_add_co_u32 v52, vcc_lo, s14, v52
	v_add_co_ci_u32_e32 v53, vcc_lo, s15, v53, vcc_lo
	s_clause 0x7
	global_load_u16 v30, v[27:28], off
	global_load_u16 v28, v[48:49], off
	;; [unrolled: 1-line block ×8, first 2 shown]
.LBB214_33:                             ;   in Loop: Header=BB214_12 Depth=1
	v_cmp_ne_u32_e32 vcc_lo, 0, v1
	s_and_saveexec_b32 s2, vcc_lo
	s_cbranch_execnz .LBB214_41
; %bb.34:                               ;   in Loop: Header=BB214_12 Depth=1
	s_or_b32 exec_lo, exec_lo, s2
	v_cmp_ne_u32_e64 s1, 0, v2
	s_delay_alu instid0(VALU_DEP_1)
	s_and_saveexec_b32 s3, s1
	s_cbranch_execnz .LBB214_46
.LBB214_35:                             ;   in Loop: Header=BB214_12 Depth=1
	s_or_b32 exec_lo, exec_lo, s3
	v_cmp_ne_u32_e64 s2, 0, v3
	s_delay_alu instid0(VALU_DEP_1)
	s_and_saveexec_b32 s4, s2
	s_cbranch_execnz .LBB214_51
.LBB214_36:                             ;   in Loop: Header=BB214_12 Depth=1
	s_or_b32 exec_lo, exec_lo, s4
	v_cmp_ne_u32_e64 s3, 0, v4
	s_delay_alu instid0(VALU_DEP_1)
	s_and_saveexec_b32 s37, s3
	s_cbranch_execnz .LBB214_56
.LBB214_37:                             ;   in Loop: Header=BB214_12 Depth=1
	s_or_b32 exec_lo, exec_lo, s37
	v_add_nc_u32_e32 v31, s19, v29
	s_and_saveexec_b32 s4, vcc_lo
	s_cbranch_execnz .LBB214_61
.LBB214_38:                             ;   in Loop: Header=BB214_12 Depth=1
	s_or_b32 exec_lo, exec_lo, s4
	s_and_saveexec_b32 s4, s1
	s_cbranch_execnz .LBB214_66
.LBB214_39:                             ;   in Loop: Header=BB214_12 Depth=1
	s_or_b32 exec_lo, exec_lo, s4
	s_and_saveexec_b32 s1, s2
	s_cbranch_execnz .LBB214_71
.LBB214_40:                             ;   in Loop: Header=BB214_12 Depth=1
	s_or_b32 exec_lo, exec_lo, s1
	s_delay_alu instid0(SALU_CYCLE_1)
	s_and_b32 exec_lo, exec_lo, s3
	s_cbranch_execnz .LBB214_76
	s_branch .LBB214_81
.LBB214_41:                             ;   in Loop: Header=BB214_12 Depth=1
	s_waitcnt vmcnt(7) lgkmcnt(7)
	v_dual_add_f32 v24, v24, v25 :: v_dual_lshlrev_b32 v25, 16, v30
	s_delay_alu instid0(VALU_DEP_1) | instskip(NEXT) | instid1(VALU_DEP_1)
	v_add_f32_e32 v25, v24, v25
	v_and_b32_e32 v24, 0x7f800000, v25
	s_delay_alu instid0(VALU_DEP_1) | instskip(NEXT) | instid1(VALU_DEP_1)
	v_cmp_ne_u32_e64 s1, 0x7f800000, v24
                                        ; implicit-def: $vgpr24
	s_and_saveexec_b32 s3, s1
	s_delay_alu instid0(SALU_CYCLE_1)
	s_xor_b32 s1, exec_lo, s3
; %bb.42:                               ;   in Loop: Header=BB214_12 Depth=1
	v_bfe_u32 v24, v25, 16, 1
	s_delay_alu instid0(VALU_DEP_1)
	v_add3_u32 v24, v25, v24, 0x7fff
                                        ; implicit-def: $vgpr25
; %bb.43:                               ;   in Loop: Header=BB214_12 Depth=1
	s_and_not1_saveexec_b32 s3, s1
; %bb.44:                               ;   in Loop: Header=BB214_12 Depth=1
	v_and_b32_e32 v24, 0xffff, v25
	v_or_b32_e32 v30, 0x10000, v25
	s_delay_alu instid0(VALU_DEP_2) | instskip(NEXT) | instid1(VALU_DEP_1)
	v_cmp_eq_u32_e64 s1, 0, v24
	v_cndmask_b32_e64 v24, v30, v25, s1
; %bb.45:                               ;   in Loop: Header=BB214_12 Depth=1
	s_or_b32 exec_lo, exec_lo, s3
	v_mov_b32_e32 v30, v32
	s_delay_alu instid0(VALU_DEP_1) | instskip(NEXT) | instid1(VALU_DEP_1)
	v_lshlrev_b64 v[33:34], 1, v[29:30]
	v_add_co_u32 v33, s1, s6, v33
	s_delay_alu instid0(VALU_DEP_1) | instskip(SKIP_3) | instid1(VALU_DEP_1)
	v_add_co_ci_u32_e64 v34, s1, s7, v34, s1
	global_store_d16_hi_b16 v[33:34], v24, off
	s_or_b32 exec_lo, exec_lo, s2
	v_cmp_ne_u32_e64 s1, 0, v2
	s_and_saveexec_b32 s3, s1
	s_cbranch_execz .LBB214_35
.LBB214_46:                             ;   in Loop: Header=BB214_12 Depth=1
	s_waitcnt vmcnt(6) lgkmcnt(6)
	v_dual_add_f32 v21, v21, v22 :: v_dual_lshlrev_b32 v22, 16, v28
	s_delay_alu instid0(VALU_DEP_1) | instskip(NEXT) | instid1(VALU_DEP_1)
	v_add_f32_e32 v22, v21, v22
	v_and_b32_e32 v21, 0x7f800000, v22
	s_delay_alu instid0(VALU_DEP_1) | instskip(NEXT) | instid1(VALU_DEP_1)
	v_cmp_ne_u32_e64 s2, 0x7f800000, v21
                                        ; implicit-def: $vgpr21
	s_and_saveexec_b32 s4, s2
	s_delay_alu instid0(SALU_CYCLE_1)
	s_xor_b32 s2, exec_lo, s4
; %bb.47:                               ;   in Loop: Header=BB214_12 Depth=1
	v_bfe_u32 v21, v22, 16, 1
	s_delay_alu instid0(VALU_DEP_1)
	v_add3_u32 v21, v22, v21, 0x7fff
                                        ; implicit-def: $vgpr22
; %bb.48:                               ;   in Loop: Header=BB214_12 Depth=1
	s_and_not1_saveexec_b32 s4, s2
; %bb.49:                               ;   in Loop: Header=BB214_12 Depth=1
	v_and_b32_e32 v21, 0xffff, v22
	v_or_b32_e32 v24, 0x10000, v22
	s_delay_alu instid0(VALU_DEP_2) | instskip(NEXT) | instid1(VALU_DEP_1)
	v_cmp_eq_u32_e64 s2, 0, v21
	v_cndmask_b32_e64 v21, v24, v22, s2
; %bb.50:                               ;   in Loop: Header=BB214_12 Depth=1
	s_or_b32 exec_lo, exec_lo, s4
	v_mov_b32_e32 v30, v32
	s_delay_alu instid0(VALU_DEP_1) | instskip(NEXT) | instid1(VALU_DEP_1)
	v_lshlrev_b64 v[24:25], 1, v[29:30]
	v_add_co_u32 v24, s2, s31, v24
	s_delay_alu instid0(VALU_DEP_1) | instskip(SKIP_3) | instid1(VALU_DEP_1)
	v_add_co_ci_u32_e64 v25, s2, s34, v25, s2
	global_store_d16_hi_b16 v[24:25], v21, off
	s_or_b32 exec_lo, exec_lo, s3
	v_cmp_ne_u32_e64 s2, 0, v3
	s_and_saveexec_b32 s4, s2
	s_cbranch_execz .LBB214_36
.LBB214_51:                             ;   in Loop: Header=BB214_12 Depth=1
	s_waitcnt lgkmcnt(4)
	v_add_f32_e32 v17, v17, v19
	s_waitcnt vmcnt(5)
	v_lshlrev_b32_e32 v19, 16, v27
	s_delay_alu instid0(VALU_DEP_1) | instskip(NEXT) | instid1(VALU_DEP_1)
	v_add_f32_e32 v19, v17, v19
	v_and_b32_e32 v17, 0x7f800000, v19
	s_delay_alu instid0(VALU_DEP_1) | instskip(NEXT) | instid1(VALU_DEP_1)
	v_cmp_ne_u32_e64 s3, 0x7f800000, v17
                                        ; implicit-def: $vgpr17
	s_and_saveexec_b32 s37, s3
	s_delay_alu instid0(SALU_CYCLE_1)
	s_xor_b32 s3, exec_lo, s37
; %bb.52:                               ;   in Loop: Header=BB214_12 Depth=1
	v_bfe_u32 v17, v19, 16, 1
	s_delay_alu instid0(VALU_DEP_1)
	v_add3_u32 v17, v19, v17, 0x7fff
                                        ; implicit-def: $vgpr19
; %bb.53:                               ;   in Loop: Header=BB214_12 Depth=1
	s_and_not1_saveexec_b32 s37, s3
; %bb.54:                               ;   in Loop: Header=BB214_12 Depth=1
	v_and_b32_e32 v17, 0xffff, v19
	v_or_b32_e32 v21, 0x10000, v19
	s_delay_alu instid0(VALU_DEP_2) | instskip(NEXT) | instid1(VALU_DEP_1)
	v_cmp_eq_u32_e64 s3, 0, v17
	v_cndmask_b32_e64 v17, v21, v19, s3
; %bb.55:                               ;   in Loop: Header=BB214_12 Depth=1
	s_or_b32 exec_lo, exec_lo, s37
	v_lshlrev_b64 v[21:22], 1, v[31:32]
	s_delay_alu instid0(VALU_DEP_1) | instskip(NEXT) | instid1(VALU_DEP_1)
	v_add_co_u32 v21, s3, s6, v21
	v_add_co_ci_u32_e64 v22, s3, s7, v22, s3
	global_store_d16_hi_b16 v[21:22], v17, off
	s_or_b32 exec_lo, exec_lo, s4
	v_cmp_ne_u32_e64 s3, 0, v4
	s_delay_alu instid0(VALU_DEP_1)
	s_and_saveexec_b32 s37, s3
	s_cbranch_execz .LBB214_37
.LBB214_56:                             ;   in Loop: Header=BB214_12 Depth=1
	s_waitcnt lgkmcnt(5)
	v_add_f32_e32 v6, v6, v16
	s_waitcnt vmcnt(4)
	v_lshlrev_b32_e32 v16, 16, v26
	s_delay_alu instid0(VALU_DEP_1) | instskip(NEXT) | instid1(VALU_DEP_1)
	v_add_f32_e32 v6, v6, v16
	v_and_b32_e32 v16, 0x7f800000, v6
	s_delay_alu instid0(VALU_DEP_1) | instskip(NEXT) | instid1(VALU_DEP_1)
	v_cmp_ne_u32_e64 s4, 0x7f800000, v16
                                        ; implicit-def: $vgpr16
	s_and_saveexec_b32 s38, s4
	s_delay_alu instid0(SALU_CYCLE_1)
	s_xor_b32 s4, exec_lo, s38
; %bb.57:                               ;   in Loop: Header=BB214_12 Depth=1
	v_bfe_u32 v16, v6, 16, 1
	s_delay_alu instid0(VALU_DEP_1)
	v_add3_u32 v16, v6, v16, 0x7fff
                                        ; implicit-def: $vgpr6
; %bb.58:                               ;   in Loop: Header=BB214_12 Depth=1
	s_and_not1_saveexec_b32 s38, s4
; %bb.59:                               ;   in Loop: Header=BB214_12 Depth=1
	v_and_b32_e32 v16, 0xffff, v6
	v_or_b32_e32 v17, 0x10000, v6
	s_delay_alu instid0(VALU_DEP_2) | instskip(NEXT) | instid1(VALU_DEP_1)
	v_cmp_eq_u32_e64 s4, 0, v16
	v_cndmask_b32_e64 v16, v17, v6, s4
; %bb.60:                               ;   in Loop: Header=BB214_12 Depth=1
	s_or_b32 exec_lo, exec_lo, s38
	v_mov_b32_e32 v6, v32
	s_delay_alu instid0(VALU_DEP_1) | instskip(NEXT) | instid1(VALU_DEP_1)
	v_lshlrev_b64 v[5:6], 1, v[5:6]
	v_add_co_u32 v5, s4, s6, v5
	s_delay_alu instid0(VALU_DEP_1)
	v_add_co_ci_u32_e64 v6, s4, s7, v6, s4
	global_store_d16_hi_b16 v[5:6], v16, off
	s_or_b32 exec_lo, exec_lo, s37
	v_add_nc_u32_e32 v31, s19, v29
	s_and_saveexec_b32 s4, vcc_lo
	s_cbranch_execz .LBB214_38
.LBB214_61:                             ;   in Loop: Header=BB214_12 Depth=1
	s_waitcnt vmcnt(3) lgkmcnt(2)
	v_dual_add_f32 v5, v13, v14 :: v_dual_lshlrev_b32 v6, 16, v23
	s_delay_alu instid0(VALU_DEP_1) | instskip(NEXT) | instid1(VALU_DEP_1)
	v_add_f32_e32 v6, v5, v6
	v_and_b32_e32 v5, 0x7f800000, v6
	s_delay_alu instid0(VALU_DEP_1) | instskip(SKIP_1) | instid1(SALU_CYCLE_1)
	v_cmp_ne_u32_e32 vcc_lo, 0x7f800000, v5
                                        ; implicit-def: $vgpr5
	s_and_saveexec_b32 s37, vcc_lo
	s_xor_b32 s37, exec_lo, s37
; %bb.62:                               ;   in Loop: Header=BB214_12 Depth=1
	v_bfe_u32 v5, v6, 16, 1
	s_delay_alu instid0(VALU_DEP_1)
	v_add3_u32 v5, v6, v5, 0x7fff
                                        ; implicit-def: $vgpr6
; %bb.63:                               ;   in Loop: Header=BB214_12 Depth=1
	s_and_not1_saveexec_b32 s37, s37
; %bb.64:                               ;   in Loop: Header=BB214_12 Depth=1
	v_and_b32_e32 v5, 0xffff, v6
	v_or_b32_e32 v13, 0x10000, v6
	s_delay_alu instid0(VALU_DEP_2) | instskip(NEXT) | instid1(VALU_DEP_2)
	v_cmp_eq_u32_e32 vcc_lo, 0, v5
	v_cndmask_b32_e32 v5, v13, v6, vcc_lo
; %bb.65:                               ;   in Loop: Header=BB214_12 Depth=1
	s_or_b32 exec_lo, exec_lo, s37
	v_lshlrev_b64 v[13:14], 1, v[31:32]
	s_delay_alu instid0(VALU_DEP_1) | instskip(NEXT) | instid1(VALU_DEP_2)
	v_add_co_u32 v13, vcc_lo, s6, v13
	v_add_co_ci_u32_e32 v14, vcc_lo, s7, v14, vcc_lo
	global_store_d16_hi_b16 v[13:14], v5, off
	s_or_b32 exec_lo, exec_lo, s4
	s_and_saveexec_b32 s4, s1
	s_cbranch_execz .LBB214_39
.LBB214_66:                             ;   in Loop: Header=BB214_12 Depth=1
	s_waitcnt lgkmcnt(3)
	v_add_f32_e32 v5, v11, v12
	s_waitcnt vmcnt(2)
	v_lshlrev_b32_e32 v6, 16, v20
	s_delay_alu instid0(VALU_DEP_1) | instskip(NEXT) | instid1(VALU_DEP_1)
	v_add_f32_e32 v6, v5, v6
	v_and_b32_e32 v5, 0x7f800000, v6
	s_delay_alu instid0(VALU_DEP_1) | instskip(SKIP_1) | instid1(SALU_CYCLE_1)
	v_cmp_ne_u32_e32 vcc_lo, 0x7f800000, v5
                                        ; implicit-def: $vgpr5
	s_and_saveexec_b32 s1, vcc_lo
	s_xor_b32 s1, exec_lo, s1
; %bb.67:                               ;   in Loop: Header=BB214_12 Depth=1
	v_bfe_u32 v5, v6, 16, 1
	s_delay_alu instid0(VALU_DEP_1)
	v_add3_u32 v5, v6, v5, 0x7fff
                                        ; implicit-def: $vgpr6
; %bb.68:                               ;   in Loop: Header=BB214_12 Depth=1
	s_and_not1_saveexec_b32 s1, s1
; %bb.69:                               ;   in Loop: Header=BB214_12 Depth=1
	v_and_b32_e32 v5, 0xffff, v6
	v_or_b32_e32 v11, 0x10000, v6
	s_delay_alu instid0(VALU_DEP_2) | instskip(NEXT) | instid1(VALU_DEP_2)
	v_cmp_eq_u32_e32 vcc_lo, 0, v5
	v_cndmask_b32_e32 v5, v11, v6, vcc_lo
; %bb.70:                               ;   in Loop: Header=BB214_12 Depth=1
	s_or_b32 exec_lo, exec_lo, s1
	v_dual_mov_b32 v12, v32 :: v_dual_add_nc_u32 v11, 1, v31
	s_delay_alu instid0(VALU_DEP_1) | instskip(NEXT) | instid1(VALU_DEP_1)
	v_lshlrev_b64 v[11:12], 1, v[11:12]
	v_add_co_u32 v11, vcc_lo, s6, v11
	s_delay_alu instid0(VALU_DEP_2)
	v_add_co_ci_u32_e32 v12, vcc_lo, s7, v12, vcc_lo
	global_store_d16_hi_b16 v[11:12], v5, off
	s_or_b32 exec_lo, exec_lo, s4
	s_and_saveexec_b32 s1, s2
	s_cbranch_execz .LBB214_40
.LBB214_71:                             ;   in Loop: Header=BB214_12 Depth=1
	s_waitcnt lgkmcnt(1)
	v_add_f32_e32 v5, v9, v10
	s_waitcnt vmcnt(1)
	v_lshlrev_b32_e32 v6, 16, v18
	s_delay_alu instid0(VALU_DEP_1) | instskip(NEXT) | instid1(VALU_DEP_1)
	v_add_f32_e32 v6, v5, v6
	v_and_b32_e32 v5, 0x7f800000, v6
	s_delay_alu instid0(VALU_DEP_1) | instskip(SKIP_1) | instid1(SALU_CYCLE_1)
	v_cmp_ne_u32_e32 vcc_lo, 0x7f800000, v5
                                        ; implicit-def: $vgpr5
	s_and_saveexec_b32 s2, vcc_lo
	s_xor_b32 s2, exec_lo, s2
; %bb.72:                               ;   in Loop: Header=BB214_12 Depth=1
	v_bfe_u32 v5, v6, 16, 1
	s_delay_alu instid0(VALU_DEP_1)
	v_add3_u32 v5, v6, v5, 0x7fff
                                        ; implicit-def: $vgpr6
; %bb.73:                               ;   in Loop: Header=BB214_12 Depth=1
	s_and_not1_saveexec_b32 s2, s2
; %bb.74:                               ;   in Loop: Header=BB214_12 Depth=1
	v_and_b32_e32 v5, 0xffff, v6
	v_or_b32_e32 v9, 0x10000, v6
	s_delay_alu instid0(VALU_DEP_2) | instskip(NEXT) | instid1(VALU_DEP_2)
	v_cmp_eq_u32_e32 vcc_lo, 0, v5
	v_cndmask_b32_e32 v5, v9, v6, vcc_lo
; %bb.75:                               ;   in Loop: Header=BB214_12 Depth=1
	s_or_b32 exec_lo, exec_lo, s2
	v_dual_mov_b32 v10, v32 :: v_dual_add_nc_u32 v9, 2, v31
	s_delay_alu instid0(VALU_DEP_1) | instskip(NEXT) | instid1(VALU_DEP_1)
	v_lshlrev_b64 v[9:10], 1, v[9:10]
	v_add_co_u32 v9, vcc_lo, s6, v9
	s_delay_alu instid0(VALU_DEP_2) | instskip(SKIP_2) | instid1(SALU_CYCLE_1)
	v_add_co_ci_u32_e32 v10, vcc_lo, s7, v10, vcc_lo
	global_store_d16_hi_b16 v[9:10], v5, off
	s_or_b32 exec_lo, exec_lo, s1
	s_and_b32 exec_lo, exec_lo, s3
	s_cbranch_execz .LBB214_81
.LBB214_76:                             ;   in Loop: Header=BB214_12 Depth=1
	s_waitcnt vmcnt(0) lgkmcnt(0)
	v_dual_add_f32 v5, v7, v8 :: v_dual_lshlrev_b32 v6, 16, v15
	s_delay_alu instid0(VALU_DEP_1) | instskip(NEXT) | instid1(VALU_DEP_1)
	v_add_f32_e32 v6, v5, v6
	v_and_b32_e32 v5, 0x7f800000, v6
	s_delay_alu instid0(VALU_DEP_1) | instskip(SKIP_1) | instid1(SALU_CYCLE_1)
	v_cmp_ne_u32_e32 vcc_lo, 0x7f800000, v5
                                        ; implicit-def: $vgpr5
	s_and_saveexec_b32 s1, vcc_lo
	s_xor_b32 s1, exec_lo, s1
; %bb.77:                               ;   in Loop: Header=BB214_12 Depth=1
	v_bfe_u32 v5, v6, 16, 1
	s_delay_alu instid0(VALU_DEP_1)
	v_add3_u32 v5, v6, v5, 0x7fff
                                        ; implicit-def: $vgpr6
; %bb.78:                               ;   in Loop: Header=BB214_12 Depth=1
	s_and_not1_saveexec_b32 s1, s1
; %bb.79:                               ;   in Loop: Header=BB214_12 Depth=1
	v_and_b32_e32 v5, 0xffff, v6
	v_or_b32_e32 v7, 0x10000, v6
	s_delay_alu instid0(VALU_DEP_2) | instskip(NEXT) | instid1(VALU_DEP_2)
	v_cmp_eq_u32_e32 vcc_lo, 0, v5
	v_cndmask_b32_e32 v5, v7, v6, vcc_lo
; %bb.80:                               ;   in Loop: Header=BB214_12 Depth=1
	s_or_b32 exec_lo, exec_lo, s1
	v_add_nc_u32_e32 v31, 3, v31
	s_delay_alu instid0(VALU_DEP_1) | instskip(NEXT) | instid1(VALU_DEP_1)
	v_lshlrev_b64 v[6:7], 1, v[31:32]
	v_add_co_u32 v6, vcc_lo, s6, v6
	s_delay_alu instid0(VALU_DEP_2)
	v_add_co_ci_u32_e32 v7, vcc_lo, s7, v7, vcc_lo
	global_store_d16_hi_b16 v[6:7], v5, off
.LBB214_81:                             ;   in Loop: Header=BB214_12 Depth=1
	s_or_b32 exec_lo, exec_lo, s5
	v_add_nc_u32_e32 v29, s29, v29
	s_delay_alu instid0(VALU_DEP_1) | instskip(SKIP_1) | instid1(VALU_DEP_2)
	v_add_nc_u32_e32 v5, 4, v29
	v_cmp_gt_u32_e32 vcc_lo, s19, v29
	v_cmp_le_u32_e64 s1, s19, v5
	s_delay_alu instid0(VALU_DEP_1) | instskip(NEXT) | instid1(SALU_CYCLE_1)
	s_and_b32 s1, vcc_lo, s1
	s_and_saveexec_b32 s37, s1
	s_cbranch_execz .LBB214_10
; %bb.82:                               ;   in Loop: Header=BB214_12 Depth=1
	s_mov_b32 s38, exec_lo
	v_cmpx_ne_u32_e64 s9, v29
	s_cbranch_execz .LBB214_9
; %bb.83:                               ;   in Loop: Header=BB214_12 Depth=1
	v_subrev_nc_u32_e32 v5, s9, v29
	s_mov_b32 s39, 0
	s_mov_b64 s[4:5], 0
	s_delay_alu instid0(VALU_DEP_1)
	v_cmp_lt_u32_e32 vcc_lo, 1, v5
	v_cndmask_b32_e32 v5, 1, v5, vcc_lo
	.p2align	6
.LBB214_84:                             ;   Parent Loop BB214_12 Depth=1
                                        ; =>  This Inner Loop Header: Depth=2
	s_cmp_lg_u32 s4, 3
	s_cselect_b32 vcc_lo, -1, 0
	s_cmp_lg_u32 s4, 2
	v_cndmask_b32_e32 v4, 0, v4, vcc_lo
	s_cselect_b32 s1, -1, 0
	s_cmp_lg_u32 s4, 1
	v_cndmask_b32_e64 v3, 0, v3, s1
	s_cselect_b32 s2, -1, 0
	s_cmp_lg_u32 s4, 0
	v_cndmask_b32_e64 v2, 0, v2, s2
	s_cselect_b32 s3, -1, 0
	s_add_u32 s4, s4, 1
	v_cndmask_b32_e64 v1, 0, v1, s3
	v_cmp_eq_u32_e32 vcc_lo, s4, v5
	s_addc_u32 s5, s5, 0
	s_or_b32 s39, vcc_lo, s39
	s_delay_alu instid0(SALU_CYCLE_1)
	s_and_not1_b32 exec_lo, exec_lo, s39
	s_cbranch_execnz .LBB214_84
; %bb.85:                               ;   in Loop: Header=BB214_12 Depth=1
	s_or_b32 exec_lo, exec_lo, s39
	s_branch .LBB214_9
.LBB214_86:
	s_nop 0
	s_sendmsg sendmsg(MSG_DEALLOC_VGPRS)
	s_endpgm
	.section	.rodata,"a",@progbits
	.p2align	6, 0x0
	.amdhsa_kernel _Z16wvSplitK_hf_big_I14__hip_bfloat16Li64ELi4ELi16ELi8ELi1ELi2EEviiiiiiPKT_S3_S3_PS1_ii
		.amdhsa_group_segment_fixed_size 65536
		.amdhsa_private_segment_fixed_size 0
		.amdhsa_kernarg_size 64
		.amdhsa_user_sgpr_count 15
		.amdhsa_user_sgpr_dispatch_ptr 0
		.amdhsa_user_sgpr_queue_ptr 0
		.amdhsa_user_sgpr_kernarg_segment_ptr 1
		.amdhsa_user_sgpr_dispatch_id 0
		.amdhsa_user_sgpr_private_segment_size 0
		.amdhsa_wavefront_size32 1
		.amdhsa_uses_dynamic_stack 0
		.amdhsa_enable_private_segment 0
		.amdhsa_system_sgpr_workgroup_id_x 1
		.amdhsa_system_sgpr_workgroup_id_y 0
		.amdhsa_system_sgpr_workgroup_id_z 0
		.amdhsa_system_sgpr_workgroup_info 0
		.amdhsa_system_vgpr_workitem_id 1
		.amdhsa_next_free_vgpr 74
		.amdhsa_next_free_sgpr 40
		.amdhsa_reserve_vcc 1
		.amdhsa_float_round_mode_32 0
		.amdhsa_float_round_mode_16_64 0
		.amdhsa_float_denorm_mode_32 3
		.amdhsa_float_denorm_mode_16_64 3
		.amdhsa_dx10_clamp 1
		.amdhsa_ieee_mode 1
		.amdhsa_fp16_overflow 0
		.amdhsa_workgroup_processor_mode 1
		.amdhsa_memory_ordered 1
		.amdhsa_forward_progress 0
		.amdhsa_shared_vgpr_count 0
		.amdhsa_exception_fp_ieee_invalid_op 0
		.amdhsa_exception_fp_denorm_src 0
		.amdhsa_exception_fp_ieee_div_zero 0
		.amdhsa_exception_fp_ieee_overflow 0
		.amdhsa_exception_fp_ieee_underflow 0
		.amdhsa_exception_fp_ieee_inexact 0
		.amdhsa_exception_int_div_zero 0
	.end_amdhsa_kernel
	.section	.text._Z16wvSplitK_hf_big_I14__hip_bfloat16Li64ELi4ELi16ELi8ELi1ELi2EEviiiiiiPKT_S3_S3_PS1_ii,"axG",@progbits,_Z16wvSplitK_hf_big_I14__hip_bfloat16Li64ELi4ELi16ELi8ELi1ELi2EEviiiiiiPKT_S3_S3_PS1_ii,comdat
.Lfunc_end214:
	.size	_Z16wvSplitK_hf_big_I14__hip_bfloat16Li64ELi4ELi16ELi8ELi1ELi2EEviiiiiiPKT_S3_S3_PS1_ii, .Lfunc_end214-_Z16wvSplitK_hf_big_I14__hip_bfloat16Li64ELi4ELi16ELi8ELi1ELi2EEviiiiiiPKT_S3_S3_PS1_ii
                                        ; -- End function
	.section	.AMDGPU.csdata,"",@progbits
; Kernel info:
; codeLenInByte = 5320
; NumSgprs: 42
; NumVgprs: 74
; ScratchSize: 0
; MemoryBound: 0
; FloatMode: 240
; IeeeMode: 1
; LDSByteSize: 65536 bytes/workgroup (compile time only)
; SGPRBlocks: 5
; VGPRBlocks: 9
; NumSGPRsForWavesPerEU: 42
; NumVGPRsForWavesPerEU: 74
; Occupancy: 16
; WaveLimiterHint : 0
; COMPUTE_PGM_RSRC2:SCRATCH_EN: 0
; COMPUTE_PGM_RSRC2:USER_SGPR: 15
; COMPUTE_PGM_RSRC2:TRAP_HANDLER: 0
; COMPUTE_PGM_RSRC2:TGID_X_EN: 1
; COMPUTE_PGM_RSRC2:TGID_Y_EN: 0
; COMPUTE_PGM_RSRC2:TGID_Z_EN: 0
; COMPUTE_PGM_RSRC2:TIDIG_COMP_CNT: 1
	.section	.text._Z16wvSplitK_hf_sml_I14__hip_bfloat16Li64ELi4ELi16ELi8ELi2ELi2EEviiiiiiPKT_S3_S3_PS1_ii,"axG",@progbits,_Z16wvSplitK_hf_sml_I14__hip_bfloat16Li64ELi4ELi16ELi8ELi2ELi2EEviiiiiiPKT_S3_S3_PS1_ii,comdat
	.protected	_Z16wvSplitK_hf_sml_I14__hip_bfloat16Li64ELi4ELi16ELi8ELi2ELi2EEviiiiiiPKT_S3_S3_PS1_ii ; -- Begin function _Z16wvSplitK_hf_sml_I14__hip_bfloat16Li64ELi4ELi16ELi8ELi2ELi2EEviiiiiiPKT_S3_S3_PS1_ii
	.globl	_Z16wvSplitK_hf_sml_I14__hip_bfloat16Li64ELi4ELi16ELi8ELi2ELi2EEviiiiiiPKT_S3_S3_PS1_ii
	.p2align	8
	.type	_Z16wvSplitK_hf_sml_I14__hip_bfloat16Li64ELi4ELi16ELi8ELi2ELi2EEviiiiiiPKT_S3_S3_PS1_ii,@function
_Z16wvSplitK_hf_sml_I14__hip_bfloat16Li64ELi4ELi16ELi8ELi2ELi2EEviiiiiiPKT_S3_S3_PS1_ii: ; @_Z16wvSplitK_hf_sml_I14__hip_bfloat16Li64ELi4ELi16ELi8ELi2ELi2EEviiiiiiPKT_S3_S3_PS1_ii
; %bb.0:
	s_clause 0x2
	s_load_b128 s[4:7], s[0:1], 0x0
	s_load_b64 s[8:9], s[0:1], 0x10
	s_load_b64 s[10:11], s[0:1], 0x28
	v_and_b32_e32 v2, 0x3ff, v0
	v_bfe_u32 v3, v0, 10, 10
	s_mov_b32 s12, exec_lo
	s_delay_alu instid0(VALU_DEP_2) | instskip(NEXT) | instid1(VALU_DEP_1)
	v_lshlrev_b32_e32 v59, 3, v2
	v_lshl_add_u32 v4, v3, 9, v59
	s_waitcnt lgkmcnt(0)
	s_lshl_b32 s6, s6, 1
	s_delay_alu instid0(SALU_CYCLE_1)
	s_min_u32 s3, s6, 0x8000
	s_delay_alu instid0(VALU_DEP_1) | instid1(SALU_CYCLE_1)
	v_cmpx_gt_u32_e64 s3, v4
	s_cbranch_execz .LBB215_3
; %bb.1:
	s_load_b64 s[16:17], s[0:1], 0x20
	v_lshlrev_b32_e32 v5, 10, v3
	v_lshlrev_b32_e32 v6, 4, v2
	s_mov_b32 s13, 0
	s_delay_alu instid0(VALU_DEP_1) | instskip(NEXT) | instid1(VALU_DEP_1)
	v_add_co_u32 v0, s2, v5, v6
	v_add_co_ci_u32_e64 v1, null, 0, 0, s2
	v_add_nc_u32_e32 v5, v5, v6
	s_waitcnt lgkmcnt(0)
	s_delay_alu instid0(VALU_DEP_3) | instskip(NEXT) | instid1(VALU_DEP_3)
	v_add_co_u32 v0, vcc_lo, s16, v0
	v_add_co_ci_u32_e32 v1, vcc_lo, s17, v1, vcc_lo
	.p2align	6
.LBB215_2:                              ; =>This Inner Loop Header: Depth=1
	global_load_b128 v[6:9], v[0:1], off
	v_add_nc_u32_e32 v4, 0x2000, v4
	v_add_co_u32 v0, vcc_lo, 0x4000, v0
	v_add_co_ci_u32_e32 v1, vcc_lo, 0, v1, vcc_lo
	s_delay_alu instid0(VALU_DEP_3) | instskip(NEXT) | instid1(VALU_DEP_1)
	v_cmp_le_u32_e64 s2, s3, v4
	s_or_b32 s13, s2, s13
	s_waitcnt vmcnt(0)
	ds_store_b128 v5, v[6:9]
	v_add_nc_u32_e32 v5, 0x4000, v5
	s_and_not1_b32 exec_lo, exec_lo, s13
	s_cbranch_execnz .LBB215_2
.LBB215_3:
	s_or_b32 exec_lo, exec_lo, s12
	s_load_b64 s[16:17], s[0:1], 0x38
	s_waitcnt lgkmcnt(0)
	s_barrier
	buffer_gl0_inv
	s_mov_b32 s2, exec_lo
	v_cmpx_gt_u32_e64 s16, v3
	s_cbranch_execz .LBB215_50
; %bb.4:
	s_mul_i32 s15, s15, s16
	s_delay_alu instid0(SALU_CYCLE_1) | instskip(NEXT) | instid1(VALU_DEP_1)
	v_add_lshl_u32 v48, s15, v3, 2
	v_cmp_gt_u32_e32 vcc_lo, s7, v48
	s_and_b32 exec_lo, exec_lo, vcc_lo
	s_cbranch_execz .LBB215_50
; %bb.5:
	v_cvt_f32_u32_e32 v0, s8
	v_mbcnt_lo_u32_b32 v1, -1, 0
	s_cmp_lg_u32 s4, 0
	s_clause 0x1
	s_load_b64 s[2:3], s[0:1], 0x18
	s_load_b64 s[12:13], s[0:1], 0x30
	s_cselect_b32 s1, -1, 0
	v_rcp_iflag_f32_e32 v0, v0
	v_xor_b32_e32 v4, 16, v1
	s_add_i32 s14, s4, -8
	s_add_i32 s15, s7, -1
	s_cmp_lg_u64 s[10:11], 0
	s_mul_i32 s16, s16, s17
	v_cmp_gt_i32_e32 vcc_lo, 32, v4
	v_mov_b32_e32 v50, 0
	s_cselect_b32 s18, -1, 0
	s_sub_i32 s0, 0, s8
	s_abs_i32 s17, s9
	v_cndmask_b32_e32 v1, v1, v4, vcc_lo
	s_waitcnt_depctr 0xfff
	v_mul_f32_e32 v0, 0x4f7ffffe, v0
	s_lshl_b32 s9, s16, 2
	s_sub_i32 s16, 1, s17
	s_cmp_lt_u32 s17, 2
	v_lshlrev_b32_e32 v61, 2, v1
	v_cvt_u32_f32_e32 v0, v0
	s_cselect_b32 s16, s16, 1
	v_lshlrev_b32_e32 v60, 4, v2
	s_sub_i32 s19, s16, s17
	s_cmp_ge_u32 s16, s17
	v_mul_lo_u32 v3, s0, v0
	v_cmp_eq_u32_e64 s0, 63, v2
	s_cselect_b32 s17, s19, s16
	s_mov_b32 s16, 0
	s_mul_i32 s17, s17, s8
	s_delay_alu instid0(VALU_DEP_2) | instskip(NEXT) | instid1(VALU_DEP_1)
	v_mul_hi_u32 v3, v0, v3
	v_add_nc_u32_e32 v62, v0, v3
	s_branch .LBB215_8
.LBB215_6:                              ;   in Loop: Header=BB215_8 Depth=1
	s_or_b32 exec_lo, exec_lo, s20
	v_add_nc_u32_e32 v49, 3, v49
	s_delay_alu instid0(VALU_DEP_1) | instskip(NEXT) | instid1(VALU_DEP_1)
	v_lshlrev_b64 v[1:2], 1, v[49:50]
	v_add_co_u32 v1, vcc_lo, s12, v1
	s_delay_alu instid0(VALU_DEP_2)
	v_add_co_ci_u32_e32 v2, vcc_lo, s13, v2, vcc_lo
	global_store_d16_hi_b16 v[1:2], v0, off
.LBB215_7:                              ;   in Loop: Header=BB215_8 Depth=1
	s_or_b32 exec_lo, exec_lo, s19
	v_add_nc_u32_e32 v48, s9, v48
	s_delay_alu instid0(VALU_DEP_1) | instskip(SKIP_1) | instid1(SALU_CYCLE_1)
	v_cmp_le_u32_e32 vcc_lo, s7, v48
	s_or_b32 s16, vcc_lo, s16
	s_and_not1_b32 exec_lo, exec_lo, s16
	s_cbranch_execz .LBB215_50
.LBB215_8:                              ; =>This Loop Header: Depth=1
                                        ;     Child Loop BB215_12 Depth 2
	v_mov_b32_e32 v64, v50
	v_mov_b32_e32 v65, v50
	;; [unrolled: 1-line block ×8, first 2 shown]
	s_and_not1_b32 vcc_lo, exec_lo, s1
	s_cbranch_vccnz .LBB215_15
; %bb.9:                                ;   in Loop: Header=BB215_8 Depth=1
	v_or_b32_e32 v0, 1, v48
	s_waitcnt lgkmcnt(0)
	v_or_b32_e32 v1, 2, v48
	v_or_b32_e32 v2, 3, v48
	v_min_u32_e32 v3, s15, v48
	v_dual_mov_b32 v5, v50 :: v_dual_mov_b32 v66, 0
	v_min_u32_e32 v0, s15, v0
	v_min_u32_e32 v1, s15, v1
	;; [unrolled: 1-line block ×3, first 2 shown]
	v_mul_lo_u32 v49, v3, s5
	v_dual_mov_b32 v3, v50 :: v_dual_mov_b32 v70, 0
	v_mul_lo_u32 v0, v0, s5
	v_mul_lo_u32 v2, v1, s5
	;; [unrolled: 1-line block ×3, first 2 shown]
	v_dual_mov_b32 v1, v50 :: v_dual_mov_b32 v68, 0
	v_lshlrev_b64 v[51:52], 1, v[49:50]
	v_dual_mov_b32 v71, 0 :: v_dual_mov_b32 v64, 0
	s_delay_alu instid0(VALU_DEP_3)
	v_lshlrev_b64 v[53:54], 1, v[0:1]
	v_lshlrev_b64 v[55:56], 1, v[2:3]
	;; [unrolled: 1-line block ×3, first 2 shown]
	v_mov_b32_e32 v63, v60
	v_mov_b32_e32 v69, 0
	v_mov_b32_e32 v67, 0
	v_mov_b32_e32 v65, 0
	s_mov_b32 s19, 0
	s_branch .LBB215_12
.LBB215_10:                             ;   in Loop: Header=BB215_12 Depth=2
	s_or_b32 exec_lo, exec_lo, s21
.LBB215_11:                             ;   in Loop: Header=BB215_12 Depth=2
	s_delay_alu instid0(SALU_CYCLE_1)
	s_or_b32 exec_lo, exec_lo, s20
	s_waitcnt vmcnt(7)
	v_and_b32_e32 v72, 0xffff0000, v40
	s_waitcnt lgkmcnt(1)
	v_and_b32_e32 v73, 0xffff0000, v45
	v_and_b32_e32 v74, 0xffff0000, v41
	;; [unrolled: 1-line block ×5, first 2 shown]
	v_lshlrev_b32_e32 v42, 16, v42
	v_mul_f32_e32 v76, v73, v74
	v_and_b32_e32 v77, 0xffff0000, v46
	v_lshlrev_b32_e32 v44, 16, v44
	v_and_b32_e32 v79, 0xffff0000, v47
	v_dual_mul_f32 v75, v49, v72 :: v_dual_lshlrev_b32 v46, 16, v46
	v_lshlrev_b32_e32 v41, 16, v41
	v_lshlrev_b32_e32 v43, 16, v43
	s_delay_alu instid0(VALU_DEP_4)
	v_mul_f32_e32 v81, v79, v80
	v_lshlrev_b32_e32 v40, 16, v40
	v_lshlrev_b32_e32 v47, 16, v47
	s_addk_i32 s19, 0x400
	s_waitcnt vmcnt(6)
	v_and_b32_e32 v88, 0xffff0000, v39
	s_cmp_ge_u32 s19, s4
	v_fmac_f32_e32 v75, v44, v40
	s_waitcnt vmcnt(4)
	v_dual_fmac_f32 v81, v47, v43 :: v_dual_and_b32 v90, 0xffff0000, v30
	v_lshlrev_b32_e32 v30, 16, v30
	v_add_nc_u32_e32 v63, 0x800, v63
	v_add_f32_e32 v71, v71, v75
	v_mul_f32_e32 v75, v77, v78
	v_lshlrev_b32_e32 v45, 16, v45
	v_and_b32_e32 v87, 0xffff0000, v34
	v_lshlrev_b32_e32 v34, 16, v34
	s_delay_alu instid0(VALU_DEP_3) | instskip(NEXT) | instid1(VALU_DEP_1)
	v_dual_fmac_f32 v75, v46, v42 :: v_dual_fmac_f32 v76, v45, v41
	v_add_f32_e32 v71, v71, v76
	s_delay_alu instid0(VALU_DEP_1) | instskip(NEXT) | instid1(VALU_DEP_1)
	v_dual_add_f32 v71, v71, v75 :: v_dual_and_b32 v76, 0xffff0000, v36
	v_dual_mul_f32 v82, v49, v76 :: v_dual_add_f32 v71, v71, v81
	v_and_b32_e32 v81, 0xffff0000, v32
	v_lshlrev_b32_e32 v32, 16, v32
	s_delay_alu instid0(VALU_DEP_2) | instskip(NEXT) | instid1(VALU_DEP_1)
	v_mul_f32_e32 v84, v49, v81
	v_dual_fmac_f32 v84, v44, v32 :: v_dual_and_b32 v83, 0xffff0000, v37
	v_mul_f32_e32 v89, v79, v88
	s_delay_alu instid0(VALU_DEP_2) | instskip(SKIP_1) | instid1(VALU_DEP_4)
	v_add_f32_e32 v68, v68, v84
	v_mul_f32_e32 v84, v77, v87
	v_dual_mul_f32 v75, v73, v83 :: v_dual_lshlrev_b32 v36, 16, v36
	s_delay_alu instid0(VALU_DEP_2) | instskip(NEXT) | instid1(VALU_DEP_2)
	v_dual_fmac_f32 v84, v46, v34 :: v_dual_lshlrev_b32 v37, 16, v37
	v_dual_fmac_f32 v82, v44, v36 :: v_dual_and_b32 v85, 0xffff0000, v33
	s_delay_alu instid0(VALU_DEP_2) | instskip(SKIP_1) | instid1(VALU_DEP_3)
	v_fmac_f32_e32 v75, v45, v37
	v_lshlrev_b32_e32 v33, 16, v33
	v_add_f32_e32 v69, v69, v82
	v_and_b32_e32 v82, 0xffff0000, v38
	s_delay_alu instid0(VALU_DEP_2) | instskip(SKIP_1) | instid1(VALU_DEP_3)
	v_dual_add_f32 v69, v69, v75 :: v_dual_lshlrev_b32 v38, 16, v38
	v_mul_f32_e32 v75, v73, v85
	v_mul_f32_e32 v86, v77, v82
	s_delay_alu instid0(VALU_DEP_1) | instskip(NEXT) | instid1(VALU_DEP_1)
	v_dual_fmac_f32 v75, v45, v33 :: v_dual_fmac_f32 v86, v46, v38
	v_dual_add_f32 v68, v68, v75 :: v_dual_and_b32 v75, 0xffff0000, v28
	s_delay_alu instid0(VALU_DEP_2) | instskip(NEXT) | instid1(VALU_DEP_2)
	v_dual_add_f32 v69, v69, v86 :: v_dual_lshlrev_b32 v28, 16, v28
	v_add_f32_e32 v68, v68, v84
	s_delay_alu instid0(VALU_DEP_3) | instskip(NEXT) | instid1(VALU_DEP_1)
	v_dual_mul_f32 v49, v49, v75 :: v_dual_and_b32 v84, 0xffff0000, v29
	v_dual_fmac_f32 v49, v44, v28 :: v_dual_and_b32 v86, 0xffff0000, v35
	s_delay_alu instid0(VALU_DEP_1) | instskip(SKIP_1) | instid1(VALU_DEP_2)
	v_dual_mul_f32 v44, v73, v84 :: v_dual_mul_f32 v73, v79, v86
	s_waitcnt lgkmcnt(0)
	v_dual_add_f32 v49, v70, v49 :: v_dual_and_b32 v70, 0xffff0000, v24
	v_lshlrev_b32_e32 v39, 16, v39
	v_lshlrev_b32_e32 v24, 16, v24
	s_delay_alu instid0(VALU_DEP_3) | instskip(NEXT) | instid1(VALU_DEP_1)
	v_dual_mul_f32 v72, v70, v72 :: v_dual_lshlrev_b32 v29, 16, v29
	v_dual_fmac_f32 v89, v47, v39 :: v_dual_fmac_f32 v72, v24, v40
	s_delay_alu instid0(VALU_DEP_2) | instskip(SKIP_1) | instid1(VALU_DEP_3)
	v_dual_fmac_f32 v44, v45, v29 :: v_dual_lshlrev_b32 v35, 16, v35
	v_mul_f32_e32 v45, v77, v90
	v_add_f32_e32 v67, v67, v72
	s_delay_alu instid0(VALU_DEP_3) | instskip(SKIP_1) | instid1(VALU_DEP_2)
	v_dual_add_f32 v44, v49, v44 :: v_dual_and_b32 v49, 0xffff0000, v25
	v_lshlrev_b32_e32 v25, 16, v25
	v_dual_fmac_f32 v73, v47, v35 :: v_dual_mul_f32 v40, v49, v74
	v_fmac_f32_e32 v45, v46, v30
	v_and_b32_e32 v74, 0xffff0000, v26
	v_and_b32_e32 v46, 0xffff0000, v31
	v_lshlrev_b32_e32 v26, 16, v26
	v_dual_fmac_f32 v40, v25, v41 :: v_dual_lshlrev_b32 v31, 16, v31
	s_delay_alu instid0(VALU_DEP_4) | instskip(NEXT) | instid1(VALU_DEP_1)
	v_dual_add_f32 v44, v44, v45 :: v_dual_mul_f32 v41, v74, v78
	v_dual_add_f32 v40, v67, v40 :: v_dual_fmac_f32 v41, v26, v42
	v_dual_mul_f32 v77, v79, v46 :: v_dual_mul_f32 v42, v70, v76
	s_delay_alu instid0(VALU_DEP_1) | instskip(NEXT) | instid1(VALU_DEP_2)
	v_dual_add_f32 v40, v40, v41 :: v_dual_fmac_f32 v77, v47, v31
	v_fmac_f32_e32 v42, v24, v36
	v_mul_f32_e32 v36, v49, v83
	v_and_b32_e32 v41, 0xffff0000, v27
	v_add_f32_e32 v45, v69, v89
	s_delay_alu instid0(VALU_DEP_4) | instskip(NEXT) | instid1(VALU_DEP_4)
	v_dual_add_f32 v42, v66, v42 :: v_dual_lshlrev_b32 v27, 16, v27
	v_fmac_f32_e32 v36, v25, v37
	s_delay_alu instid0(VALU_DEP_4) | instskip(SKIP_2) | instid1(VALU_DEP_2)
	v_dual_add_f32 v47, v68, v73 :: v_dual_mul_f32 v66, v41, v80
	v_mul_f32_e32 v67, v70, v81
	v_add_f32_e32 v44, v44, v77
	v_dual_fmac_f32 v67, v24, v32 :: v_dual_mul_f32 v32, v49, v85
	s_delay_alu instid0(VALU_DEP_4) | instskip(SKIP_2) | instid1(VALU_DEP_4)
	v_fmac_f32_e32 v66, v27, v43
	v_add_f32_e32 v36, v42, v36
	v_mul_f32_e32 v42, v41, v88
	v_dual_fmac_f32 v32, v25, v33 :: v_dual_mul_f32 v37, v74, v82
	s_delay_alu instid0(VALU_DEP_2) | instskip(SKIP_2) | instid1(VALU_DEP_4)
	v_fmac_f32_e32 v42, v27, v39
	v_and_b32_e32 v39, 0xffff0000, v23
	v_lshlrev_b32_e32 v23, 16, v23
	v_dual_fmac_f32 v37, v26, v38 :: v_dual_add_f32 v38, v65, v67
	v_mul_f32_e32 v33, v74, v87
	s_waitcnt vmcnt(0)
	v_and_b32_e32 v65, 0xffff0000, v4
	v_and_b32_e32 v67, 0xffff0000, v5
	v_dual_add_f32 v36, v36, v37 :: v_dual_mul_f32 v37, v70, v75
	v_add_f32_e32 v32, v38, v32
	v_fmac_f32_e32 v33, v26, v34
	v_dual_mul_f32 v34, v41, v86 :: v_dual_lshlrev_b32 v5, 16, v5
	s_delay_alu instid0(VALU_DEP_4) | instskip(SKIP_1) | instid1(VALU_DEP_1)
	v_fmac_f32_e32 v37, v24, v28
	v_dual_mul_f32 v24, v49, v84 :: v_dual_and_b32 v49, 0xffff0000, v15
	v_dual_fmac_f32 v24, v25, v29 :: v_dual_lshlrev_b32 v15, 16, v15
	v_add_f32_e32 v29, v36, v42
	v_dual_add_f32 v28, v32, v33 :: v_dual_mul_f32 v33, v74, v90
	v_dual_fmac_f32 v34, v27, v35 :: v_dual_and_b32 v35, 0xffff0000, v17
	v_add_f32_e32 v32, v64, v37
	s_delay_alu instid0(VALU_DEP_3) | instskip(SKIP_1) | instid1(VALU_DEP_4)
	v_dual_fmac_f32 v33, v26, v30 :: v_dual_and_b32 v42, 0xffff0000, v19
	v_mul_f32_e32 v26, v41, v46
	v_dual_add_f32 v28, v28, v34 :: v_dual_lshlrev_b32 v17, 16, v17
	s_delay_alu instid0(VALU_DEP_3) | instskip(SKIP_1) | instid1(VALU_DEP_4)
	v_mul_f32_e32 v46, v39, v42
	v_mul_f32_e32 v64, v39, v49
	v_dual_fmac_f32 v26, v27, v31 :: v_dual_and_b32 v31, 0xffff0000, v18
	v_add_f32_e32 v24, v32, v24
	v_and_b32_e32 v34, 0xffff0000, v16
	s_delay_alu instid0(VALU_DEP_4) | instskip(SKIP_1) | instid1(VALU_DEP_4)
	v_fmac_f32_e32 v64, v23, v15
	v_lshlrev_b32_e32 v18, 16, v18
	v_dual_add_f32 v24, v24, v33 :: v_dual_lshlrev_b32 v19, 16, v19
	v_and_b32_e32 v33, 0xffff0000, v21
	v_lshlrev_b32_e32 v21, 16, v21
	v_and_b32_e32 v41, 0xffff0000, v14
	v_lshlrev_b32_e32 v16, 16, v16
	s_delay_alu instid0(VALU_DEP_4) | instskip(SKIP_2) | instid1(VALU_DEP_3)
	v_dual_add_f32 v24, v24, v26 :: v_dual_mul_f32 v27, v33, v35
	v_and_b32_e32 v32, 0xffff0000, v20
	v_dual_add_f32 v25, v40, v66 :: v_dual_lshlrev_b32 v20, 16, v20
	v_dual_fmac_f32 v27, v21, v17 :: v_dual_lshlrev_b32 v14, 16, v14
	s_delay_alu instid0(VALU_DEP_3) | instskip(SKIP_2) | instid1(VALU_DEP_3)
	v_mul_f32_e32 v30, v32, v34
	v_fmac_f32_e32 v46, v23, v19
	v_lshlrev_b32_e32 v4, 16, v4
	v_fmac_f32_e32 v30, v20, v16
	s_delay_alu instid0(VALU_DEP_1) | instskip(SKIP_2) | instid1(VALU_DEP_3)
	v_add_f32_e32 v26, v71, v30
	v_and_b32_e32 v30, 0xffff0000, v22
	v_lshlrev_b32_e32 v22, 16, v22
	v_dual_add_f32 v26, v26, v27 :: v_dual_and_b32 v27, 0xffff0000, v13
	v_lshlrev_b32_e32 v13, 16, v13
	s_delay_alu instid0(VALU_DEP_4) | instskip(NEXT) | instid1(VALU_DEP_1)
	v_mul_f32_e32 v37, v30, v31
	v_dual_mul_f32 v40, v33, v27 :: v_dual_fmac_f32 v37, v22, v18
	s_delay_alu instid0(VALU_DEP_1) | instskip(SKIP_2) | instid1(VALU_DEP_4)
	v_fmac_f32_e32 v40, v21, v13
	v_dual_mul_f32 v43, v30, v41 :: v_dual_and_b32 v36, 0xffff0000, v12
	v_lshlrev_b32_e32 v12, 16, v12
	v_add_f32_e32 v26, v26, v37
	v_and_b32_e32 v37, 0xffff0000, v9
	s_delay_alu instid0(VALU_DEP_4) | instskip(NEXT) | instid1(VALU_DEP_1)
	v_dual_fmac_f32 v43, v22, v14 :: v_dual_mul_f32 v38, v32, v36
	v_dual_fmac_f32 v38, v20, v12 :: v_dual_lshlrev_b32 v9, 16, v9
	s_delay_alu instid0(VALU_DEP_1) | instskip(SKIP_1) | instid1(VALU_DEP_2)
	v_dual_add_f32 v38, v45, v38 :: v_dual_and_b32 v45, 0xffff0000, v8
	v_lshlrev_b32_e32 v8, 16, v8
	v_add_f32_e32 v38, v38, v40
	s_delay_alu instid0(VALU_DEP_3) | instskip(SKIP_1) | instid1(VALU_DEP_3)
	v_mul_f32_e32 v40, v32, v45
	v_mul_f32_e32 v32, v32, v65
	v_add_f32_e32 v38, v38, v43
	s_delay_alu instid0(VALU_DEP_3) | instskip(NEXT) | instid1(VALU_DEP_3)
	v_dual_fmac_f32 v40, v20, v8 :: v_dual_mul_f32 v43, v33, v37
	v_fmac_f32_e32 v32, v20, v4
	s_delay_alu instid0(VALU_DEP_3) | instskip(NEXT) | instid1(VALU_DEP_3)
	v_dual_mul_f32 v20, v33, v67 :: v_dual_add_f32 v69, v38, v64
	v_dual_add_f32 v40, v47, v40 :: v_dual_fmac_f32 v43, v21, v9
	s_delay_alu instid0(VALU_DEP_3) | instskip(NEXT) | instid1(VALU_DEP_3)
	v_dual_add_f32 v32, v44, v32 :: v_dual_and_b32 v47, 0xffff0000, v10
	v_dual_fmac_f32 v20, v21, v5 :: v_dual_and_b32 v21, 0xffff0000, v0
	s_delay_alu instid0(VALU_DEP_3)
	v_add_f32_e32 v40, v40, v43
	v_and_b32_e32 v43, 0xffff0000, v11
	v_add_f32_e32 v71, v26, v46
	v_and_b32_e32 v26, 0xffff0000, v6
	v_lshlrev_b32_e32 v10, 16, v10
	v_mul_f32_e32 v66, v30, v47
	v_dual_add_f32 v20, v32, v20 :: v_dual_lshlrev_b32 v11, 16, v11
	v_mul_f32_e32 v32, v21, v34
	v_lshlrev_b32_e32 v6, 16, v6
	v_mul_f32_e32 v30, v30, v26
	v_and_b32_e32 v34, 0xffff0000, v7
	v_mul_f32_e32 v68, v39, v43
	v_lshlrev_b32_e32 v0, 16, v0
	v_fmac_f32_e32 v66, v22, v10
	v_dual_fmac_f32 v30, v22, v6 :: v_dual_lshlrev_b32 v7, 16, v7
	v_mul_f32_e32 v22, v39, v34
	v_fmac_f32_e32 v68, v23, v11
	v_fmac_f32_e32 v32, v0, v16
	s_delay_alu instid0(VALU_DEP_3) | instskip(SKIP_1) | instid1(VALU_DEP_3)
	v_dual_fmac_f32 v22, v23, v7 :: v_dual_and_b32 v23, 0xffff0000, v2
	v_add_f32_e32 v33, v40, v66
	v_dual_add_f32 v25, v25, v32 :: v_dual_lshlrev_b32 v2, 16, v2
	s_delay_alu instid0(VALU_DEP_2) | instskip(NEXT) | instid1(VALU_DEP_1)
	v_dual_add_f32 v68, v33, v68 :: v_dual_and_b32 v33, 0xffff0000, v1
	v_dual_mul_f32 v16, v33, v35 :: v_dual_lshlrev_b32 v1, 16, v1
	s_delay_alu instid0(VALU_DEP_1) | instskip(SKIP_1) | instid1(VALU_DEP_2)
	v_fmac_f32_e32 v16, v1, v17
	v_mul_f32_e32 v17, v21, v36
	v_add_f32_e32 v16, v25, v16
	s_delay_alu instid0(VALU_DEP_2) | instskip(SKIP_3) | instid1(VALU_DEP_4)
	v_dual_fmac_f32 v17, v0, v12 :: v_dual_mul_f32 v12, v33, v27
	v_mul_f32_e32 v25, v23, v31
	v_and_b32_e32 v27, 0xffff0000, v3
	v_lshlrev_b32_e32 v3, 16, v3
	v_add_f32_e32 v17, v29, v17
	v_fmac_f32_e32 v12, v1, v13
	v_mul_f32_e32 v13, v23, v41
	v_fmac_f32_e32 v25, v2, v18
	v_mul_f32_e32 v18, v27, v42
	s_delay_alu instid0(VALU_DEP_3)
	v_dual_add_f32 v12, v17, v12 :: v_dual_fmac_f32 v13, v2, v14
	v_mul_f32_e32 v14, v21, v45
	v_mul_f32_e32 v17, v21, v65
	v_add_f32_e32 v16, v16, v25
	v_fmac_f32_e32 v18, v3, v19
	v_add_f32_e32 v12, v12, v13
	v_dual_mul_f32 v13, v27, v49 :: v_dual_fmac_f32 v14, v0, v8
	s_delay_alu instid0(VALU_DEP_1) | instskip(NEXT) | instid1(VALU_DEP_1)
	v_dual_mul_f32 v8, v33, v37 :: v_dual_fmac_f32 v13, v3, v15
	v_dual_fmac_f32 v8, v1, v9 :: v_dual_mul_f32 v9, v23, v47
	s_delay_alu instid0(VALU_DEP_1) | instskip(SKIP_3) | instid1(VALU_DEP_3)
	v_dual_add_f32 v66, v12, v13 :: v_dual_fmac_f32 v9, v2, v10
	v_dual_fmac_f32 v17, v0, v4 :: v_dual_mul_f32 v0, v33, v67
	v_add_f32_e32 v4, v28, v14
	v_add_f32_e32 v67, v16, v18
	;; [unrolled: 1-line block ×3, first 2 shown]
	s_delay_alu instid0(VALU_DEP_4) | instskip(NEXT) | instid1(VALU_DEP_4)
	v_dual_fmac_f32 v0, v1, v5 :: v_dual_mul_f32 v5, v27, v43
	v_dual_mul_f32 v1, v23, v26 :: v_dual_add_f32 v4, v4, v8
	v_add_f32_e32 v20, v20, v30
	s_delay_alu instid0(VALU_DEP_3) | instskip(NEXT) | instid1(VALU_DEP_3)
	v_dual_add_f32 v0, v14, v0 :: v_dual_fmac_f32 v5, v3, v11
	v_fmac_f32_e32 v1, v2, v6
	v_mul_f32_e32 v2, v27, v34
	v_add_f32_e32 v4, v4, v9
	v_add_f32_e32 v70, v20, v22
	s_delay_alu instid0(VALU_DEP_4) | instskip(NEXT) | instid1(VALU_DEP_3)
	v_add_f32_e32 v0, v0, v1
	v_dual_fmac_f32 v2, v3, v7 :: v_dual_add_f32 v65, v4, v5
	s_delay_alu instid0(VALU_DEP_1)
	v_add_f32_e32 v64, v0, v2
	s_cbranch_scc1 .LBB215_15
.LBB215_12:                             ;   Parent Loop BB215_8 Depth=1
                                        ; =>  This Inner Loop Header: Depth=2
	v_add_nc_u32_e32 v22, s19, v59
	v_dual_mov_b32 v26, 0 :: v_dual_mov_b32 v47, 0
	v_dual_mov_b32 v24, 0 :: v_dual_mov_b32 v45, 0
	s_delay_alu instid0(VALU_DEP_3) | instskip(SKIP_3) | instid1(VALU_DEP_4)
	v_min_u32_e32 v49, s14, v22
	v_add_nc_u32_e32 v72, 0x200, v22
	v_mov_b32_e32 v46, 0
	v_dual_mov_b32 v44, 0 :: v_dual_mov_b32 v23, 0
	v_lshlrev_b64 v[0:1], 1, v[49:50]
	s_delay_alu instid0(VALU_DEP_4) | instskip(SKIP_3) | instid1(VALU_DEP_4)
	v_min_u32_e32 v49, s14, v72
	v_mov_b32_e32 v25, 0
	v_mov_b32_e32 v27, 0
	s_waitcnt lgkmcnt(0)
	v_add_co_u32 v8, vcc_lo, s2, v0
	v_add_co_ci_u32_e32 v9, vcc_lo, s3, v1, vcc_lo
	v_lshlrev_b64 v[0:1], 1, v[49:50]
	s_delay_alu instid0(VALU_DEP_3) | instskip(NEXT) | instid1(VALU_DEP_3)
	v_add_co_u32 v2, vcc_lo, v8, v51
	v_add_co_ci_u32_e32 v3, vcc_lo, v9, v52, vcc_lo
	v_add_co_u32 v4, vcc_lo, v8, v53
	v_add_co_ci_u32_e32 v5, vcc_lo, v9, v54, vcc_lo
	v_add_co_u32 v6, vcc_lo, v8, v55
	v_add_co_ci_u32_e32 v7, vcc_lo, v9, v56, vcc_lo
	v_add_co_u32 v10, vcc_lo, s2, v0
	v_add_co_ci_u32_e32 v11, vcc_lo, s3, v1, vcc_lo
	v_add_co_u32 v0, vcc_lo, v8, v57
	v_add_co_ci_u32_e32 v1, vcc_lo, v9, v58, vcc_lo
	s_clause 0x1
	global_load_b128 v[40:43], v[2:3], off slc dlc
	global_load_b128 v[36:39], v[4:5], off slc dlc
	v_add_co_u32 v2, vcc_lo, v10, v51
	v_add_co_ci_u32_e32 v3, vcc_lo, v11, v52, vcc_lo
	v_add_co_u32 v4, vcc_lo, v10, v53
	v_add_co_ci_u32_e32 v5, vcc_lo, v11, v54, vcc_lo
	v_add_co_u32 v8, vcc_lo, v10, v55
	v_add_co_ci_u32_e32 v9, vcc_lo, v11, v56, vcc_lo
	v_add_co_u32 v20, vcc_lo, v10, v57
	v_add_co_ci_u32_e32 v21, vcc_lo, v11, v58, vcc_lo
	s_clause 0x5
	global_load_b128 v[32:35], v[6:7], off slc dlc
	global_load_b128 v[28:31], v[0:1], off slc dlc
	;; [unrolled: 1-line block ×6, first 2 shown]
	v_mov_b32_e32 v1, 0
	v_mov_b32_e32 v3, 0
	v_cmp_gt_u32_e32 vcc_lo, s4, v22
	v_mov_b32_e32 v2, 0
	v_dual_mov_b32 v0, 0 :: v_dual_mov_b32 v21, 0
	v_mov_b32_e32 v22, 0
	v_mov_b32_e32 v20, 0
	s_and_saveexec_b32 s20, vcc_lo
	s_cbranch_execz .LBB215_11
; %bb.13:                               ;   in Loop: Header=BB215_12 Depth=2
	v_dual_mov_b32 v20, 0 :: v_dual_add_nc_u32 v49, s6, v63
	v_dual_mov_b32 v21, 0 :: v_dual_mov_b32 v22, 0
	ds_load_b128 v[44:47], v63
	ds_load_b128 v[24:27], v49
	v_dual_mov_b32 v23, 0 :: v_dual_mov_b32 v0, 0
	v_dual_mov_b32 v1, 0 :: v_dual_mov_b32 v2, 0
	v_mov_b32_e32 v3, 0
	s_mov_b32 s21, exec_lo
	v_cmpx_gt_u32_e64 s4, v72
	s_cbranch_execz .LBB215_10
; %bb.14:                               ;   in Loop: Header=BB215_12 Depth=2
	ds_load_b128 v[20:23], v63 offset:1024
	ds_load_b128 v[0:3], v49 offset:1024
	s_branch .LBB215_10
.LBB215_15:                             ;   in Loop: Header=BB215_8 Depth=1
	; sched_barrier mask(0x00000000)
	s_delay_alu instid0(VALU_DEP_1)
	v_cvt_i32_f32_e32 v0, v71
	s_waitcnt lgkmcnt(0)
	v_cvt_i32_f32_e32 v1, v69
	v_cvt_i32_f32_e32 v2, v68
	;; [unrolled: 1-line block ×4, first 2 shown]
	v_cvt_f32_i32_dpp v0, v0 row_shr:8 row_mask:0xf bank_mask:0xf bound_ctrl:1
	v_cvt_f32_i32_dpp v1, v1 row_shr:8 row_mask:0xf bank_mask:0xf bound_ctrl:1
	;; [unrolled: 1-line block ×4, first 2 shown]
	v_cvt_i32_f32_e32 v3, v70
	s_delay_alu instid0(VALU_DEP_4) | instskip(SKIP_2) | instid1(VALU_DEP_4)
	v_dual_add_f32 v0, v71, v0 :: v_dual_add_f32 v1, v69, v1
	v_cvt_i32_f32_e32 v4, v67
	v_cvt_i32_f32_e32 v6, v65
	v_cvt_f32_i32_dpp v3, v3 row_shr:8 row_mask:0xf bank_mask:0xf bound_ctrl:1
	s_delay_alu instid0(VALU_DEP_4)
	v_cvt_i32_f32_e32 v7, v0
	v_cvt_i32_f32_e32 v8, v1
	v_cvt_f32_i32_dpp v4, v4 row_shr:8 row_mask:0xf bank_mask:0xf bound_ctrl:1
	v_cvt_f32_i32_dpp v6, v6 row_shr:8 row_mask:0xf bank_mask:0xf bound_ctrl:1
	v_add_f32_e32 v3, v70, v3
	v_cvt_f32_i32_dpp v7, v7 row_shr:4 row_mask:0xf bank_mask:0xf bound_ctrl:1
	v_cvt_f32_i32_dpp v8, v8 row_shr:4 row_mask:0xf bank_mask:0xf bound_ctrl:1
	v_add_f32_e32 v4, v67, v4
	v_dual_add_f32 v2, v68, v2 :: v_dual_add_f32 v5, v66, v5
	s_delay_alu instid0(VALU_DEP_3) | instskip(SKIP_1) | instid1(VALU_DEP_3)
	v_dual_add_f32 v0, v0, v7 :: v_dual_add_f32 v1, v1, v8
	v_cvt_f32_i32_dpp v7, v10 row_shr:8 row_mask:0xf bank_mask:0xf bound_ctrl:1
	v_cvt_i32_f32_e32 v9, v2
	v_cvt_i32_f32_e32 v12, v4
	s_delay_alu instid0(VALU_DEP_4) | instskip(SKIP_3) | instid1(VALU_DEP_4)
	v_cvt_i32_f32_e32 v8, v0
	v_cvt_i32_f32_e32 v14, v5
	v_add_f32_e32 v7, v64, v7
	v_cvt_f32_i32_dpp v9, v9 row_shr:4 row_mask:0xf bank_mask:0xf bound_ctrl:1
	v_cvt_f32_i32_dpp v8, v8 row_shr:2 row_mask:0xf bank_mask:0xf bound_ctrl:1
	s_delay_alu instid0(VALU_DEP_3) | instskip(NEXT) | instid1(VALU_DEP_3)
	v_cvt_i32_f32_e32 v18, v7
	v_add_f32_e32 v2, v2, v9
	v_cvt_i32_f32_e32 v9, v1
	s_delay_alu instid0(VALU_DEP_2) | instskip(NEXT) | instid1(VALU_DEP_2)
	v_cvt_i32_f32_e32 v10, v2
	v_cvt_f32_i32_dpp v9, v9 row_shr:2 row_mask:0xf bank_mask:0xf bound_ctrl:1
	v_add_f32_e32 v0, v0, v8
	v_cvt_i32_f32_e32 v8, v3
	s_delay_alu instid0(VALU_DEP_4) | instskip(NEXT) | instid1(VALU_DEP_4)
	v_cvt_f32_i32_dpp v10, v10 row_shr:2 row_mask:0xf bank_mask:0xf bound_ctrl:1
	v_add_f32_e32 v1, v1, v9
	s_delay_alu instid0(VALU_DEP_4) | instskip(NEXT) | instid1(VALU_DEP_3)
	v_cvt_i32_f32_e32 v9, v0
	v_add_f32_e32 v2, v2, v10
	s_delay_alu instid0(VALU_DEP_3) | instskip(NEXT) | instid1(VALU_DEP_3)
	v_cvt_i32_f32_e32 v10, v1
	v_cvt_f32_i32_dpp v9, v9 row_shr:1 row_mask:0xf bank_mask:0xf bound_ctrl:1
	s_delay_alu instid0(VALU_DEP_3) | instskip(NEXT) | instid1(VALU_DEP_3)
	v_cvt_i32_f32_e32 v11, v2
	v_cvt_f32_i32_dpp v10, v10 row_shr:1 row_mask:0xf bank_mask:0xf bound_ctrl:1
	s_delay_alu instid0(VALU_DEP_3) | instskip(SKIP_1) | instid1(VALU_DEP_4)
	v_add_f32_e32 v16, v0, v9
	v_cvt_f32_i32_dpp v9, v14 row_shr:4 row_mask:0xf bank_mask:0xf bound_ctrl:1
	v_cvt_f32_i32_dpp v11, v11 row_shr:1 row_mask:0xf bank_mask:0xf bound_ctrl:1
	s_delay_alu instid0(VALU_DEP_4) | instskip(NEXT) | instid1(VALU_DEP_2)
	v_add_f32_e32 v0, v1, v10
	v_add_f32_e32 v10, v2, v11
	v_cvt_f32_i32_dpp v2, v8 row_shr:4 row_mask:0xf bank_mask:0xf bound_ctrl:1
	v_cvt_f32_i32_dpp v8, v12 row_shr:4 row_mask:0xf bank_mask:0xf bound_ctrl:1
	v_add_f32_e32 v6, v65, v6
	v_cvt_f32_i32_dpp v12, v18 row_shr:4 row_mask:0xf bank_mask:0xf bound_ctrl:1
	ds_bpermute_b32 v13, v61, v10
	v_dual_add_f32 v2, v3, v2 :: v_dual_add_f32 v3, v4, v8
	v_cvt_i32_f32_e32 v15, v6
	v_add_f32_e32 v4, v5, v9
	s_delay_alu instid0(VALU_DEP_3) | instskip(NEXT) | instid1(VALU_DEP_3)
	v_cvt_i32_f32_e32 v8, v3
	v_cvt_f32_i32_dpp v11, v15 row_shr:4 row_mask:0xf bank_mask:0xf bound_ctrl:1
	s_delay_alu instid0(VALU_DEP_2) | instskip(NEXT) | instid1(VALU_DEP_2)
	v_cvt_f32_i32_dpp v8, v8 row_shr:2 row_mask:0xf bank_mask:0xf bound_ctrl:1
	v_dual_add_f32 v5, v6, v11 :: v_dual_add_f32 v6, v7, v12
	ds_bpermute_b32 v17, v61, v16
	v_add_f32_e32 v3, v3, v8
	v_cvt_i32_f32_e32 v11, v5
	v_cvt_i32_f32_e32 v12, v6
	s_delay_alu instid0(VALU_DEP_3) | instskip(NEXT) | instid1(VALU_DEP_3)
	v_cvt_i32_f32_e32 v8, v3
	v_cvt_f32_i32_dpp v11, v11 row_shr:2 row_mask:0xf bank_mask:0xf bound_ctrl:1
	s_delay_alu instid0(VALU_DEP_3) | instskip(NEXT) | instid1(VALU_DEP_3)
	v_cvt_f32_i32_dpp v12, v12 row_shr:2 row_mask:0xf bank_mask:0xf bound_ctrl:1
	v_cvt_f32_i32_dpp v8, v8 row_shr:1 row_mask:0xf bank_mask:0xf bound_ctrl:1
	s_delay_alu instid0(VALU_DEP_3) | instskip(SKIP_1) | instid1(VALU_DEP_3)
	v_add_f32_e32 v5, v5, v11
	v_cvt_i32_f32_e32 v7, v2
	v_add_f32_e32 v8, v3, v8
	s_delay_alu instid0(VALU_DEP_3) | instskip(NEXT) | instid1(VALU_DEP_3)
	v_cvt_i32_f32_e32 v11, v5
	v_cvt_f32_i32_dpp v7, v7 row_shr:2 row_mask:0xf bank_mask:0xf bound_ctrl:1
	s_delay_alu instid0(VALU_DEP_2) | instskip(NEXT) | instid1(VALU_DEP_2)
	v_cvt_f32_i32_dpp v14, v11 row_shr:1 row_mask:0xf bank_mask:0xf bound_ctrl:1
	v_add_f32_e32 v2, v2, v7
	v_add_f32_e32 v7, v6, v12
	ds_bpermute_b32 v1, v61, v0
	v_cvt_i32_f32_e32 v6, v2
	v_cvt_i32_f32_e32 v12, v7
	s_delay_alu instid0(VALU_DEP_2) | instskip(NEXT) | instid1(VALU_DEP_2)
	v_cvt_f32_i32_dpp v6, v6 row_shr:1 row_mask:0xf bank_mask:0xf bound_ctrl:1
	v_cvt_f32_i32_dpp v12, v12 row_shr:1 row_mask:0xf bank_mask:0xf bound_ctrl:1
	s_delay_alu instid0(VALU_DEP_2) | instskip(SKIP_1) | instid1(VALU_DEP_3)
	v_add_f32_e32 v11, v2, v6
	v_cvt_i32_f32_e32 v9, v4
	v_add_f32_e32 v2, v7, v12
	s_delay_alu instid0(VALU_DEP_2) | instskip(SKIP_2) | instid1(VALU_DEP_1)
	v_cvt_f32_i32_dpp v9, v9 row_shr:2 row_mask:0xf bank_mask:0xf bound_ctrl:1
	ds_bpermute_b32 v3, v61, v2
	v_add_f32_e32 v4, v4, v9
	v_cvt_i32_f32_e32 v9, v4
	s_delay_alu instid0(VALU_DEP_1) | instskip(NEXT) | instid1(VALU_DEP_1)
	v_cvt_f32_i32_dpp v9, v9 row_shr:1 row_mask:0xf bank_mask:0xf bound_ctrl:1
	v_add_f32_e32 v6, v4, v9
	v_add_f32_e32 v4, v5, v14
	ds_bpermute_b32 v14, v61, v11
	ds_bpermute_b32 v9, v61, v8
	;; [unrolled: 1-line block ×4, first 2 shown]
	s_and_saveexec_b32 s19, s0
	s_cbranch_execz .LBB215_7
; %bb.16:                               ;   in Loop: Header=BB215_8 Depth=1
	v_dual_mov_b32 v23, 0 :: v_dual_mov_b32 v22, 0
	v_dual_mov_b32 v21, 0 :: v_dual_mov_b32 v20, 0
	;; [unrolled: 1-line block ×4, first 2 shown]
	s_and_not1_b32 vcc_lo, exec_lo, s18
	s_cbranch_vccnz .LBB215_18
; %bb.17:                               ;   in Loop: Header=BB215_8 Depth=1
	v_mul_hi_u32 v12, v48, v62
	v_or_b32_e32 v15, 1, v48
	v_or_b32_e32 v18, 2, v48
	;; [unrolled: 1-line block ×3, first 2 shown]
	s_delay_alu instid0(VALU_DEP_3) | instskip(NEXT) | instid1(VALU_DEP_3)
	v_mul_hi_u32 v19, v15, v62
	v_mul_hi_u32 v21, v18, v62
	v_mul_lo_u32 v12, v12, s8
	s_delay_alu instid0(VALU_DEP_4) | instskip(NEXT) | instid1(VALU_DEP_4)
	v_mul_hi_u32 v22, v20, v62
	v_mul_lo_u32 v23, v19, s8
	s_delay_alu instid0(VALU_DEP_4) | instskip(NEXT) | instid1(VALU_DEP_4)
	v_mul_lo_u32 v24, v21, s8
	v_sub_nc_u32_e32 v12, v48, v12
	s_delay_alu instid0(VALU_DEP_4) | instskip(NEXT) | instid1(VALU_DEP_2)
	v_mul_lo_u32 v22, v22, s8
	v_subrev_nc_u32_e32 v25, s8, v12
	v_sub_nc_u32_e32 v15, v15, v23
	v_cmp_le_u32_e32 vcc_lo, s8, v12
	v_mov_b32_e32 v19, v50
	v_sub_nc_u32_e32 v18, v18, v24
	v_sub_nc_u32_e32 v20, v20, v22
	v_subrev_nc_u32_e32 v22, s8, v15
	v_cndmask_b32_e32 v12, v12, v25, vcc_lo
	v_cmp_le_u32_e32 vcc_lo, s8, v15
	v_subrev_nc_u32_e32 v24, s8, v18
	v_subrev_nc_u32_e32 v25, s8, v20
	s_delay_alu instid0(VALU_DEP_4) | instskip(SKIP_4) | instid1(VALU_DEP_4)
	v_subrev_nc_u32_e32 v26, s8, v12
	v_cndmask_b32_e32 v15, v15, v22, vcc_lo
	v_cmp_le_u32_e32 vcc_lo, s8, v18
	v_cndmask_b32_e32 v22, v18, v24, vcc_lo
	v_cmp_le_u32_e32 vcc_lo, s8, v20
	v_subrev_nc_u32_e32 v18, s8, v15
	v_cndmask_b32_e32 v27, v20, v25, vcc_lo
	v_cmp_le_u32_e32 vcc_lo, s8, v12
	v_cndmask_b32_e32 v49, v12, v26, vcc_lo
	v_cmp_le_u32_e32 vcc_lo, s8, v15
	v_mov_b32_e32 v21, v50
	v_subrev_nc_u32_e32 v12, s8, v22
	s_delay_alu instid0(VALU_DEP_4) | instskip(SKIP_2) | instid1(VALU_DEP_4)
	v_lshlrev_b64 v[24:25], 1, v[49:50]
	v_cndmask_b32_e32 v18, v15, v18, vcc_lo
	v_cmp_le_u32_e32 vcc_lo, s8, v22
	v_dual_cndmask_b32 v20, v22, v12 :: v_dual_add_nc_u32 v49, s17, v49
	v_subrev_nc_u32_e32 v26, s8, v27
	v_cmp_le_u32_e32 vcc_lo, s8, v27
	v_mov_b32_e32 v23, v50
	s_delay_alu instid0(VALU_DEP_4)
	v_lshlrev_b64 v[32:33], 1, v[49:50]
	v_lshlrev_b64 v[28:29], 1, v[20:21]
	v_add_nc_u32_e32 v49, s17, v18
	v_cndmask_b32_e32 v22, v27, v26, vcc_lo
	v_lshlrev_b64 v[26:27], 1, v[18:19]
	v_add_co_u32 v24, vcc_lo, s10, v24
	v_add_co_ci_u32_e32 v25, vcc_lo, s11, v25, vcc_lo
	s_delay_alu instid0(VALU_DEP_4) | instskip(NEXT) | instid1(VALU_DEP_4)
	v_lshlrev_b64 v[30:31], 1, v[22:23]
	v_add_co_u32 v26, vcc_lo, s10, v26
	v_add_co_ci_u32_e32 v27, vcc_lo, s11, v27, vcc_lo
	v_add_co_u32 v28, vcc_lo, s10, v28
	v_add_co_ci_u32_e32 v29, vcc_lo, s11, v29, vcc_lo
	;; [unrolled: 2-line block ×3, first 2 shown]
	v_lshlrev_b64 v[30:31], 1, v[49:50]
	v_add_nc_u32_e32 v49, s17, v20
	v_add_co_u32 v32, vcc_lo, s10, v32
	v_add_co_ci_u32_e32 v33, vcc_lo, s11, v33, vcc_lo
	s_delay_alu instid0(VALU_DEP_3) | instskip(SKIP_3) | instid1(VALU_DEP_3)
	v_lshlrev_b64 v[20:21], 1, v[49:50]
	v_add_nc_u32_e32 v49, s17, v22
	v_add_co_u32 v30, vcc_lo, s10, v30
	v_add_co_ci_u32_e32 v31, vcc_lo, s11, v31, vcc_lo
	v_lshlrev_b64 v[22:23], 1, v[49:50]
	v_add_co_u32 v34, vcc_lo, s10, v20
	v_add_co_ci_u32_e32 v35, vcc_lo, s11, v21, vcc_lo
	s_delay_alu instid0(VALU_DEP_3) | instskip(NEXT) | instid1(VALU_DEP_4)
	v_add_co_u32 v36, vcc_lo, s10, v22
	v_add_co_ci_u32_e32 v37, vcc_lo, s11, v23, vcc_lo
	s_clause 0x7
	global_load_u16 v23, v[24:25], off
	global_load_u16 v22, v[26:27], off
	;; [unrolled: 1-line block ×8, first 2 shown]
.LBB215_18:                             ;   in Loop: Header=BB215_8 Depth=1
	s_waitcnt vmcnt(7) lgkmcnt(0)
	v_dual_add_f32 v16, v16, v17 :: v_dual_lshlrev_b32 v17, 16, v23
	s_delay_alu instid0(VALU_DEP_1) | instskip(NEXT) | instid1(VALU_DEP_1)
	v_add_f32_e32 v17, v16, v17
	v_and_b32_e32 v16, 0x7f800000, v17
	s_delay_alu instid0(VALU_DEP_1) | instskip(SKIP_1) | instid1(SALU_CYCLE_1)
	v_cmp_ne_u32_e32 vcc_lo, 0x7f800000, v16
                                        ; implicit-def: $vgpr16
	s_and_saveexec_b32 s20, vcc_lo
	s_xor_b32 s20, exec_lo, s20
; %bb.19:                               ;   in Loop: Header=BB215_8 Depth=1
	v_bfe_u32 v16, v17, 16, 1
	s_delay_alu instid0(VALU_DEP_1)
	v_add3_u32 v16, v17, v16, 0x7fff
                                        ; implicit-def: $vgpr17
; %bb.20:                               ;   in Loop: Header=BB215_8 Depth=1
	s_and_not1_saveexec_b32 s20, s20
; %bb.21:                               ;   in Loop: Header=BB215_8 Depth=1
	v_and_b32_e32 v16, 0xffff, v17
	v_or_b32_e32 v23, 0x10000, v17
	s_delay_alu instid0(VALU_DEP_2) | instskip(NEXT) | instid1(VALU_DEP_2)
	v_cmp_eq_u32_e32 vcc_lo, 0, v16
	v_cndmask_b32_e32 v16, v23, v17, vcc_lo
; %bb.22:                               ;   in Loop: Header=BB215_8 Depth=1
	s_or_b32 exec_lo, exec_lo, s20
	s_waitcnt vmcnt(6)
	v_dual_add_f32 v0, v0, v1 :: v_dual_lshlrev_b32 v1, 16, v22
	s_mov_b32 s20, exec_lo
	s_delay_alu instid0(VALU_DEP_1) | instskip(NEXT) | instid1(VALU_DEP_1)
	v_add_f32_e32 v17, v0, v1
	v_dual_mov_b32 v49, v50 :: v_dual_and_b32 v22, 0x7f800000, v17
	s_delay_alu instid0(VALU_DEP_1) | instskip(NEXT) | instid1(VALU_DEP_1)
	v_lshlrev_b64 v[0:1], 1, v[48:49]
	v_add_co_u32 v0, vcc_lo, s12, v0
	s_delay_alu instid0(VALU_DEP_2)
	v_add_co_ci_u32_e32 v1, vcc_lo, s13, v1, vcc_lo
	global_store_d16_hi_b16 v[0:1], v16, off
                                        ; implicit-def: $vgpr16
	v_cmpx_ne_u32_e32 0x7f800000, v22
	s_xor_b32 s20, exec_lo, s20
; %bb.23:                               ;   in Loop: Header=BB215_8 Depth=1
	v_bfe_u32 v16, v17, 16, 1
	s_delay_alu instid0(VALU_DEP_1)
	v_add3_u32 v16, v17, v16, 0x7fff
                                        ; implicit-def: $vgpr17
; %bb.24:                               ;   in Loop: Header=BB215_8 Depth=1
	s_and_not1_saveexec_b32 s20, s20
; %bb.25:                               ;   in Loop: Header=BB215_8 Depth=1
	v_and_b32_e32 v16, 0xffff, v17
	v_or_b32_e32 v22, 0x10000, v17
	s_delay_alu instid0(VALU_DEP_2) | instskip(NEXT) | instid1(VALU_DEP_2)
	v_cmp_eq_u32_e32 vcc_lo, 0, v16
	v_cndmask_b32_e32 v16, v22, v17, vcc_lo
; %bb.26:                               ;   in Loop: Header=BB215_8 Depth=1
	s_or_b32 exec_lo, exec_lo, s20
	v_add_f32_e32 v10, v10, v13
	s_waitcnt vmcnt(5)
	v_lshlrev_b32_e32 v13, 16, v21
	global_store_d16_hi_b16 v[0:1], v16, off offset:2
	v_add_f32_e32 v13, v10, v13
	s_delay_alu instid0(VALU_DEP_1) | instskip(NEXT) | instid1(VALU_DEP_1)
	v_and_b32_e32 v10, 0x7f800000, v13
	v_cmp_ne_u32_e32 vcc_lo, 0x7f800000, v10
                                        ; implicit-def: $vgpr10
	s_and_saveexec_b32 s20, vcc_lo
	s_delay_alu instid0(SALU_CYCLE_1)
	s_xor_b32 s20, exec_lo, s20
; %bb.27:                               ;   in Loop: Header=BB215_8 Depth=1
	v_bfe_u32 v10, v13, 16, 1
	s_delay_alu instid0(VALU_DEP_1)
	v_add3_u32 v10, v13, v10, 0x7fff
                                        ; implicit-def: $vgpr13
; %bb.28:                               ;   in Loop: Header=BB215_8 Depth=1
	s_and_not1_saveexec_b32 s20, s20
; %bb.29:                               ;   in Loop: Header=BB215_8 Depth=1
	v_and_b32_e32 v10, 0xffff, v13
	v_or_b32_e32 v16, 0x10000, v13
	s_delay_alu instid0(VALU_DEP_2) | instskip(NEXT) | instid1(VALU_DEP_2)
	v_cmp_eq_u32_e32 vcc_lo, 0, v10
	v_cndmask_b32_e32 v10, v16, v13, vcc_lo
; %bb.30:                               ;   in Loop: Header=BB215_8 Depth=1
	s_or_b32 exec_lo, exec_lo, s20
	v_add_f32_e32 v11, v11, v14
	s_waitcnt vmcnt(4)
	v_lshlrev_b32_e32 v13, 16, v20
	s_mov_b32 s20, exec_lo
	global_store_d16_hi_b16 v[0:1], v10, off offset:4
                                        ; implicit-def: $vgpr10
	v_add_f32_e32 v11, v11, v13
	s_delay_alu instid0(VALU_DEP_1) | instskip(NEXT) | instid1(VALU_DEP_1)
	v_and_b32_e32 v13, 0x7f800000, v11
	v_cmpx_ne_u32_e32 0x7f800000, v13
	s_xor_b32 s20, exec_lo, s20
; %bb.31:                               ;   in Loop: Header=BB215_8 Depth=1
	v_bfe_u32 v10, v11, 16, 1
	s_delay_alu instid0(VALU_DEP_1)
	v_add3_u32 v10, v11, v10, 0x7fff
                                        ; implicit-def: $vgpr11
; %bb.32:                               ;   in Loop: Header=BB215_8 Depth=1
	s_and_not1_saveexec_b32 s20, s20
; %bb.33:                               ;   in Loop: Header=BB215_8 Depth=1
	v_and_b32_e32 v10, 0xffff, v11
	v_or_b32_e32 v13, 0x10000, v11
	s_delay_alu instid0(VALU_DEP_2) | instskip(NEXT) | instid1(VALU_DEP_2)
	v_cmp_eq_u32_e32 vcc_lo, 0, v10
	v_cndmask_b32_e32 v10, v13, v11, vcc_lo
; %bb.34:                               ;   in Loop: Header=BB215_8 Depth=1
	s_or_b32 exec_lo, exec_lo, s20
	s_waitcnt vmcnt(3)
	v_dual_add_f32 v8, v8, v9 :: v_dual_lshlrev_b32 v9, 16, v19
	s_mov_b32 s20, exec_lo
	global_store_d16_hi_b16 v[0:1], v10, off offset:6
                                        ; implicit-def: $vgpr0
	v_add_f32_e32 v8, v8, v9
	s_delay_alu instid0(VALU_DEP_1) | instskip(NEXT) | instid1(VALU_DEP_1)
	v_and_b32_e32 v9, 0x7f800000, v8
	v_cmpx_ne_u32_e32 0x7f800000, v9
	s_xor_b32 s20, exec_lo, s20
; %bb.35:                               ;   in Loop: Header=BB215_8 Depth=1
	v_bfe_u32 v0, v8, 16, 1
	s_delay_alu instid0(VALU_DEP_1)
	v_add3_u32 v0, v8, v0, 0x7fff
                                        ; implicit-def: $vgpr8
; %bb.36:                               ;   in Loop: Header=BB215_8 Depth=1
	s_and_not1_saveexec_b32 s20, s20
; %bb.37:                               ;   in Loop: Header=BB215_8 Depth=1
	v_and_b32_e32 v0, 0xffff, v8
	v_or_b32_e32 v1, 0x10000, v8
	s_delay_alu instid0(VALU_DEP_2) | instskip(NEXT) | instid1(VALU_DEP_2)
	v_cmp_eq_u32_e32 vcc_lo, 0, v0
	v_cndmask_b32_e32 v0, v1, v8, vcc_lo
; %bb.38:                               ;   in Loop: Header=BB215_8 Depth=1
	s_or_b32 exec_lo, exec_lo, s20
	s_waitcnt vmcnt(2)
	v_dual_add_f32 v1, v6, v7 :: v_dual_lshlrev_b32 v6, 16, v18
	v_add_nc_u32_e32 v49, s7, v48
	s_mov_b32 s20, exec_lo
	s_delay_alu instid0(VALU_DEP_2) | instskip(NEXT) | instid1(VALU_DEP_2)
	v_add_f32_e32 v1, v1, v6
	v_lshlrev_b64 v[6:7], 1, v[49:50]
	s_delay_alu instid0(VALU_DEP_2) | instskip(NEXT) | instid1(VALU_DEP_2)
	v_and_b32_e32 v8, 0x7f800000, v1
	v_add_co_u32 v6, vcc_lo, s12, v6
	s_delay_alu instid0(VALU_DEP_3)
	v_add_co_ci_u32_e32 v7, vcc_lo, s13, v7, vcc_lo
	global_store_d16_hi_b16 v[6:7], v0, off
                                        ; implicit-def: $vgpr0
	v_cmpx_ne_u32_e32 0x7f800000, v8
	s_xor_b32 s20, exec_lo, s20
; %bb.39:                               ;   in Loop: Header=BB215_8 Depth=1
	v_bfe_u32 v0, v1, 16, 1
	s_delay_alu instid0(VALU_DEP_1)
	v_add3_u32 v0, v1, v0, 0x7fff
                                        ; implicit-def: $vgpr1
; %bb.40:                               ;   in Loop: Header=BB215_8 Depth=1
	s_and_not1_saveexec_b32 s20, s20
; %bb.41:                               ;   in Loop: Header=BB215_8 Depth=1
	v_and_b32_e32 v0, 0xffff, v1
	v_or_b32_e32 v6, 0x10000, v1
	s_delay_alu instid0(VALU_DEP_2) | instskip(NEXT) | instid1(VALU_DEP_2)
	v_cmp_eq_u32_e32 vcc_lo, 0, v0
	v_cndmask_b32_e32 v0, v6, v1, vcc_lo
; %bb.42:                               ;   in Loop: Header=BB215_8 Depth=1
	s_or_b32 exec_lo, exec_lo, s20
	s_waitcnt vmcnt(1)
	v_dual_add_f32 v1, v4, v5 :: v_dual_lshlrev_b32 v6, 16, v15
	v_dual_mov_b32 v5, v50 :: v_dual_add_nc_u32 v4, 1, v49
	s_mov_b32 s20, exec_lo
	s_delay_alu instid0(VALU_DEP_2) | instskip(NEXT) | instid1(VALU_DEP_2)
	v_add_f32_e32 v1, v1, v6
	v_lshlrev_b64 v[4:5], 1, v[4:5]
	s_delay_alu instid0(VALU_DEP_2) | instskip(NEXT) | instid1(VALU_DEP_2)
	v_and_b32_e32 v6, 0x7f800000, v1
	v_add_co_u32 v4, vcc_lo, s12, v4
	s_delay_alu instid0(VALU_DEP_3)
	v_add_co_ci_u32_e32 v5, vcc_lo, s13, v5, vcc_lo
	global_store_d16_hi_b16 v[4:5], v0, off
                                        ; implicit-def: $vgpr0
	v_cmpx_ne_u32_e32 0x7f800000, v6
	s_xor_b32 s20, exec_lo, s20
; %bb.43:                               ;   in Loop: Header=BB215_8 Depth=1
	v_bfe_u32 v0, v1, 16, 1
	s_delay_alu instid0(VALU_DEP_1)
	v_add3_u32 v0, v1, v0, 0x7fff
                                        ; implicit-def: $vgpr1
; %bb.44:                               ;   in Loop: Header=BB215_8 Depth=1
	s_and_not1_saveexec_b32 s20, s20
; %bb.45:                               ;   in Loop: Header=BB215_8 Depth=1
	v_and_b32_e32 v0, 0xffff, v1
	v_or_b32_e32 v4, 0x10000, v1
	s_delay_alu instid0(VALU_DEP_2) | instskip(NEXT) | instid1(VALU_DEP_2)
	v_cmp_eq_u32_e32 vcc_lo, 0, v0
	v_cndmask_b32_e32 v0, v4, v1, vcc_lo
; %bb.46:                               ;   in Loop: Header=BB215_8 Depth=1
	s_or_b32 exec_lo, exec_lo, s20
	v_dual_add_f32 v1, v2, v3 :: v_dual_add_nc_u32 v2, 2, v49
	s_waitcnt vmcnt(0)
	v_dual_mov_b32 v3, v50 :: v_dual_lshlrev_b32 v4, 16, v12
	s_mov_b32 s20, exec_lo
	s_delay_alu instid0(VALU_DEP_1) | instskip(NEXT) | instid1(VALU_DEP_2)
	v_add_f32_e32 v1, v1, v4
	v_lshlrev_b64 v[2:3], 1, v[2:3]
	s_delay_alu instid0(VALU_DEP_2) | instskip(NEXT) | instid1(VALU_DEP_2)
	v_and_b32_e32 v4, 0x7f800000, v1
	v_add_co_u32 v2, vcc_lo, s12, v2
	s_delay_alu instid0(VALU_DEP_3)
	v_add_co_ci_u32_e32 v3, vcc_lo, s13, v3, vcc_lo
	global_store_d16_hi_b16 v[2:3], v0, off
                                        ; implicit-def: $vgpr0
	v_cmpx_ne_u32_e32 0x7f800000, v4
	s_xor_b32 s20, exec_lo, s20
; %bb.47:                               ;   in Loop: Header=BB215_8 Depth=1
	v_bfe_u32 v0, v1, 16, 1
	s_delay_alu instid0(VALU_DEP_1)
	v_add3_u32 v0, v1, v0, 0x7fff
                                        ; implicit-def: $vgpr1
; %bb.48:                               ;   in Loop: Header=BB215_8 Depth=1
	s_and_not1_saveexec_b32 s20, s20
	s_cbranch_execz .LBB215_6
; %bb.49:                               ;   in Loop: Header=BB215_8 Depth=1
	v_and_b32_e32 v0, 0xffff, v1
	v_or_b32_e32 v2, 0x10000, v1
	s_delay_alu instid0(VALU_DEP_2) | instskip(NEXT) | instid1(VALU_DEP_2)
	v_cmp_eq_u32_e32 vcc_lo, 0, v0
	v_cndmask_b32_e32 v0, v2, v1, vcc_lo
	s_branch .LBB215_6
.LBB215_50:
	s_nop 0
	s_sendmsg sendmsg(MSG_DEALLOC_VGPRS)
	s_endpgm
	.section	.rodata,"a",@progbits
	.p2align	6, 0x0
	.amdhsa_kernel _Z16wvSplitK_hf_sml_I14__hip_bfloat16Li64ELi4ELi16ELi8ELi2ELi2EEviiiiiiPKT_S3_S3_PS1_ii
		.amdhsa_group_segment_fixed_size 65536
		.amdhsa_private_segment_fixed_size 0
		.amdhsa_kernarg_size 64
		.amdhsa_user_sgpr_count 15
		.amdhsa_user_sgpr_dispatch_ptr 0
		.amdhsa_user_sgpr_queue_ptr 0
		.amdhsa_user_sgpr_kernarg_segment_ptr 1
		.amdhsa_user_sgpr_dispatch_id 0
		.amdhsa_user_sgpr_private_segment_size 0
		.amdhsa_wavefront_size32 1
		.amdhsa_uses_dynamic_stack 0
		.amdhsa_enable_private_segment 0
		.amdhsa_system_sgpr_workgroup_id_x 1
		.amdhsa_system_sgpr_workgroup_id_y 0
		.amdhsa_system_sgpr_workgroup_id_z 0
		.amdhsa_system_sgpr_workgroup_info 0
		.amdhsa_system_vgpr_workitem_id 1
		.amdhsa_next_free_vgpr 91
		.amdhsa_next_free_sgpr 22
		.amdhsa_reserve_vcc 1
		.amdhsa_float_round_mode_32 0
		.amdhsa_float_round_mode_16_64 0
		.amdhsa_float_denorm_mode_32 3
		.amdhsa_float_denorm_mode_16_64 3
		.amdhsa_dx10_clamp 1
		.amdhsa_ieee_mode 1
		.amdhsa_fp16_overflow 0
		.amdhsa_workgroup_processor_mode 1
		.amdhsa_memory_ordered 1
		.amdhsa_forward_progress 0
		.amdhsa_shared_vgpr_count 0
		.amdhsa_exception_fp_ieee_invalid_op 0
		.amdhsa_exception_fp_denorm_src 0
		.amdhsa_exception_fp_ieee_div_zero 0
		.amdhsa_exception_fp_ieee_overflow 0
		.amdhsa_exception_fp_ieee_underflow 0
		.amdhsa_exception_fp_ieee_inexact 0
		.amdhsa_exception_int_div_zero 0
	.end_amdhsa_kernel
	.section	.text._Z16wvSplitK_hf_sml_I14__hip_bfloat16Li64ELi4ELi16ELi8ELi2ELi2EEviiiiiiPKT_S3_S3_PS1_ii,"axG",@progbits,_Z16wvSplitK_hf_sml_I14__hip_bfloat16Li64ELi4ELi16ELi8ELi2ELi2EEviiiiiiPKT_S3_S3_PS1_ii,comdat
.Lfunc_end215:
	.size	_Z16wvSplitK_hf_sml_I14__hip_bfloat16Li64ELi4ELi16ELi8ELi2ELi2EEviiiiiiPKT_S3_S3_PS1_ii, .Lfunc_end215-_Z16wvSplitK_hf_sml_I14__hip_bfloat16Li64ELi4ELi16ELi8ELi2ELi2EEviiiiiiPKT_S3_S3_PS1_ii
                                        ; -- End function
	.section	.AMDGPU.csdata,"",@progbits
; Kernel info:
; codeLenInByte = 5020
; NumSgprs: 24
; NumVgprs: 91
; ScratchSize: 0
; MemoryBound: 0
; FloatMode: 240
; IeeeMode: 1
; LDSByteSize: 65536 bytes/workgroup (compile time only)
; SGPRBlocks: 2
; VGPRBlocks: 11
; NumSGPRsForWavesPerEU: 24
; NumVGPRsForWavesPerEU: 91
; Occupancy: 16
; WaveLimiterHint : 0
; COMPUTE_PGM_RSRC2:SCRATCH_EN: 0
; COMPUTE_PGM_RSRC2:USER_SGPR: 15
; COMPUTE_PGM_RSRC2:TRAP_HANDLER: 0
; COMPUTE_PGM_RSRC2:TGID_X_EN: 1
; COMPUTE_PGM_RSRC2:TGID_Y_EN: 0
; COMPUTE_PGM_RSRC2:TGID_Z_EN: 0
; COMPUTE_PGM_RSRC2:TIDIG_COMP_CNT: 1
	.section	.text._Z12wvSplitK_hf_I14__hip_bfloat16Li64ELi4ELi16ELi8ELi2ELi2EEviiiiiiPKT_S3_S3_PS1_ii,"axG",@progbits,_Z12wvSplitK_hf_I14__hip_bfloat16Li64ELi4ELi16ELi8ELi2ELi2EEviiiiiiPKT_S3_S3_PS1_ii,comdat
	.protected	_Z12wvSplitK_hf_I14__hip_bfloat16Li64ELi4ELi16ELi8ELi2ELi2EEviiiiiiPKT_S3_S3_PS1_ii ; -- Begin function _Z12wvSplitK_hf_I14__hip_bfloat16Li64ELi4ELi16ELi8ELi2ELi2EEviiiiiiPKT_S3_S3_PS1_ii
	.globl	_Z12wvSplitK_hf_I14__hip_bfloat16Li64ELi4ELi16ELi8ELi2ELi2EEviiiiiiPKT_S3_S3_PS1_ii
	.p2align	8
	.type	_Z12wvSplitK_hf_I14__hip_bfloat16Li64ELi4ELi16ELi8ELi2ELi2EEviiiiiiPKT_S3_S3_PS1_ii,@function
_Z12wvSplitK_hf_I14__hip_bfloat16Li64ELi4ELi16ELi8ELi2ELi2EEviiiiiiPKT_S3_S3_PS1_ii: ; @_Z12wvSplitK_hf_I14__hip_bfloat16Li64ELi4ELi16ELi8ELi2ELi2EEviiiiiiPKT_S3_S3_PS1_ii
; %bb.0:
	s_clause 0x1
	s_load_b64 s[20:21], s[0:1], 0x38
	s_load_b128 s[8:11], s[0:1], 0x0
	v_bfe_u32 v7, v0, 10, 10
	s_clause 0x1
	s_load_b64 s[12:13], s[0:1], 0x20
	s_load_b64 s[16:17], s[0:1], 0x10
	s_mov_b32 s4, 1
	s_delay_alu instid0(SALU_CYCLE_1) | instskip(SKIP_4) | instid1(SALU_CYCLE_1)
	s_mov_b32 s5, s4
	s_mov_b32 s6, s4
	;; [unrolled: 1-line block ×3, first 2 shown]
	s_waitcnt lgkmcnt(0)
	s_mul_i32 s15, s15, s20
	v_add_lshl_u32 v53, s15, v7, 2
	s_delay_alu instid0(VALU_DEP_1) | instskip(SKIP_1) | instid1(VALU_DEP_2)
	v_add_nc_u32_e32 v1, 4, v53
	v_cmp_gt_u32_e32 vcc_lo, s11, v53
	v_cmp_le_u32_e64 s2, s11, v1
	v_dual_mov_b32 v1, s4 :: v_dual_mov_b32 v4, s7
	v_dual_mov_b32 v2, s5 :: v_dual_mov_b32 v3, s6
	s_delay_alu instid0(VALU_DEP_3) | instskip(NEXT) | instid1(SALU_CYCLE_1)
	s_and_b32 s2, vcc_lo, s2
	s_and_saveexec_b32 s14, s2
	s_cbranch_execz .LBB216_6
; %bb.1:
	v_dual_mov_b32 v1, s4 :: v_dual_mov_b32 v2, s5
	v_dual_mov_b32 v3, s6 :: v_dual_mov_b32 v4, s7
	s_add_i32 s15, s11, -4
	s_mov_b32 s18, exec_lo
	v_cmpx_ne_u32_e64 s15, v53
	s_cbranch_execz .LBB216_5
; %bb.2:
	v_subrev_nc_u32_e32 v1, s15, v53
	s_mov_b32 s19, 0
	s_mov_b64 s[2:3], 0
	s_mov_b32 s5, s4
	s_mov_b32 s6, s4
	v_cmp_lt_u32_e32 vcc_lo, 1, v1
	s_mov_b32 s7, s4
	v_cndmask_b32_e32 v5, 1, v1, vcc_lo
	.p2align	6
.LBB216_3:                              ; =>This Inner Loop Header: Depth=1
	s_cmp_lg_u32 s2, 3
	s_cselect_b32 s7, s7, 0
	s_cmp_lg_u32 s2, 2
	s_cselect_b32 s6, s6, 0
	;; [unrolled: 2-line block ×4, first 2 shown]
	s_add_u32 s2, s2, 1
	v_dual_mov_b32 v1, s4 :: v_dual_mov_b32 v2, s5
	v_cmp_eq_u32_e32 vcc_lo, s2, v5
	v_dual_mov_b32 v3, s6 :: v_dual_mov_b32 v4, s7
	s_addc_u32 s3, s3, 0
	s_or_b32 s19, vcc_lo, s19
	s_delay_alu instid0(SALU_CYCLE_1)
	s_and_not1_b32 exec_lo, exec_lo, s19
	s_cbranch_execnz .LBB216_3
; %bb.4:
	s_or_b32 exec_lo, exec_lo, s19
	v_mov_b32_e32 v53, s15
.LBB216_5:
	s_or_b32 exec_lo, exec_lo, s18
.LBB216_6:
	s_delay_alu instid0(SALU_CYCLE_1)
	s_or_b32 exec_lo, exec_lo, s14
	s_load_b64 s[6:7], s[0:1], 0x28
	v_and_b32_e32 v8, 0x3ff, v0
	s_lshl_b32 s2, s10, 1
	s_mov_b32 s4, exec_lo
	s_min_u32 s3, s2, 0x8000
	s_delay_alu instid0(VALU_DEP_1) | instskip(NEXT) | instid1(VALU_DEP_1)
	v_lshlrev_b32_e32 v0, 3, v8
	v_lshl_add_u32 v9, v7, 9, v0
	s_delay_alu instid0(VALU_DEP_1)
	v_cmpx_gt_u32_e64 s3, v9
	s_cbranch_execz .LBB216_9
; %bb.7:
	v_lshlrev_b32_e32 v10, 10, v7
	v_lshlrev_b32_e32 v11, 4, v8
	s_mov_b32 s5, 0
	s_delay_alu instid0(VALU_DEP_1) | instskip(NEXT) | instid1(VALU_DEP_1)
	v_add_co_u32 v5, s2, v10, v11
	v_add_co_ci_u32_e64 v6, null, 0, 0, s2
	v_add_nc_u32_e32 v10, v10, v11
	s_delay_alu instid0(VALU_DEP_3) | instskip(NEXT) | instid1(VALU_DEP_3)
	v_add_co_u32 v5, vcc_lo, s12, v5
	v_add_co_ci_u32_e32 v6, vcc_lo, s13, v6, vcc_lo
	.p2align	6
.LBB216_8:                              ; =>This Inner Loop Header: Depth=1
	global_load_b128 v[11:14], v[5:6], off
	v_add_nc_u32_e32 v9, 0x2000, v9
	v_add_co_u32 v5, vcc_lo, 0x4000, v5
	v_add_co_ci_u32_e32 v6, vcc_lo, 0, v6, vcc_lo
	s_delay_alu instid0(VALU_DEP_3) | instskip(NEXT) | instid1(VALU_DEP_1)
	v_cmp_le_u32_e64 s2, s3, v9
	s_or_b32 s5, s2, s5
	s_waitcnt vmcnt(0)
	ds_store_b128 v10, v[11:14]
	v_add_nc_u32_e32 v10, 0x4000, v10
	s_and_not1_b32 exec_lo, exec_lo, s5
	s_cbranch_execnz .LBB216_8
.LBB216_9:
	s_or_b32 exec_lo, exec_lo, s4
	v_cmp_gt_u32_e32 vcc_lo, s20, v7
	v_cmp_gt_u32_e64 s2, s11, v53
	s_waitcnt lgkmcnt(0)
	s_barrier
	buffer_gl0_inv
	s_and_b32 s2, vcc_lo, s2
	s_delay_alu instid0(SALU_CYCLE_1)
	s_and_saveexec_b32 s3, s2
	s_cbranch_execz .LBB216_92
; %bb.10:
	v_cvt_f32_u32_e32 v5, s16
	v_mbcnt_lo_u32_b32 v6, -1, 0
	s_cmp_lg_u32 s8, 0
	s_clause 0x1
	s_load_b64 s[14:15], s[0:1], 0x18
	s_load_b64 s[18:19], s[0:1], 0x30
	s_cselect_b32 s22, -1, 0
	v_rcp_iflag_f32_e32 v5, v5
	s_add_i32 s23, s8, -8
	s_add_i32 s24, s11, -1
	s_cmp_lg_u64 s[6:7], 0
	s_mul_i32 s1, s20, s21
	s_cselect_b32 s25, -1, 0
	s_sub_i32 s0, 0, s16
	s_lshl_b32 s20, s1, 2
	s_abs_i32 s1, s17
	s_add_i32 s17, s11, -4
	s_waitcnt_depctr 0xfff
	v_mul_f32_e32 v5, 0x4f7ffffe, v5
	s_sub_i32 s2, 1, s1
	s_cmp_lt_u32 s1, 2
	s_mov_b32 s21, 0
	s_cselect_b32 s2, s2, 1
	v_cvt_u32_f32_e32 v5, v5
	s_sub_i32 s3, s2, s1
	s_cmp_ge_u32 s2, s1
	s_cselect_b32 s26, s3, s2
	s_delay_alu instid0(VALU_DEP_1) | instskip(SKIP_3) | instid1(VALU_DEP_1)
	v_mul_lo_u32 v7, s0, v5
	v_cmp_eq_u32_e64 s0, 63, v8
	v_xor_b32_e32 v8, 16, v6
	s_mul_i32 s26, s26, s16
	v_cmp_gt_i32_e32 vcc_lo, 32, v8
	s_delay_alu instid0(VALU_DEP_4) | instskip(SKIP_1) | instid1(VALU_DEP_2)
	v_mul_hi_u32 v7, v5, v7
	v_dual_cndmask_b32 v6, v6, v8 :: v_dual_mov_b32 v55, 0
	v_add_nc_u32_e32 v71, v5, v7
	s_delay_alu instid0(VALU_DEP_2)
	v_lshlrev_b32_e32 v70, 2, v6
	s_branch .LBB216_13
.LBB216_11:                             ;   in Loop: Header=BB216_13 Depth=1
	s_or_b32 exec_lo, exec_lo, s28
	v_mov_b32_e32 v53, s17
.LBB216_12:                             ;   in Loop: Header=BB216_13 Depth=1
	s_or_b32 exec_lo, exec_lo, s27
	s_delay_alu instid0(VALU_DEP_1) | instskip(SKIP_1) | instid1(SALU_CYCLE_1)
	v_cmp_le_u32_e32 vcc_lo, s11, v53
	s_or_b32 s21, vcc_lo, s21
	s_and_not1_b32 exec_lo, exec_lo, s21
	s_cbranch_execz .LBB216_92
.LBB216_13:                             ; =>This Loop Header: Depth=1
                                        ;     Child Loop BB216_18 Depth 2
                                        ;     Child Loop BB216_90 Depth 2
	s_delay_alu instid0(VALU_DEP_3)
	v_dual_mov_b32 v73, v55 :: v_dual_add_nc_u32 v58, 1, v53
	v_dual_mov_b32 v72, v55 :: v_dual_add_nc_u32 v57, 2, v53
	;; [unrolled: 1-line block ×3, first 2 shown]
	v_mov_b32_e32 v74, v55
	v_mov_b32_e32 v79, v55
	;; [unrolled: 1-line block ×5, first 2 shown]
	s_and_not1_b32 vcc_lo, exec_lo, s22
	s_cbranch_vccnz .LBB216_36
; %bb.14:                               ;   in Loop: Header=BB216_13 Depth=1
	v_min_u32_e32 v5, s24, v53
	s_waitcnt lgkmcnt(0)
	v_min_u32_e32 v6, s24, v58
	v_min_u32_e32 v7, s24, v57
	;; [unrolled: 1-line block ×3, first 2 shown]
	v_dual_mov_b32 v10, v55 :: v_dual_mov_b32 v75, 0
	v_mul_lo_u32 v54, v5, s9
	v_mul_lo_u32 v5, v6, s9
	;; [unrolled: 1-line block ×4, first 2 shown]
	v_dual_mov_b32 v6, v55 :: v_dual_mov_b32 v77, 0
	v_dual_mov_b32 v8, v55 :: v_dual_mov_b32 v79, 0
	v_lshlrev_b64 v[59:60], 1, v[54:55]
	s_delay_alu instid0(VALU_DEP_3) | instskip(SKIP_1) | instid1(VALU_DEP_4)
	v_lshlrev_b64 v[61:62], 1, v[5:6]
	v_dual_mov_b32 v78, 0 :: v_dual_mov_b32 v73, 0
	v_lshlrev_b64 v[63:64], 1, v[7:8]
	v_lshlrev_b64 v[65:66], 1, v[9:10]
	v_mov_b32_e32 v76, 0
	v_mov_b32_e32 v74, 0
	;; [unrolled: 1-line block ×3, first 2 shown]
	s_mov_b32 s1, 0
	s_branch .LBB216_18
.LBB216_15:                             ;   in Loop: Header=BB216_18 Depth=2
	s_or_b32 exec_lo, exec_lo, s4
.LBB216_16:                             ;   in Loop: Header=BB216_18 Depth=2
	s_delay_alu instid0(SALU_CYCLE_1)
	s_or_b32 exec_lo, exec_lo, s3
.LBB216_17:                             ;   in Loop: Header=BB216_18 Depth=2
	s_delay_alu instid0(SALU_CYCLE_1)
	s_or_b32 exec_lo, exec_lo, s2
	s_waitcnt vmcnt(7)
	v_and_b32_e32 v86, 0xffff0000, v46
	s_waitcnt vmcnt(0) lgkmcnt(0)
	v_and_b32_e32 v90, 0xffff0000, v51
	v_and_b32_e32 v85, 0xffff0000, v47
	;; [unrolled: 1-line block ×3, first 2 shown]
	v_lshlrev_b32_e32 v84, 16, v46
	v_lshlrev_b32_e32 v91, 16, v51
	s_delay_alu instid0(VALU_DEP_4) | instskip(NEXT) | instid1(VALU_DEP_4)
	v_dual_mul_f32 v50, v90, v85 :: v_dual_lshlrev_b32 v89, 16, v50
	v_dual_mul_f32 v46, v87, v86 :: v_dual_and_b32 v69, 0xffff0000, v49
	v_and_b32_e32 v93, 0xffff0000, v45
	v_lshlrev_b32_e32 v92, 16, v52
	s_addk_i32 s1, 0x400
	v_lshlrev_b32_e32 v100, 16, v43
	v_fmac_f32_e32 v46, v89, v84
	v_lshlrev_b32_e32 v88, 16, v45
	v_lshlrev_b32_e32 v45, 16, v47
	v_and_b32_e32 v47, 0xffff0000, v37
	v_lshlrev_b32_e32 v83, 16, v49
	v_mul_f32_e32 v49, v69, v93
	s_cmp_ge_u32 s1, s8
	v_lshlrev_b32_e32 v102, 16, v44
	s_delay_alu instid0(VALU_DEP_2) | instskip(NEXT) | instid1(VALU_DEP_1)
	v_fmac_f32_e32 v49, v83, v88
	v_add_f32_e32 v49, v77, v49
	v_dual_mul_f32 v52, v69, v47 :: v_dual_and_b32 v77, 0xffff0000, v52
	s_delay_alu instid0(VALU_DEP_2) | instskip(SKIP_2) | instid1(VALU_DEP_2)
	v_add_f32_e32 v51, v49, v46
	v_lshlrev_b32_e32 v49, 16, v37
	v_and_b32_e32 v46, 0xffff0000, v48
	v_fmac_f32_e32 v52, v83, v49
	s_delay_alu instid0(VALU_DEP_2) | instskip(NEXT) | instid1(VALU_DEP_2)
	v_mul_f32_e32 v54, v77, v46
	v_add_f32_e32 v68, v78, v52
	v_lshlrev_b32_e32 v37, 16, v48
	v_and_b32_e32 v52, 0xffff0000, v33
	v_and_b32_e32 v48, 0xffff0000, v38
	s_delay_alu instid0(VALU_DEP_2) | instskip(SKIP_1) | instid1(VALU_DEP_3)
	v_dual_fmac_f32 v54, v92, v37 :: v_dual_mul_f32 v81, v69, v52
	v_fmac_f32_e32 v50, v91, v45
	v_dual_mul_f32 v67, v87, v48 :: v_dual_lshlrev_b32 v38, 16, v38
	s_delay_alu instid0(VALU_DEP_2) | instskip(NEXT) | instid1(VALU_DEP_2)
	v_add_f32_e32 v51, v51, v50
	v_fmac_f32_e32 v67, v89, v38
	s_delay_alu instid0(VALU_DEP_2) | instskip(NEXT) | instid1(VALU_DEP_2)
	v_add_f32_e32 v78, v51, v54
	v_dual_add_f32 v68, v68, v67 :: v_dual_and_b32 v67, 0xffff0000, v34
	s_delay_alu instid0(VALU_DEP_1) | instskip(NEXT) | instid1(VALU_DEP_1)
	v_dual_mul_f32 v95, v87, v67 :: v_dual_lshlrev_b32 v34, 16, v34
	v_dual_fmac_f32 v95, v89, v34 :: v_dual_lshlrev_b32 v54, 16, v33
	s_delay_alu instid0(VALU_DEP_1) | instskip(SKIP_1) | instid1(VALU_DEP_2)
	v_dual_fmac_f32 v81, v83, v54 :: v_dual_and_b32 v50, 0xffff0000, v39
	v_lshlrev_b32_e32 v39, 16, v39
	v_dual_mul_f32 v80, v90, v50 :: v_dual_lshlrev_b32 v33, 16, v40
	s_delay_alu instid0(VALU_DEP_3) | instskip(SKIP_1) | instid1(VALU_DEP_3)
	v_dual_add_f32 v76, v76, v81 :: v_dual_and_b32 v51, 0xffff0000, v40
	v_lshlrev_b32_e32 v81, 16, v35
	v_fmac_f32_e32 v80, v91, v39
	s_delay_alu instid0(VALU_DEP_3) | instskip(NEXT) | instid1(VALU_DEP_4)
	v_add_f32_e32 v76, v76, v95
	v_dual_mul_f32 v94, v77, v51 :: v_dual_lshlrev_b32 v95, 16, v41
	s_delay_alu instid0(VALU_DEP_3) | instskip(SKIP_1) | instid1(VALU_DEP_3)
	v_add_f32_e32 v96, v68, v80
	v_and_b32_e32 v80, 0xffff0000, v30
	v_fmac_f32_e32 v94, v92, v33
	v_and_b32_e32 v82, 0xffff0000, v35
	v_and_b32_e32 v35, 0xffff0000, v31
	v_lshlrev_b32_e32 v68, 16, v29
	v_and_b32_e32 v40, 0xffff0000, v29
	v_lshlrev_b32_e32 v29, 16, v30
	v_lshlrev_b32_e32 v31, 16, v31
	;; [unrolled: 1-line block ×3, first 2 shown]
	s_delay_alu instid0(VALU_DEP_4) | instskip(SKIP_1) | instid1(VALU_DEP_2)
	v_mul_f32_e32 v97, v69, v40
	v_and_b32_e32 v69, 0xffff0000, v36
	v_fmac_f32_e32 v97, v83, v68
	s_delay_alu instid0(VALU_DEP_1) | instskip(SKIP_3) | instid1(VALU_DEP_3)
	v_add_f32_e32 v79, v79, v97
	v_dual_mul_f32 v83, v87, v80 :: v_dual_mul_f32 v98, v90, v82
	v_dual_mul_f32 v87, v90, v35 :: v_dual_add_f32 v90, v96, v94
	v_and_b32_e32 v94, 0xffff0000, v41
	v_fmac_f32_e32 v83, v89, v29
	s_delay_alu instid0(VALU_DEP_4) | instskip(SKIP_2) | instid1(VALU_DEP_4)
	v_fmac_f32_e32 v98, v91, v81
	v_mul_f32_e32 v89, v77, v69
	v_fmac_f32_e32 v87, v91, v31
	v_dual_add_f32 v36, v79, v83 :: v_dual_lshlrev_b32 v97, 16, v42
	s_delay_alu instid0(VALU_DEP_4) | instskip(NEXT) | instid1(VALU_DEP_4)
	v_add_f32_e32 v76, v76, v98
	v_fmac_f32_e32 v89, v92, v30
	v_and_b32_e32 v83, 0xffff0000, v26
	s_delay_alu instid0(VALU_DEP_4) | instskip(SKIP_1) | instid1(VALU_DEP_4)
	v_dual_add_f32 v87, v36, v87 :: v_dual_and_b32 v36, 0xffff0000, v32
	v_and_b32_e32 v96, 0xffff0000, v42
	v_add_f32_e32 v76, v76, v89
	v_lshlrev_b32_e32 v32, 16, v32
	s_delay_alu instid0(VALU_DEP_4) | instskip(NEXT) | instid1(VALU_DEP_4)
	v_mul_f32_e32 v77, v77, v36
	v_dual_mul_f32 v98, v96, v83 :: v_dual_and_b32 v79, 0xffff0000, v25
	s_delay_alu instid0(VALU_DEP_2) | instskip(NEXT) | instid1(VALU_DEP_2)
	v_dual_fmac_f32 v77, v92, v32 :: v_dual_lshlrev_b32 v42, 16, v26
	v_mul_f32_e32 v91, v94, v79
	s_delay_alu instid0(VALU_DEP_2) | instskip(NEXT) | instid1(VALU_DEP_3)
	v_dual_fmac_f32 v98, v97, v42 :: v_dual_lshlrev_b32 v41, 16, v25
	v_add_f32_e32 v101, v87, v77
	s_delay_alu instid0(VALU_DEP_2) | instskip(NEXT) | instid1(VALU_DEP_1)
	v_fmac_f32_e32 v91, v95, v41
	v_add_f32_e32 v78, v78, v91
	s_delay_alu instid0(VALU_DEP_1) | instskip(SKIP_4) | instid1(VALU_DEP_2)
	v_dual_add_f32 v77, v78, v98 :: v_dual_and_b32 v98, 0xffff0000, v44
	v_and_b32_e32 v44, 0xffff0000, v22
	v_and_b32_e32 v99, 0xffff0000, v43
	;; [unrolled: 1-line block ×3, first 2 shown]
	v_lshlrev_b32_e32 v87, 16, v21
	v_dual_mul_f32 v92, v98, v43 :: v_dual_and_b32 v107, 0xffff0000, v14
	v_and_b32_e32 v25, 0xffff0000, v27
	v_lshlrev_b32_e32 v26, 16, v27
	v_and_b32_e32 v27, 0xffff0000, v21
	s_delay_alu instid0(VALU_DEP_1) | instskip(NEXT) | instid1(VALU_DEP_1)
	v_mul_f32_e32 v78, v94, v27
	v_fmac_f32_e32 v78, v95, v87
	s_delay_alu instid0(VALU_DEP_1) | instskip(SKIP_2) | instid1(VALU_DEP_3)
	v_dual_add_f32 v78, v90, v78 :: v_dual_lshlrev_b32 v21, 16, v28
	v_lshlrev_b32_e32 v28, 16, v22
	v_mul_f32_e32 v22, v96, v44
	v_fmac_f32_e32 v92, v102, v21
	s_delay_alu instid0(VALU_DEP_2) | instskip(NEXT) | instid1(VALU_DEP_1)
	v_dual_mul_f32 v91, v99, v25 :: v_dual_fmac_f32 v22, v97, v28
	v_fmac_f32_e32 v91, v100, v26
	s_delay_alu instid0(VALU_DEP_2) | instskip(NEXT) | instid1(VALU_DEP_2)
	v_add_f32_e32 v78, v78, v22
	v_dual_add_f32 v77, v77, v91 :: v_dual_and_b32 v22, 0xffff0000, v18
	s_delay_alu instid0(VALU_DEP_1) | instskip(SKIP_1) | instid1(VALU_DEP_1)
	v_dual_add_f32 v77, v77, v92 :: v_dual_lshlrev_b32 v90, 16, v23
	v_and_b32_e32 v92, 0xffff0000, v24
	v_dual_mul_f32 v106, v98, v92 :: v_dual_and_b32 v89, 0xffff0000, v17
	s_delay_alu instid0(VALU_DEP_1) | instskip(NEXT) | instid1(VALU_DEP_1)
	v_dual_mul_f32 v104, v94, v89 :: v_dual_and_b32 v91, 0xffff0000, v23
	v_mul_f32_e32 v103, v99, v91
	s_delay_alu instid0(VALU_DEP_1) | instskip(NEXT) | instid1(VALU_DEP_1)
	v_fmac_f32_e32 v103, v100, v90
	v_dual_add_f32 v78, v78, v103 :: v_dual_lshlrev_b32 v17, 16, v17
	v_and_b32_e32 v103, 0xffff0000, v13
	v_lshlrev_b32_e32 v13, 16, v13
	s_delay_alu instid0(VALU_DEP_3) | instskip(NEXT) | instid1(VALU_DEP_3)
	v_fmac_f32_e32 v104, v95, v17
	v_mul_f32_e32 v94, v94, v103
	s_delay_alu instid0(VALU_DEP_1) | instskip(SKIP_2) | instid1(VALU_DEP_3)
	v_dual_fmac_f32 v94, v95, v13 :: v_dual_mul_f32 v95, v96, v107
	v_dual_mul_f32 v105, v96, v22 :: v_dual_and_b32 v96, 0xffff0000, v5
	v_lshlrev_b32_e32 v18, 16, v18
	v_dual_add_f32 v94, v101, v94 :: v_dual_lshlrev_b32 v5, 16, v5
	v_and_b32_e32 v101, 0xffff0000, v16
	s_delay_alu instid0(VALU_DEP_4) | instskip(NEXT) | instid1(VALU_DEP_4)
	v_mul_f32_e32 v93, v96, v93
	v_dual_add_f32 v76, v76, v104 :: v_dual_fmac_f32 v105, v97, v18
	v_lshlrev_b32_e32 v23, 16, v24
	s_delay_alu instid0(VALU_DEP_3) | instskip(SKIP_1) | instid1(VALU_DEP_4)
	v_dual_fmac_f32 v93, v5, v88 :: v_dual_lshlrev_b32 v14, 16, v14
	v_and_b32_e32 v24, 0xffff0000, v19
	v_add_f32_e32 v76, v76, v105
	s_delay_alu instid0(VALU_DEP_4) | instskip(NEXT) | instid1(VALU_DEP_4)
	v_dual_fmac_f32 v106, v102, v23 :: v_dual_and_b32 v105, 0xffff0000, v20
	v_fmac_f32_e32 v95, v97, v14
	s_delay_alu instid0(VALU_DEP_4) | instskip(SKIP_1) | instid1(VALU_DEP_4)
	v_dual_mul_f32 v104, v99, v24 :: v_dual_lshlrev_b32 v19, 16, v19
	v_dual_add_f32 v75, v75, v93 :: v_dual_lshlrev_b32 v20, 16, v20
	v_mul_f32_e32 v108, v98, v105
	s_delay_alu instid0(VALU_DEP_4) | instskip(NEXT) | instid1(VALU_DEP_4)
	v_add_f32_e32 v94, v94, v95
	v_dual_fmac_f32 v104, v100, v19 :: v_dual_and_b32 v95, 0xffff0000, v6
	s_delay_alu instid0(VALU_DEP_3) | instskip(NEXT) | instid1(VALU_DEP_2)
	v_dual_fmac_f32 v108, v102, v20 :: v_dual_and_b32 v97, 0xffff0000, v15
	v_dual_add_f32 v76, v76, v104 :: v_dual_lshlrev_b32 v15, 16, v15
	v_add_f32_e32 v78, v78, v106
	v_lshlrev_b32_e32 v6, 16, v6
	v_mul_f32_e32 v86, v95, v86
	v_lshlrev_b32_e32 v16, 16, v16
	v_dual_mul_f32 v88, v99, v97 :: v_dual_and_b32 v99, 0xffff0000, v7
	v_dual_add_f32 v76, v76, v108 :: v_dual_lshlrev_b32 v7, 16, v7
	s_delay_alu instid0(VALU_DEP_4) | instskip(NEXT) | instid1(VALU_DEP_3)
	v_fmac_f32_e32 v86, v6, v84
	v_mul_f32_e32 v84, v99, v85
	v_mul_f32_e32 v85, v98, v101
	s_delay_alu instid0(VALU_DEP_3) | instskip(NEXT) | instid1(VALU_DEP_3)
	v_dual_add_f32 v75, v75, v86 :: v_dual_mul_f32 v40, v96, v40
	v_dual_fmac_f32 v84, v7, v45 :: v_dual_mul_f32 v45, v96, v47
	s_delay_alu instid0(VALU_DEP_2) | instskip(NEXT) | instid1(VALU_DEP_2)
	v_fmac_f32_e32 v40, v5, v68
	v_fmac_f32_e32 v45, v5, v49
	v_mul_f32_e32 v49, v96, v52
	v_and_b32_e32 v86, 0xffff0000, v8
	v_lshlrev_b32_e32 v8, 16, v8
	v_add_f32_e32 v75, v75, v84
	v_add_f32_e32 v45, v74, v45
	v_dual_fmac_f32 v49, v5, v54 :: v_dual_mul_f32 v48, v95, v48
	v_dual_fmac_f32 v85, v102, v16 :: v_dual_fmac_f32 v88, v100, v15
	s_delay_alu instid0(VALU_DEP_2) | instskip(SKIP_1) | instid1(VALU_DEP_3)
	v_fmac_f32_e32 v48, v6, v38
	v_mul_f32_e32 v46, v86, v46
	v_add_f32_e32 v47, v94, v88
	s_delay_alu instid0(VALU_DEP_2) | instskip(SKIP_1) | instid1(VALU_DEP_1)
	v_dual_add_f32 v45, v45, v48 :: v_dual_fmac_f32 v46, v8, v37
	v_mul_f32_e32 v37, v95, v67
	v_dual_fmac_f32 v37, v6, v34 :: v_dual_add_f32 v48, v73, v49
	s_delay_alu instid0(VALU_DEP_3) | instskip(SKIP_2) | instid1(VALU_DEP_1)
	v_add_f32_e32 v5, v75, v46
	v_mul_f32_e32 v38, v99, v50
	v_mul_f32_e32 v34, v99, v82
	v_fmac_f32_e32 v34, v7, v81
	s_delay_alu instid0(VALU_DEP_3) | instskip(SKIP_1) | instid1(VALU_DEP_1)
	v_fmac_f32_e32 v38, v7, v39
	v_mul_f32_e32 v39, v86, v51
	v_fmac_f32_e32 v39, v8, v33
	v_add_f32_e32 v33, v48, v37
	v_mul_f32_e32 v37, v95, v80
	s_delay_alu instid0(VALU_DEP_2) | instskip(NEXT) | instid1(VALU_DEP_2)
	v_add_f32_e32 v33, v33, v34
	v_dual_add_f32 v38, v45, v38 :: v_dual_fmac_f32 v37, v6, v29
	v_dual_mul_f32 v29, v99, v35 :: v_dual_mul_f32 v6, v86, v69
	s_delay_alu instid0(VALU_DEP_2) | instskip(SKIP_1) | instid1(VALU_DEP_3)
	v_dual_add_f32 v38, v38, v39 :: v_dual_and_b32 v39, 0xffff0000, v9
	v_dual_add_f32 v34, v72, v40 :: v_dual_lshlrev_b32 v9, 16, v9
	v_fmac_f32_e32 v29, v7, v31
	v_mul_f32_e32 v7, v86, v36
	s_delay_alu instid0(VALU_DEP_4) | instskip(NEXT) | instid1(VALU_DEP_4)
	v_dual_mul_f32 v35, v39, v79 :: v_dual_fmac_f32 v6, v8, v30
	v_dual_add_f32 v34, v34, v37 :: v_dual_and_b32 v37, 0xffff0000, v10
	s_delay_alu instid0(VALU_DEP_2) | instskip(NEXT) | instid1(VALU_DEP_3)
	v_dual_fmac_f32 v35, v9, v41 :: v_dual_lshlrev_b32 v10, 16, v10
	v_dual_fmac_f32 v7, v8, v32 :: v_dual_add_f32 v6, v33, v6
	s_delay_alu instid0(VALU_DEP_3) | instskip(NEXT) | instid1(VALU_DEP_4)
	v_mul_f32_e32 v31, v37, v83
	v_dual_add_f32 v29, v34, v29 :: v_dual_mul_f32 v8, v39, v27
	s_delay_alu instid0(VALU_DEP_4) | instskip(NEXT) | instid1(VALU_DEP_3)
	v_dual_add_f32 v5, v5, v35 :: v_dual_and_b32 v30, 0xffff0000, v12
	v_dual_fmac_f32 v31, v10, v42 :: v_dual_lshlrev_b32 v12, 16, v12
	s_delay_alu instid0(VALU_DEP_3) | instskip(NEXT) | instid1(VALU_DEP_4)
	v_fmac_f32_e32 v8, v9, v87
	v_add_f32_e32 v7, v29, v7
	v_mul_f32_e32 v29, v37, v44
	s_delay_alu instid0(VALU_DEP_4) | instskip(NEXT) | instid1(VALU_DEP_4)
	v_add_f32_e32 v5, v5, v31
	v_dual_add_f32 v79, v47, v85 :: v_dual_add_f32 v8, v38, v8
	s_delay_alu instid0(VALU_DEP_3) | instskip(SKIP_1) | instid1(VALU_DEP_2)
	v_fmac_f32_e32 v29, v10, v28
	v_and_b32_e32 v27, 0xffff0000, v11
	v_dual_add_f32 v8, v8, v29 :: v_dual_lshlrev_b32 v11, 16, v11
	s_delay_alu instid0(VALU_DEP_2) | instskip(SKIP_2) | instid1(VALU_DEP_3)
	v_mul_f32_e32 v25, v27, v25
	v_mul_f32_e32 v29, v39, v89
	;; [unrolled: 1-line block ×3, first 2 shown]
	v_dual_fmac_f32 v25, v11, v26 :: v_dual_mul_f32 v26, v30, v43
	s_delay_alu instid0(VALU_DEP_3) | instskip(SKIP_1) | instid1(VALU_DEP_3)
	v_fmac_f32_e32 v29, v9, v17
	v_dual_mul_f32 v17, v37, v22 :: v_dual_mul_f32 v22, v30, v92
	v_fmac_f32_e32 v26, v12, v21
	v_fmac_f32_e32 v28, v11, v90
	s_delay_alu instid0(VALU_DEP_3) | instskip(SKIP_1) | instid1(VALU_DEP_1)
	v_dual_fmac_f32 v17, v10, v18 :: v_dual_fmac_f32 v22, v12, v23
	v_dual_mul_f32 v21, v39, v103 :: v_dual_add_f32 v6, v6, v29
	v_dual_add_f32 v8, v8, v28 :: v_dual_fmac_f32 v21, v9, v13
	s_delay_alu instid0(VALU_DEP_2) | instskip(NEXT) | instid1(VALU_DEP_2)
	v_dual_mul_f32 v9, v37, v107 :: v_dual_add_f32 v6, v6, v17
	v_dual_mul_f32 v13, v27, v24 :: v_dual_add_f32 v74, v8, v22
	s_delay_alu instid0(VALU_DEP_2) | instskip(SKIP_3) | instid1(VALU_DEP_3)
	v_fmac_f32_e32 v9, v10, v14
	v_mul_f32_e32 v14, v30, v105
	v_mul_f32_e32 v10, v27, v97
	v_add_f32_e32 v5, v5, v25
	v_dual_fmac_f32 v13, v11, v19 :: v_dual_fmac_f32 v14, v12, v20
	s_delay_alu instid0(VALU_DEP_3) | instskip(SKIP_1) | instid1(VALU_DEP_4)
	v_fmac_f32_e32 v10, v11, v15
	v_add_f32_e32 v7, v7, v21
	v_add_f32_e32 v75, v5, v26
	s_delay_alu instid0(VALU_DEP_2) | instskip(SKIP_1) | instid1(VALU_DEP_2)
	v_add_f32_e32 v7, v7, v9
	v_mul_f32_e32 v9, v30, v101
	v_dual_add_f32 v6, v6, v13 :: v_dual_add_f32 v7, v7, v10
	s_delay_alu instid0(VALU_DEP_2) | instskip(NEXT) | instid1(VALU_DEP_1)
	v_fmac_f32_e32 v9, v12, v16
	v_dual_add_f32 v73, v6, v14 :: v_dual_add_f32 v72, v7, v9
	s_cbranch_scc1 .LBB216_36
.LBB216_18:                             ;   Parent Loop BB216_13 Depth=1
                                        ; =>  This Inner Loop Header: Depth=2
	v_add_nc_u32_e32 v68, s1, v0
	v_dual_mov_b32 v44, 0 :: v_dual_mov_b32 v43, 0
	v_dual_mov_b32 v42, 0 :: v_dual_mov_b32 v41, 0
	s_delay_alu instid0(VALU_DEP_3) | instskip(SKIP_3) | instid1(VALU_DEP_4)
	v_min_u32_e32 v54, s23, v68
	v_dual_mov_b32 v52, 0 :: v_dual_add_nc_u32 v67, 0x200, v68
	v_dual_mov_b32 v51, 0 :: v_dual_mov_b32 v50, 0
	v_mov_b32_e32 v49, 0
	v_lshlrev_b64 v[5:6], 1, v[54:55]
	s_delay_alu instid0(VALU_DEP_4) | instskip(SKIP_2) | instid1(VALU_DEP_2)
	v_min_u32_e32 v54, s23, v67
	s_mov_b32 s2, exec_lo
	s_waitcnt vmcnt(0) lgkmcnt(0)
	v_add_co_u32 v13, vcc_lo, s14, v5
	s_delay_alu instid0(VALU_DEP_3) | instskip(SKIP_1) | instid1(VALU_DEP_3)
	v_add_co_ci_u32_e32 v14, vcc_lo, s15, v6, vcc_lo
	v_lshlrev_b64 v[5:6], 1, v[54:55]
	v_add_co_u32 v7, vcc_lo, v13, v59
	s_delay_alu instid0(VALU_DEP_3)
	v_add_co_ci_u32_e32 v8, vcc_lo, v14, v60, vcc_lo
	v_add_co_u32 v9, vcc_lo, v13, v61
	v_add_co_ci_u32_e32 v10, vcc_lo, v14, v62, vcc_lo
	v_add_co_u32 v11, vcc_lo, v13, v63
	;; [unrolled: 2-line block ×4, first 2 shown]
	v_add_co_ci_u32_e32 v6, vcc_lo, v14, v66, vcc_lo
	s_clause 0x1
	global_load_b128 v[45:48], v[7:8], off slc dlc
	global_load_b128 v[37:40], v[9:10], off slc dlc
	v_add_co_u32 v7, vcc_lo, v15, v59
	v_add_co_ci_u32_e32 v8, vcc_lo, v16, v60, vcc_lo
	v_add_co_u32 v9, vcc_lo, v15, v61
	v_add_co_ci_u32_e32 v10, vcc_lo, v16, v62, vcc_lo
	;; [unrolled: 2-line block ×4, first 2 shown]
	s_clause 0x5
	global_load_b128 v[33:36], v[11:12], off slc dlc
	global_load_b128 v[29:32], v[5:6], off slc dlc
	;; [unrolled: 1-line block ×6, first 2 shown]
	v_dual_mov_b32 v12, 0 :: v_dual_mov_b32 v11, 0
	v_dual_mov_b32 v10, 0 :: v_dual_mov_b32 v9, 0
	;; [unrolled: 1-line block ×4, first 2 shown]
	v_cmpx_gt_u32_e64 s8, v68
	s_cbranch_execz .LBB216_17
; %bb.19:                               ;   in Loop: Header=BB216_18 Depth=2
	s_mov_b32 s3, exec_lo
                                        ; implicit-def: $vgpr52
	v_cmpx_lt_u32_e32 0x7fff, v68
	s_xor_b32 s3, exec_lo, s3
	s_cbranch_execz .LBB216_21
; %bb.20:                               ;   in Loop: Header=BB216_18 Depth=2
	v_mov_b32_e32 v69, v55
	s_delay_alu instid0(VALU_DEP_1) | instskip(NEXT) | instid1(VALU_DEP_1)
	v_lshlrev_b64 v[5:6], 1, v[68:69]
	v_add_co_u32 v5, vcc_lo, s12, v5
	s_delay_alu instid0(VALU_DEP_2)
	v_add_co_ci_u32_e32 v6, vcc_lo, s13, v6, vcc_lo
	global_load_b128 v[49:52], v[5:6], off
.LBB216_21:                             ;   in Loop: Header=BB216_18 Depth=2
	s_and_not1_saveexec_b32 s3, s3
	s_cbranch_execz .LBB216_23
; %bb.22:                               ;   in Loop: Header=BB216_18 Depth=2
	v_lshlrev_b32_e32 v5, 1, v68
	s_waitcnt vmcnt(0)
	ds_load_b128 v[49:52], v5
.LBB216_23:                             ;   in Loop: Header=BB216_18 Depth=2
	s_or_b32 exec_lo, exec_lo, s3
	v_add_nc_u32_e32 v54, s10, v68
	s_mov_b32 s3, exec_lo
                                        ; implicit-def: $vgpr8
	s_delay_alu instid0(VALU_DEP_1)
	v_cmpx_lt_u32_e32 0x7fff, v54
	s_xor_b32 s3, exec_lo, s3
	s_cbranch_execz .LBB216_25
; %bb.24:                               ;   in Loop: Header=BB216_18 Depth=2
	v_lshlrev_b64 v[5:6], 1, v[54:55]
	s_delay_alu instid0(VALU_DEP_1) | instskip(NEXT) | instid1(VALU_DEP_2)
	v_add_co_u32 v5, vcc_lo, s12, v5
	v_add_co_ci_u32_e32 v6, vcc_lo, s13, v6, vcc_lo
	global_load_b128 v[5:8], v[5:6], off
.LBB216_25:                             ;   in Loop: Header=BB216_18 Depth=2
	s_and_not1_saveexec_b32 s3, s3
	s_cbranch_execz .LBB216_27
; %bb.26:                               ;   in Loop: Header=BB216_18 Depth=2
	s_waitcnt vmcnt(0)
	v_lshlrev_b32_e32 v5, 1, v54
	ds_load_b128 v[5:8], v5
.LBB216_27:                             ;   in Loop: Header=BB216_18 Depth=2
	s_or_b32 exec_lo, exec_lo, s3
	v_dual_mov_b32 v12, 0 :: v_dual_mov_b32 v11, 0
	v_dual_mov_b32 v10, 0 :: v_dual_mov_b32 v9, 0
	;; [unrolled: 1-line block ×4, first 2 shown]
	s_mov_b32 s3, exec_lo
	v_cmpx_gt_u32_e64 s8, v67
	s_cbranch_execz .LBB216_16
; %bb.28:                               ;   in Loop: Header=BB216_18 Depth=2
	s_mov_b32 s4, exec_lo
                                        ; implicit-def: $vgpr44
	v_cmpx_lt_u32_e32 0x7fff, v67
	s_xor_b32 s4, exec_lo, s4
	s_cbranch_execz .LBB216_30
; %bb.29:                               ;   in Loop: Header=BB216_18 Depth=2
	v_mov_b32_e32 v68, v55
	s_delay_alu instid0(VALU_DEP_1) | instskip(NEXT) | instid1(VALU_DEP_1)
	v_lshlrev_b64 v[9:10], 1, v[67:68]
                                        ; implicit-def: $vgpr68
	v_add_co_u32 v9, vcc_lo, s12, v9
	s_delay_alu instid0(VALU_DEP_2)
	v_add_co_ci_u32_e32 v10, vcc_lo, s13, v10, vcc_lo
	global_load_b128 v[41:44], v[9:10], off
.LBB216_30:                             ;   in Loop: Header=BB216_18 Depth=2
	s_and_not1_saveexec_b32 s4, s4
	s_cbranch_execz .LBB216_32
; %bb.31:                               ;   in Loop: Header=BB216_18 Depth=2
	v_lshlrev_b32_e32 v9, 1, v68
	s_waitcnt vmcnt(0)
	ds_load_b128 v[41:44], v9 offset:1024
.LBB216_32:                             ;   in Loop: Header=BB216_18 Depth=2
	s_or_b32 exec_lo, exec_lo, s4
	v_add_nc_u32_e32 v9, s10, v67
	s_mov_b32 s4, exec_lo
                                        ; implicit-def: $vgpr12
	s_delay_alu instid0(VALU_DEP_1)
	v_cmpx_lt_u32_e32 0x7fff, v9
	s_xor_b32 s4, exec_lo, s4
	s_cbranch_execz .LBB216_34
; %bb.33:                               ;   in Loop: Header=BB216_18 Depth=2
	v_mov_b32_e32 v10, v55
	s_delay_alu instid0(VALU_DEP_1) | instskip(NEXT) | instid1(VALU_DEP_1)
	v_lshlrev_b64 v[9:10], 1, v[9:10]
	v_add_co_u32 v9, vcc_lo, s12, v9
	s_delay_alu instid0(VALU_DEP_2)
	v_add_co_ci_u32_e32 v10, vcc_lo, s13, v10, vcc_lo
	global_load_b128 v[9:12], v[9:10], off
.LBB216_34:                             ;   in Loop: Header=BB216_18 Depth=2
	s_and_not1_saveexec_b32 s4, s4
	s_cbranch_execz .LBB216_15
; %bb.35:                               ;   in Loop: Header=BB216_18 Depth=2
	s_waitcnt vmcnt(0)
	v_lshlrev_b32_e32 v9, 1, v54
	ds_load_b128 v[9:12], v9 offset:1024
	s_branch .LBB216_15
.LBB216_36:                             ;   in Loop: Header=BB216_13 Depth=1
	s_delay_alu instid0(VALU_DEP_1)
	v_cvt_i32_f32_e32 v5, v77
	s_waitcnt lgkmcnt(0)
	v_cvt_i32_f32_e32 v6, v78
	v_cvt_i32_f32_e32 v7, v76
	;; [unrolled: 1-line block ×4, first 2 shown]
	v_cvt_f32_i32_dpp v5, v5 row_shr:8 row_mask:0xf bank_mask:0xf bound_ctrl:1
	v_cvt_f32_i32_dpp v6, v6 row_shr:8 row_mask:0xf bank_mask:0xf bound_ctrl:1
	;; [unrolled: 1-line block ×3, first 2 shown]
	v_cvt_i32_f32_e32 v9, v75
	v_cvt_f32_i32_dpp v10, v10 row_shr:8 row_mask:0xf bank_mask:0xf bound_ctrl:1
	s_delay_alu instid0(VALU_DEP_4) | instskip(SKIP_1) | instid1(VALU_DEP_4)
	v_dual_add_f32 v5, v77, v5 :: v_dual_add_f32 v6, v78, v6
	v_cvt_i32_f32_e32 v8, v79
	v_cvt_f32_i32_dpp v9, v9 row_shr:8 row_mask:0xf bank_mask:0xf bound_ctrl:1
	v_cvt_i32_f32_e32 v11, v73
	s_delay_alu instid0(VALU_DEP_4)
	v_cvt_i32_f32_e32 v12, v5
	s_waitcnt vmcnt(0)
	v_cvt_i32_f32_e32 v13, v6
	v_cvt_f32_i32_dpp v8, v8 row_shr:8 row_mask:0xf bank_mask:0xf bound_ctrl:1
	v_add_f32_e32 v10, v74, v10
	v_cvt_f32_i32_dpp v11, v11 row_shr:8 row_mask:0xf bank_mask:0xf bound_ctrl:1
	v_cvt_f32_i32_dpp v12, v12 row_shr:4 row_mask:0xf bank_mask:0xf bound_ctrl:1
	;; [unrolled: 1-line block ×3, first 2 shown]
	v_dual_add_f32 v7, v76, v7 :: v_dual_add_f32 v8, v79, v8
	s_delay_alu instid0(VALU_DEP_4) | instskip(NEXT) | instid1(VALU_DEP_3)
	v_add_f32_e32 v11, v73, v11
	v_dual_add_f32 v5, v5, v12 :: v_dual_add_f32 v6, v6, v13
	s_delay_alu instid0(VALU_DEP_3) | instskip(SKIP_1) | instid1(VALU_DEP_4)
	v_cvt_i32_f32_e32 v14, v7
	v_cvt_f32_i32_dpp v12, v15 row_shr:8 row_mask:0xf bank_mask:0xf bound_ctrl:1
	v_cvt_i32_f32_e32 v22, v11
	s_delay_alu instid0(VALU_DEP_4) | instskip(SKIP_3) | instid1(VALU_DEP_4)
	v_cvt_i32_f32_e32 v13, v5
	v_cvt_i32_f32_e32 v19, v10
	v_cvt_f32_i32_dpp v14, v14 row_shr:4 row_mask:0xf bank_mask:0xf bound_ctrl:1
	v_add_f32_e32 v12, v72, v12
	v_cvt_f32_i32_dpp v13, v13 row_shr:2 row_mask:0xf bank_mask:0xf bound_ctrl:1
	s_delay_alu instid0(VALU_DEP_3) | instskip(SKIP_1) | instid1(VALU_DEP_4)
	v_add_f32_e32 v7, v7, v14
	v_cvt_i32_f32_e32 v14, v6
	v_cvt_i32_f32_e32 v25, v12
	s_delay_alu instid0(VALU_DEP_3) | instskip(NEXT) | instid1(VALU_DEP_3)
	v_cvt_i32_f32_e32 v15, v7
	v_cvt_f32_i32_dpp v14, v14 row_shr:2 row_mask:0xf bank_mask:0xf bound_ctrl:1
	v_add_f32_e32 v9, v75, v9
	s_delay_alu instid0(VALU_DEP_3) | instskip(NEXT) | instid1(VALU_DEP_3)
	v_cvt_f32_i32_dpp v15, v15 row_shr:2 row_mask:0xf bank_mask:0xf bound_ctrl:1
	v_add_f32_e32 v6, v6, v14
	s_delay_alu instid0(VALU_DEP_3) | instskip(NEXT) | instid1(VALU_DEP_3)
	v_cvt_i32_f32_e32 v18, v9
	v_add_f32_e32 v7, v7, v15
	s_delay_alu instid0(VALU_DEP_3) | instskip(NEXT) | instid1(VALU_DEP_1)
	v_cvt_i32_f32_e32 v15, v6
	v_cvt_f32_i32_dpp v15, v15 row_shr:1 row_mask:0xf bank_mask:0xf bound_ctrl:1
	v_add_f32_e32 v5, v5, v13
	v_cvt_i32_f32_e32 v13, v8
	s_delay_alu instid0(VALU_DEP_3) | instskip(NEXT) | instid1(VALU_DEP_3)
	v_add_f32_e32 v20, v6, v15
	v_cvt_i32_f32_e32 v14, v5
	v_cvt_f32_i32_dpp v6, v18 row_shr:4 row_mask:0xf bank_mask:0xf bound_ctrl:1
	ds_bpermute_b32 v21, v70, v20
	v_cvt_f32_i32_dpp v14, v14 row_shr:1 row_mask:0xf bank_mask:0xf bound_ctrl:1
	v_add_f32_e32 v6, v9, v6
	v_cvt_i32_f32_e32 v16, v7
	s_delay_alu instid0(VALU_DEP_3) | instskip(SKIP_4) | instid1(VALU_DEP_4)
	v_add_f32_e32 v23, v5, v14
	v_cvt_f32_i32_dpp v14, v25 row_shr:4 row_mask:0xf bank_mask:0xf bound_ctrl:1
	v_cvt_f32_i32_dpp v5, v13 row_shr:4 row_mask:0xf bank_mask:0xf bound_ctrl:1
	;; [unrolled: 1-line block ×4, first 2 shown]
	v_add_f32_e32 v9, v12, v14
	s_delay_alu instid0(VALU_DEP_1) | instskip(NEXT) | instid1(VALU_DEP_1)
	v_cvt_i32_f32_e32 v14, v9
	v_cvt_f32_i32_dpp v14, v14 row_shr:2 row_mask:0xf bank_mask:0xf bound_ctrl:1
	v_add_f32_e32 v5, v8, v5
	v_add_f32_e32 v8, v11, v13
	v_cvt_i32_f32_e32 v11, v6
	ds_bpermute_b32 v24, v70, v23
	v_cvt_i32_f32_e32 v13, v8
	v_cvt_f32_i32_dpp v11, v11 row_shr:2 row_mask:0xf bank_mask:0xf bound_ctrl:1
	v_add_f32_e32 v17, v7, v16
	v_cvt_f32_i32_dpp v7, v19 row_shr:4 row_mask:0xf bank_mask:0xf bound_ctrl:1
	s_delay_alu instid0(VALU_DEP_4) | instskip(NEXT) | instid1(VALU_DEP_4)
	v_cvt_f32_i32_dpp v13, v13 row_shr:2 row_mask:0xf bank_mask:0xf bound_ctrl:1
	v_add_f32_e32 v6, v6, v11
	ds_bpermute_b32 v18, v70, v17
	v_add_f32_e32 v7, v10, v7
	v_cvt_i32_f32_e32 v10, v5
	v_add_f32_e32 v8, v8, v13
	v_cvt_i32_f32_e32 v11, v6
	s_delay_alu instid0(VALU_DEP_4) | instskip(NEXT) | instid1(VALU_DEP_4)
	v_cvt_i32_f32_e32 v12, v7
	v_cvt_f32_i32_dpp v10, v10 row_shr:2 row_mask:0xf bank_mask:0xf bound_ctrl:1
	s_delay_alu instid0(VALU_DEP_4) | instskip(NEXT) | instid1(VALU_DEP_4)
	v_cvt_i32_f32_e32 v13, v8
	v_cvt_f32_i32_dpp v11, v11 row_shr:1 row_mask:0xf bank_mask:0xf bound_ctrl:1
	s_delay_alu instid0(VALU_DEP_4) | instskip(NEXT) | instid1(VALU_DEP_4)
	v_cvt_f32_i32_dpp v12, v12 row_shr:2 row_mask:0xf bank_mask:0xf bound_ctrl:1
	v_add_f32_e32 v5, v5, v10
	v_add_f32_e32 v10, v9, v14
	v_cvt_f32_i32_dpp v13, v13 row_shr:1 row_mask:0xf bank_mask:0xf bound_ctrl:1
	v_add_f32_e32 v11, v6, v11
	s_delay_alu instid0(VALU_DEP_4) | instskip(NEXT) | instid1(VALU_DEP_4)
	v_cvt_i32_f32_e32 v9, v5
	v_cvt_i32_f32_e32 v14, v10
	s_delay_alu instid0(VALU_DEP_2) | instskip(SKIP_1) | instid1(VALU_DEP_3)
	v_cvt_f32_i32_dpp v9, v9 row_shr:1 row_mask:0xf bank_mask:0xf bound_ctrl:1
	v_add_f32_e32 v7, v7, v12
	v_cvt_f32_i32_dpp v15, v14 row_shr:1 row_mask:0xf bank_mask:0xf bound_ctrl:1
	s_delay_alu instid0(VALU_DEP_3) | instskip(NEXT) | instid1(VALU_DEP_3)
	v_add_f32_e32 v14, v5, v9
	v_cvt_i32_f32_e32 v12, v7
	s_delay_alu instid0(VALU_DEP_3)
	v_add_f32_e32 v5, v10, v15
	ds_bpermute_b32 v15, v70, v14
	v_cvt_f32_i32_dpp v12, v12 row_shr:1 row_mask:0xf bank_mask:0xf bound_ctrl:1
	ds_bpermute_b32 v6, v70, v5
	v_add_f32_e32 v9, v7, v12
	v_add_f32_e32 v7, v8, v13
	ds_bpermute_b32 v12, v70, v11
	ds_bpermute_b32 v10, v70, v9
	;; [unrolled: 1-line block ×3, first 2 shown]
	s_and_saveexec_b32 s5, s0
	s_cbranch_execz .LBB216_87
; %bb.37:                               ;   in Loop: Header=BB216_13 Depth=1
	v_dual_mov_b32 v28, 0 :: v_dual_mov_b32 v27, 0
	v_dual_mov_b32 v26, 0 :: v_dual_mov_b32 v25, 0
	;; [unrolled: 1-line block ×4, first 2 shown]
	s_and_not1_b32 vcc_lo, exec_lo, s25
	s_cbranch_vccnz .LBB216_39
; %bb.38:                               ;   in Loop: Header=BB216_13 Depth=1
	v_mul_hi_u32 v13, v53, v71
	v_mul_hi_u32 v16, v58, v71
	;; [unrolled: 1-line block ×4, first 2 shown]
	s_delay_alu instid0(VALU_DEP_4) | instskip(NEXT) | instid1(VALU_DEP_4)
	v_mul_lo_u32 v13, v13, s16
	v_mul_lo_u32 v16, v16, s16
	s_delay_alu instid0(VALU_DEP_4) | instskip(NEXT) | instid1(VALU_DEP_4)
	v_mul_lo_u32 v19, v19, s16
	v_mul_lo_u32 v22, v22, s16
	s_delay_alu instid0(VALU_DEP_4) | instskip(NEXT) | instid1(VALU_DEP_4)
	v_sub_nc_u32_e32 v13, v53, v13
	v_sub_nc_u32_e32 v16, v58, v16
	s_delay_alu instid0(VALU_DEP_4) | instskip(NEXT) | instid1(VALU_DEP_4)
	v_sub_nc_u32_e32 v19, v57, v19
	v_sub_nc_u32_e32 v22, v56, v22
	s_delay_alu instid0(VALU_DEP_4)
	v_subrev_nc_u32_e32 v25, s16, v13
	v_cmp_le_u32_e32 vcc_lo, s16, v13
	v_mov_b32_e32 v26, v55
	v_subrev_nc_u32_e32 v27, s16, v16
	v_subrev_nc_u32_e32 v29, s16, v19
	;; [unrolled: 1-line block ×3, first 2 shown]
	v_cndmask_b32_e32 v13, v13, v25, vcc_lo
	v_cmp_le_u32_e32 vcc_lo, s16, v16
	s_delay_alu instid0(VALU_DEP_2) | instskip(SKIP_4) | instid1(VALU_DEP_4)
	v_subrev_nc_u32_e32 v25, s16, v13
	v_cndmask_b32_e32 v16, v16, v27, vcc_lo
	v_cmp_le_u32_e32 vcc_lo, s16, v19
	v_cndmask_b32_e32 v19, v19, v29, vcc_lo
	v_cmp_le_u32_e32 vcc_lo, s16, v22
	v_subrev_nc_u32_e32 v27, s16, v16
	s_delay_alu instid0(VALU_DEP_3)
	v_subrev_nc_u32_e32 v29, s16, v19
	v_cndmask_b32_e32 v22, v22, v30, vcc_lo
	v_cmp_le_u32_e32 vcc_lo, s16, v13
	v_cndmask_b32_e32 v54, v13, v25, vcc_lo
	v_cmp_le_u32_e32 vcc_lo, s16, v16
	v_mov_b32_e32 v28, v55
	s_delay_alu instid0(VALU_DEP_3)
	v_lshlrev_b64 v[31:32], 1, v[54:55]
	v_cndmask_b32_e32 v25, v16, v27, vcc_lo
	v_cmp_le_u32_e32 vcc_lo, s16, v19
	v_dual_cndmask_b32 v27, v19, v29 :: v_dual_add_nc_u32 v54, s26, v54
	v_subrev_nc_u32_e32 v33, s16, v22
	v_cmp_le_u32_e32 vcc_lo, s16, v22
	v_mov_b32_e32 v30, v55
	s_delay_alu instid0(VALU_DEP_4)
	v_lshlrev_b64 v[39:40], 1, v[54:55]
	v_lshlrev_b64 v[35:36], 1, v[27:28]
	v_add_nc_u32_e32 v54, s26, v25
	v_cndmask_b32_e32 v29, v22, v33, vcc_lo
	v_lshlrev_b64 v[33:34], 1, v[25:26]
	v_add_co_u32 v31, vcc_lo, s6, v31
	v_add_co_ci_u32_e32 v32, vcc_lo, s7, v32, vcc_lo
	s_delay_alu instid0(VALU_DEP_4) | instskip(NEXT) | instid1(VALU_DEP_4)
	v_lshlrev_b64 v[37:38], 1, v[29:30]
	v_add_co_u32 v33, vcc_lo, s6, v33
	v_add_co_ci_u32_e32 v34, vcc_lo, s7, v34, vcc_lo
	v_add_co_u32 v35, vcc_lo, s6, v35
	v_lshlrev_b64 v[25:26], 1, v[54:55]
	v_add_nc_u32_e32 v54, s26, v27
	v_add_co_ci_u32_e32 v36, vcc_lo, s7, v36, vcc_lo
	v_add_co_u32 v37, vcc_lo, s6, v37
	v_add_co_ci_u32_e32 v38, vcc_lo, s7, v38, vcc_lo
	v_add_co_u32 v39, vcc_lo, s6, v39
	v_lshlrev_b64 v[27:28], 1, v[54:55]
	v_add_nc_u32_e32 v54, s26, v29
	v_add_co_ci_u32_e32 v40, vcc_lo, s7, v40, vcc_lo
	v_add_co_u32 v29, vcc_lo, s6, v25
	v_add_co_ci_u32_e32 v30, vcc_lo, s7, v26, vcc_lo
	s_delay_alu instid0(VALU_DEP_4) | instskip(SKIP_2) | instid1(VALU_DEP_3)
	v_lshlrev_b64 v[25:26], 1, v[54:55]
	v_add_co_u32 v41, vcc_lo, s6, v27
	v_add_co_ci_u32_e32 v42, vcc_lo, s7, v28, vcc_lo
	v_add_co_u32 v43, vcc_lo, s6, v25
	s_delay_alu instid0(VALU_DEP_4)
	v_add_co_ci_u32_e32 v44, vcc_lo, s7, v26, vcc_lo
	s_clause 0x7
	global_load_u16 v28, v[31:32], off
	global_load_u16 v27, v[33:34], off
	;; [unrolled: 1-line block ×8, first 2 shown]
.LBB216_39:                             ;   in Loop: Header=BB216_13 Depth=1
	v_cmp_ne_u32_e32 vcc_lo, 0, v1
	s_and_saveexec_b32 s2, vcc_lo
	s_cbranch_execnz .LBB216_47
; %bb.40:                               ;   in Loop: Header=BB216_13 Depth=1
	s_or_b32 exec_lo, exec_lo, s2
	v_cmp_ne_u32_e64 s1, 0, v2
	s_delay_alu instid0(VALU_DEP_1)
	s_and_saveexec_b32 s3, s1
	s_cbranch_execnz .LBB216_52
.LBB216_41:                             ;   in Loop: Header=BB216_13 Depth=1
	s_or_b32 exec_lo, exec_lo, s3
	v_cmp_ne_u32_e64 s2, 0, v3
	s_delay_alu instid0(VALU_DEP_1)
	s_and_saveexec_b32 s4, s2
	s_cbranch_execnz .LBB216_57
.LBB216_42:                             ;   in Loop: Header=BB216_13 Depth=1
	s_or_b32 exec_lo, exec_lo, s4
	v_cmp_ne_u32_e64 s3, 0, v4
	s_delay_alu instid0(VALU_DEP_1)
	s_and_saveexec_b32 s27, s3
	s_cbranch_execnz .LBB216_62
.LBB216_43:                             ;   in Loop: Header=BB216_13 Depth=1
	s_or_b32 exec_lo, exec_lo, s27
	v_add_nc_u32_e32 v54, s11, v53
	s_and_saveexec_b32 s4, vcc_lo
	s_cbranch_execnz .LBB216_67
.LBB216_44:                             ;   in Loop: Header=BB216_13 Depth=1
	s_or_b32 exec_lo, exec_lo, s4
	s_and_saveexec_b32 s4, s1
	s_cbranch_execnz .LBB216_72
.LBB216_45:                             ;   in Loop: Header=BB216_13 Depth=1
	s_or_b32 exec_lo, exec_lo, s4
	s_and_saveexec_b32 s1, s2
	s_cbranch_execnz .LBB216_77
.LBB216_46:                             ;   in Loop: Header=BB216_13 Depth=1
	s_or_b32 exec_lo, exec_lo, s1
	s_delay_alu instid0(SALU_CYCLE_1)
	s_and_b32 exec_lo, exec_lo, s3
	s_cbranch_execnz .LBB216_82
	s_branch .LBB216_87
.LBB216_47:                             ;   in Loop: Header=BB216_13 Depth=1
	s_waitcnt lgkmcnt(0)
	v_add_f32_e32 v23, v23, v24
	s_waitcnt vmcnt(7)
	v_lshlrev_b32_e32 v24, 16, v28
	s_delay_alu instid0(VALU_DEP_1) | instskip(NEXT) | instid1(VALU_DEP_1)
	v_add_f32_e32 v24, v23, v24
	v_and_b32_e32 v23, 0x7f800000, v24
	s_delay_alu instid0(VALU_DEP_1) | instskip(NEXT) | instid1(VALU_DEP_1)
	v_cmp_ne_u32_e64 s1, 0x7f800000, v23
                                        ; implicit-def: $vgpr23
	s_and_saveexec_b32 s3, s1
	s_delay_alu instid0(SALU_CYCLE_1)
	s_xor_b32 s1, exec_lo, s3
; %bb.48:                               ;   in Loop: Header=BB216_13 Depth=1
	v_bfe_u32 v23, v24, 16, 1
	s_delay_alu instid0(VALU_DEP_1)
	v_add3_u32 v23, v24, v23, 0x7fff
                                        ; implicit-def: $vgpr24
; %bb.49:                               ;   in Loop: Header=BB216_13 Depth=1
	s_and_not1_saveexec_b32 s3, s1
; %bb.50:                               ;   in Loop: Header=BB216_13 Depth=1
	v_and_b32_e32 v23, 0xffff, v24
	v_or_b32_e32 v28, 0x10000, v24
	s_delay_alu instid0(VALU_DEP_2) | instskip(NEXT) | instid1(VALU_DEP_1)
	v_cmp_eq_u32_e64 s1, 0, v23
	v_cndmask_b32_e64 v23, v28, v24, s1
; %bb.51:                               ;   in Loop: Header=BB216_13 Depth=1
	s_or_b32 exec_lo, exec_lo, s3
	v_mov_b32_e32 v54, v55
	s_delay_alu instid0(VALU_DEP_1) | instskip(NEXT) | instid1(VALU_DEP_1)
	v_lshlrev_b64 v[28:29], 1, v[53:54]
	v_add_co_u32 v28, s1, s18, v28
	s_delay_alu instid0(VALU_DEP_1) | instskip(SKIP_3) | instid1(VALU_DEP_1)
	v_add_co_ci_u32_e64 v29, s1, s19, v29, s1
	global_store_d16_hi_b16 v[28:29], v23, off
	s_or_b32 exec_lo, exec_lo, s2
	v_cmp_ne_u32_e64 s1, 0, v2
	s_and_saveexec_b32 s3, s1
	s_cbranch_execz .LBB216_41
.LBB216_52:                             ;   in Loop: Header=BB216_13 Depth=1
	s_waitcnt vmcnt(6) lgkmcnt(0)
	v_dual_add_f32 v20, v20, v21 :: v_dual_lshlrev_b32 v21, 16, v27
	s_delay_alu instid0(VALU_DEP_1) | instskip(NEXT) | instid1(VALU_DEP_1)
	v_add_f32_e32 v21, v20, v21
	v_and_b32_e32 v20, 0x7f800000, v21
	s_delay_alu instid0(VALU_DEP_1) | instskip(NEXT) | instid1(VALU_DEP_1)
	v_cmp_ne_u32_e64 s2, 0x7f800000, v20
                                        ; implicit-def: $vgpr20
	s_and_saveexec_b32 s4, s2
	s_delay_alu instid0(SALU_CYCLE_1)
	s_xor_b32 s2, exec_lo, s4
; %bb.53:                               ;   in Loop: Header=BB216_13 Depth=1
	v_bfe_u32 v20, v21, 16, 1
	s_delay_alu instid0(VALU_DEP_1)
	v_add3_u32 v20, v21, v20, 0x7fff
                                        ; implicit-def: $vgpr21
; %bb.54:                               ;   in Loop: Header=BB216_13 Depth=1
	s_and_not1_saveexec_b32 s4, s2
; %bb.55:                               ;   in Loop: Header=BB216_13 Depth=1
	v_and_b32_e32 v20, 0xffff, v21
	v_or_b32_e32 v23, 0x10000, v21
	s_delay_alu instid0(VALU_DEP_2) | instskip(NEXT) | instid1(VALU_DEP_1)
	v_cmp_eq_u32_e64 s2, 0, v20
	v_cndmask_b32_e64 v20, v23, v21, s2
; %bb.56:                               ;   in Loop: Header=BB216_13 Depth=1
	s_or_b32 exec_lo, exec_lo, s4
	v_mov_b32_e32 v59, v55
	s_delay_alu instid0(VALU_DEP_1) | instskip(NEXT) | instid1(VALU_DEP_1)
	v_lshlrev_b64 v[23:24], 1, v[58:59]
	v_add_co_u32 v23, s2, s18, v23
	s_delay_alu instid0(VALU_DEP_1) | instskip(SKIP_3) | instid1(VALU_DEP_1)
	v_add_co_ci_u32_e64 v24, s2, s19, v24, s2
	global_store_d16_hi_b16 v[23:24], v20, off
	s_or_b32 exec_lo, exec_lo, s3
	v_cmp_ne_u32_e64 s2, 0, v3
	s_and_saveexec_b32 s4, s2
	s_cbranch_execz .LBB216_42
.LBB216_57:                             ;   in Loop: Header=BB216_13 Depth=1
	s_waitcnt lgkmcnt(0)
	v_add_f32_e32 v17, v17, v18
	s_waitcnt vmcnt(5)
	v_lshlrev_b32_e32 v18, 16, v26
	s_delay_alu instid0(VALU_DEP_1) | instskip(NEXT) | instid1(VALU_DEP_1)
	v_add_f32_e32 v18, v17, v18
	v_and_b32_e32 v17, 0x7f800000, v18
	s_delay_alu instid0(VALU_DEP_1) | instskip(NEXT) | instid1(VALU_DEP_1)
	v_cmp_ne_u32_e64 s3, 0x7f800000, v17
                                        ; implicit-def: $vgpr17
	s_and_saveexec_b32 s27, s3
	s_delay_alu instid0(SALU_CYCLE_1)
	s_xor_b32 s3, exec_lo, s27
; %bb.58:                               ;   in Loop: Header=BB216_13 Depth=1
	v_bfe_u32 v17, v18, 16, 1
	s_delay_alu instid0(VALU_DEP_1)
	v_add3_u32 v17, v18, v17, 0x7fff
                                        ; implicit-def: $vgpr18
; %bb.59:                               ;   in Loop: Header=BB216_13 Depth=1
	s_and_not1_saveexec_b32 s27, s3
; %bb.60:                               ;   in Loop: Header=BB216_13 Depth=1
	v_and_b32_e32 v17, 0xffff, v18
	v_or_b32_e32 v20, 0x10000, v18
	s_delay_alu instid0(VALU_DEP_2) | instskip(NEXT) | instid1(VALU_DEP_1)
	v_cmp_eq_u32_e64 s3, 0, v17
	v_cndmask_b32_e64 v17, v20, v18, s3
; %bb.61:                               ;   in Loop: Header=BB216_13 Depth=1
	s_or_b32 exec_lo, exec_lo, s27
	v_mov_b32_e32 v58, v55
	s_delay_alu instid0(VALU_DEP_1) | instskip(NEXT) | instid1(VALU_DEP_1)
	v_lshlrev_b64 v[20:21], 1, v[57:58]
	v_add_co_u32 v20, s3, s18, v20
	s_delay_alu instid0(VALU_DEP_1) | instskip(SKIP_3) | instid1(VALU_DEP_1)
	v_add_co_ci_u32_e64 v21, s3, s19, v21, s3
	global_store_d16_hi_b16 v[20:21], v17, off
	s_or_b32 exec_lo, exec_lo, s4
	v_cmp_ne_u32_e64 s3, 0, v4
	s_and_saveexec_b32 s27, s3
	s_cbranch_execz .LBB216_43
.LBB216_62:                             ;   in Loop: Header=BB216_13 Depth=1
	s_waitcnt vmcnt(4) lgkmcnt(0)
	v_dual_add_f32 v14, v14, v15 :: v_dual_lshlrev_b32 v15, 16, v25
	s_delay_alu instid0(VALU_DEP_1) | instskip(NEXT) | instid1(VALU_DEP_1)
	v_add_f32_e32 v15, v14, v15
	v_and_b32_e32 v14, 0x7f800000, v15
	s_delay_alu instid0(VALU_DEP_1) | instskip(NEXT) | instid1(VALU_DEP_1)
	v_cmp_ne_u32_e64 s4, 0x7f800000, v14
                                        ; implicit-def: $vgpr14
	s_and_saveexec_b32 s28, s4
	s_delay_alu instid0(SALU_CYCLE_1)
	s_xor_b32 s4, exec_lo, s28
; %bb.63:                               ;   in Loop: Header=BB216_13 Depth=1
	v_bfe_u32 v14, v15, 16, 1
	s_delay_alu instid0(VALU_DEP_1)
	v_add3_u32 v14, v15, v14, 0x7fff
                                        ; implicit-def: $vgpr15
; %bb.64:                               ;   in Loop: Header=BB216_13 Depth=1
	s_and_not1_saveexec_b32 s28, s4
; %bb.65:                               ;   in Loop: Header=BB216_13 Depth=1
	v_and_b32_e32 v14, 0xffff, v15
	v_or_b32_e32 v17, 0x10000, v15
	s_delay_alu instid0(VALU_DEP_2) | instskip(NEXT) | instid1(VALU_DEP_1)
	v_cmp_eq_u32_e64 s4, 0, v14
	v_cndmask_b32_e64 v14, v17, v15, s4
; %bb.66:                               ;   in Loop: Header=BB216_13 Depth=1
	s_or_b32 exec_lo, exec_lo, s28
	v_mov_b32_e32 v57, v55
	s_delay_alu instid0(VALU_DEP_1) | instskip(NEXT) | instid1(VALU_DEP_1)
	v_lshlrev_b64 v[17:18], 1, v[56:57]
	v_add_co_u32 v17, s4, s18, v17
	s_delay_alu instid0(VALU_DEP_1)
	v_add_co_ci_u32_e64 v18, s4, s19, v18, s4
	global_store_d16_hi_b16 v[17:18], v14, off
	s_or_b32 exec_lo, exec_lo, s27
	v_add_nc_u32_e32 v54, s11, v53
	s_and_saveexec_b32 s4, vcc_lo
	s_cbranch_execz .LBB216_44
.LBB216_67:                             ;   in Loop: Header=BB216_13 Depth=1
	s_waitcnt vmcnt(3) lgkmcnt(0)
	v_dual_add_f32 v11, v11, v12 :: v_dual_lshlrev_b32 v12, 16, v22
	s_delay_alu instid0(VALU_DEP_1) | instskip(NEXT) | instid1(VALU_DEP_1)
	v_add_f32_e32 v12, v11, v12
	v_and_b32_e32 v11, 0x7f800000, v12
	s_delay_alu instid0(VALU_DEP_1) | instskip(SKIP_1) | instid1(SALU_CYCLE_1)
	v_cmp_ne_u32_e32 vcc_lo, 0x7f800000, v11
                                        ; implicit-def: $vgpr11
	s_and_saveexec_b32 s27, vcc_lo
	s_xor_b32 s27, exec_lo, s27
; %bb.68:                               ;   in Loop: Header=BB216_13 Depth=1
	v_bfe_u32 v11, v12, 16, 1
	s_delay_alu instid0(VALU_DEP_1)
	v_add3_u32 v11, v12, v11, 0x7fff
                                        ; implicit-def: $vgpr12
; %bb.69:                               ;   in Loop: Header=BB216_13 Depth=1
	s_and_not1_saveexec_b32 s27, s27
; %bb.70:                               ;   in Loop: Header=BB216_13 Depth=1
	v_and_b32_e32 v11, 0xffff, v12
	v_or_b32_e32 v14, 0x10000, v12
	s_delay_alu instid0(VALU_DEP_2) | instskip(NEXT) | instid1(VALU_DEP_2)
	v_cmp_eq_u32_e32 vcc_lo, 0, v11
	v_cndmask_b32_e32 v11, v14, v12, vcc_lo
; %bb.71:                               ;   in Loop: Header=BB216_13 Depth=1
	s_or_b32 exec_lo, exec_lo, s27
	v_lshlrev_b64 v[14:15], 1, v[54:55]
	s_delay_alu instid0(VALU_DEP_1) | instskip(NEXT) | instid1(VALU_DEP_2)
	v_add_co_u32 v14, vcc_lo, s18, v14
	v_add_co_ci_u32_e32 v15, vcc_lo, s19, v15, vcc_lo
	global_store_d16_hi_b16 v[14:15], v11, off
	s_or_b32 exec_lo, exec_lo, s4
	s_and_saveexec_b32 s4, s1
	s_cbranch_execz .LBB216_45
.LBB216_72:                             ;   in Loop: Header=BB216_13 Depth=1
	s_waitcnt vmcnt(2) lgkmcnt(0)
	v_dual_add_f32 v9, v9, v10 :: v_dual_lshlrev_b32 v10, 16, v19
	s_delay_alu instid0(VALU_DEP_1) | instskip(NEXT) | instid1(VALU_DEP_1)
	v_add_f32_e32 v10, v9, v10
	v_and_b32_e32 v9, 0x7f800000, v10
	s_delay_alu instid0(VALU_DEP_1) | instskip(SKIP_1) | instid1(SALU_CYCLE_1)
	v_cmp_ne_u32_e32 vcc_lo, 0x7f800000, v9
                                        ; implicit-def: $vgpr9
	s_and_saveexec_b32 s1, vcc_lo
	s_xor_b32 s1, exec_lo, s1
; %bb.73:                               ;   in Loop: Header=BB216_13 Depth=1
	v_bfe_u32 v9, v10, 16, 1
	s_delay_alu instid0(VALU_DEP_1)
	v_add3_u32 v9, v10, v9, 0x7fff
                                        ; implicit-def: $vgpr10
; %bb.74:                               ;   in Loop: Header=BB216_13 Depth=1
	s_and_not1_saveexec_b32 s1, s1
; %bb.75:                               ;   in Loop: Header=BB216_13 Depth=1
	v_and_b32_e32 v9, 0xffff, v10
	v_or_b32_e32 v11, 0x10000, v10
	s_delay_alu instid0(VALU_DEP_2) | instskip(NEXT) | instid1(VALU_DEP_2)
	v_cmp_eq_u32_e32 vcc_lo, 0, v9
	v_cndmask_b32_e32 v9, v11, v10, vcc_lo
; %bb.76:                               ;   in Loop: Header=BB216_13 Depth=1
	s_or_b32 exec_lo, exec_lo, s1
	v_dual_mov_b32 v11, v55 :: v_dual_add_nc_u32 v10, 1, v54
	s_delay_alu instid0(VALU_DEP_1) | instskip(NEXT) | instid1(VALU_DEP_1)
	v_lshlrev_b64 v[10:11], 1, v[10:11]
	v_add_co_u32 v10, vcc_lo, s18, v10
	s_delay_alu instid0(VALU_DEP_2)
	v_add_co_ci_u32_e32 v11, vcc_lo, s19, v11, vcc_lo
	global_store_d16_hi_b16 v[10:11], v9, off
	s_or_b32 exec_lo, exec_lo, s4
	s_and_saveexec_b32 s1, s2
	s_cbranch_execz .LBB216_46
.LBB216_77:                             ;   in Loop: Header=BB216_13 Depth=1
	s_waitcnt lgkmcnt(0)
	v_add_f32_e32 v7, v7, v8
	s_waitcnt vmcnt(1)
	v_lshlrev_b32_e32 v8, 16, v16
	s_delay_alu instid0(VALU_DEP_1) | instskip(NEXT) | instid1(VALU_DEP_1)
	v_add_f32_e32 v8, v7, v8
	v_and_b32_e32 v7, 0x7f800000, v8
	s_delay_alu instid0(VALU_DEP_1) | instskip(SKIP_1) | instid1(SALU_CYCLE_1)
	v_cmp_ne_u32_e32 vcc_lo, 0x7f800000, v7
                                        ; implicit-def: $vgpr7
	s_and_saveexec_b32 s2, vcc_lo
	s_xor_b32 s2, exec_lo, s2
; %bb.78:                               ;   in Loop: Header=BB216_13 Depth=1
	v_bfe_u32 v7, v8, 16, 1
	s_delay_alu instid0(VALU_DEP_1)
	v_add3_u32 v7, v8, v7, 0x7fff
                                        ; implicit-def: $vgpr8
; %bb.79:                               ;   in Loop: Header=BB216_13 Depth=1
	s_and_not1_saveexec_b32 s2, s2
; %bb.80:                               ;   in Loop: Header=BB216_13 Depth=1
	v_and_b32_e32 v7, 0xffff, v8
	v_or_b32_e32 v9, 0x10000, v8
	s_delay_alu instid0(VALU_DEP_2) | instskip(NEXT) | instid1(VALU_DEP_2)
	v_cmp_eq_u32_e32 vcc_lo, 0, v7
	v_cndmask_b32_e32 v7, v9, v8, vcc_lo
; %bb.81:                               ;   in Loop: Header=BB216_13 Depth=1
	s_or_b32 exec_lo, exec_lo, s2
	v_dual_mov_b32 v9, v55 :: v_dual_add_nc_u32 v8, 2, v54
	s_delay_alu instid0(VALU_DEP_1) | instskip(NEXT) | instid1(VALU_DEP_1)
	v_lshlrev_b64 v[8:9], 1, v[8:9]
	v_add_co_u32 v8, vcc_lo, s18, v8
	s_delay_alu instid0(VALU_DEP_2) | instskip(SKIP_2) | instid1(SALU_CYCLE_1)
	v_add_co_ci_u32_e32 v9, vcc_lo, s19, v9, vcc_lo
	global_store_d16_hi_b16 v[8:9], v7, off
	s_or_b32 exec_lo, exec_lo, s1
	s_and_b32 exec_lo, exec_lo, s3
	s_cbranch_execz .LBB216_87
.LBB216_82:                             ;   in Loop: Header=BB216_13 Depth=1
	s_waitcnt vmcnt(0) lgkmcnt(0)
	v_dual_add_f32 v5, v5, v6 :: v_dual_lshlrev_b32 v6, 16, v13
	s_delay_alu instid0(VALU_DEP_1) | instskip(NEXT) | instid1(VALU_DEP_1)
	v_add_f32_e32 v6, v5, v6
	v_and_b32_e32 v5, 0x7f800000, v6
	s_delay_alu instid0(VALU_DEP_1) | instskip(SKIP_1) | instid1(SALU_CYCLE_1)
	v_cmp_ne_u32_e32 vcc_lo, 0x7f800000, v5
                                        ; implicit-def: $vgpr5
	s_and_saveexec_b32 s1, vcc_lo
	s_xor_b32 s1, exec_lo, s1
; %bb.83:                               ;   in Loop: Header=BB216_13 Depth=1
	v_bfe_u32 v5, v6, 16, 1
	s_delay_alu instid0(VALU_DEP_1)
	v_add3_u32 v5, v6, v5, 0x7fff
                                        ; implicit-def: $vgpr6
; %bb.84:                               ;   in Loop: Header=BB216_13 Depth=1
	s_and_not1_saveexec_b32 s1, s1
; %bb.85:                               ;   in Loop: Header=BB216_13 Depth=1
	v_and_b32_e32 v5, 0xffff, v6
	v_or_b32_e32 v7, 0x10000, v6
	s_delay_alu instid0(VALU_DEP_2) | instskip(NEXT) | instid1(VALU_DEP_2)
	v_cmp_eq_u32_e32 vcc_lo, 0, v5
	v_cndmask_b32_e32 v5, v7, v6, vcc_lo
; %bb.86:                               ;   in Loop: Header=BB216_13 Depth=1
	s_or_b32 exec_lo, exec_lo, s1
	v_add_nc_u32_e32 v54, 3, v54
	s_delay_alu instid0(VALU_DEP_1) | instskip(NEXT) | instid1(VALU_DEP_1)
	v_lshlrev_b64 v[6:7], 1, v[54:55]
	v_add_co_u32 v6, vcc_lo, s18, v6
	s_delay_alu instid0(VALU_DEP_2)
	v_add_co_ci_u32_e32 v7, vcc_lo, s19, v7, vcc_lo
	global_store_d16_hi_b16 v[6:7], v5, off
.LBB216_87:                             ;   in Loop: Header=BB216_13 Depth=1
	s_or_b32 exec_lo, exec_lo, s5
	v_add_nc_u32_e32 v53, s20, v53
	s_delay_alu instid0(VALU_DEP_1) | instskip(SKIP_1) | instid1(VALU_DEP_2)
	v_add_nc_u32_e32 v5, 4, v53
	v_cmp_gt_u32_e32 vcc_lo, s11, v53
	v_cmp_le_u32_e64 s1, s11, v5
	s_delay_alu instid0(VALU_DEP_1) | instskip(NEXT) | instid1(SALU_CYCLE_1)
	s_and_b32 s1, vcc_lo, s1
	s_and_saveexec_b32 s27, s1
	s_cbranch_execz .LBB216_12
; %bb.88:                               ;   in Loop: Header=BB216_13 Depth=1
	s_mov_b32 s28, exec_lo
	v_cmpx_ne_u32_e64 s17, v53
	s_cbranch_execz .LBB216_11
; %bb.89:                               ;   in Loop: Header=BB216_13 Depth=1
	v_subrev_nc_u32_e32 v5, s17, v53
	s_mov_b32 s29, 0
	s_mov_b64 s[4:5], 0
	s_delay_alu instid0(VALU_DEP_1)
	v_cmp_lt_u32_e32 vcc_lo, 1, v5
	v_cndmask_b32_e32 v5, 1, v5, vcc_lo
	.p2align	6
.LBB216_90:                             ;   Parent Loop BB216_13 Depth=1
                                        ; =>  This Inner Loop Header: Depth=2
	s_cmp_lg_u32 s4, 3
	s_cselect_b32 vcc_lo, -1, 0
	s_cmp_lg_u32 s4, 2
	v_cndmask_b32_e32 v4, 0, v4, vcc_lo
	s_cselect_b32 s1, -1, 0
	s_cmp_lg_u32 s4, 1
	v_cndmask_b32_e64 v3, 0, v3, s1
	s_cselect_b32 s2, -1, 0
	s_cmp_lg_u32 s4, 0
	v_cndmask_b32_e64 v2, 0, v2, s2
	s_cselect_b32 s3, -1, 0
	s_add_u32 s4, s4, 1
	v_cndmask_b32_e64 v1, 0, v1, s3
	v_cmp_eq_u32_e32 vcc_lo, s4, v5
	s_addc_u32 s5, s5, 0
	s_or_b32 s29, vcc_lo, s29
	s_delay_alu instid0(SALU_CYCLE_1)
	s_and_not1_b32 exec_lo, exec_lo, s29
	s_cbranch_execnz .LBB216_90
; %bb.91:                               ;   in Loop: Header=BB216_13 Depth=1
	s_or_b32 exec_lo, exec_lo, s29
	s_branch .LBB216_11
.LBB216_92:
	s_nop 0
	s_sendmsg sendmsg(MSG_DEALLOC_VGPRS)
	s_endpgm
	.section	.rodata,"a",@progbits
	.p2align	6, 0x0
	.amdhsa_kernel _Z12wvSplitK_hf_I14__hip_bfloat16Li64ELi4ELi16ELi8ELi2ELi2EEviiiiiiPKT_S3_S3_PS1_ii
		.amdhsa_group_segment_fixed_size 65536
		.amdhsa_private_segment_fixed_size 0
		.amdhsa_kernarg_size 64
		.amdhsa_user_sgpr_count 15
		.amdhsa_user_sgpr_dispatch_ptr 0
		.amdhsa_user_sgpr_queue_ptr 0
		.amdhsa_user_sgpr_kernarg_segment_ptr 1
		.amdhsa_user_sgpr_dispatch_id 0
		.amdhsa_user_sgpr_private_segment_size 0
		.amdhsa_wavefront_size32 1
		.amdhsa_uses_dynamic_stack 0
		.amdhsa_enable_private_segment 0
		.amdhsa_system_sgpr_workgroup_id_x 1
		.amdhsa_system_sgpr_workgroup_id_y 0
		.amdhsa_system_sgpr_workgroup_id_z 0
		.amdhsa_system_sgpr_workgroup_info 0
		.amdhsa_system_vgpr_workitem_id 1
		.amdhsa_next_free_vgpr 109
		.amdhsa_next_free_sgpr 30
		.amdhsa_reserve_vcc 1
		.amdhsa_float_round_mode_32 0
		.amdhsa_float_round_mode_16_64 0
		.amdhsa_float_denorm_mode_32 3
		.amdhsa_float_denorm_mode_16_64 3
		.amdhsa_dx10_clamp 1
		.amdhsa_ieee_mode 1
		.amdhsa_fp16_overflow 0
		.amdhsa_workgroup_processor_mode 1
		.amdhsa_memory_ordered 1
		.amdhsa_forward_progress 0
		.amdhsa_shared_vgpr_count 0
		.amdhsa_exception_fp_ieee_invalid_op 0
		.amdhsa_exception_fp_denorm_src 0
		.amdhsa_exception_fp_ieee_div_zero 0
		.amdhsa_exception_fp_ieee_overflow 0
		.amdhsa_exception_fp_ieee_underflow 0
		.amdhsa_exception_fp_ieee_inexact 0
		.amdhsa_exception_int_div_zero 0
	.end_amdhsa_kernel
	.section	.text._Z12wvSplitK_hf_I14__hip_bfloat16Li64ELi4ELi16ELi8ELi2ELi2EEviiiiiiPKT_S3_S3_PS1_ii,"axG",@progbits,_Z12wvSplitK_hf_I14__hip_bfloat16Li64ELi4ELi16ELi8ELi2ELi2EEviiiiiiPKT_S3_S3_PS1_ii,comdat
.Lfunc_end216:
	.size	_Z12wvSplitK_hf_I14__hip_bfloat16Li64ELi4ELi16ELi8ELi2ELi2EEviiiiiiPKT_S3_S3_PS1_ii, .Lfunc_end216-_Z12wvSplitK_hf_I14__hip_bfloat16Li64ELi4ELi16ELi8ELi2ELi2EEviiiiiiPKT_S3_S3_PS1_ii
                                        ; -- End function
	.section	.AMDGPU.csdata,"",@progbits
; Kernel info:
; codeLenInByte = 6248
; NumSgprs: 32
; NumVgprs: 109
; ScratchSize: 0
; MemoryBound: 0
; FloatMode: 240
; IeeeMode: 1
; LDSByteSize: 65536 bytes/workgroup (compile time only)
; SGPRBlocks: 3
; VGPRBlocks: 13
; NumSGPRsForWavesPerEU: 32
; NumVGPRsForWavesPerEU: 109
; Occupancy: 12
; WaveLimiterHint : 0
; COMPUTE_PGM_RSRC2:SCRATCH_EN: 0
; COMPUTE_PGM_RSRC2:USER_SGPR: 15
; COMPUTE_PGM_RSRC2:TRAP_HANDLER: 0
; COMPUTE_PGM_RSRC2:TGID_X_EN: 1
; COMPUTE_PGM_RSRC2:TGID_Y_EN: 0
; COMPUTE_PGM_RSRC2:TGID_Z_EN: 0
; COMPUTE_PGM_RSRC2:TIDIG_COMP_CNT: 1
	.section	.text._Z16wvSplitK_hf_big_I14__hip_bfloat16Li64ELi4ELi16ELi8ELi2ELi2EEviiiiiiPKT_S3_S3_PS1_ii,"axG",@progbits,_Z16wvSplitK_hf_big_I14__hip_bfloat16Li64ELi4ELi16ELi8ELi2ELi2EEviiiiiiPKT_S3_S3_PS1_ii,comdat
	.protected	_Z16wvSplitK_hf_big_I14__hip_bfloat16Li64ELi4ELi16ELi8ELi2ELi2EEviiiiiiPKT_S3_S3_PS1_ii ; -- Begin function _Z16wvSplitK_hf_big_I14__hip_bfloat16Li64ELi4ELi16ELi8ELi2ELi2EEviiiiiiPKT_S3_S3_PS1_ii
	.globl	_Z16wvSplitK_hf_big_I14__hip_bfloat16Li64ELi4ELi16ELi8ELi2ELi2EEviiiiiiPKT_S3_S3_PS1_ii
	.p2align	8
	.type	_Z16wvSplitK_hf_big_I14__hip_bfloat16Li64ELi4ELi16ELi8ELi2ELi2EEviiiiiiPKT_S3_S3_PS1_ii,@function
_Z16wvSplitK_hf_big_I14__hip_bfloat16Li64ELi4ELi16ELi8ELi2ELi2EEviiiiiiPKT_S3_S3_PS1_ii: ; @_Z16wvSplitK_hf_big_I14__hip_bfloat16Li64ELi4ELi16ELi8ELi2ELi2EEviiiiiiPKT_S3_S3_PS1_ii
; %bb.0:
	s_load_b64 s[20:21], s[0:1], 0x38
	v_bfe_u32 v5, v0, 10, 10
	s_mov_b32 s2, exec_lo
	s_waitcnt lgkmcnt(0)
	s_delay_alu instid0(VALU_DEP_1)
	v_cmpx_gt_u32_e64 s20, v5
	s_cbranch_execz .LBB217_88
; %bb.1:
	s_load_b128 s[16:19], s[0:1], 0x0
	s_mul_i32 s15, s15, s20
	s_mov_b32 s4, 1
	v_add_lshl_u32 v53, s15, v5, 2
	s_mov_b32 s5, s4
	s_mov_b32 s6, s4
	;; [unrolled: 1-line block ×3, first 2 shown]
	s_delay_alu instid0(VALU_DEP_1) | instskip(SKIP_2) | instid1(VALU_DEP_2)
	v_add_nc_u32_e32 v1, 4, v53
	s_waitcnt lgkmcnt(0)
	v_cmp_gt_u32_e32 vcc_lo, s19, v53
	v_cmp_le_u32_e64 s2, s19, v1
	v_dual_mov_b32 v1, s4 :: v_dual_mov_b32 v4, s7
	v_dual_mov_b32 v2, s5 :: v_dual_mov_b32 v3, s6
	s_delay_alu instid0(VALU_DEP_3) | instskip(NEXT) | instid1(SALU_CYCLE_1)
	s_and_b32 s2, vcc_lo, s2
	s_and_saveexec_b32 s8, s2
	s_cbranch_execz .LBB217_7
; %bb.2:
	v_dual_mov_b32 v1, s4 :: v_dual_mov_b32 v2, s5
	v_dual_mov_b32 v3, s6 :: v_dual_mov_b32 v4, s7
	s_add_i32 s9, s19, -4
	s_mov_b32 s10, exec_lo
	v_cmpx_ne_u32_e64 s9, v53
	s_cbranch_execz .LBB217_6
; %bb.3:
	v_subrev_nc_u32_e32 v1, s9, v53
	s_mov_b32 s11, 0
	s_mov_b64 s[2:3], 0
	s_mov_b32 s5, s4
	s_mov_b32 s6, s4
	v_cmp_lt_u32_e32 vcc_lo, 1, v1
	s_mov_b32 s7, s4
	v_cndmask_b32_e32 v6, 1, v1, vcc_lo
	.p2align	6
.LBB217_4:                              ; =>This Inner Loop Header: Depth=1
	s_cmp_lg_u32 s2, 3
	s_cselect_b32 s7, s7, 0
	s_cmp_lg_u32 s2, 2
	s_cselect_b32 s6, s6, 0
	;; [unrolled: 2-line block ×4, first 2 shown]
	s_add_u32 s2, s2, 1
	v_dual_mov_b32 v1, s4 :: v_dual_mov_b32 v2, s5
	v_cmp_eq_u32_e32 vcc_lo, s2, v6
	v_dual_mov_b32 v3, s6 :: v_dual_mov_b32 v4, s7
	s_addc_u32 s3, s3, 0
	s_or_b32 s11, vcc_lo, s11
	s_delay_alu instid0(SALU_CYCLE_1)
	s_and_not1_b32 exec_lo, exec_lo, s11
	s_cbranch_execnz .LBB217_4
; %bb.5:
	s_or_b32 exec_lo, exec_lo, s11
	v_mov_b32_e32 v53, s9
.LBB217_6:
	s_or_b32 exec_lo, exec_lo, s10
.LBB217_7:
	s_delay_alu instid0(SALU_CYCLE_1)
	s_or_b32 exec_lo, exec_lo, s8
	s_lshl_b32 s2, s20, 2
	s_abs_i32 s6, s19
	s_abs_i32 s3, s2
	s_mov_b32 s23, 0
	v_cvt_f32_u32_e32 v6, s3
	s_sub_i32 s5, 0, s3
	s_delay_alu instid0(VALU_DEP_1) | instskip(SKIP_2) | instid1(VALU_DEP_1)
	v_rcp_iflag_f32_e32 v6, v6
	s_waitcnt_depctr 0xfff
	v_mul_f32_e32 v6, 0x4f7ffffe, v6
	v_cvt_u32_f32_e32 v6, v6
	s_delay_alu instid0(VALU_DEP_1) | instskip(NEXT) | instid1(VALU_DEP_1)
	v_readfirstlane_b32 s4, v6
	s_mul_i32 s5, s5, s4
	s_delay_alu instid0(SALU_CYCLE_1) | instskip(NEXT) | instid1(SALU_CYCLE_1)
	s_mul_hi_u32 s5, s4, s5
	s_add_i32 s4, s4, s5
	s_ashr_i32 s5, s19, 31
	s_mul_hi_u32 s4, s6, s4
	s_delay_alu instid0(SALU_CYCLE_1) | instskip(NEXT) | instid1(SALU_CYCLE_1)
	s_mul_i32 s4, s4, s3
	s_sub_i32 s4, s6, s4
	s_delay_alu instid0(SALU_CYCLE_1) | instskip(SKIP_2) | instid1(SALU_CYCLE_1)
	s_sub_i32 s6, s4, s3
	s_cmp_ge_u32 s4, s3
	s_cselect_b32 s4, s6, s4
	s_sub_i32 s6, s4, s3
	s_cmp_ge_u32 s4, s3
	s_cselect_b32 s3, s6, s4
	s_add_i32 s2, s2, s19
	s_xor_b32 s3, s3, s5
	s_delay_alu instid0(SALU_CYCLE_1) | instskip(NEXT) | instid1(SALU_CYCLE_1)
	s_sub_i32 s3, s3, s5
	s_sub_i32 s2, s2, s3
	s_cmp_eq_u32 s3, 0
	s_cselect_b32 s22, s19, s2
	s_delay_alu instid0(SALU_CYCLE_1)
	v_cmp_gt_u32_e32 vcc_lo, s22, v53
	s_and_b32 exec_lo, exec_lo, vcc_lo
	s_cbranch_execz .LBB217_88
; %bb.8:
	s_load_b256 s[8:15], s[0:1], 0x10
	s_min_u32 s24, s18, 0x4000
	v_dual_mov_b32 v56, 0 :: v_dual_and_b32 v7, 0x3ff, v0
	s_cmp_lg_u32 s16, 0
	s_load_b64 s[6:7], s[0:1], 0x30
	s_mul_i32 s0, s21, s20
	s_cselect_b32 s21, -1, 0
	s_cmp_lg_u32 s18, 0
	v_lshlrev_b32_e32 v0, 3, v7
	s_cselect_b32 s25, -1, 0
	s_lshl_b32 s26, s20, 9
	s_add_i32 s27, s16, -8
	s_add_i32 s28, s19, -1
	s_lshl_b32 s29, s0, 2
	v_cmp_eq_u32_e64 s0, 63, v7
	v_lshl_add_u32 v65, v5, 9, v0
	v_mbcnt_lo_u32_b32 v69, -1, 0
	v_lshlrev_b32_e32 v7, 4, v7
	s_waitcnt lgkmcnt(0)
	v_cvt_f32_u32_e32 v6, s8
	s_cmp_lg_u64 s[14:15], 0
	v_add_nc_u32_e32 v67, s18, v65
	s_cselect_b32 s30, -1, 0
	s_sub_i32 s1, 0, s8
	v_rcp_iflag_f32_e32 v6, v6
	v_lshl_add_u32 v66, v5, 10, v7
	s_waitcnt_depctr 0xfff
	v_mul_f32_e32 v6, 0x4f7ffffe, v6
	s_delay_alu instid0(VALU_DEP_1) | instskip(NEXT) | instid1(VALU_DEP_1)
	v_cvt_u32_f32_e32 v6, v6
	v_mul_lo_u32 v8, s1, v6
	s_abs_i32 s1, s9
	s_add_i32 s9, s19, -4
	s_sub_i32 s2, 1, s1
	s_cmp_lt_u32 s1, 2
	s_cselect_b32 s2, s2, 1
	s_delay_alu instid0(SALU_CYCLE_1) | instskip(NEXT) | instid1(VALU_DEP_1)
	s_sub_i32 s3, s2, s1
	v_mul_hi_u32 v8, v6, v8
	s_cmp_ge_u32 s2, s1
	s_cselect_b32 s33, s3, s2
	s_add_u32 s31, s6, 2
	s_mul_i32 s33, s33, s8
	s_addc_u32 s34, s7, 0
	s_lshl_b32 s35, s24, 1
	s_delay_alu instid0(VALU_DEP_1)
	v_add_nc_u32_e32 v68, v6, v8
	s_lshl_b32 s20, s20, 10
	s_branch .LBB217_12
.LBB217_9:                              ;   in Loop: Header=BB217_12 Depth=1
	s_or_b32 exec_lo, exec_lo, s38
	v_mov_b32_e32 v53, s9
.LBB217_10:                             ;   in Loop: Header=BB217_12 Depth=1
	s_or_b32 exec_lo, exec_lo, s37
.LBB217_11:                             ;   in Loop: Header=BB217_12 Depth=1
	s_delay_alu instid0(SALU_CYCLE_1) | instskip(NEXT) | instid1(VALU_DEP_1)
	s_or_b32 exec_lo, exec_lo, s36
	v_cmp_le_u32_e32 vcc_lo, s22, v53
	s_or_b32 s23, vcc_lo, s23
	s_delay_alu instid0(SALU_CYCLE_1)
	s_and_not1_b32 exec_lo, exec_lo, s23
	s_cbranch_execz .LBB217_88
.LBB217_12:                             ; =>This Loop Header: Depth=1
                                        ;     Child Loop BB217_17 Depth 2
                                        ;       Child Loop BB217_22 Depth 3
                                        ;     Child Loop BB217_86 Depth 2
	v_mov_b32_e32 v71, v56
	v_mov_b32_e32 v54, v56
	;; [unrolled: 1-line block ×8, first 2 shown]
	s_and_not1_b32 vcc_lo, exec_lo, s21
	s_mov_b32 s3, 0
	s_cbranch_vccnz .LBB217_29
; %bb.13:                               ;   in Loop: Header=BB217_12 Depth=1
	v_dual_mov_b32 v75, 0 :: v_dual_add_nc_u32 v6, 2, v53
	v_add_nc_u32_e32 v5, 1, v53
	v_add_nc_u32_e32 v7, 3, v53
	s_waitcnt lgkmcnt(0)
	v_min_u32_e32 v8, s28, v53
	v_min_u32_e32 v6, s28, v6
	v_dual_mov_b32 v10, v56 :: v_dual_mov_b32 v73, 0
	v_cmp_gt_u32_e64 s1, s19, v53
	s_delay_alu instid0(VALU_DEP_4)
	v_mul_lo_u32 v55, v8, s17
	v_mov_b32_e32 v8, v56
	v_min_u32_e32 v9, s28, v7
	v_mul_lo_u32 v7, v6, s17
	v_mov_b32_e32 v6, v56
	v_min_u32_e32 v5, s28, v5
	v_dual_mov_b32 v74, 0 :: v_dual_mov_b32 v71, 0
	v_mul_lo_u32 v9, v9, s17
	v_lshlrev_b64 v[57:58], 1, v[55:56]
	s_delay_alu instid0(VALU_DEP_4)
	v_mul_lo_u32 v5, v5, s17
	v_lshlrev_b64 v[61:62], 1, v[7:8]
	v_mov_b32_e32 v76, 0
	v_mov_b32_e32 v72, 0
	;; [unrolled: 1-line block ×4, first 2 shown]
	v_lshlrev_b64 v[63:64], 1, v[9:10]
	s_mov_b32 s4, 0
	v_lshlrev_b64 v[59:60], 1, v[5:6]
	s_branch .LBB217_17
.LBB217_14:                             ;   in Loop: Header=BB217_17 Depth=2
	s_or_b32 exec_lo, exec_lo, s36
.LBB217_15:                             ;   in Loop: Header=BB217_17 Depth=2
	s_delay_alu instid0(SALU_CYCLE_1)
	s_or_b32 exec_lo, exec_lo, s5
	s_waitcnt vmcnt(7)
	v_and_b32_e32 v83, 0xffff0000, v48
	v_lshlrev_b32_e32 v48, 16, v48
	v_and_b32_e32 v81, 0xffff0000, v47
	v_and_b32_e32 v79, 0xffff0000, v46
	s_waitcnt lgkmcnt(1)
	v_and_b32_e32 v55, 0xffff0000, v49
	v_lshlrev_b32_e32 v47, 16, v47
	v_and_b32_e32 v77, 0xffff0000, v45
	v_lshlrev_b32_e32 v45, 16, v45
	v_lshlrev_b32_e32 v46, 16, v46
	;; [unrolled: 1-line block ×3, first 2 shown]
	s_delay_alu instid0(VALU_DEP_4) | instskip(NEXT) | instid1(VALU_DEP_1)
	v_mul_f32_e32 v78, v55, v77
	v_fmac_f32_e32 v78, v49, v45
	s_delay_alu instid0(VALU_DEP_1) | instskip(SKIP_1) | instid1(VALU_DEP_1)
	v_add_f32_e32 v75, v75, v78
	v_and_b32_e32 v78, 0xffff0000, v50
	v_mul_f32_e32 v80, v78, v79
	v_lshlrev_b32_e32 v50, 16, v50
	s_delay_alu instid0(VALU_DEP_1) | instskip(NEXT) | instid1(VALU_DEP_1)
	v_fmac_f32_e32 v80, v50, v46
	v_dual_add_f32 v75, v75, v80 :: v_dual_and_b32 v80, 0xffff0000, v51
	s_delay_alu instid0(VALU_DEP_1) | instskip(NEXT) | instid1(VALU_DEP_1)
	v_dual_mul_f32 v82, v80, v81 :: v_dual_lshlrev_b32 v51, 16, v51
	v_fmac_f32_e32 v82, v51, v47
	s_delay_alu instid0(VALU_DEP_1) | instskip(SKIP_1) | instid1(VALU_DEP_2)
	v_dual_add_f32 v75, v75, v82 :: v_dual_and_b32 v82, 0xffff0000, v52
	v_lshlrev_b32_e32 v52, 16, v52
	v_mul_f32_e32 v84, v82, v83
	s_delay_alu instid0(VALU_DEP_1) | instskip(SKIP_1) | instid1(VALU_DEP_1)
	v_fmac_f32_e32 v84, v52, v48
	s_waitcnt vmcnt(6)
	v_dual_add_f32 v75, v75, v84 :: v_dual_and_b32 v84, 0xffff0000, v41
	s_delay_alu instid0(VALU_DEP_1) | instskip(SKIP_1) | instid1(VALU_DEP_1)
	v_mul_f32_e32 v85, v55, v84
	v_lshlrev_b32_e32 v41, 16, v41
	v_fmac_f32_e32 v85, v49, v41
	s_delay_alu instid0(VALU_DEP_1) | instskip(SKIP_1) | instid1(VALU_DEP_2)
	v_dual_add_f32 v74, v74, v85 :: v_dual_and_b32 v85, 0xffff0000, v42
	v_lshlrev_b32_e32 v42, 16, v42
	v_mul_f32_e32 v86, v78, v85
	s_delay_alu instid0(VALU_DEP_1) | instskip(NEXT) | instid1(VALU_DEP_1)
	v_fmac_f32_e32 v86, v50, v42
	v_add_f32_e32 v74, v74, v86
	v_and_b32_e32 v86, 0xffff0000, v43
	v_lshlrev_b32_e32 v43, 16, v43
	s_delay_alu instid0(VALU_DEP_2) | instskip(NEXT) | instid1(VALU_DEP_1)
	v_mul_f32_e32 v87, v80, v86
	v_fmac_f32_e32 v87, v51, v43
	s_delay_alu instid0(VALU_DEP_1) | instskip(SKIP_1) | instid1(VALU_DEP_2)
	v_dual_add_f32 v74, v74, v87 :: v_dual_and_b32 v87, 0xffff0000, v44
	v_lshlrev_b32_e32 v44, 16, v44
	v_mul_f32_e32 v88, v82, v87
	s_delay_alu instid0(VALU_DEP_1) | instskip(NEXT) | instid1(VALU_DEP_1)
	v_fmac_f32_e32 v88, v52, v44
	v_add_f32_e32 v74, v74, v88
	s_waitcnt vmcnt(5)
	v_and_b32_e32 v88, 0xffff0000, v37
	v_lshlrev_b32_e32 v37, 16, v37
	s_delay_alu instid0(VALU_DEP_2) | instskip(NEXT) | instid1(VALU_DEP_1)
	v_mul_f32_e32 v89, v55, v88
	v_fmac_f32_e32 v89, v49, v37
	s_delay_alu instid0(VALU_DEP_1) | instskip(SKIP_1) | instid1(VALU_DEP_2)
	v_dual_add_f32 v76, v76, v89 :: v_dual_and_b32 v89, 0xffff0000, v38
	v_lshlrev_b32_e32 v38, 16, v38
	v_mul_f32_e32 v90, v78, v89
	s_delay_alu instid0(VALU_DEP_1) | instskip(NEXT) | instid1(VALU_DEP_1)
	v_fmac_f32_e32 v90, v50, v38
	v_add_f32_e32 v76, v76, v90
	v_and_b32_e32 v90, 0xffff0000, v39
	v_lshlrev_b32_e32 v39, 16, v39
	s_delay_alu instid0(VALU_DEP_2) | instskip(NEXT) | instid1(VALU_DEP_1)
	v_mul_f32_e32 v91, v80, v90
	v_fmac_f32_e32 v91, v51, v39
	s_delay_alu instid0(VALU_DEP_1) | instskip(SKIP_1) | instid1(VALU_DEP_2)
	v_dual_add_f32 v76, v76, v91 :: v_dual_and_b32 v91, 0xffff0000, v40
	v_lshlrev_b32_e32 v40, 16, v40
	v_mul_f32_e32 v92, v82, v91
	s_delay_alu instid0(VALU_DEP_1) | instskip(NEXT) | instid1(VALU_DEP_1)
	v_fmac_f32_e32 v92, v52, v40
	v_add_f32_e32 v76, v76, v92
	s_waitcnt vmcnt(4)
	v_and_b32_e32 v92, 0xffff0000, v33
	v_lshlrev_b32_e32 v33, 16, v33
	s_delay_alu instid0(VALU_DEP_2) | instskip(NEXT) | instid1(VALU_DEP_1)
	v_mul_f32_e32 v55, v55, v92
	v_fmac_f32_e32 v55, v49, v33
	s_delay_alu instid0(VALU_DEP_1) | instskip(SKIP_2) | instid1(VALU_DEP_2)
	v_add_f32_e32 v49, v72, v55
	v_and_b32_e32 v55, 0xffff0000, v34
	v_lshlrev_b32_e32 v34, 16, v34
	v_mul_f32_e32 v72, v78, v55
	s_delay_alu instid0(VALU_DEP_1) | instskip(SKIP_2) | instid1(VALU_DEP_2)
	v_fmac_f32_e32 v72, v50, v34
	v_and_b32_e32 v50, 0xffff0000, v35
	v_lshlrev_b32_e32 v35, 16, v35
	v_dual_add_f32 v49, v49, v72 :: v_dual_mul_f32 v72, v80, v50
	s_delay_alu instid0(VALU_DEP_1) | instskip(SKIP_1) | instid1(VALU_DEP_2)
	v_dual_fmac_f32 v72, v51, v35 :: v_dual_and_b32 v51, 0xffff0000, v36
	v_lshlrev_b32_e32 v36, 16, v36
	v_dual_add_f32 v49, v49, v72 :: v_dual_mul_f32 v72, v82, v51
	s_delay_alu instid0(VALU_DEP_1) | instskip(SKIP_3) | instid1(VALU_DEP_2)
	v_fmac_f32_e32 v72, v52, v36
	s_waitcnt lgkmcnt(0)
	v_and_b32_e32 v52, 0xffff0000, v29
	v_lshlrev_b32_e32 v29, 16, v29
	v_dual_add_f32 v49, v49, v72 :: v_dual_mul_f32 v72, v52, v77
	s_delay_alu instid0(VALU_DEP_1) | instskip(NEXT) | instid1(VALU_DEP_1)
	v_fmac_f32_e32 v72, v29, v45
	v_dual_add_f32 v45, v73, v72 :: v_dual_and_b32 v72, 0xffff0000, v30
	s_delay_alu instid0(VALU_DEP_1) | instskip(NEXT) | instid1(VALU_DEP_1)
	v_dual_mul_f32 v73, v72, v79 :: v_dual_lshlrev_b32 v30, 16, v30
	v_dual_fmac_f32 v73, v30, v46 :: v_dual_and_b32 v46, 0xffff0000, v31
	v_lshlrev_b32_e32 v31, 16, v31
	s_delay_alu instid0(VALU_DEP_2) | instskip(NEXT) | instid1(VALU_DEP_3)
	v_add_f32_e32 v45, v45, v73
	v_mul_f32_e32 v73, v46, v81
	s_delay_alu instid0(VALU_DEP_1) | instskip(SKIP_1) | instid1(VALU_DEP_2)
	v_fmac_f32_e32 v73, v31, v47
	v_and_b32_e32 v47, 0xffff0000, v32
	v_dual_add_f32 v45, v45, v73 :: v_dual_lshlrev_b32 v32, 16, v32
	s_delay_alu instid0(VALU_DEP_2) | instskip(NEXT) | instid1(VALU_DEP_1)
	v_mul_f32_e32 v73, v47, v83
	v_fmac_f32_e32 v73, v32, v48
	s_delay_alu instid0(VALU_DEP_1) | instskip(NEXT) | instid1(VALU_DEP_1)
	v_dual_mul_f32 v48, v52, v84 :: v_dual_add_f32 v45, v45, v73
	v_fmac_f32_e32 v48, v29, v41
	s_delay_alu instid0(VALU_DEP_1) | instskip(NEXT) | instid1(VALU_DEP_1)
	v_dual_add_f32 v41, v70, v48 :: v_dual_mul_f32 v48, v72, v85
	v_fmac_f32_e32 v48, v30, v42
	s_delay_alu instid0(VALU_DEP_1) | instskip(NEXT) | instid1(VALU_DEP_1)
	v_dual_mul_f32 v42, v46, v86 :: v_dual_add_f32 v41, v41, v48
	v_fmac_f32_e32 v42, v31, v43
	s_delay_alu instid0(VALU_DEP_1) | instskip(NEXT) | instid1(VALU_DEP_1)
	v_dual_add_f32 v41, v41, v42 :: v_dual_mul_f32 v42, v47, v87
	v_fmac_f32_e32 v42, v32, v44
	s_delay_alu instid0(VALU_DEP_1) | instskip(NEXT) | instid1(VALU_DEP_1)
	v_dual_add_f32 v41, v41, v42 :: v_dual_mul_f32 v42, v52, v88
	v_fmac_f32_e32 v42, v29, v37
	s_delay_alu instid0(VALU_DEP_1) | instskip(NEXT) | instid1(VALU_DEP_1)
	v_dual_add_f32 v37, v54, v42 :: v_dual_mul_f32 v42, v72, v89
	v_fmac_f32_e32 v42, v30, v38
	v_mul_f32_e32 v38, v46, v90
	s_delay_alu instid0(VALU_DEP_1)
	v_dual_add_f32 v37, v37, v42 :: v_dual_fmac_f32 v38, v31, v39
	s_waitcnt vmcnt(3)
	v_and_b32_e32 v39, 0xffff0000, v24
	s_waitcnt vmcnt(2)
	v_and_b32_e32 v42, 0xffff0000, v18
	v_lshlrev_b32_e32 v18, 16, v18
	v_dual_add_f32 v37, v37, v38 :: v_dual_mul_f32 v38, v47, v91
	s_delay_alu instid0(VALU_DEP_1) | instskip(NEXT) | instid1(VALU_DEP_1)
	v_fmac_f32_e32 v38, v32, v40
	v_dual_add_f32 v37, v37, v38 :: v_dual_mul_f32 v38, v52, v92
	s_delay_alu instid0(VALU_DEP_1) | instskip(NEXT) | instid1(VALU_DEP_1)
	v_dual_fmac_f32 v38, v29, v33 :: v_dual_mul_f32 v33, v72, v55
	v_add_f32_e32 v29, v71, v38
	s_delay_alu instid0(VALU_DEP_2) | instskip(SKIP_2) | instid1(VALU_DEP_3)
	v_fmac_f32_e32 v33, v30, v34
	v_mul_f32_e32 v30, v46, v50
	v_and_b32_e32 v34, 0xffff0000, v22
	v_dual_add_f32 v29, v29, v33 :: v_dual_lshlrev_b32 v22, 16, v22
	s_delay_alu instid0(VALU_DEP_3) | instskip(SKIP_3) | instid1(VALU_DEP_4)
	v_dual_fmac_f32 v30, v31, v35 :: v_dual_and_b32 v31, 0xffff0000, v21
	v_and_b32_e32 v33, 0xffff0000, v26
	v_lshlrev_b32_e32 v21, 16, v21
	v_lshlrev_b32_e32 v26, 16, v26
	v_dual_add_f32 v29, v29, v30 :: v_dual_mul_f32 v30, v47, v51
	s_delay_alu instid0(VALU_DEP_4)
	v_mul_f32_e32 v43, v33, v42
	v_mul_f32_e32 v35, v33, v34
	s_waitcnt vmcnt(1)
	v_and_b32_e32 v47, 0xffff0000, v14
	v_lshlrev_b32_e32 v24, 16, v24
	v_dual_fmac_f32 v30, v32, v36 :: v_dual_fmac_f32 v43, v26, v18
	v_dual_fmac_f32 v35, v26, v22 :: v_dual_and_b32 v36, 0xffff0000, v23
	v_lshlrev_b32_e32 v23, 16, v23
	s_delay_alu instid0(VALU_DEP_3) | instskip(SKIP_1) | instid1(VALU_DEP_2)
	v_dual_add_f32 v29, v29, v30 :: v_dual_and_b32 v30, 0xffff0000, v25
	v_dual_mul_f32 v48, v33, v47 :: v_dual_lshlrev_b32 v25, 16, v25
	v_mul_f32_e32 v32, v30, v31
	s_delay_alu instid0(VALU_DEP_1) | instskip(NEXT) | instid1(VALU_DEP_1)
	v_fmac_f32_e32 v32, v25, v21
	v_add_f32_e32 v32, v75, v32
	s_delay_alu instid0(VALU_DEP_1) | instskip(SKIP_1) | instid1(VALU_DEP_1)
	v_add_f32_e32 v32, v32, v35
	v_and_b32_e32 v35, 0xffff0000, v27
	v_dual_mul_f32 v38, v35, v36 :: v_dual_lshlrev_b32 v27, 16, v27
	s_delay_alu instid0(VALU_DEP_1) | instskip(NEXT) | instid1(VALU_DEP_1)
	v_fmac_f32_e32 v38, v27, v23
	v_add_f32_e32 v32, v32, v38
	v_and_b32_e32 v38, 0xffff0000, v28
	v_lshlrev_b32_e32 v28, 16, v28
	s_delay_alu instid0(VALU_DEP_2) | instskip(NEXT) | instid1(VALU_DEP_1)
	v_mul_f32_e32 v40, v38, v39
	v_fmac_f32_e32 v40, v28, v24
	s_delay_alu instid0(VALU_DEP_1) | instskip(SKIP_2) | instid1(VALU_DEP_3)
	v_dual_add_f32 v75, v32, v40 :: v_dual_and_b32 v32, 0xffff0000, v17
	v_lshlrev_b32_e32 v17, 16, v17
	v_lshlrev_b32_e32 v14, 16, v14
	v_mul_f32_e32 v40, v30, v32
	s_delay_alu instid0(VALU_DEP_2) | instskip(NEXT) | instid1(VALU_DEP_2)
	v_fmac_f32_e32 v48, v26, v14
	v_fmac_f32_e32 v40, v25, v17
	s_delay_alu instid0(VALU_DEP_1) | instskip(NEXT) | instid1(VALU_DEP_1)
	v_add_f32_e32 v40, v74, v40
	v_add_f32_e32 v40, v40, v43
	v_and_b32_e32 v43, 0xffff0000, v19
	v_lshlrev_b32_e32 v19, 16, v19
	s_delay_alu instid0(VALU_DEP_2) | instskip(NEXT) | instid1(VALU_DEP_1)
	v_mul_f32_e32 v44, v35, v43
	v_fmac_f32_e32 v44, v27, v19
	s_delay_alu instid0(VALU_DEP_1) | instskip(SKIP_2) | instid1(VALU_DEP_2)
	v_add_f32_e32 v40, v40, v44
	v_and_b32_e32 v44, 0xffff0000, v20
	v_lshlrev_b32_e32 v20, 16, v20
	v_mul_f32_e32 v46, v38, v44
	s_delay_alu instid0(VALU_DEP_1) | instskip(NEXT) | instid1(VALU_DEP_1)
	v_fmac_f32_e32 v46, v28, v20
	v_add_f32_e32 v74, v40, v46
	v_and_b32_e32 v40, 0xffff0000, v13
	s_delay_alu instid0(VALU_DEP_1) | instskip(NEXT) | instid1(VALU_DEP_1)
	v_dual_mul_f32 v46, v30, v40 :: v_dual_lshlrev_b32 v13, 16, v13
	v_fmac_f32_e32 v46, v25, v13
	s_delay_alu instid0(VALU_DEP_1) | instskip(NEXT) | instid1(VALU_DEP_1)
	v_add_f32_e32 v46, v76, v46
	v_add_f32_e32 v46, v46, v48
	v_and_b32_e32 v48, 0xffff0000, v15
	s_delay_alu instid0(VALU_DEP_1) | instskip(NEXT) | instid1(VALU_DEP_1)
	v_dual_mul_f32 v50, v35, v48 :: v_dual_lshlrev_b32 v15, 16, v15
	v_fmac_f32_e32 v50, v27, v15
	s_delay_alu instid0(VALU_DEP_1) | instskip(SKIP_1) | instid1(VALU_DEP_1)
	v_add_f32_e32 v46, v46, v50
	v_and_b32_e32 v50, 0xffff0000, v16
	v_dual_mul_f32 v51, v38, v50 :: v_dual_lshlrev_b32 v16, 16, v16
	s_delay_alu instid0(VALU_DEP_1) | instskip(NEXT) | instid1(VALU_DEP_1)
	v_fmac_f32_e32 v51, v28, v16
	v_add_f32_e32 v76, v46, v51
	s_waitcnt vmcnt(0)
	v_and_b32_e32 v46, 0xffff0000, v9
	s_delay_alu instid0(VALU_DEP_1) | instskip(NEXT) | instid1(VALU_DEP_1)
	v_dual_mul_f32 v30, v30, v46 :: v_dual_lshlrev_b32 v9, 16, v9
	v_fmac_f32_e32 v30, v25, v9
	s_delay_alu instid0(VALU_DEP_1) | instskip(SKIP_2) | instid1(VALU_DEP_2)
	v_add_f32_e32 v25, v49, v30
	v_and_b32_e32 v30, 0xffff0000, v10
	v_lshlrev_b32_e32 v10, 16, v10
	v_mul_f32_e32 v33, v33, v30
	s_delay_alu instid0(VALU_DEP_1) | instskip(SKIP_1) | instid1(VALU_DEP_2)
	v_dual_fmac_f32 v33, v26, v10 :: v_dual_and_b32 v26, 0xffff0000, v11
	v_lshlrev_b32_e32 v11, 16, v11
	v_add_f32_e32 v25, v25, v33
	s_delay_alu instid0(VALU_DEP_3) | instskip(NEXT) | instid1(VALU_DEP_1)
	v_mul_f32_e32 v33, v35, v26
	v_fmac_f32_e32 v33, v27, v11
	v_and_b32_e32 v27, 0xffff0000, v12
	s_delay_alu instid0(VALU_DEP_2) | instskip(NEXT) | instid1(VALU_DEP_2)
	v_dual_add_f32 v25, v25, v33 :: v_dual_lshlrev_b32 v12, 16, v12
	v_mul_f32_e32 v33, v38, v27
	s_delay_alu instid0(VALU_DEP_1) | instskip(NEXT) | instid1(VALU_DEP_1)
	v_fmac_f32_e32 v33, v28, v12
	v_add_f32_e32 v72, v25, v33
	v_and_b32_e32 v25, 0xffff0000, v5
	s_delay_alu instid0(VALU_DEP_1) | instskip(NEXT) | instid1(VALU_DEP_1)
	v_dual_mul_f32 v28, v25, v31 :: v_dual_lshlrev_b32 v5, 16, v5
	v_fmac_f32_e32 v28, v5, v21
	s_delay_alu instid0(VALU_DEP_1) | instskip(SKIP_1) | instid1(VALU_DEP_2)
	v_dual_add_f32 v21, v45, v28 :: v_dual_and_b32 v28, 0xffff0000, v6
	v_lshlrev_b32_e32 v6, 16, v6
	v_mul_f32_e32 v31, v28, v34
	s_delay_alu instid0(VALU_DEP_1) | instskip(SKIP_1) | instid1(VALU_DEP_2)
	v_dual_fmac_f32 v31, v6, v22 :: v_dual_and_b32 v22, 0xffff0000, v7
	v_lshlrev_b32_e32 v7, 16, v7
	v_add_f32_e32 v21, v21, v31
	s_delay_alu instid0(VALU_DEP_3) | instskip(NEXT) | instid1(VALU_DEP_1)
	v_mul_f32_e32 v31, v22, v36
	v_fmac_f32_e32 v31, v7, v23
	v_and_b32_e32 v23, 0xffff0000, v8
	s_delay_alu instid0(VALU_DEP_2) | instskip(NEXT) | instid1(VALU_DEP_2)
	v_dual_add_f32 v21, v21, v31 :: v_dual_lshlrev_b32 v8, 16, v8
	v_mul_f32_e32 v31, v23, v39
	s_delay_alu instid0(VALU_DEP_1) | instskip(NEXT) | instid1(VALU_DEP_1)
	v_fmac_f32_e32 v31, v8, v24
	v_add_f32_e32 v73, v21, v31
	v_mul_f32_e32 v21, v25, v32
	s_delay_alu instid0(VALU_DEP_1) | instskip(NEXT) | instid1(VALU_DEP_1)
	v_fmac_f32_e32 v21, v5, v17
	v_add_f32_e32 v17, v41, v21
	v_mul_f32_e32 v21, v28, v42
	s_delay_alu instid0(VALU_DEP_1) | instskip(NEXT) | instid1(VALU_DEP_1)
	v_fmac_f32_e32 v21, v6, v18
	v_dual_mul_f32 v18, v22, v43 :: v_dual_add_f32 v17, v17, v21
	s_delay_alu instid0(VALU_DEP_1) | instskip(NEXT) | instid1(VALU_DEP_1)
	v_fmac_f32_e32 v18, v7, v19
	v_dual_add_f32 v17, v17, v18 :: v_dual_mul_f32 v18, v23, v44
	s_delay_alu instid0(VALU_DEP_1) | instskip(NEXT) | instid1(VALU_DEP_1)
	v_fmac_f32_e32 v18, v8, v20
	v_add_f32_e32 v70, v17, v18
	v_mul_f32_e32 v17, v25, v40
	s_delay_alu instid0(VALU_DEP_1) | instskip(NEXT) | instid1(VALU_DEP_1)
	v_fmac_f32_e32 v17, v5, v13
	v_add_f32_e32 v13, v37, v17
	v_mul_f32_e32 v17, v28, v47
	s_delay_alu instid0(VALU_DEP_1) | instskip(NEXT) | instid1(VALU_DEP_1)
	v_fmac_f32_e32 v17, v6, v14
	v_dual_mul_f32 v14, v22, v48 :: v_dual_add_f32 v13, v13, v17
	s_delay_alu instid0(VALU_DEP_1) | instskip(NEXT) | instid1(VALU_DEP_1)
	v_fmac_f32_e32 v14, v7, v15
	v_add_f32_e32 v13, v13, v14
	v_mul_f32_e32 v14, v23, v50
	s_delay_alu instid0(VALU_DEP_1) | instskip(NEXT) | instid1(VALU_DEP_1)
	v_fmac_f32_e32 v14, v8, v16
	v_add_f32_e32 v54, v13, v14
	v_mul_f32_e32 v13, v25, v46
	;; [unrolled: 4-line block ×3, first 2 shown]
	s_delay_alu instid0(VALU_DEP_1) | instskip(NEXT) | instid1(VALU_DEP_1)
	v_fmac_f32_e32 v9, v6, v10
	v_dual_mul_f32 v6, v22, v26 :: v_dual_add_f32 v5, v5, v9
	s_delay_alu instid0(VALU_DEP_1) | instskip(NEXT) | instid1(VALU_DEP_1)
	v_fmac_f32_e32 v6, v7, v11
	v_dual_add_f32 v5, v5, v6 :: v_dual_mul_f32 v6, v23, v27
	s_delay_alu instid0(VALU_DEP_1) | instskip(NEXT) | instid1(VALU_DEP_1)
	v_fmac_f32_e32 v6, v8, v12
	v_add_f32_e32 v71, v5, v6
.LBB217_16:                             ;   in Loop: Header=BB217_17 Depth=2
	s_or_b32 exec_lo, exec_lo, s2
	s_addk_i32 s4, 0x400
	s_delay_alu instid0(SALU_CYCLE_1)
	s_cmp_ge_u32 s4, s16
	s_cbranch_scc1 .LBB217_29
.LBB217_17:                             ;   Parent Loop BB217_12 Depth=1
                                        ; =>  This Loop Header: Depth=2
                                        ;       Child Loop BB217_22 Depth 3
	s_cmp_eq_u32 s4, 0
	s_cselect_b32 s5, -1, 0
	s_add_i32 s2, s3, s24
	s_delay_alu instid0(SALU_CYCLE_1) | instskip(SKIP_1) | instid1(SALU_CYCLE_1)
	s_cmp_eq_u32 s4, s2
	s_cselect_b32 s36, -1, 0
	s_or_b32 s36, s5, s36
	s_delay_alu instid0(SALU_CYCLE_1)
	s_and_not1_b32 vcc_lo, exec_lo, s36
	s_cbranch_vccz .LBB217_19
; %bb.18:                               ;   in Loop: Header=BB217_17 Depth=2
	s_and_saveexec_b32 s2, s1
	s_cbranch_execz .LBB217_16
	s_branch .LBB217_26
.LBB217_19:                             ;   in Loop: Header=BB217_17 Depth=2
	s_and_b32 s5, s5, exec_lo
	s_cselect_b32 s3, s3, s2
	s_and_not1_b32 vcc_lo, exec_lo, s25
	s_waitcnt vmcnt(0)
	s_waitcnt_vscnt null, 0x0
	s_barrier
	buffer_gl0_inv
	s_cbranch_vccnz .LBB217_25
; %bb.20:                               ;   in Loop: Header=BB217_17 Depth=2
	v_add_nc_u32_e32 v5, s3, v67
	v_dual_mov_b32 v7, v66 :: v_dual_add_nc_u32 v6, s3, v65
	s_mov_b32 s5, 0
	s_mov_b32 s36, 0
                                        ; implicit-def: $sgpr37
	s_set_inst_prefetch_distance 0x1
	s_branch .LBB217_22
	.p2align	6
.LBB217_21:                             ;   in Loop: Header=BB217_22 Depth=3
	s_or_b32 exec_lo, exec_lo, s2
	s_delay_alu instid0(SALU_CYCLE_1) | instskip(NEXT) | instid1(SALU_CYCLE_1)
	s_and_b32 s2, exec_lo, s37
	s_or_b32 s5, s2, s5
	s_delay_alu instid0(SALU_CYCLE_1)
	s_and_not1_b32 exec_lo, exec_lo, s5
	s_cbranch_execz .LBB217_24
.LBB217_22:                             ;   Parent Loop BB217_12 Depth=1
                                        ;     Parent Loop BB217_17 Depth=2
                                        ; =>    This Inner Loop Header: Depth=3
	v_add_nc_u32_e32 v55, s36, v6
	v_add_nc_u32_e32 v8, s36, v65
	s_or_b32 s37, s37, exec_lo
	s_delay_alu instid0(VALU_DEP_2) | instskip(NEXT) | instid1(VALU_DEP_2)
	v_cmp_gt_u32_e32 vcc_lo, s18, v55
	v_cmp_gt_u32_e64 s2, s24, v8
	s_delay_alu instid0(VALU_DEP_1) | instskip(NEXT) | instid1(SALU_CYCLE_1)
	s_and_b32 s38, s2, vcc_lo
	s_and_saveexec_b32 s2, s38
	s_cbranch_execz .LBB217_21
; %bb.23:                               ;   in Loop: Header=BB217_22 Depth=3
	v_lshlrev_b64 v[8:9], 1, v[55:56]
	v_add_nc_u32_e32 v55, s36, v5
	s_add_i32 s36, s36, s26
	v_add_nc_u32_e32 v16, s35, v7
	s_cmp_ge_u32 s36, s24
	s_delay_alu instid0(VALU_DEP_2) | instskip(SKIP_3) | instid1(VALU_DEP_3)
	v_lshlrev_b64 v[12:13], 1, v[55:56]
	v_add_co_u32 v8, vcc_lo, s12, v8
	v_add_co_ci_u32_e32 v9, vcc_lo, s13, v9, vcc_lo
	s_cselect_b32 s38, -1, 0
	v_add_co_u32 v12, vcc_lo, s12, v12
	global_load_b128 v[8:11], v[8:9], off
	v_add_co_ci_u32_e32 v13, vcc_lo, s13, v13, vcc_lo
	s_and_not1_b32 s37, s37, exec_lo
	s_and_b32 s38, s38, exec_lo
	global_load_b128 v[12:15], v[12:13], off
	s_or_b32 s37, s37, s38
	s_waitcnt vmcnt(1)
	ds_store_b128 v7, v[8:11]
	v_add_nc_u32_e32 v7, s20, v7
	s_waitcnt vmcnt(0)
	ds_store_2addr_b64 v16, v[12:13], v[14:15] offset1:1
	s_branch .LBB217_21
.LBB217_24:                             ;   in Loop: Header=BB217_17 Depth=2
	s_set_inst_prefetch_distance 0x2
	s_or_b32 exec_lo, exec_lo, s5
.LBB217_25:                             ;   in Loop: Header=BB217_17 Depth=2
	s_waitcnt lgkmcnt(0)
	s_barrier
	buffer_gl0_inv
	s_and_saveexec_b32 s2, s1
	s_cbranch_execz .LBB217_16
.LBB217_26:                             ;   in Loop: Header=BB217_17 Depth=2
	s_waitcnt vmcnt(6)
	v_dual_mov_b32 v28, 0 :: v_dual_add_nc_u32 v77, s4, v0
	s_waitcnt vmcnt(5)
	v_dual_mov_b32 v27, 0 :: v_dual_mov_b32 v32, 0
	v_mov_b32_e32 v31, 0
	s_delay_alu instid0(VALU_DEP_3) | instskip(SKIP_3) | instid1(VALU_DEP_4)
	v_min_u32_e32 v55, s27, v77
	v_add_nc_u32_e32 v78, 0x200, v77
	v_dual_mov_b32 v30, 0 :: v_dual_mov_b32 v29, 0
	v_dual_mov_b32 v52, 0 :: v_dual_mov_b32 v51, 0
	v_lshlrev_b64 v[5:6], 1, v[55:56]
	s_delay_alu instid0(VALU_DEP_4) | instskip(SKIP_2) | instid1(VALU_DEP_3)
	v_min_u32_e32 v55, s27, v78
	v_dual_mov_b32 v50, 0 :: v_dual_mov_b32 v49, 0
	s_mov_b32 s5, exec_lo
	v_add_co_u32 v13, vcc_lo, s10, v5
	s_delay_alu instid0(VALU_DEP_4) | instskip(SKIP_1) | instid1(VALU_DEP_3)
	v_add_co_ci_u32_e32 v14, vcc_lo, s11, v6, vcc_lo
	v_lshlrev_b64 v[5:6], 1, v[55:56]
	v_add_co_u32 v7, vcc_lo, v13, v57
	s_delay_alu instid0(VALU_DEP_3)
	v_add_co_ci_u32_e32 v8, vcc_lo, v14, v58, vcc_lo
	v_add_co_u32 v9, vcc_lo, v13, v59
	v_add_co_ci_u32_e32 v10, vcc_lo, v14, v60, vcc_lo
	v_add_co_u32 v11, vcc_lo, v13, v61
	v_add_co_ci_u32_e32 v12, vcc_lo, v14, v62, vcc_lo
	s_waitcnt vmcnt(0)
	v_add_co_u32 v15, vcc_lo, s10, v5
	v_add_co_ci_u32_e32 v16, vcc_lo, s11, v6, vcc_lo
	v_add_co_u32 v5, vcc_lo, v13, v63
	v_add_co_ci_u32_e32 v6, vcc_lo, v14, v64, vcc_lo
	s_clause 0x1
	global_load_b128 v[45:48], v[7:8], off slc dlc
	global_load_b128 v[41:44], v[9:10], off slc dlc
	v_add_co_u32 v7, vcc_lo, v15, v57
	v_add_co_ci_u32_e32 v8, vcc_lo, v16, v58, vcc_lo
	v_add_co_u32 v9, vcc_lo, v15, v59
	v_add_co_ci_u32_e32 v10, vcc_lo, v16, v60, vcc_lo
	;; [unrolled: 2-line block ×4, first 2 shown]
	s_clause 0x5
	global_load_b128 v[37:40], v[11:12], off slc dlc
	global_load_b128 v[33:36], v[5:6], off slc dlc
	global_load_b128 v[21:24], v[7:8], off slc dlc
	global_load_b128 v[17:20], v[9:10], off slc dlc
	global_load_b128 v[13:16], v[13:14], off slc dlc
	global_load_b128 v[9:12], v[25:26], off slc dlc
	v_dual_mov_b32 v8, 0 :: v_dual_mov_b32 v7, 0
	v_dual_mov_b32 v6, 0 :: v_dual_mov_b32 v5, 0
	v_dual_mov_b32 v26, 0 :: v_dual_mov_b32 v25, 0
	v_cmpx_gt_u32_e64 s16, v77
	s_cbranch_execz .LBB217_15
; %bb.27:                               ;   in Loop: Header=BB217_17 Depth=2
	v_subrev_nc_u32_e32 v5, s3, v77
	v_dual_mov_b32 v25, 0 :: v_dual_mov_b32 v28, 0
	v_dual_mov_b32 v27, 0 :: v_dual_mov_b32 v6, 0
	s_delay_alu instid0(VALU_DEP_3) | instskip(SKIP_2) | instid1(VALU_DEP_3)
	v_dual_mov_b32 v26, 0 :: v_dual_lshlrev_b32 v77, 1, v5
	v_dual_mov_b32 v5, 0 :: v_dual_mov_b32 v8, 0
	v_mov_b32_e32 v7, 0
	v_lshl_add_u32 v55, s24, 1, v77
	s_mov_b32 s36, exec_lo
	ds_load_b128 v[49:52], v77
	ds_load_b128 v[29:32], v55
	v_cmpx_gt_u32_e64 s16, v78
	s_cbranch_execz .LBB217_14
; %bb.28:                               ;   in Loop: Header=BB217_17 Depth=2
	ds_load_b128 v[25:28], v77 offset:1024
	ds_load_b128 v[5:8], v55 offset:1024
	s_branch .LBB217_14
.LBB217_29:                             ;   in Loop: Header=BB217_12 Depth=1
	s_mov_b32 s1, exec_lo
	v_cmpx_le_u32_e64 s19, v53
	s_xor_b32 s1, exec_lo, s1
; %bb.30:                               ;   in Loop: Header=BB217_12 Depth=1
	v_add_nc_u32_e32 v53, s29, v53
                                        ; implicit-def: $vgpr71
                                        ; implicit-def: $vgpr54
                                        ; implicit-def: $vgpr70
                                        ; implicit-def: $vgpr73
                                        ; implicit-def: $vgpr72
                                        ; implicit-def: $vgpr76
                                        ; implicit-def: $vgpr74
                                        ; implicit-def: $vgpr75
; %bb.31:                               ;   in Loop: Header=BB217_12 Depth=1
	s_and_not1_saveexec_b32 s36, s1
	s_cbranch_execz .LBB217_11
; %bb.32:                               ;   in Loop: Header=BB217_12 Depth=1
	v_cvt_i32_f32_e32 v5, v75
	v_cvt_i32_f32_e32 v6, v74
	;; [unrolled: 1-line block ×3, first 2 shown]
	s_waitcnt lgkmcnt(0)
	v_xor_b32_e32 v8, 16, v69
	v_cvt_i32_f32_e32 v9, v72
	v_cvt_f32_i32_dpp v5, v5 row_shr:8 row_mask:0xf bank_mask:0xf bound_ctrl:1
	v_cvt_f32_i32_dpp v6, v6 row_shr:8 row_mask:0xf bank_mask:0xf bound_ctrl:1
	;; [unrolled: 1-line block ×3, first 2 shown]
	v_cmp_gt_i32_e32 vcc_lo, 32, v8
	v_cvt_i32_f32_e32 v11, v70
	s_delay_alu instid0(VALU_DEP_4) | instskip(NEXT) | instid1(VALU_DEP_4)
	v_dual_add_f32 v5, v75, v5 :: v_dual_add_f32 v6, v74, v6
	v_dual_add_f32 v7, v76, v7 :: v_dual_cndmask_b32 v8, v69, v8
	v_cvt_i32_f32_e32 v16, v71
	s_delay_alu instid0(VALU_DEP_3) | instskip(NEXT) | instid1(VALU_DEP_4)
	v_cvt_i32_f32_e32 v12, v5
	v_cvt_i32_f32_e32 v13, v6
	s_delay_alu instid0(VALU_DEP_4)
	v_cvt_i32_f32_e32 v14, v7
	v_cvt_i32_f32_e32 v10, v73
	v_cvt_f32_i32_dpp v9, v9 row_shr:8 row_mask:0xf bank_mask:0xf bound_ctrl:1
	v_cvt_f32_i32_dpp v12, v12 row_shr:4 row_mask:0xf bank_mask:0xf bound_ctrl:1
	;; [unrolled: 1-line block ×6, first 2 shown]
	s_delay_alu instid0(VALU_DEP_4) | instskip(NEXT) | instid1(VALU_DEP_4)
	v_dual_add_f32 v5, v5, v12 :: v_dual_add_f32 v6, v6, v13
	v_dual_add_f32 v7, v7, v14 :: v_dual_lshlrev_b32 v8, 2, v8
	v_cvt_f32_i32_dpp v10, v10 row_shr:8 row_mask:0xf bank_mask:0xf bound_ctrl:1
	s_delay_alu instid0(VALU_DEP_3) | instskip(NEXT) | instid1(VALU_DEP_4)
	v_cvt_i32_f32_e32 v12, v5
	v_cvt_i32_f32_e32 v13, v6
	s_delay_alu instid0(VALU_DEP_4) | instskip(NEXT) | instid1(VALU_DEP_4)
	v_cvt_i32_f32_e32 v14, v7
	v_dual_add_f32 v9, v72, v9 :: v_dual_add_f32 v10, v73, v10
	s_delay_alu instid0(VALU_DEP_4) | instskip(NEXT) | instid1(VALU_DEP_4)
	v_cvt_f32_i32_dpp v12, v12 row_shr:2 row_mask:0xf bank_mask:0xf bound_ctrl:1
	v_cvt_f32_i32_dpp v13, v13 row_shr:2 row_mask:0xf bank_mask:0xf bound_ctrl:1
	s_delay_alu instid0(VALU_DEP_4) | instskip(SKIP_1) | instid1(VALU_DEP_3)
	v_cvt_f32_i32_dpp v14, v14 row_shr:2 row_mask:0xf bank_mask:0xf bound_ctrl:1
	v_dual_add_f32 v11, v70, v11 :: v_dual_add_f32 v16, v71, v16
	v_dual_add_f32 v5, v5, v12 :: v_dual_add_f32 v6, v6, v13
	s_waitcnt vmcnt(1)
	v_cvt_i32_f32_e32 v18, v9
	s_waitcnt vmcnt(0)
	v_cvt_i32_f32_e32 v15, v54
	v_cvt_i32_f32_e32 v12, v5
	;; [unrolled: 1-line block ×3, first 2 shown]
	s_delay_alu instid0(VALU_DEP_3) | instskip(NEXT) | instid1(VALU_DEP_3)
	v_cvt_f32_i32_dpp v15, v15 row_shr:8 row_mask:0xf bank_mask:0xf bound_ctrl:1
	v_cvt_f32_i32_dpp v12, v12 row_shr:1 row_mask:0xf bank_mask:0xf bound_ctrl:1
	v_add_f32_e32 v7, v7, v14
	s_delay_alu instid0(VALU_DEP_4) | instskip(NEXT) | instid1(VALU_DEP_3)
	v_cvt_f32_i32_dpp v13, v13 row_shr:1 row_mask:0xf bank_mask:0xf bound_ctrl:1
	v_add_f32_e32 v24, v5, v12
	v_cvt_i32_f32_e32 v12, v16
	s_delay_alu instid0(VALU_DEP_4)
	v_cvt_i32_f32_e32 v14, v7
	v_cvt_i32_f32_e32 v5, v10
	ds_bpermute_b32 v25, v8, v24
	v_cvt_f32_i32_dpp v12, v12 row_shr:4 row_mask:0xf bank_mask:0xf bound_ctrl:1
	v_add_f32_e32 v21, v6, v13
	v_cvt_i32_f32_e32 v6, v11
	v_cvt_f32_i32_dpp v13, v18 row_shr:4 row_mask:0xf bank_mask:0xf bound_ctrl:1
	v_cvt_f32_i32_dpp v14, v14 row_shr:1 row_mask:0xf bank_mask:0xf bound_ctrl:1
	;; [unrolled: 1-line block ×3, first 2 shown]
	s_delay_alu instid0(VALU_DEP_4) | instskip(NEXT) | instid1(VALU_DEP_4)
	v_cvt_f32_i32_dpp v6, v6 row_shr:4 row_mask:0xf bank_mask:0xf bound_ctrl:1
	v_add_f32_e32 v9, v9, v13
	s_delay_alu instid0(VALU_DEP_2) | instskip(NEXT) | instid1(VALU_DEP_2)
	v_dual_add_f32 v15, v54, v15 :: v_dual_add_f32 v6, v11, v6
	v_cvt_i32_f32_e32 v11, v9
	s_delay_alu instid0(VALU_DEP_2) | instskip(NEXT) | instid1(VALU_DEP_2)
	v_cvt_i32_f32_e32 v13, v6
	v_cvt_f32_i32_dpp v11, v11 row_shr:2 row_mask:0xf bank_mask:0xf bound_ctrl:1
	s_delay_alu instid0(VALU_DEP_2) | instskip(NEXT) | instid1(VALU_DEP_2)
	v_cvt_f32_i32_dpp v13, v13 row_shr:2 row_mask:0xf bank_mask:0xf bound_ctrl:1
	v_add_f32_e32 v9, v9, v11
	s_delay_alu instid0(VALU_DEP_2) | instskip(NEXT) | instid1(VALU_DEP_2)
	v_add_f32_e32 v11, v6, v13
	v_cvt_i32_f32_e32 v6, v9
	s_delay_alu instid0(VALU_DEP_2) | instskip(NEXT) | instid1(VALU_DEP_2)
	v_cvt_i32_f32_e32 v13, v11
	v_cvt_f32_i32_dpp v6, v6 row_shr:1 row_mask:0xf bank_mask:0xf bound_ctrl:1
	v_dual_add_f32 v5, v10, v5 :: v_dual_add_f32 v10, v16, v12
	v_add_f32_e32 v17, v7, v14
	v_cvt_i32_f32_e32 v7, v15
	s_delay_alu instid0(VALU_DEP_4) | instskip(NEXT) | instid1(VALU_DEP_4)
	v_add_f32_e32 v6, v9, v6
	v_cvt_i32_f32_e32 v12, v5
	v_cvt_f32_i32_dpp v16, v13 row_shr:1 row_mask:0xf bank_mask:0xf bound_ctrl:1
	ds_bpermute_b32 v22, v8, v21
	v_cvt_f32_i32_dpp v7, v7 row_shr:4 row_mask:0xf bank_mask:0xf bound_ctrl:1
	v_cvt_f32_i32_dpp v12, v12 row_shr:2 row_mask:0xf bank_mask:0xf bound_ctrl:1
	v_add_f32_e32 v11, v11, v16
	ds_bpermute_b32 v16, v8, v6
	v_add_f32_e32 v7, v15, v7
	v_cvt_i32_f32_e32 v15, v10
	v_add_f32_e32 v5, v5, v12
	s_delay_alu instid0(VALU_DEP_3) | instskip(NEXT) | instid1(VALU_DEP_3)
	v_cvt_i32_f32_e32 v14, v7
	v_cvt_f32_i32_dpp v15, v15 row_shr:2 row_mask:0xf bank_mask:0xf bound_ctrl:1
	s_delay_alu instid0(VALU_DEP_3) | instskip(NEXT) | instid1(VALU_DEP_3)
	v_cvt_i32_f32_e32 v12, v5
	v_cvt_f32_i32_dpp v14, v14 row_shr:2 row_mask:0xf bank_mask:0xf bound_ctrl:1
	s_delay_alu instid0(VALU_DEP_3) | instskip(NEXT) | instid1(VALU_DEP_3)
	v_add_f32_e32 v10, v10, v15
	v_cvt_f32_i32_dpp v12, v12 row_shr:1 row_mask:0xf bank_mask:0xf bound_ctrl:1
	ds_bpermute_b32 v19, v8, v17
	v_add_f32_e32 v7, v7, v14
	v_cvt_i32_f32_e32 v15, v10
	v_add_f32_e32 v13, v5, v12
	ds_bpermute_b32 v12, v8, v11
	v_cvt_i32_f32_e32 v14, v7
	v_cvt_f32_i32_dpp v15, v15 row_shr:1 row_mask:0xf bank_mask:0xf bound_ctrl:1
	s_delay_alu instid0(VALU_DEP_2) | instskip(NEXT) | instid1(VALU_DEP_1)
	v_cvt_f32_i32_dpp v14, v14 row_shr:1 row_mask:0xf bank_mask:0xf bound_ctrl:1
	v_add_f32_e32 v9, v7, v14
	s_delay_alu instid0(VALU_DEP_3)
	v_add_f32_e32 v7, v10, v15
	ds_bpermute_b32 v14, v8, v13
	ds_bpermute_b32 v10, v8, v9
	;; [unrolled: 1-line block ×3, first 2 shown]
	s_and_saveexec_b32 s5, s0
	s_cbranch_execz .LBB217_83
; %bb.33:                               ;   in Loop: Header=BB217_12 Depth=1
	v_dual_mov_b32 v29, 0 :: v_dual_mov_b32 v28, 0
	v_dual_mov_b32 v26, 0 :: v_dual_add_nc_u32 v55, 2, v53
	v_dual_mov_b32 v20, 0 :: v_dual_add_nc_u32 v5, 3, v53
	v_dual_mov_b32 v27, 0 :: v_dual_mov_b32 v18, 0
	v_mov_b32_e32 v23, 0
	v_mov_b32_e32 v15, 0
	s_and_not1_b32 vcc_lo, exec_lo, s30
	s_cbranch_vccnz .LBB217_35
; %bb.34:                               ;   in Loop: Header=BB217_12 Depth=1
	v_mul_hi_u32 v15, v53, v68
	v_dual_mov_b32 v27, v56 :: v_dual_add_nc_u32 v18, 1, v53
	v_mul_hi_u32 v20, v55, v68
	v_mul_hi_u32 v23, v5, v68
	s_delay_alu instid0(VALU_DEP_3) | instskip(SKIP_1) | instid1(VALU_DEP_4)
	v_mul_hi_u32 v26, v18, v68
	v_mul_lo_u32 v15, v15, s8
	v_mul_lo_u32 v20, v20, s8
	s_delay_alu instid0(VALU_DEP_4) | instskip(NEXT) | instid1(VALU_DEP_4)
	v_mul_lo_u32 v23, v23, s8
	v_mul_lo_u32 v26, v26, s8
	s_delay_alu instid0(VALU_DEP_4) | instskip(NEXT) | instid1(VALU_DEP_4)
	v_sub_nc_u32_e32 v15, v53, v15
	v_sub_nc_u32_e32 v20, v55, v20
	s_delay_alu instid0(VALU_DEP_4) | instskip(NEXT) | instid1(VALU_DEP_3)
	v_sub_nc_u32_e32 v23, v5, v23
	v_subrev_nc_u32_e32 v28, s8, v15
	v_cmp_le_u32_e32 vcc_lo, s8, v15
	v_sub_nc_u32_e32 v18, v18, v26
	v_subrev_nc_u32_e32 v26, s8, v20
	v_subrev_nc_u32_e32 v30, s8, v23
	v_cndmask_b32_e32 v15, v15, v28, vcc_lo
	v_cmp_le_u32_e32 vcc_lo, s8, v20
	v_subrev_nc_u32_e32 v28, s8, v18
	v_cndmask_b32_e32 v20, v20, v26, vcc_lo
	v_cmp_le_u32_e32 vcc_lo, s8, v23
	;; [unrolled: 3-line block ×3, first 2 shown]
	v_dual_mov_b32 v29, v56 :: v_dual_cndmask_b32 v18, v18, v28
	v_cmp_le_u32_e32 vcc_lo, s8, v15
	v_mov_b32_e32 v31, v56
	v_subrev_nc_u32_e32 v28, s8, v20
	v_cndmask_b32_e32 v26, v15, v26, vcc_lo
	v_cmp_le_u32_e32 vcc_lo, s8, v20
	v_subrev_nc_u32_e32 v15, s8, v18
	s_delay_alu instid0(VALU_DEP_3) | instskip(SKIP_4) | instid1(VALU_DEP_4)
	v_lshlrev_b64 v[34:35], 1, v[26:27]
	v_cndmask_b32_e32 v30, v20, v28, vcc_lo
	v_subrev_nc_u32_e32 v32, s8, v23
	v_cmp_le_u32_e32 vcc_lo, s8, v23
	v_dual_mov_b32 v33, v56 :: v_dual_add_nc_u32 v26, s33, v26
	v_lshlrev_b64 v[36:37], 1, v[30:31]
	v_add_nc_u32_e32 v30, s33, v30
	v_cndmask_b32_e32 v32, v23, v32, vcc_lo
	v_cmp_le_u32_e32 vcc_lo, s8, v18
	v_lshlrev_b64 v[26:27], 1, v[26:27]
	s_delay_alu instid0(VALU_DEP_3) | instskip(SKIP_3) | instid1(VALU_DEP_3)
	v_lshlrev_b64 v[38:39], 1, v[32:33]
	v_cndmask_b32_e32 v28, v18, v15, vcc_lo
	v_add_co_u32 v33, vcc_lo, s14, v34
	v_add_co_ci_u32_e32 v34, vcc_lo, s15, v35, vcc_lo
	v_lshlrev_b64 v[40:41], 1, v[28:29]
	v_add_nc_u32_e32 v28, s33, v28
	s_delay_alu instid0(VALU_DEP_2) | instskip(NEXT) | instid1(VALU_DEP_3)
	v_add_co_u32 v40, vcc_lo, s14, v40
	v_add_co_ci_u32_e32 v41, vcc_lo, s15, v41, vcc_lo
	v_add_co_u32 v35, vcc_lo, s14, v36
	v_add_co_ci_u32_e32 v36, vcc_lo, s15, v37, vcc_lo
	;; [unrolled: 2-line block ×3, first 2 shown]
	v_lshlrev_b64 v[28:29], 1, v[28:29]
	v_add_co_u32 v42, vcc_lo, s14, v26
	v_add_co_ci_u32_e32 v43, vcc_lo, s15, v27, vcc_lo
	v_lshlrev_b64 v[26:27], 1, v[30:31]
	v_add_nc_u32_e32 v30, s33, v32
	v_add_co_u32 v44, vcc_lo, s14, v28
	v_add_co_ci_u32_e32 v45, vcc_lo, s15, v29, vcc_lo
	s_delay_alu instid0(VALU_DEP_3) | instskip(SKIP_2) | instid1(VALU_DEP_3)
	v_lshlrev_b64 v[28:29], 1, v[30:31]
	v_add_co_u32 v30, vcc_lo, s14, v26
	v_add_co_ci_u32_e32 v31, vcc_lo, s15, v27, vcc_lo
	v_add_co_u32 v46, vcc_lo, s14, v28
	s_delay_alu instid0(VALU_DEP_4)
	v_add_co_ci_u32_e32 v47, vcc_lo, s15, v29, vcc_lo
	s_clause 0x7
	global_load_u16 v29, v[33:34], off
	global_load_u16 v28, v[40:41], off
	global_load_u16 v27, v[35:36], off
	global_load_u16 v26, v[37:38], off
	global_load_u16 v23, v[42:43], off
	global_load_u16 v20, v[44:45], off
	global_load_u16 v18, v[30:31], off
	global_load_u16 v15, v[46:47], off
.LBB217_35:                             ;   in Loop: Header=BB217_12 Depth=1
	v_cmp_ne_u32_e32 vcc_lo, 0, v1
	s_and_saveexec_b32 s2, vcc_lo
	s_cbranch_execnz .LBB217_43
; %bb.36:                               ;   in Loop: Header=BB217_12 Depth=1
	s_or_b32 exec_lo, exec_lo, s2
	v_cmp_ne_u32_e64 s1, 0, v2
	s_delay_alu instid0(VALU_DEP_1)
	s_and_saveexec_b32 s3, s1
	s_cbranch_execnz .LBB217_48
.LBB217_37:                             ;   in Loop: Header=BB217_12 Depth=1
	s_or_b32 exec_lo, exec_lo, s3
	v_cmp_ne_u32_e64 s2, 0, v3
	s_delay_alu instid0(VALU_DEP_1)
	s_and_saveexec_b32 s4, s2
	s_cbranch_execnz .LBB217_53
.LBB217_38:                             ;   in Loop: Header=BB217_12 Depth=1
	s_or_b32 exec_lo, exec_lo, s4
	v_cmp_ne_u32_e64 s3, 0, v4
	s_delay_alu instid0(VALU_DEP_1)
	s_and_saveexec_b32 s37, s3
	s_cbranch_execnz .LBB217_58
.LBB217_39:                             ;   in Loop: Header=BB217_12 Depth=1
	s_or_b32 exec_lo, exec_lo, s37
	v_add_nc_u32_e32 v55, s19, v53
	s_and_saveexec_b32 s4, vcc_lo
	s_cbranch_execnz .LBB217_63
.LBB217_40:                             ;   in Loop: Header=BB217_12 Depth=1
	s_or_b32 exec_lo, exec_lo, s4
	s_and_saveexec_b32 s4, s1
	s_cbranch_execnz .LBB217_68
.LBB217_41:                             ;   in Loop: Header=BB217_12 Depth=1
	s_or_b32 exec_lo, exec_lo, s4
	s_and_saveexec_b32 s1, s2
	s_cbranch_execnz .LBB217_73
.LBB217_42:                             ;   in Loop: Header=BB217_12 Depth=1
	s_or_b32 exec_lo, exec_lo, s1
	s_delay_alu instid0(SALU_CYCLE_1)
	s_and_b32 exec_lo, exec_lo, s3
	s_cbranch_execnz .LBB217_78
	s_branch .LBB217_83
.LBB217_43:                             ;   in Loop: Header=BB217_12 Depth=1
	s_waitcnt lgkmcnt(7)
	v_add_f32_e32 v24, v24, v25
	s_waitcnt vmcnt(7)
	v_lshlrev_b32_e32 v25, 16, v29
	s_delay_alu instid0(VALU_DEP_1) | instskip(NEXT) | instid1(VALU_DEP_1)
	v_add_f32_e32 v25, v24, v25
	v_and_b32_e32 v24, 0x7f800000, v25
	s_delay_alu instid0(VALU_DEP_1) | instskip(NEXT) | instid1(VALU_DEP_1)
	v_cmp_ne_u32_e64 s1, 0x7f800000, v24
                                        ; implicit-def: $vgpr24
	s_and_saveexec_b32 s3, s1
	s_delay_alu instid0(SALU_CYCLE_1)
	s_xor_b32 s1, exec_lo, s3
; %bb.44:                               ;   in Loop: Header=BB217_12 Depth=1
	v_bfe_u32 v24, v25, 16, 1
	s_delay_alu instid0(VALU_DEP_1)
	v_add3_u32 v24, v25, v24, 0x7fff
                                        ; implicit-def: $vgpr25
; %bb.45:                               ;   in Loop: Header=BB217_12 Depth=1
	s_and_not1_saveexec_b32 s3, s1
; %bb.46:                               ;   in Loop: Header=BB217_12 Depth=1
	v_and_b32_e32 v24, 0xffff, v25
	v_or_b32_e32 v29, 0x10000, v25
	s_delay_alu instid0(VALU_DEP_2) | instskip(NEXT) | instid1(VALU_DEP_1)
	v_cmp_eq_u32_e64 s1, 0, v24
	v_cndmask_b32_e64 v24, v29, v25, s1
; %bb.47:                               ;   in Loop: Header=BB217_12 Depth=1
	s_or_b32 exec_lo, exec_lo, s3
	v_mov_b32_e32 v54, v56
	s_delay_alu instid0(VALU_DEP_1) | instskip(NEXT) | instid1(VALU_DEP_1)
	v_lshlrev_b64 v[29:30], 1, v[53:54]
	v_add_co_u32 v29, s1, s6, v29
	s_delay_alu instid0(VALU_DEP_1) | instskip(SKIP_3) | instid1(VALU_DEP_1)
	v_add_co_ci_u32_e64 v30, s1, s7, v30, s1
	global_store_d16_hi_b16 v[29:30], v24, off
	s_or_b32 exec_lo, exec_lo, s2
	v_cmp_ne_u32_e64 s1, 0, v2
	s_and_saveexec_b32 s3, s1
	s_cbranch_execz .LBB217_37
.LBB217_48:                             ;   in Loop: Header=BB217_12 Depth=1
	s_waitcnt vmcnt(6) lgkmcnt(6)
	v_dual_add_f32 v21, v21, v22 :: v_dual_lshlrev_b32 v22, 16, v28
	s_delay_alu instid0(VALU_DEP_1) | instskip(NEXT) | instid1(VALU_DEP_1)
	v_add_f32_e32 v22, v21, v22
	v_and_b32_e32 v21, 0x7f800000, v22
	s_delay_alu instid0(VALU_DEP_1) | instskip(NEXT) | instid1(VALU_DEP_1)
	v_cmp_ne_u32_e64 s2, 0x7f800000, v21
                                        ; implicit-def: $vgpr21
	s_and_saveexec_b32 s4, s2
	s_delay_alu instid0(SALU_CYCLE_1)
	s_xor_b32 s2, exec_lo, s4
; %bb.49:                               ;   in Loop: Header=BB217_12 Depth=1
	v_bfe_u32 v21, v22, 16, 1
	s_delay_alu instid0(VALU_DEP_1)
	v_add3_u32 v21, v22, v21, 0x7fff
                                        ; implicit-def: $vgpr22
; %bb.50:                               ;   in Loop: Header=BB217_12 Depth=1
	s_and_not1_saveexec_b32 s4, s2
; %bb.51:                               ;   in Loop: Header=BB217_12 Depth=1
	v_and_b32_e32 v21, 0xffff, v22
	v_or_b32_e32 v24, 0x10000, v22
	s_delay_alu instid0(VALU_DEP_2) | instskip(NEXT) | instid1(VALU_DEP_1)
	v_cmp_eq_u32_e64 s2, 0, v21
	v_cndmask_b32_e64 v21, v24, v22, s2
; %bb.52:                               ;   in Loop: Header=BB217_12 Depth=1
	s_or_b32 exec_lo, exec_lo, s4
	v_mov_b32_e32 v54, v56
	s_delay_alu instid0(VALU_DEP_1) | instskip(NEXT) | instid1(VALU_DEP_1)
	v_lshlrev_b64 v[24:25], 1, v[53:54]
	v_add_co_u32 v24, s2, s31, v24
	s_delay_alu instid0(VALU_DEP_1) | instskip(SKIP_3) | instid1(VALU_DEP_1)
	v_add_co_ci_u32_e64 v25, s2, s34, v25, s2
	global_store_d16_hi_b16 v[24:25], v21, off
	s_or_b32 exec_lo, exec_lo, s3
	v_cmp_ne_u32_e64 s2, 0, v3
	s_and_saveexec_b32 s4, s2
	s_cbranch_execz .LBB217_38
.LBB217_53:                             ;   in Loop: Header=BB217_12 Depth=1
	s_waitcnt lgkmcnt(4)
	v_add_f32_e32 v17, v17, v19
	s_waitcnt vmcnt(5)
	v_lshlrev_b32_e32 v19, 16, v27
	s_delay_alu instid0(VALU_DEP_1) | instskip(NEXT) | instid1(VALU_DEP_1)
	v_add_f32_e32 v19, v17, v19
	v_and_b32_e32 v17, 0x7f800000, v19
	s_delay_alu instid0(VALU_DEP_1) | instskip(NEXT) | instid1(VALU_DEP_1)
	v_cmp_ne_u32_e64 s3, 0x7f800000, v17
                                        ; implicit-def: $vgpr17
	s_and_saveexec_b32 s37, s3
	s_delay_alu instid0(SALU_CYCLE_1)
	s_xor_b32 s3, exec_lo, s37
; %bb.54:                               ;   in Loop: Header=BB217_12 Depth=1
	v_bfe_u32 v17, v19, 16, 1
	s_delay_alu instid0(VALU_DEP_1)
	v_add3_u32 v17, v19, v17, 0x7fff
                                        ; implicit-def: $vgpr19
; %bb.55:                               ;   in Loop: Header=BB217_12 Depth=1
	s_and_not1_saveexec_b32 s37, s3
; %bb.56:                               ;   in Loop: Header=BB217_12 Depth=1
	v_and_b32_e32 v17, 0xffff, v19
	v_or_b32_e32 v21, 0x10000, v19
	s_delay_alu instid0(VALU_DEP_2) | instskip(NEXT) | instid1(VALU_DEP_1)
	v_cmp_eq_u32_e64 s3, 0, v17
	v_cndmask_b32_e64 v17, v21, v19, s3
; %bb.57:                               ;   in Loop: Header=BB217_12 Depth=1
	s_or_b32 exec_lo, exec_lo, s37
	v_lshlrev_b64 v[21:22], 1, v[55:56]
	s_delay_alu instid0(VALU_DEP_1) | instskip(NEXT) | instid1(VALU_DEP_1)
	v_add_co_u32 v21, s3, s6, v21
	v_add_co_ci_u32_e64 v22, s3, s7, v22, s3
	global_store_d16_hi_b16 v[21:22], v17, off
	s_or_b32 exec_lo, exec_lo, s4
	v_cmp_ne_u32_e64 s3, 0, v4
	s_delay_alu instid0(VALU_DEP_1)
	s_and_saveexec_b32 s37, s3
	s_cbranch_execz .LBB217_39
.LBB217_58:                             ;   in Loop: Header=BB217_12 Depth=1
	s_waitcnt lgkmcnt(5)
	v_add_f32_e32 v6, v6, v16
	s_waitcnt vmcnt(4)
	v_lshlrev_b32_e32 v16, 16, v26
	s_delay_alu instid0(VALU_DEP_1) | instskip(NEXT) | instid1(VALU_DEP_1)
	v_add_f32_e32 v6, v6, v16
	v_and_b32_e32 v16, 0x7f800000, v6
	s_delay_alu instid0(VALU_DEP_1) | instskip(NEXT) | instid1(VALU_DEP_1)
	v_cmp_ne_u32_e64 s4, 0x7f800000, v16
                                        ; implicit-def: $vgpr16
	s_and_saveexec_b32 s38, s4
	s_delay_alu instid0(SALU_CYCLE_1)
	s_xor_b32 s4, exec_lo, s38
; %bb.59:                               ;   in Loop: Header=BB217_12 Depth=1
	v_bfe_u32 v16, v6, 16, 1
	s_delay_alu instid0(VALU_DEP_1)
	v_add3_u32 v16, v6, v16, 0x7fff
                                        ; implicit-def: $vgpr6
; %bb.60:                               ;   in Loop: Header=BB217_12 Depth=1
	s_and_not1_saveexec_b32 s38, s4
; %bb.61:                               ;   in Loop: Header=BB217_12 Depth=1
	v_and_b32_e32 v16, 0xffff, v6
	v_or_b32_e32 v17, 0x10000, v6
	s_delay_alu instid0(VALU_DEP_2) | instskip(NEXT) | instid1(VALU_DEP_1)
	v_cmp_eq_u32_e64 s4, 0, v16
	v_cndmask_b32_e64 v16, v17, v6, s4
; %bb.62:                               ;   in Loop: Header=BB217_12 Depth=1
	s_or_b32 exec_lo, exec_lo, s38
	v_mov_b32_e32 v6, v56
	s_delay_alu instid0(VALU_DEP_1) | instskip(NEXT) | instid1(VALU_DEP_1)
	v_lshlrev_b64 v[5:6], 1, v[5:6]
	v_add_co_u32 v5, s4, s6, v5
	s_delay_alu instid0(VALU_DEP_1)
	v_add_co_ci_u32_e64 v6, s4, s7, v6, s4
	global_store_d16_hi_b16 v[5:6], v16, off
	s_or_b32 exec_lo, exec_lo, s37
	v_add_nc_u32_e32 v55, s19, v53
	s_and_saveexec_b32 s4, vcc_lo
	s_cbranch_execz .LBB217_40
.LBB217_63:                             ;   in Loop: Header=BB217_12 Depth=1
	s_waitcnt vmcnt(3) lgkmcnt(2)
	v_dual_add_f32 v5, v13, v14 :: v_dual_lshlrev_b32 v6, 16, v23
	s_delay_alu instid0(VALU_DEP_1) | instskip(NEXT) | instid1(VALU_DEP_1)
	v_add_f32_e32 v6, v5, v6
	v_and_b32_e32 v5, 0x7f800000, v6
	s_delay_alu instid0(VALU_DEP_1) | instskip(SKIP_1) | instid1(SALU_CYCLE_1)
	v_cmp_ne_u32_e32 vcc_lo, 0x7f800000, v5
                                        ; implicit-def: $vgpr5
	s_and_saveexec_b32 s37, vcc_lo
	s_xor_b32 s37, exec_lo, s37
; %bb.64:                               ;   in Loop: Header=BB217_12 Depth=1
	v_bfe_u32 v5, v6, 16, 1
	s_delay_alu instid0(VALU_DEP_1)
	v_add3_u32 v5, v6, v5, 0x7fff
                                        ; implicit-def: $vgpr6
; %bb.65:                               ;   in Loop: Header=BB217_12 Depth=1
	s_and_not1_saveexec_b32 s37, s37
; %bb.66:                               ;   in Loop: Header=BB217_12 Depth=1
	v_and_b32_e32 v5, 0xffff, v6
	v_or_b32_e32 v13, 0x10000, v6
	s_delay_alu instid0(VALU_DEP_2) | instskip(NEXT) | instid1(VALU_DEP_2)
	v_cmp_eq_u32_e32 vcc_lo, 0, v5
	v_cndmask_b32_e32 v5, v13, v6, vcc_lo
; %bb.67:                               ;   in Loop: Header=BB217_12 Depth=1
	s_or_b32 exec_lo, exec_lo, s37
	v_lshlrev_b64 v[13:14], 1, v[55:56]
	s_delay_alu instid0(VALU_DEP_1) | instskip(NEXT) | instid1(VALU_DEP_2)
	v_add_co_u32 v13, vcc_lo, s6, v13
	v_add_co_ci_u32_e32 v14, vcc_lo, s7, v14, vcc_lo
	global_store_d16_hi_b16 v[13:14], v5, off
	s_or_b32 exec_lo, exec_lo, s4
	s_and_saveexec_b32 s4, s1
	s_cbranch_execz .LBB217_41
.LBB217_68:                             ;   in Loop: Header=BB217_12 Depth=1
	s_waitcnt lgkmcnt(3)
	v_add_f32_e32 v5, v11, v12
	s_waitcnt vmcnt(2)
	v_lshlrev_b32_e32 v6, 16, v20
	s_delay_alu instid0(VALU_DEP_1) | instskip(NEXT) | instid1(VALU_DEP_1)
	v_add_f32_e32 v6, v5, v6
	v_and_b32_e32 v5, 0x7f800000, v6
	s_delay_alu instid0(VALU_DEP_1) | instskip(SKIP_1) | instid1(SALU_CYCLE_1)
	v_cmp_ne_u32_e32 vcc_lo, 0x7f800000, v5
                                        ; implicit-def: $vgpr5
	s_and_saveexec_b32 s1, vcc_lo
	s_xor_b32 s1, exec_lo, s1
; %bb.69:                               ;   in Loop: Header=BB217_12 Depth=1
	v_bfe_u32 v5, v6, 16, 1
	s_delay_alu instid0(VALU_DEP_1)
	v_add3_u32 v5, v6, v5, 0x7fff
                                        ; implicit-def: $vgpr6
; %bb.70:                               ;   in Loop: Header=BB217_12 Depth=1
	s_and_not1_saveexec_b32 s1, s1
; %bb.71:                               ;   in Loop: Header=BB217_12 Depth=1
	v_and_b32_e32 v5, 0xffff, v6
	v_or_b32_e32 v11, 0x10000, v6
	s_delay_alu instid0(VALU_DEP_2) | instskip(NEXT) | instid1(VALU_DEP_2)
	v_cmp_eq_u32_e32 vcc_lo, 0, v5
	v_cndmask_b32_e32 v5, v11, v6, vcc_lo
; %bb.72:                               ;   in Loop: Header=BB217_12 Depth=1
	s_or_b32 exec_lo, exec_lo, s1
	v_dual_mov_b32 v12, v56 :: v_dual_add_nc_u32 v11, 1, v55
	s_delay_alu instid0(VALU_DEP_1) | instskip(NEXT) | instid1(VALU_DEP_1)
	v_lshlrev_b64 v[11:12], 1, v[11:12]
	v_add_co_u32 v11, vcc_lo, s6, v11
	s_delay_alu instid0(VALU_DEP_2)
	v_add_co_ci_u32_e32 v12, vcc_lo, s7, v12, vcc_lo
	global_store_d16_hi_b16 v[11:12], v5, off
	s_or_b32 exec_lo, exec_lo, s4
	s_and_saveexec_b32 s1, s2
	s_cbranch_execz .LBB217_42
.LBB217_73:                             ;   in Loop: Header=BB217_12 Depth=1
	s_waitcnt lgkmcnt(1)
	v_add_f32_e32 v5, v9, v10
	s_waitcnt vmcnt(1)
	v_lshlrev_b32_e32 v6, 16, v18
	s_delay_alu instid0(VALU_DEP_1) | instskip(NEXT) | instid1(VALU_DEP_1)
	v_add_f32_e32 v6, v5, v6
	v_and_b32_e32 v5, 0x7f800000, v6
	s_delay_alu instid0(VALU_DEP_1) | instskip(SKIP_1) | instid1(SALU_CYCLE_1)
	v_cmp_ne_u32_e32 vcc_lo, 0x7f800000, v5
                                        ; implicit-def: $vgpr5
	s_and_saveexec_b32 s2, vcc_lo
	s_xor_b32 s2, exec_lo, s2
; %bb.74:                               ;   in Loop: Header=BB217_12 Depth=1
	v_bfe_u32 v5, v6, 16, 1
	s_delay_alu instid0(VALU_DEP_1)
	v_add3_u32 v5, v6, v5, 0x7fff
                                        ; implicit-def: $vgpr6
; %bb.75:                               ;   in Loop: Header=BB217_12 Depth=1
	s_and_not1_saveexec_b32 s2, s2
; %bb.76:                               ;   in Loop: Header=BB217_12 Depth=1
	v_and_b32_e32 v5, 0xffff, v6
	v_or_b32_e32 v9, 0x10000, v6
	s_delay_alu instid0(VALU_DEP_2) | instskip(NEXT) | instid1(VALU_DEP_2)
	v_cmp_eq_u32_e32 vcc_lo, 0, v5
	v_cndmask_b32_e32 v5, v9, v6, vcc_lo
; %bb.77:                               ;   in Loop: Header=BB217_12 Depth=1
	s_or_b32 exec_lo, exec_lo, s2
	v_dual_mov_b32 v10, v56 :: v_dual_add_nc_u32 v9, 2, v55
	s_delay_alu instid0(VALU_DEP_1) | instskip(NEXT) | instid1(VALU_DEP_1)
	v_lshlrev_b64 v[9:10], 1, v[9:10]
	v_add_co_u32 v9, vcc_lo, s6, v9
	s_delay_alu instid0(VALU_DEP_2) | instskip(SKIP_2) | instid1(SALU_CYCLE_1)
	v_add_co_ci_u32_e32 v10, vcc_lo, s7, v10, vcc_lo
	global_store_d16_hi_b16 v[9:10], v5, off
	s_or_b32 exec_lo, exec_lo, s1
	s_and_b32 exec_lo, exec_lo, s3
	s_cbranch_execz .LBB217_83
.LBB217_78:                             ;   in Loop: Header=BB217_12 Depth=1
	s_waitcnt vmcnt(0) lgkmcnt(0)
	v_dual_add_f32 v5, v7, v8 :: v_dual_lshlrev_b32 v6, 16, v15
	s_delay_alu instid0(VALU_DEP_1) | instskip(NEXT) | instid1(VALU_DEP_1)
	v_add_f32_e32 v6, v5, v6
	v_and_b32_e32 v5, 0x7f800000, v6
	s_delay_alu instid0(VALU_DEP_1) | instskip(SKIP_1) | instid1(SALU_CYCLE_1)
	v_cmp_ne_u32_e32 vcc_lo, 0x7f800000, v5
                                        ; implicit-def: $vgpr5
	s_and_saveexec_b32 s1, vcc_lo
	s_xor_b32 s1, exec_lo, s1
; %bb.79:                               ;   in Loop: Header=BB217_12 Depth=1
	v_bfe_u32 v5, v6, 16, 1
	s_delay_alu instid0(VALU_DEP_1)
	v_add3_u32 v5, v6, v5, 0x7fff
                                        ; implicit-def: $vgpr6
; %bb.80:                               ;   in Loop: Header=BB217_12 Depth=1
	s_and_not1_saveexec_b32 s1, s1
; %bb.81:                               ;   in Loop: Header=BB217_12 Depth=1
	v_and_b32_e32 v5, 0xffff, v6
	v_or_b32_e32 v7, 0x10000, v6
	s_delay_alu instid0(VALU_DEP_2) | instskip(NEXT) | instid1(VALU_DEP_2)
	v_cmp_eq_u32_e32 vcc_lo, 0, v5
	v_cndmask_b32_e32 v5, v7, v6, vcc_lo
; %bb.82:                               ;   in Loop: Header=BB217_12 Depth=1
	s_or_b32 exec_lo, exec_lo, s1
	v_add_nc_u32_e32 v55, 3, v55
	s_delay_alu instid0(VALU_DEP_1) | instskip(NEXT) | instid1(VALU_DEP_1)
	v_lshlrev_b64 v[6:7], 1, v[55:56]
	v_add_co_u32 v6, vcc_lo, s6, v6
	s_delay_alu instid0(VALU_DEP_2)
	v_add_co_ci_u32_e32 v7, vcc_lo, s7, v7, vcc_lo
	global_store_d16_hi_b16 v[6:7], v5, off
.LBB217_83:                             ;   in Loop: Header=BB217_12 Depth=1
	s_or_b32 exec_lo, exec_lo, s5
	v_add_nc_u32_e32 v53, s29, v53
	s_delay_alu instid0(VALU_DEP_1) | instskip(SKIP_1) | instid1(VALU_DEP_2)
	v_add_nc_u32_e32 v5, 4, v53
	v_cmp_gt_u32_e32 vcc_lo, s19, v53
	v_cmp_le_u32_e64 s1, s19, v5
	s_delay_alu instid0(VALU_DEP_1) | instskip(NEXT) | instid1(SALU_CYCLE_1)
	s_and_b32 s1, vcc_lo, s1
	s_and_saveexec_b32 s37, s1
	s_cbranch_execz .LBB217_10
; %bb.84:                               ;   in Loop: Header=BB217_12 Depth=1
	s_mov_b32 s38, exec_lo
	v_cmpx_ne_u32_e64 s9, v53
	s_cbranch_execz .LBB217_9
; %bb.85:                               ;   in Loop: Header=BB217_12 Depth=1
	v_subrev_nc_u32_e32 v5, s9, v53
	s_mov_b32 s39, 0
	s_mov_b64 s[4:5], 0
	s_delay_alu instid0(VALU_DEP_1)
	v_cmp_lt_u32_e32 vcc_lo, 1, v5
	v_cndmask_b32_e32 v5, 1, v5, vcc_lo
	.p2align	6
.LBB217_86:                             ;   Parent Loop BB217_12 Depth=1
                                        ; =>  This Inner Loop Header: Depth=2
	s_cmp_lg_u32 s4, 3
	s_cselect_b32 vcc_lo, -1, 0
	s_cmp_lg_u32 s4, 2
	v_cndmask_b32_e32 v4, 0, v4, vcc_lo
	s_cselect_b32 s1, -1, 0
	s_cmp_lg_u32 s4, 1
	v_cndmask_b32_e64 v3, 0, v3, s1
	s_cselect_b32 s2, -1, 0
	s_cmp_lg_u32 s4, 0
	v_cndmask_b32_e64 v2, 0, v2, s2
	s_cselect_b32 s3, -1, 0
	s_add_u32 s4, s4, 1
	v_cndmask_b32_e64 v1, 0, v1, s3
	v_cmp_eq_u32_e32 vcc_lo, s4, v5
	s_addc_u32 s5, s5, 0
	s_or_b32 s39, vcc_lo, s39
	s_delay_alu instid0(SALU_CYCLE_1)
	s_and_not1_b32 exec_lo, exec_lo, s39
	s_cbranch_execnz .LBB217_86
; %bb.87:                               ;   in Loop: Header=BB217_12 Depth=1
	s_or_b32 exec_lo, exec_lo, s39
	s_branch .LBB217_9
.LBB217_88:
	s_nop 0
	s_sendmsg sendmsg(MSG_DEALLOC_VGPRS)
	s_endpgm
	.section	.rodata,"a",@progbits
	.p2align	6, 0x0
	.amdhsa_kernel _Z16wvSplitK_hf_big_I14__hip_bfloat16Li64ELi4ELi16ELi8ELi2ELi2EEviiiiiiPKT_S3_S3_PS1_ii
		.amdhsa_group_segment_fixed_size 65536
		.amdhsa_private_segment_fixed_size 0
		.amdhsa_kernarg_size 64
		.amdhsa_user_sgpr_count 15
		.amdhsa_user_sgpr_dispatch_ptr 0
		.amdhsa_user_sgpr_queue_ptr 0
		.amdhsa_user_sgpr_kernarg_segment_ptr 1
		.amdhsa_user_sgpr_dispatch_id 0
		.amdhsa_user_sgpr_private_segment_size 0
		.amdhsa_wavefront_size32 1
		.amdhsa_uses_dynamic_stack 0
		.amdhsa_enable_private_segment 0
		.amdhsa_system_sgpr_workgroup_id_x 1
		.amdhsa_system_sgpr_workgroup_id_y 0
		.amdhsa_system_sgpr_workgroup_id_z 0
		.amdhsa_system_sgpr_workgroup_info 0
		.amdhsa_system_vgpr_workitem_id 1
		.amdhsa_next_free_vgpr 93
		.amdhsa_next_free_sgpr 40
		.amdhsa_reserve_vcc 1
		.amdhsa_float_round_mode_32 0
		.amdhsa_float_round_mode_16_64 0
		.amdhsa_float_denorm_mode_32 3
		.amdhsa_float_denorm_mode_16_64 3
		.amdhsa_dx10_clamp 1
		.amdhsa_ieee_mode 1
		.amdhsa_fp16_overflow 0
		.amdhsa_workgroup_processor_mode 1
		.amdhsa_memory_ordered 1
		.amdhsa_forward_progress 0
		.amdhsa_shared_vgpr_count 0
		.amdhsa_exception_fp_ieee_invalid_op 0
		.amdhsa_exception_fp_denorm_src 0
		.amdhsa_exception_fp_ieee_div_zero 0
		.amdhsa_exception_fp_ieee_overflow 0
		.amdhsa_exception_fp_ieee_underflow 0
		.amdhsa_exception_fp_ieee_inexact 0
		.amdhsa_exception_int_div_zero 0
	.end_amdhsa_kernel
	.section	.text._Z16wvSplitK_hf_big_I14__hip_bfloat16Li64ELi4ELi16ELi8ELi2ELi2EEviiiiiiPKT_S3_S3_PS1_ii,"axG",@progbits,_Z16wvSplitK_hf_big_I14__hip_bfloat16Li64ELi4ELi16ELi8ELi2ELi2EEviiiiiiPKT_S3_S3_PS1_ii,comdat
.Lfunc_end217:
	.size	_Z16wvSplitK_hf_big_I14__hip_bfloat16Li64ELi4ELi16ELi8ELi2ELi2EEviiiiiiPKT_S3_S3_PS1_ii, .Lfunc_end217-_Z16wvSplitK_hf_big_I14__hip_bfloat16Li64ELi4ELi16ELi8ELi2ELi2EEviiiiiiPKT_S3_S3_PS1_ii
                                        ; -- End function
	.section	.AMDGPU.csdata,"",@progbits
; Kernel info:
; codeLenInByte = 6456
; NumSgprs: 42
; NumVgprs: 93
; ScratchSize: 0
; MemoryBound: 0
; FloatMode: 240
; IeeeMode: 1
; LDSByteSize: 65536 bytes/workgroup (compile time only)
; SGPRBlocks: 5
; VGPRBlocks: 11
; NumSGPRsForWavesPerEU: 42
; NumVGPRsForWavesPerEU: 93
; Occupancy: 16
; WaveLimiterHint : 0
; COMPUTE_PGM_RSRC2:SCRATCH_EN: 0
; COMPUTE_PGM_RSRC2:USER_SGPR: 15
; COMPUTE_PGM_RSRC2:TRAP_HANDLER: 0
; COMPUTE_PGM_RSRC2:TGID_X_EN: 1
; COMPUTE_PGM_RSRC2:TGID_Y_EN: 0
; COMPUTE_PGM_RSRC2:TGID_Z_EN: 0
; COMPUTE_PGM_RSRC2:TIDIG_COMP_CNT: 1
	.section	.text._Z16wvSplitK_hf_sml_I14__hip_bfloat16Li32ELi1ELi16ELi8ELi4ELi3EEviiiiiiPKT_S3_S3_PS1_ii,"axG",@progbits,_Z16wvSplitK_hf_sml_I14__hip_bfloat16Li32ELi1ELi16ELi8ELi4ELi3EEviiiiiiPKT_S3_S3_PS1_ii,comdat
	.protected	_Z16wvSplitK_hf_sml_I14__hip_bfloat16Li32ELi1ELi16ELi8ELi4ELi3EEviiiiiiPKT_S3_S3_PS1_ii ; -- Begin function _Z16wvSplitK_hf_sml_I14__hip_bfloat16Li32ELi1ELi16ELi8ELi4ELi3EEviiiiiiPKT_S3_S3_PS1_ii
	.globl	_Z16wvSplitK_hf_sml_I14__hip_bfloat16Li32ELi1ELi16ELi8ELi4ELi3EEviiiiiiPKT_S3_S3_PS1_ii
	.p2align	8
	.type	_Z16wvSplitK_hf_sml_I14__hip_bfloat16Li32ELi1ELi16ELi8ELi4ELi3EEviiiiiiPKT_S3_S3_PS1_ii,@function
_Z16wvSplitK_hf_sml_I14__hip_bfloat16Li32ELi1ELi16ELi8ELi4ELi3EEviiiiiiPKT_S3_S3_PS1_ii: ; @_Z16wvSplitK_hf_sml_I14__hip_bfloat16Li32ELi1ELi16ELi8ELi4ELi3EEviiiiiiPKT_S3_S3_PS1_ii
; %bb.0:
	s_load_b128 s[4:7], s[0:1], 0x0
	v_and_b32_e32 v1, 0x3ff, v0
	v_bfe_u32 v0, v0, 10, 10
	s_mov_b32 s8, exec_lo
	s_delay_alu instid0(VALU_DEP_2) | instskip(NEXT) | instid1(VALU_DEP_1)
	v_lshlrev_b32_e32 v67, 3, v1
	v_lshl_add_u32 v3, v0, 8, v67
	s_waitcnt lgkmcnt(0)
	s_mul_i32 s2, s6, 3
	s_delay_alu instid0(SALU_CYCLE_1)
	s_min_u32 s9, s2, 0x8000
	s_delay_alu instid0(VALU_DEP_1) | instid1(SALU_CYCLE_1)
	v_cmpx_gt_u32_e64 s9, v3
	s_cbranch_execz .LBB218_9
; %bb.1:
	s_load_b64 s[2:3], s[0:1], 0x20
	v_lshlrev_b32_e32 v2, 1, v3
	v_add_nc_u32_e32 v8, 0x1000, v3
	s_mov_b32 s10, exec_lo
	s_waitcnt lgkmcnt(0)
	global_load_b128 v[4:7], v2, s[2:3]
	s_waitcnt vmcnt(0)
	ds_store_b128 v2, v[4:7]
	v_cmpx_gt_u32_e64 s9, v8
	s_xor_b32 s10, exec_lo, s10
	s_cbranch_execz .LBB218_9
; %bb.2:
	v_add_co_u32 v4, s2, s2, v2
	s_delay_alu instid0(VALU_DEP_1) | instskip(SKIP_1) | instid1(VALU_DEP_3)
	v_add_co_ci_u32_e64 v5, null, s3, 0, s2
	v_add_nc_u32_e32 v10, 0x2000, v3
	v_add_co_u32 v6, vcc_lo, 0x2000, v4
	s_delay_alu instid0(VALU_DEP_3)
	v_add_co_ci_u32_e32 v7, vcc_lo, 0, v5, vcc_lo
	s_mov_b32 s2, exec_lo
	global_load_b128 v[6:9], v[6:7], off
	s_waitcnt vmcnt(0)
	ds_store_b128 v2, v[6:9] offset:8192
	v_cmpx_gt_u32_e64 s9, v10
	s_xor_b32 s2, exec_lo, s2
	s_cbranch_execz .LBB218_9
; %bb.3:
	v_add_co_u32 v6, vcc_lo, 0x4000, v4
	v_add_co_ci_u32_e32 v7, vcc_lo, 0, v5, vcc_lo
	v_add_nc_u32_e32 v10, 0x3000, v3
	s_mov_b32 s2, exec_lo
	global_load_b128 v[6:9], v[6:7], off
	s_waitcnt vmcnt(0)
	ds_store_b128 v2, v[6:9] offset:16384
	v_cmpx_gt_u32_e64 s9, v10
	s_xor_b32 s2, exec_lo, s2
	s_cbranch_execz .LBB218_9
; %bb.4:
	v_add_co_u32 v6, vcc_lo, 0x6000, v4
	v_add_co_ci_u32_e32 v7, vcc_lo, 0, v5, vcc_lo
	v_add_nc_u32_e32 v10, 0x4000, v3
	;; [unrolled: 11-line block ×5, first 2 shown]
	s_mov_b32 s2, exec_lo
	global_load_b128 v[6:9], v[6:7], off
	s_waitcnt vmcnt(0)
	ds_store_b128 v2, v[6:9] offset:49152
	v_cmpx_gt_u32_e64 s9, v3
	s_xor_b32 s2, exec_lo, s2
	s_cbranch_execz .LBB218_9
; %bb.8:
	v_add_co_u32 v3, vcc_lo, 0xe000, v4
	v_add_co_ci_u32_e32 v4, vcc_lo, 0, v5, vcc_lo
	global_load_b128 v[3:6], v[3:4], off
	s_waitcnt vmcnt(0)
	ds_store_b128 v2, v[3:6] offset:57344
.LBB218_9:
	s_or_b32 exec_lo, exec_lo, s8
	s_load_b64 s[16:17], s[0:1], 0x38
	s_waitcnt lgkmcnt(0)
	s_barrier
	buffer_gl0_inv
	s_mov_b32 s2, exec_lo
	v_cmpx_gt_u32_e64 s16, v0
	s_cbranch_execz .LBB218_40
; %bb.10:
	s_load_b64 s[2:3], s[0:1], 0x10
	v_mad_u64_u32 v[48:49], null, s15, s16, v[0:1]
	s_delay_alu instid0(VALU_DEP_1)
	v_cmp_gt_u32_e32 vcc_lo, s7, v48
	s_and_b32 exec_lo, exec_lo, vcc_lo
	s_cbranch_execz .LBB218_40
; %bb.11:
	s_clause 0x1
	s_load_b128 s[8:11], s[0:1], 0x28
	s_load_b64 s[12:13], s[0:1], 0x18
	s_cmp_lg_u32 s4, 0
	v_mbcnt_lo_u32_b32 v3, -1, 0
	s_cselect_b32 s1, -1, 0
	s_add_i32 s14, s4, -8
	s_add_i32 s15, s7, -1
	v_cmp_eq_u32_e64 s0, 31, v1
	v_lshlrev_b32_e32 v68, 4, v1
	v_xor_b32_e32 v1, 16, v3
	s_waitcnt lgkmcnt(0)
	v_cvt_f32_u32_e32 v2, s2
	s_mul_i32 s16, s17, s16
	v_mov_b32_e32 v50, 0
	v_cmp_gt_i32_e32 vcc_lo, 32, v1
	s_delay_alu instid0(VALU_DEP_3)
	v_rcp_iflag_f32_e32 v2, v2
	v_cndmask_b32_e32 v1, v3, v1, vcc_lo
	s_cmp_lg_u64 s[8:9], 0
	s_cselect_b32 s18, -1, 0
	s_abs_i32 s19, s3
	s_sub_i32 s21, 0, s2
	v_cvt_f32_u32_e32 v0, s19
	s_sub_i32 s17, 0, s19
	s_waitcnt_depctr 0xfff
	v_dual_mul_f32 v2, 0x4f7ffffe, v2 :: v_dual_lshlrev_b32 v69, 2, v1
	s_sub_i32 s22, 1, s19
	v_rcp_iflag_f32_e32 v0, v0
	s_mov_b32 s3, 0
	s_waitcnt_depctr 0xfff
	v_mul_f32_e32 v0, 0x4f7ffffe, v0
	s_delay_alu instid0(VALU_DEP_1) | instskip(NEXT) | instid1(VALU_DEP_1)
	v_cvt_u32_f32_e32 v0, v0
	v_readfirstlane_b32 s20, v0
	v_cvt_u32_f32_e32 v0, v2
	s_delay_alu instid0(VALU_DEP_2) | instskip(NEXT) | instid1(VALU_DEP_1)
	s_mul_i32 s17, s17, s20
	v_mul_lo_u32 v2, s21, v0
	s_mul_hi_u32 s17, s20, s17
	s_delay_alu instid0(SALU_CYCLE_1) | instskip(SKIP_2) | instid1(SALU_CYCLE_1)
	s_add_i32 s20, s20, s17
	s_cmp_lt_u32 s19, 2
	s_cselect_b32 s17, s22, 1
	s_sub_i32 s21, s17, s19
	s_cmp_ge_u32 s17, s19
	s_delay_alu instid0(VALU_DEP_1) | instskip(SKIP_4) | instid1(SALU_CYCLE_1)
	v_mul_hi_u32 v2, v0, v2
	s_cselect_b32 s17, s21, s17
	s_lshr_b32 s20, s20, 31
	s_mul_i32 s17, s17, s2
	s_mul_i32 s20, s20, s19
	s_sub_i32 s20, 2, s20
	s_delay_alu instid0(SALU_CYCLE_1) | instskip(SKIP_3) | instid1(SALU_CYCLE_1)
	s_sub_i32 s21, s20, s19
	s_cmp_ge_u32 s20, s19
	v_add_nc_u32_e32 v70, v0, v2
	s_cselect_b32 s20, s21, s20
	s_sub_i32 s21, s20, s19
	s_cmp_ge_u32 s20, s19
	s_cselect_b32 s20, s21, s20
	s_lshl_b32 s19, s6, 2
	s_mul_i32 s20, s20, s2
	s_lshl_b32 s6, s6, 1
	s_branch .LBB218_14
.LBB218_12:                             ;   in Loop: Header=BB218_14 Depth=1
	s_or_b32 exec_lo, exec_lo, s22
	v_add_nc_u32_e32 v49, s7, v49
	s_delay_alu instid0(VALU_DEP_1) | instskip(NEXT) | instid1(VALU_DEP_1)
	v_lshlrev_b64 v[1:2], 1, v[49:50]
	v_add_co_u32 v1, vcc_lo, s10, v1
	s_delay_alu instid0(VALU_DEP_2)
	v_add_co_ci_u32_e32 v2, vcc_lo, s11, v2, vcc_lo
	global_store_d16_hi_b16 v[1:2], v0, off
.LBB218_13:                             ;   in Loop: Header=BB218_14 Depth=1
	s_or_b32 exec_lo, exec_lo, s21
	v_add_nc_u32_e32 v48, s16, v48
	s_delay_alu instid0(VALU_DEP_1) | instskip(SKIP_1) | instid1(SALU_CYCLE_1)
	v_cmp_le_u32_e32 vcc_lo, s7, v48
	s_or_b32 s3, vcc_lo, s3
	s_and_not1_b32 exec_lo, exec_lo, s3
	s_cbranch_execz .LBB218_40
.LBB218_14:                             ; =>This Loop Header: Depth=1
                                        ;     Child Loop BB218_20 Depth 2
	v_mov_b32_e32 v74, v50
	v_mov_b32_e32 v75, v50
	;; [unrolled: 1-line block ×3, first 2 shown]
	s_and_not1_b32 vcc_lo, exec_lo, s1
	s_cbranch_vccnz .LBB218_25
; %bb.15:                               ;   in Loop: Header=BB218_14 Depth=1
	v_min_u32_e32 v0, s15, v48
	v_dual_mov_b32 v76, 0 :: v_dual_mov_b32 v71, v68
	v_dual_mov_b32 v75, 0 :: v_dual_mov_b32 v74, 0
	s_delay_alu instid0(VALU_DEP_3) | instskip(SKIP_2) | instid1(VALU_DEP_1)
	v_mul_lo_u32 v49, v0, s5
	s_mov_b32 s21, 0
	s_waitcnt lgkmcnt(0)
	v_lshlrev_b64 v[0:1], 1, v[49:50]
	s_delay_alu instid0(VALU_DEP_1) | instskip(NEXT) | instid1(VALU_DEP_2)
	v_add_co_u32 v72, vcc_lo, s12, v0
	v_add_co_ci_u32_e32 v73, vcc_lo, s13, v1, vcc_lo
	s_branch .LBB218_20
.LBB218_16:                             ;   in Loop: Header=BB218_20 Depth=2
	s_or_b32 exec_lo, exec_lo, s25
.LBB218_17:                             ;   in Loop: Header=BB218_20 Depth=2
	s_delay_alu instid0(SALU_CYCLE_1)
	s_or_b32 exec_lo, exec_lo, s24
.LBB218_18:                             ;   in Loop: Header=BB218_20 Depth=2
	s_delay_alu instid0(SALU_CYCLE_1)
	s_or_b32 exec_lo, exec_lo, s23
.LBB218_19:                             ;   in Loop: Header=BB218_20 Depth=2
	s_delay_alu instid0(SALU_CYCLE_1)
	s_or_b32 exec_lo, exec_lo, s22
	s_waitcnt lgkmcnt(1)
	v_and_b32_e32 v78, 0xffff0000, v45
	v_and_b32_e32 v80, 0xffff0000, v46
	v_lshlrev_b32_e32 v46, 16, v46
	s_waitcnt vmcnt(3)
	v_and_b32_e32 v79, 0xffff0000, v37
	v_and_b32_e32 v49, 0xffff0000, v44
	v_lshlrev_b32_e32 v45, 16, v45
	v_lshlrev_b32_e32 v37, 16, v37
	s_addk_i32 s21, 0x400
	v_dual_mul_f32 v78, v78, v79 :: v_dual_and_b32 v77, 0xffff0000, v36
	v_lshlrev_b32_e32 v36, 16, v36
	s_cmp_ge_u32 s21, s4
	s_delay_alu instid0(VALU_DEP_2) | instskip(NEXT) | instid1(VALU_DEP_3)
	v_dual_fmac_f32 v78, v45, v37 :: v_dual_add_nc_u32 v71, 0x800, v71
	v_dual_mul_f32 v49, v49, v77 :: v_dual_lshlrev_b32 v44, 16, v44
	v_and_b32_e32 v45, 0xffff0000, v40
	v_lshlrev_b32_e32 v40, 16, v40
	s_delay_alu instid0(VALU_DEP_3) | instskip(NEXT) | instid1(VALU_DEP_3)
	v_fmac_f32_e32 v49, v44, v36
	v_mul_f32_e32 v45, v45, v77
	s_delay_alu instid0(VALU_DEP_2) | instskip(NEXT) | instid1(VALU_DEP_2)
	v_dual_add_f32 v49, v76, v49 :: v_dual_and_b32 v44, 0xffff0000, v38
	v_dual_fmac_f32 v45, v40, v36 :: v_dual_lshlrev_b32 v40, 16, v41
	s_delay_alu instid0(VALU_DEP_2) | instskip(SKIP_3) | instid1(VALU_DEP_2)
	v_mul_f32_e32 v76, v80, v44
	v_and_b32_e32 v80, 0xffff0000, v39
	v_lshlrev_b32_e32 v38, 16, v38
	v_lshlrev_b32_e32 v39, 16, v39
	v_dual_add_f32 v45, v75, v45 :: v_dual_fmac_f32 v76, v46, v38
	v_add_f32_e32 v46, v49, v78
	v_and_b32_e32 v78, 0xffff0000, v41
	s_delay_alu instid0(VALU_DEP_2) | instskip(NEXT) | instid1(VALU_DEP_2)
	v_dual_add_f32 v46, v46, v76 :: v_dual_and_b32 v75, 0xffff0000, v65
	v_mul_f32_e32 v41, v78, v79
	s_delay_alu instid0(VALU_DEP_1) | instskip(NEXT) | instid1(VALU_DEP_1)
	v_dual_fmac_f32 v41, v40, v37 :: v_dual_and_b32 v78, 0xffff0000, v42
	v_dual_add_f32 v41, v45, v41 :: v_dual_lshlrev_b32 v40, 16, v42
	s_delay_alu instid0(VALU_DEP_4) | instskip(NEXT) | instid1(VALU_DEP_3)
	v_mul_f32_e32 v45, v75, v77
	v_dual_mul_f32 v42, v78, v44 :: v_dual_and_b32 v49, 0xffff0000, v47
	v_lshlrev_b32_e32 v47, 16, v47
	s_delay_alu instid0(VALU_DEP_2) | instskip(NEXT) | instid1(VALU_DEP_1)
	v_dual_mul_f32 v49, v49, v80 :: v_dual_fmac_f32 v42, v40, v38
	v_dual_fmac_f32 v49, v47, v39 :: v_dual_lshlrev_b32 v40, 16, v65
	s_delay_alu instid0(VALU_DEP_2) | instskip(NEXT) | instid1(VALU_DEP_2)
	v_dual_add_f32 v41, v41, v42 :: v_dual_and_b32 v42, 0xffff0000, v43
	v_fmac_f32_e32 v45, v40, v36
	v_and_b32_e32 v47, 0xffff0000, v66
	v_lshlrev_b32_e32 v36, 16, v66
	v_add_f32_e32 v46, v46, v49
	v_mul_f32_e32 v42, v42, v80
	s_delay_alu instid0(VALU_DEP_4) | instskip(NEXT) | instid1(VALU_DEP_1)
	v_dual_add_f32 v45, v74, v45 :: v_dual_mul_f32 v40, v47, v79
	v_dual_fmac_f32 v40, v36, v37 :: v_dual_lshlrev_b32 v43, 16, v43
	s_waitcnt lgkmcnt(0)
	v_and_b32_e32 v47, 0xffff0000, v63
	s_delay_alu instid0(VALU_DEP_2) | instskip(SKIP_2) | instid1(VALU_DEP_4)
	v_dual_fmac_f32 v42, v43, v39 :: v_dual_and_b32 v43, 0xffff0000, v32
	v_lshlrev_b32_e32 v32, 16, v32
	v_add_f32_e32 v40, v45, v40
	v_mul_f32_e32 v37, v47, v44
	s_delay_alu instid0(VALU_DEP_4) | instskip(SKIP_3) | instid1(VALU_DEP_1)
	v_add_f32_e32 v41, v41, v42
	s_waitcnt vmcnt(2)
	v_and_b32_e32 v45, 0xffff0000, v25
	v_lshlrev_b32_e32 v36, 16, v63
	v_dual_fmac_f32 v37, v36, v38 :: v_dual_and_b32 v44, 0xffff0000, v24
	v_and_b32_e32 v38, 0xffff0000, v64
	s_delay_alu instid0(VALU_DEP_2) | instskip(NEXT) | instid1(VALU_DEP_3)
	v_dual_mul_f32 v36, v43, v44 :: v_dual_and_b32 v43, 0xffff0000, v33
	v_add_f32_e32 v37, v40, v37
	s_delay_alu instid0(VALU_DEP_3) | instskip(SKIP_3) | instid1(VALU_DEP_3)
	v_dual_mul_f32 v38, v38, v80 :: v_dual_lshlrev_b32 v25, 16, v25
	v_lshlrev_b32_e32 v24, 16, v24
	v_and_b32_e32 v49, 0xffff0000, v26
	v_and_b32_e32 v40, 0xffff0000, v29
	v_fmac_f32_e32 v36, v32, v24
	v_lshlrev_b32_e32 v32, 16, v33
	v_mul_f32_e32 v33, v43, v45
	v_and_b32_e32 v43, 0xffff0000, v34
	v_lshlrev_b32_e32 v26, 16, v26
	v_add_f32_e32 v36, v46, v36
	v_lshlrev_b32_e32 v47, 16, v64
	v_dual_fmac_f32 v33, v32, v25 :: v_dual_lshlrev_b32 v32, 16, v34
	v_mul_f32_e32 v34, v43, v49
	s_delay_alu instid0(VALU_DEP_2) | instskip(SKIP_1) | instid1(VALU_DEP_3)
	v_dual_fmac_f32 v38, v47, v39 :: v_dual_add_f32 v33, v36, v33
	v_and_b32_e32 v36, 0xffff0000, v35
	v_dual_fmac_f32 v34, v32, v26 :: v_dual_lshlrev_b32 v35, 16, v35
	v_and_b32_e32 v32, 0xffff0000, v28
	v_and_b32_e32 v39, 0xffff0000, v27
	s_delay_alu instid0(VALU_DEP_3) | instskip(SKIP_1) | instid1(VALU_DEP_4)
	v_dual_add_f32 v33, v33, v34 :: v_dual_lshlrev_b32 v28, 16, v28
	v_add_f32_e32 v34, v37, v38
	v_dual_mul_f32 v32, v32, v44 :: v_dual_lshlrev_b32 v27, 16, v27
	s_delay_alu instid0(VALU_DEP_4) | instskip(NEXT) | instid1(VALU_DEP_2)
	v_mul_f32_e32 v36, v36, v39
	v_fmac_f32_e32 v32, v28, v24
	s_delay_alu instid0(VALU_DEP_2) | instskip(SKIP_1) | instid1(VALU_DEP_2)
	v_dual_fmac_f32 v36, v35, v27 :: v_dual_and_b32 v35, 0xffff0000, v30
	v_lshlrev_b32_e32 v30, 16, v30
	v_dual_add_f32 v32, v41, v32 :: v_dual_mul_f32 v35, v35, v49
	v_lshlrev_b32_e32 v28, 16, v29
	v_mul_f32_e32 v29, v40, v45
	s_delay_alu instid0(VALU_DEP_3) | instskip(NEXT) | instid1(VALU_DEP_2)
	v_fmac_f32_e32 v35, v30, v26
	v_dual_fmac_f32 v29, v28, v25 :: v_dual_add_f32 v28, v33, v36
	v_and_b32_e32 v33, 0xffff0000, v61
	s_delay_alu instid0(VALU_DEP_2) | instskip(NEXT) | instid1(VALU_DEP_2)
	v_add_f32_e32 v29, v32, v29
	v_dual_mul_f32 v33, v33, v44 :: v_dual_lshlrev_b32 v36, 16, v61
	s_delay_alu instid0(VALU_DEP_2) | instskip(NEXT) | instid1(VALU_DEP_2)
	v_dual_add_f32 v29, v29, v35 :: v_dual_and_b32 v30, 0xffff0000, v62
	v_dual_fmac_f32 v33, v36, v24 :: v_dual_lshlrev_b32 v24, 16, v62
	v_and_b32_e32 v35, 0xffff0000, v59
	v_and_b32_e32 v32, 0xffff0000, v31
	s_delay_alu instid0(VALU_DEP_4) | instskip(NEXT) | instid1(VALU_DEP_1)
	v_dual_mul_f32 v30, v30, v45 :: v_dual_lshlrev_b32 v31, 16, v31
	v_fmac_f32_e32 v30, v24, v25
	s_delay_alu instid0(VALU_DEP_3)
	v_dual_mul_f32 v25, v35, v49 :: v_dual_mul_f32 v32, v32, v39
	v_lshlrev_b32_e32 v24, 16, v59
	s_waitcnt vmcnt(1)
	v_and_b32_e32 v35, 0xffff0000, v14
	v_lshlrev_b32_e32 v14, 16, v14
	v_dual_fmac_f32 v32, v31, v27 :: v_dual_add_f32 v31, v34, v33
	v_and_b32_e32 v33, 0xffff0000, v12
	v_fmac_f32_e32 v25, v24, v26
	s_delay_alu instid0(VALU_DEP_3) | instskip(NEXT) | instid1(VALU_DEP_4)
	v_dual_add_f32 v30, v31, v30 :: v_dual_and_b32 v31, 0xffff0000, v21
	v_add_f32_e32 v29, v29, v32
	v_and_b32_e32 v32, 0xffff0000, v20
	s_delay_alu instid0(VALU_DEP_3) | instskip(NEXT) | instid1(VALU_DEP_2)
	v_dual_add_f32 v25, v30, v25 :: v_dual_lshlrev_b32 v20, 16, v20
	v_mul_f32_e32 v24, v32, v33
	v_and_b32_e32 v32, 0xffff0000, v13
	v_lshlrev_b32_e32 v13, 16, v13
	v_lshlrev_b32_e32 v12, 16, v12
	s_delay_alu instid0(VALU_DEP_1) | instskip(NEXT) | instid1(VALU_DEP_4)
	v_fmac_f32_e32 v24, v20, v12
	v_dual_mul_f32 v21, v31, v32 :: v_dual_lshlrev_b32 v20, 16, v21
	s_delay_alu instid0(VALU_DEP_2) | instskip(NEXT) | instid1(VALU_DEP_2)
	v_dual_add_f32 v24, v28, v24 :: v_dual_and_b32 v31, 0xffff0000, v22
	v_dual_fmac_f32 v21, v20, v13 :: v_dual_and_b32 v28, 0xffff0000, v16
	v_lshlrev_b32_e32 v20, 16, v22
	s_delay_alu instid0(VALU_DEP_3) | instskip(NEXT) | instid1(VALU_DEP_3)
	v_mul_f32_e32 v22, v31, v35
	v_dual_add_f32 v21, v24, v21 :: v_dual_lshlrev_b32 v16, 16, v16
	v_and_b32_e32 v24, 0xffff0000, v23
	s_delay_alu instid0(VALU_DEP_3) | instskip(SKIP_3) | instid1(VALU_DEP_4)
	v_fmac_f32_e32 v22, v20, v14
	v_mul_f32_e32 v20, v28, v33
	v_and_b32_e32 v28, 0xffff0000, v15
	v_lshlrev_b32_e32 v15, 16, v15
	v_dual_add_f32 v21, v21, v22 :: v_dual_and_b32 v26, 0xffff0000, v60
	s_delay_alu instid0(VALU_DEP_4) | instskip(NEXT) | instid1(VALU_DEP_4)
	v_dual_fmac_f32 v20, v16, v12 :: v_dual_lshlrev_b32 v23, 16, v23
	v_mul_f32_e32 v24, v24, v28
	s_delay_alu instid0(VALU_DEP_3) | instskip(SKIP_1) | instid1(VALU_DEP_4)
	v_mul_f32_e32 v26, v26, v39
	v_lshlrev_b32_e32 v16, 16, v17
	v_add_f32_e32 v20, v29, v20
	v_lshlrev_b32_e32 v34, 16, v60
	v_fmac_f32_e32 v24, v23, v15
	v_and_b32_e32 v22, 0xffff0000, v57
	s_delay_alu instid0(VALU_DEP_3) | instskip(SKIP_1) | instid1(VALU_DEP_4)
	v_dual_fmac_f32 v26, v34, v27 :: v_dual_and_b32 v23, 0xffff0000, v58
	v_and_b32_e32 v27, 0xffff0000, v17
	v_add_f32_e32 v21, v21, v24
	v_lshlrev_b32_e32 v24, 16, v56
	s_delay_alu instid0(VALU_DEP_3) | instskip(SKIP_1) | instid1(VALU_DEP_2)
	v_mul_f32_e32 v17, v27, v32
	v_and_b32_e32 v27, 0xffff0000, v18
	v_dual_fmac_f32 v17, v16, v13 :: v_dual_lshlrev_b32 v16, 16, v18
	s_delay_alu instid0(VALU_DEP_1) | instskip(SKIP_1) | instid1(VALU_DEP_2)
	v_dual_mul_f32 v18, v27, v35 :: v_dual_add_f32 v17, v20, v17
	v_mul_f32_e32 v20, v22, v33
	v_fmac_f32_e32 v18, v16, v14
	v_lshlrev_b32_e32 v16, 16, v57
	s_delay_alu instid0(VALU_DEP_1) | instskip(SKIP_2) | instid1(VALU_DEP_1)
	v_fmac_f32_e32 v20, v16, v12
	v_lshlrev_b32_e32 v12, 16, v58
	v_dual_mul_f32 v16, v23, v32 :: v_dual_and_b32 v23, 0xffff0000, v55
	v_dual_fmac_f32 v16, v12, v13 :: v_dual_mul_f32 v13, v23, v35
	s_waitcnt vmcnt(0)
	v_dual_add_f32 v22, v25, v26 :: v_dual_and_b32 v23, 0xffff0000, v0
	v_lshlrev_b32_e32 v12, 16, v55
	v_lshlrev_b32_e32 v0, 16, v0
	v_and_b32_e32 v25, 0xffff0000, v2
	v_lshlrev_b32_e32 v2, 16, v2
	v_add_f32_e32 v20, v22, v20
	v_dual_fmac_f32 v13, v12, v14 :: v_dual_and_b32 v22, 0xffff0000, v8
	v_lshlrev_b32_e32 v8, 16, v8
	v_and_b32_e32 v14, 0xffff0000, v56
	s_delay_alu instid0(VALU_DEP_4) | instskip(NEXT) | instid1(VALU_DEP_4)
	v_add_f32_e32 v16, v20, v16
	v_mul_f32_e32 v12, v22, v23
	v_and_b32_e32 v20, 0xffff0000, v9
	v_and_b32_e32 v22, 0xffff0000, v1
	v_lshlrev_b32_e32 v1, 16, v1
	v_add_f32_e32 v13, v16, v13
	v_fmac_f32_e32 v12, v8, v0
	s_delay_alu instid0(VALU_DEP_4) | instskip(SKIP_2) | instid1(VALU_DEP_4)
	v_dual_mul_f32 v9, v20, v22 :: v_dual_lshlrev_b32 v8, 16, v9
	v_and_b32_e32 v20, 0xffff0000, v10
	v_mul_f32_e32 v14, v14, v28
	v_add_f32_e32 v12, v21, v12
	s_delay_alu instid0(VALU_DEP_4) | instskip(SKIP_3) | instid1(VALU_DEP_4)
	v_dual_fmac_f32 v9, v8, v1 :: v_dual_and_b32 v16, 0xffff0000, v54
	v_lshlrev_b32_e32 v8, 16, v10
	v_mul_f32_e32 v10, v20, v25
	v_fmac_f32_e32 v14, v24, v15
	v_add_f32_e32 v9, v12, v9
	s_delay_alu instid0(VALU_DEP_3) | instskip(NEXT) | instid1(VALU_DEP_3)
	v_fmac_f32_e32 v10, v8, v2
	v_dual_add_f32 v13, v13, v14 :: v_dual_and_b32 v8, 0xffff0000, v4
	v_lshlrev_b32_e32 v4, 16, v4
	s_delay_alu instid0(VALU_DEP_3)
	v_dual_add_f32 v9, v9, v10 :: v_dual_and_b32 v14, 0xffff0000, v5
	v_and_b32_e32 v10, 0xffff0000, v11
	v_lshlrev_b32_e32 v11, 16, v11
	v_dual_add_f32 v17, v17, v18 :: v_dual_and_b32 v18, 0xffff0000, v19
	v_lshlrev_b32_e32 v19, 16, v19
	v_mul_f32_e32 v8, v8, v23
	s_delay_alu instid0(VALU_DEP_3) | instskip(NEXT) | instid1(VALU_DEP_2)
	v_mul_f32_e32 v18, v18, v28
	v_fmac_f32_e32 v8, v4, v0
	v_dual_mul_f32 v5, v14, v22 :: v_dual_lshlrev_b32 v4, 16, v5
	s_delay_alu instid0(VALU_DEP_3) | instskip(SKIP_3) | instid1(VALU_DEP_4)
	v_fmac_f32_e32 v18, v19, v15
	v_and_b32_e32 v14, 0xffff0000, v53
	v_and_b32_e32 v15, 0xffff0000, v3
	v_lshlrev_b32_e32 v3, 16, v3
	v_dual_fmac_f32 v5, v4, v1 :: v_dual_add_f32 v12, v17, v18
	v_and_b32_e32 v4, 0xffff0000, v6
	v_mul_f32_e32 v14, v14, v23
	v_lshlrev_b32_e32 v6, 16, v6
	v_mul_f32_e32 v10, v10, v15
	v_add_f32_e32 v8, v12, v8
	v_lshlrev_b32_e32 v12, 16, v53
	v_mul_f32_e32 v4, v4, v25
	s_delay_alu instid0(VALU_DEP_3) | instskip(NEXT) | instid1(VALU_DEP_3)
	v_dual_fmac_f32 v10, v11, v3 :: v_dual_add_f32 v5, v8, v5
	v_fmac_f32_e32 v14, v12, v0
	v_lshlrev_b32_e32 v0, 16, v54
	v_mul_f32_e32 v8, v16, v22
	v_fmac_f32_e32 v4, v6, v2
	v_and_b32_e32 v6, 0xffff0000, v51
	v_dual_add_f32 v13, v13, v14 :: v_dual_and_b32 v12, 0xffff0000, v7
	s_delay_alu instid0(VALU_DEP_4) | instskip(NEXT) | instid1(VALU_DEP_3)
	v_fmac_f32_e32 v8, v0, v1
	v_dual_mul_f32 v1, v6, v25 :: v_dual_lshlrev_b32 v0, 16, v51
	v_lshlrev_b32_e32 v6, 16, v7
	s_delay_alu instid0(VALU_DEP_4) | instskip(NEXT) | instid1(VALU_DEP_3)
	v_dual_mul_f32 v12, v12, v15 :: v_dual_and_b32 v7, 0xffff0000, v52
	v_dual_add_f32 v8, v13, v8 :: v_dual_fmac_f32 v1, v0, v2
	v_lshlrev_b32_e32 v0, 16, v52
	s_delay_alu instid0(VALU_DEP_3) | instskip(SKIP_1) | instid1(VALU_DEP_4)
	v_mul_f32_e32 v2, v7, v15
	v_add_f32_e32 v4, v5, v4
	v_dual_fmac_f32 v12, v6, v3 :: v_dual_add_f32 v1, v8, v1
	v_add_f32_e32 v76, v9, v10
	s_delay_alu instid0(VALU_DEP_4) | instskip(NEXT) | instid1(VALU_DEP_1)
	v_fmac_f32_e32 v2, v0, v3
	v_dual_add_f32 v75, v4, v12 :: v_dual_add_f32 v74, v1, v2
	s_cbranch_scc1 .LBB218_25
.LBB218_20:                             ;   Parent Loop BB218_14 Depth=1
                                        ; =>  This Inner Loop Header: Depth=2
	v_dual_mov_b32 v51, 0 :: v_dual_add_nc_u32 v8, s21, v67
	v_mov_b32_e32 v54, 0
	v_dual_mov_b32 v10, 0 :: v_dual_mov_b32 v55, 0
	s_delay_alu instid0(VALU_DEP_3) | instskip(SKIP_3) | instid1(VALU_DEP_4)
	v_min_u32_e32 v49, s14, v8
	v_dual_mov_b32 v53, 0 :: v_dual_add_nc_u32 v80, 0x100, v8
	v_add_nc_u32_e32 v78, 0x200, v8
	v_dual_mov_b32 v52, 0 :: v_dual_add_nc_u32 v77, 0x300, v8
	v_lshlrev_b64 v[0:1], 1, v[49:50]
	s_delay_alu instid0(VALU_DEP_4) | instskip(SKIP_2) | instid1(VALU_DEP_3)
	v_min_u32_e32 v49, s14, v80
	v_dual_mov_b32 v56, 0 :: v_dual_mov_b32 v19, 0
	v_dual_mov_b32 v58, 0 :: v_dual_mov_b32 v17, 0
	v_lshlrev_b64 v[2:3], 1, v[49:50]
	v_min_u32_e32 v49, s14, v78
	v_add_co_u32 v0, vcc_lo, v72, v0
	v_add_co_ci_u32_e32 v1, vcc_lo, v73, v1, vcc_lo
	s_delay_alu instid0(VALU_DEP_3) | instskip(SKIP_3) | instid1(VALU_DEP_3)
	v_lshlrev_b64 v[4:5], 1, v[49:50]
	v_min_u32_e32 v49, s14, v77
	v_add_co_u32 v2, vcc_lo, v72, v2
	v_add_co_ci_u32_e32 v3, vcc_lo, v73, v3, vcc_lo
	v_lshlrev_b64 v[6:7], 1, v[49:50]
	v_add_co_u32 v4, vcc_lo, v72, v4
	v_add_co_ci_u32_e32 v5, vcc_lo, v73, v5, vcc_lo
	v_mov_b32_e32 v57, 0
	s_delay_alu instid0(VALU_DEP_4)
	v_add_co_u32 v6, vcc_lo, v72, v6
	v_add_co_ci_u32_e32 v7, vcc_lo, v73, v7, vcc_lo
	s_clause 0x3
	global_load_b128 v[36:39], v[0:1], off slc dlc
	global_load_b128 v[24:27], v[2:3], off slc dlc
	;; [unrolled: 1-line block ×4, first 2 shown]
	v_cmp_gt_u32_e32 vcc_lo, s4, v8
	v_dual_mov_b32 v7, 0 :: v_dual_mov_b32 v6, 0
	v_mov_b32_e32 v11, 0
	v_dual_mov_b32 v5, 0 :: v_dual_mov_b32 v4, 0
	v_dual_mov_b32 v9, 0 :: v_dual_mov_b32 v8, 0
	;; [unrolled: 1-line block ×16, first 2 shown]
	v_mov_b32_e32 v46, 0
	v_mov_b32_e32 v44, 0
	s_and_saveexec_b32 s22, vcc_lo
	s_cbranch_execz .LBB218_19
; %bb.21:                               ;   in Loop: Header=BB218_20 Depth=2
	v_dual_mov_b32 v32, 0 :: v_dual_add_nc_u32 v49, s6, v71
	v_dual_mov_b32 v34, 0 :: v_dual_add_nc_u32 v79, s19, v71
	v_cmp_gt_u32_e32 vcc_lo, s4, v80
	ds_load_b128 v[40:43], v49
	ds_load_2addr_b32 v[65:66], v79 offset1:1
	ds_load_b128 v[44:47], v71
	ds_load_2addr_b32 v[63:64], v79 offset0:2 offset1:3
	v_dual_mov_b32 v33, 0 :: v_dual_mov_b32 v28, 0
	v_dual_mov_b32 v35, 0 :: v_dual_mov_b32 v30, 0
	;; [unrolled: 1-line block ×16, first 2 shown]
	v_mov_b32_e32 v53, 0
	v_mov_b32_e32 v51, 0
	s_and_saveexec_b32 s23, vcc_lo
	s_cbranch_execz .LBB218_18
; %bb.22:                               ;   in Loop: Header=BB218_20 Depth=2
	ds_load_b128 v[28:31], v49 offset:512
	ds_load_2addr_b32 v[61:62], v79 offset0:128 offset1:129
	ds_load_b128 v[32:35], v71 offset:512
	ds_load_2addr_b32 v[59:60], v79 offset0:130 offset1:131
	v_cmp_gt_u32_e32 vcc_lo, s4, v78
	v_dual_mov_b32 v20, 0 :: v_dual_mov_b32 v21, 0
	v_dual_mov_b32 v22, 0 :: v_dual_mov_b32 v23, 0
	;; [unrolled: 1-line block ×12, first 2 shown]
	s_and_saveexec_b32 s24, vcc_lo
	s_cbranch_execz .LBB218_17
; %bb.23:                               ;   in Loop: Header=BB218_20 Depth=2
	v_dual_mov_b32 v9, 0 :: v_dual_add_nc_u32 v4, 0x400, v79
	v_dual_mov_b32 v8, 0 :: v_dual_add_nc_u32 v5, 0x408, v79
	ds_load_b128 v[16:19], v49 offset:1024
	ds_load_2addr_b32 v[57:58], v4 offset1:1
	ds_load_b128 v[20:23], v71 offset:1024
	ds_load_2addr_b32 v[55:56], v5 offset1:1
	v_dual_mov_b32 v10, 0 :: v_dual_mov_b32 v11, 0
	v_dual_mov_b32 v4, 0 :: v_dual_mov_b32 v5, 0
	;; [unrolled: 1-line block ×5, first 2 shown]
	s_mov_b32 s25, exec_lo
	v_cmpx_gt_u32_e64 s4, v77
	s_cbranch_execz .LBB218_16
; %bb.24:                               ;   in Loop: Header=BB218_20 Depth=2
	v_add_nc_u32_e32 v8, 0x600, v79
	v_add_nc_u32_e32 v51, 0x608, v79
	ds_load_b128 v[4:7], v49 offset:1536
	ds_load_2addr_b32 v[53:54], v8 offset1:1
	ds_load_b128 v[8:11], v71 offset:1536
	ds_load_2addr_b32 v[51:52], v51 offset1:1
	s_branch .LBB218_16
.LBB218_25:                             ;   in Loop: Header=BB218_14 Depth=1
	; sched_barrier mask(0x00000000)
	s_delay_alu instid0(VALU_DEP_1) | instskip(SKIP_1) | instid1(VALU_DEP_2)
	v_cvt_i32_f32_e32 v0, v76
	s_waitcnt lgkmcnt(0)
	v_cvt_i32_f32_e32 v1, v75
	v_cvt_i32_f32_e32 v2, v74
	s_delay_alu instid0(VALU_DEP_3) | instskip(NEXT) | instid1(VALU_DEP_3)
	v_cvt_f32_i32_dpp v0, v0 row_shr:8 row_mask:0xf bank_mask:0xf bound_ctrl:1
	v_cvt_f32_i32_dpp v1, v1 row_shr:8 row_mask:0xf bank_mask:0xf bound_ctrl:1
	s_delay_alu instid0(VALU_DEP_3) | instskip(NEXT) | instid1(VALU_DEP_2)
	v_cvt_f32_i32_dpp v2, v2 row_shr:8 row_mask:0xf bank_mask:0xf bound_ctrl:1
	v_dual_add_f32 v0, v76, v0 :: v_dual_add_f32 v1, v75, v1
	s_delay_alu instid0(VALU_DEP_1) | instskip(NEXT) | instid1(VALU_DEP_2)
	v_cvt_i32_f32_e32 v3, v0
	v_cvt_i32_f32_e32 v4, v1
	s_delay_alu instid0(VALU_DEP_2) | instskip(NEXT) | instid1(VALU_DEP_2)
	v_cvt_f32_i32_dpp v3, v3 row_shr:4 row_mask:0xf bank_mask:0xf bound_ctrl:1
	v_cvt_f32_i32_dpp v4, v4 row_shr:4 row_mask:0xf bank_mask:0xf bound_ctrl:1
	s_delay_alu instid0(VALU_DEP_1) | instskip(NEXT) | instid1(VALU_DEP_1)
	v_dual_add_f32 v2, v74, v2 :: v_dual_add_f32 v1, v1, v4
	v_cvt_i32_f32_e32 v5, v2
	s_delay_alu instid0(VALU_DEP_2) | instskip(NEXT) | instid1(VALU_DEP_2)
	v_cvt_i32_f32_e32 v4, v1
	v_cvt_f32_i32_dpp v5, v5 row_shr:4 row_mask:0xf bank_mask:0xf bound_ctrl:1
	s_delay_alu instid0(VALU_DEP_2) | instskip(SKIP_1) | instid1(VALU_DEP_2)
	v_cvt_f32_i32_dpp v4, v4 row_shr:2 row_mask:0xf bank_mask:0xf bound_ctrl:1
	v_add_f32_e32 v0, v0, v3
	v_dual_add_f32 v2, v2, v5 :: v_dual_add_f32 v1, v1, v4
	s_delay_alu instid0(VALU_DEP_2) | instskip(NEXT) | instid1(VALU_DEP_2)
	v_cvt_i32_f32_e32 v3, v0
	v_cvt_i32_f32_e32 v5, v2
	s_delay_alu instid0(VALU_DEP_3) | instskip(NEXT) | instid1(VALU_DEP_3)
	v_cvt_i32_f32_e32 v4, v1
	v_cvt_f32_i32_dpp v3, v3 row_shr:2 row_mask:0xf bank_mask:0xf bound_ctrl:1
	s_delay_alu instid0(VALU_DEP_3) | instskip(NEXT) | instid1(VALU_DEP_3)
	v_cvt_f32_i32_dpp v5, v5 row_shr:2 row_mask:0xf bank_mask:0xf bound_ctrl:1
	v_cvt_f32_i32_dpp v4, v4 row_shr:1 row_mask:0xf bank_mask:0xf bound_ctrl:1
	s_delay_alu instid0(VALU_DEP_2) | instskip(NEXT) | instid1(VALU_DEP_1)
	v_dual_add_f32 v0, v0, v3 :: v_dual_add_f32 v3, v2, v5
	v_cvt_i32_f32_e32 v2, v0
	s_delay_alu instid0(VALU_DEP_2) | instskip(NEXT) | instid1(VALU_DEP_2)
	v_cvt_i32_f32_e32 v5, v3
	v_cvt_f32_i32_dpp v2, v2 row_shr:1 row_mask:0xf bank_mask:0xf bound_ctrl:1
	s_delay_alu instid0(VALU_DEP_2) | instskip(NEXT) | instid1(VALU_DEP_2)
	v_cvt_f32_i32_dpp v6, v5 row_shr:1 row_mask:0xf bank_mask:0xf bound_ctrl:1
	v_dual_add_f32 v5, v0, v2 :: v_dual_add_f32 v2, v1, v4
	s_delay_alu instid0(VALU_DEP_2)
	v_add_f32_e32 v0, v3, v6
	ds_bpermute_b32 v6, v69, v5
	ds_bpermute_b32 v3, v69, v2
	;; [unrolled: 1-line block ×3, first 2 shown]
	s_and_saveexec_b32 s21, s0
	s_cbranch_execz .LBB218_13
; %bb.26:                               ;   in Loop: Header=BB218_14 Depth=1
	v_dual_mov_b32 v8, 0 :: v_dual_mov_b32 v7, 0
	v_mov_b32_e32 v4, 0
	s_and_not1_b32 vcc_lo, exec_lo, s18
	s_cbranch_vccnz .LBB218_28
; %bb.27:                               ;   in Loop: Header=BB218_14 Depth=1
	v_mul_hi_u32 v4, v48, v70
	v_mov_b32_e32 v8, v50
	s_delay_alu instid0(VALU_DEP_2) | instskip(NEXT) | instid1(VALU_DEP_1)
	v_mul_lo_u32 v4, v4, s2
	v_sub_nc_u32_e32 v4, v48, v4
	s_delay_alu instid0(VALU_DEP_1) | instskip(SKIP_1) | instid1(VALU_DEP_2)
	v_subrev_nc_u32_e32 v7, s2, v4
	v_cmp_le_u32_e32 vcc_lo, s2, v4
	v_cndmask_b32_e32 v4, v4, v7, vcc_lo
	s_delay_alu instid0(VALU_DEP_1) | instskip(SKIP_1) | instid1(VALU_DEP_2)
	v_subrev_nc_u32_e32 v7, s2, v4
	v_cmp_le_u32_e32 vcc_lo, s2, v4
	v_cndmask_b32_e32 v49, v4, v7, vcc_lo
	s_delay_alu instid0(VALU_DEP_1) | instskip(SKIP_2) | instid1(VALU_DEP_3)
	v_add_nc_u32_e32 v7, s17, v49
	v_lshlrev_b64 v[9:10], 1, v[49:50]
	v_add_nc_u32_e32 v49, s20, v49
	v_lshlrev_b64 v[7:8], 1, v[7:8]
	s_delay_alu instid0(VALU_DEP_2) | instskip(NEXT) | instid1(VALU_DEP_4)
	v_lshlrev_b64 v[11:12], 1, v[49:50]
	v_add_co_u32 v9, vcc_lo, s8, v9
	v_add_co_ci_u32_e32 v10, vcc_lo, s9, v10, vcc_lo
	s_delay_alu instid0(VALU_DEP_4)
	v_add_co_u32 v13, vcc_lo, s8, v7
	v_add_co_ci_u32_e32 v14, vcc_lo, s9, v8, vcc_lo
	v_add_co_u32 v11, vcc_lo, s8, v11
	v_add_co_ci_u32_e32 v12, vcc_lo, s9, v12, vcc_lo
	s_clause 0x2
	global_load_u16 v8, v[9:10], off
	global_load_u16 v7, v[13:14], off
	;; [unrolled: 1-line block ×3, first 2 shown]
.LBB218_28:                             ;   in Loop: Header=BB218_14 Depth=1
	s_waitcnt vmcnt(2) lgkmcnt(2)
	v_dual_add_f32 v5, v5, v6 :: v_dual_lshlrev_b32 v6, 16, v8
	s_delay_alu instid0(VALU_DEP_1) | instskip(NEXT) | instid1(VALU_DEP_1)
	v_add_f32_e32 v6, v5, v6
	v_and_b32_e32 v5, 0x7f800000, v6
	s_delay_alu instid0(VALU_DEP_1) | instskip(SKIP_1) | instid1(SALU_CYCLE_1)
	v_cmp_ne_u32_e32 vcc_lo, 0x7f800000, v5
                                        ; implicit-def: $vgpr5
	s_and_saveexec_b32 s22, vcc_lo
	s_xor_b32 s22, exec_lo, s22
; %bb.29:                               ;   in Loop: Header=BB218_14 Depth=1
	v_bfe_u32 v5, v6, 16, 1
	s_delay_alu instid0(VALU_DEP_1)
	v_add3_u32 v5, v6, v5, 0x7fff
                                        ; implicit-def: $vgpr6
; %bb.30:                               ;   in Loop: Header=BB218_14 Depth=1
	s_and_not1_saveexec_b32 s22, s22
; %bb.31:                               ;   in Loop: Header=BB218_14 Depth=1
	v_and_b32_e32 v5, 0xffff, v6
	v_or_b32_e32 v8, 0x10000, v6
	s_delay_alu instid0(VALU_DEP_2) | instskip(NEXT) | instid1(VALU_DEP_2)
	v_cmp_eq_u32_e32 vcc_lo, 0, v5
	v_cndmask_b32_e32 v5, v8, v6, vcc_lo
; %bb.32:                               ;   in Loop: Header=BB218_14 Depth=1
	s_or_b32 exec_lo, exec_lo, s22
	s_waitcnt lgkmcnt(1)
	v_add_f32_e32 v2, v2, v3
	s_waitcnt vmcnt(1)
	v_lshlrev_b32_e32 v3, 16, v7
	s_delay_alu instid0(VALU_DEP_1) | instskip(NEXT) | instid1(VALU_DEP_1)
	v_add_f32_e32 v3, v2, v3
	v_dual_mov_b32 v49, v50 :: v_dual_and_b32 v2, 0x7f800000, v3
	s_delay_alu instid0(VALU_DEP_1) | instskip(NEXT) | instid1(VALU_DEP_1)
	v_lshlrev_b64 v[6:7], 1, v[48:49]
	v_add_co_u32 v6, vcc_lo, s10, v6
	s_delay_alu instid0(VALU_DEP_2) | instskip(NEXT) | instid1(VALU_DEP_4)
	v_add_co_ci_u32_e32 v7, vcc_lo, s11, v7, vcc_lo
	v_cmp_ne_u32_e32 vcc_lo, 0x7f800000, v2
                                        ; implicit-def: $vgpr2
	global_store_d16_hi_b16 v[6:7], v5, off
	s_and_saveexec_b32 s22, vcc_lo
	s_delay_alu instid0(SALU_CYCLE_1)
	s_xor_b32 s22, exec_lo, s22
; %bb.33:                               ;   in Loop: Header=BB218_14 Depth=1
	v_bfe_u32 v2, v3, 16, 1
	s_delay_alu instid0(VALU_DEP_1)
	v_add3_u32 v2, v3, v2, 0x7fff
                                        ; implicit-def: $vgpr3
; %bb.34:                               ;   in Loop: Header=BB218_14 Depth=1
	s_and_not1_saveexec_b32 s22, s22
; %bb.35:                               ;   in Loop: Header=BB218_14 Depth=1
	v_and_b32_e32 v2, 0xffff, v3
	v_or_b32_e32 v5, 0x10000, v3
	s_delay_alu instid0(VALU_DEP_2) | instskip(NEXT) | instid1(VALU_DEP_2)
	v_cmp_eq_u32_e32 vcc_lo, 0, v2
	v_cndmask_b32_e32 v2, v5, v3, vcc_lo
; %bb.36:                               ;   in Loop: Header=BB218_14 Depth=1
	s_or_b32 exec_lo, exec_lo, s22
	s_waitcnt vmcnt(0) lgkmcnt(0)
	v_dual_add_f32 v0, v0, v1 :: v_dual_lshlrev_b32 v1, 16, v4
	v_add_nc_u32_e32 v49, s7, v48
	s_delay_alu instid0(VALU_DEP_2) | instskip(NEXT) | instid1(VALU_DEP_2)
	v_add_f32_e32 v1, v0, v1
	v_lshlrev_b64 v[3:4], 1, v[49:50]
	s_delay_alu instid0(VALU_DEP_2) | instskip(NEXT) | instid1(VALU_DEP_2)
	v_and_b32_e32 v0, 0x7f800000, v1
	v_add_co_u32 v3, vcc_lo, s10, v3
	s_delay_alu instid0(VALU_DEP_3) | instskip(NEXT) | instid1(VALU_DEP_3)
	v_add_co_ci_u32_e32 v4, vcc_lo, s11, v4, vcc_lo
	v_cmp_ne_u32_e32 vcc_lo, 0x7f800000, v0
                                        ; implicit-def: $vgpr0
	global_store_d16_hi_b16 v[3:4], v2, off
	s_and_saveexec_b32 s22, vcc_lo
	s_delay_alu instid0(SALU_CYCLE_1)
	s_xor_b32 s22, exec_lo, s22
; %bb.37:                               ;   in Loop: Header=BB218_14 Depth=1
	v_bfe_u32 v0, v1, 16, 1
	s_delay_alu instid0(VALU_DEP_1)
	v_add3_u32 v0, v1, v0, 0x7fff
                                        ; implicit-def: $vgpr1
; %bb.38:                               ;   in Loop: Header=BB218_14 Depth=1
	s_and_not1_saveexec_b32 s22, s22
	s_cbranch_execz .LBB218_12
; %bb.39:                               ;   in Loop: Header=BB218_14 Depth=1
	v_and_b32_e32 v0, 0xffff, v1
	v_or_b32_e32 v2, 0x10000, v1
	s_delay_alu instid0(VALU_DEP_2) | instskip(NEXT) | instid1(VALU_DEP_2)
	v_cmp_eq_u32_e32 vcc_lo, 0, v0
	v_cndmask_b32_e32 v0, v2, v1, vcc_lo
	s_branch .LBB218_12
.LBB218_40:
	s_nop 0
	s_sendmsg sendmsg(MSG_DEALLOC_VGPRS)
	s_endpgm
	.section	.rodata,"a",@progbits
	.p2align	6, 0x0
	.amdhsa_kernel _Z16wvSplitK_hf_sml_I14__hip_bfloat16Li32ELi1ELi16ELi8ELi4ELi3EEviiiiiiPKT_S3_S3_PS1_ii
		.amdhsa_group_segment_fixed_size 65536
		.amdhsa_private_segment_fixed_size 0
		.amdhsa_kernarg_size 64
		.amdhsa_user_sgpr_count 15
		.amdhsa_user_sgpr_dispatch_ptr 0
		.amdhsa_user_sgpr_queue_ptr 0
		.amdhsa_user_sgpr_kernarg_segment_ptr 1
		.amdhsa_user_sgpr_dispatch_id 0
		.amdhsa_user_sgpr_private_segment_size 0
		.amdhsa_wavefront_size32 1
		.amdhsa_uses_dynamic_stack 0
		.amdhsa_enable_private_segment 0
		.amdhsa_system_sgpr_workgroup_id_x 1
		.amdhsa_system_sgpr_workgroup_id_y 0
		.amdhsa_system_sgpr_workgroup_id_z 0
		.amdhsa_system_sgpr_workgroup_info 0
		.amdhsa_system_vgpr_workitem_id 1
		.amdhsa_next_free_vgpr 81
		.amdhsa_next_free_sgpr 26
		.amdhsa_reserve_vcc 1
		.amdhsa_float_round_mode_32 0
		.amdhsa_float_round_mode_16_64 0
		.amdhsa_float_denorm_mode_32 3
		.amdhsa_float_denorm_mode_16_64 3
		.amdhsa_dx10_clamp 1
		.amdhsa_ieee_mode 1
		.amdhsa_fp16_overflow 0
		.amdhsa_workgroup_processor_mode 1
		.amdhsa_memory_ordered 1
		.amdhsa_forward_progress 0
		.amdhsa_shared_vgpr_count 0
		.amdhsa_exception_fp_ieee_invalid_op 0
		.amdhsa_exception_fp_denorm_src 0
		.amdhsa_exception_fp_ieee_div_zero 0
		.amdhsa_exception_fp_ieee_overflow 0
		.amdhsa_exception_fp_ieee_underflow 0
		.amdhsa_exception_fp_ieee_inexact 0
		.amdhsa_exception_int_div_zero 0
	.end_amdhsa_kernel
	.section	.text._Z16wvSplitK_hf_sml_I14__hip_bfloat16Li32ELi1ELi16ELi8ELi4ELi3EEviiiiiiPKT_S3_S3_PS1_ii,"axG",@progbits,_Z16wvSplitK_hf_sml_I14__hip_bfloat16Li32ELi1ELi16ELi8ELi4ELi3EEviiiiiiPKT_S3_S3_PS1_ii,comdat
.Lfunc_end218:
	.size	_Z16wvSplitK_hf_sml_I14__hip_bfloat16Li32ELi1ELi16ELi8ELi4ELi3EEviiiiiiPKT_S3_S3_PS1_ii, .Lfunc_end218-_Z16wvSplitK_hf_sml_I14__hip_bfloat16Li32ELi1ELi16ELi8ELi4ELi3EEviiiiiiPKT_S3_S3_PS1_ii
                                        ; -- End function
	.section	.AMDGPU.csdata,"",@progbits
; Kernel info:
; codeLenInByte = 4504
; NumSgprs: 28
; NumVgprs: 81
; ScratchSize: 0
; MemoryBound: 0
; FloatMode: 240
; IeeeMode: 1
; LDSByteSize: 65536 bytes/workgroup (compile time only)
; SGPRBlocks: 3
; VGPRBlocks: 10
; NumSGPRsForWavesPerEU: 28
; NumVGPRsForWavesPerEU: 81
; Occupancy: 8
; WaveLimiterHint : 0
; COMPUTE_PGM_RSRC2:SCRATCH_EN: 0
; COMPUTE_PGM_RSRC2:USER_SGPR: 15
; COMPUTE_PGM_RSRC2:TRAP_HANDLER: 0
; COMPUTE_PGM_RSRC2:TGID_X_EN: 1
; COMPUTE_PGM_RSRC2:TGID_Y_EN: 0
; COMPUTE_PGM_RSRC2:TGID_Z_EN: 0
; COMPUTE_PGM_RSRC2:TIDIG_COMP_CNT: 1
	.section	.text._Z12wvSplitK_hf_I14__hip_bfloat16Li32ELi1ELi16ELi8ELi4ELi3EEviiiiiiPKT_S3_S3_PS1_ii,"axG",@progbits,_Z12wvSplitK_hf_I14__hip_bfloat16Li32ELi1ELi16ELi8ELi4ELi3EEviiiiiiPKT_S3_S3_PS1_ii,comdat
	.protected	_Z12wvSplitK_hf_I14__hip_bfloat16Li32ELi1ELi16ELi8ELi4ELi3EEviiiiiiPKT_S3_S3_PS1_ii ; -- Begin function _Z12wvSplitK_hf_I14__hip_bfloat16Li32ELi1ELi16ELi8ELi4ELi3EEviiiiiiPKT_S3_S3_PS1_ii
	.globl	_Z12wvSplitK_hf_I14__hip_bfloat16Li32ELi1ELi16ELi8ELi4ELi3EEviiiiiiPKT_S3_S3_PS1_ii
	.p2align	8
	.type	_Z12wvSplitK_hf_I14__hip_bfloat16Li32ELi1ELi16ELi8ELi4ELi3EEviiiiiiPKT_S3_S3_PS1_ii,@function
_Z12wvSplitK_hf_I14__hip_bfloat16Li32ELi1ELi16ELi8ELi4ELi3EEviiiiiiPKT_S3_S3_PS1_ii: ; @_Z12wvSplitK_hf_I14__hip_bfloat16Li32ELi1ELi16ELi8ELi4ELi3EEviiiiiiPKT_S3_S3_PS1_ii
; %bb.0:
	s_clause 0x1
	s_load_b64 s[18:19], s[0:1], 0x38
	s_load_b128 s[4:7], s[0:1], 0x0
	v_bfe_u32 v1, v0, 10, 10
	s_clause 0x1
	s_load_b64 s[12:13], s[0:1], 0x20
	s_load_b64 s[16:17], s[0:1], 0x10
	v_mov_b32_e32 v74, 1
	s_waitcnt lgkmcnt(0)
	v_mad_u64_u32 v[64:65], null, s15, s18, v[1:2]
	s_delay_alu instid0(VALU_DEP_1) | instskip(SKIP_1) | instid1(VALU_DEP_2)
	v_add_nc_u32_e32 v2, 1, v64
	v_cmp_gt_u32_e32 vcc_lo, s7, v64
	v_cmp_le_u32_e64 s2, s7, v2
	s_delay_alu instid0(VALU_DEP_1) | instskip(NEXT) | instid1(SALU_CYCLE_1)
	s_and_b32 s3, vcc_lo, s2
	s_and_saveexec_b32 s2, s3
; %bb.1:
	v_subrev_nc_u32_e32 v2, s7, v64
	s_add_i32 s3, s7, -1
	s_delay_alu instid0(SALU_CYCLE_1) | instskip(NEXT) | instid1(VALU_DEP_2)
	v_mov_b32_e32 v64, s3
	v_cmp_eq_u32_e32 vcc_lo, -1, v2
	v_cndmask_b32_e64 v74, 0, 1, vcc_lo
; %bb.2:
	s_or_b32 exec_lo, exec_lo, s2
	v_and_b32_e32 v0, 0x3ff, v0
	s_mul_i32 s2, s6, 3
	s_delay_alu instid0(SALU_CYCLE_1) | instskip(SKIP_1) | instid1(VALU_DEP_1)
	s_min_u32 s3, s2, 0x8000
	s_mov_b32 s2, exec_lo
	v_lshlrev_b32_e32 v75, 3, v0
	s_delay_alu instid0(VALU_DEP_1) | instskip(NEXT) | instid1(VALU_DEP_1)
	v_lshl_add_u32 v3, v1, 8, v75
	v_cmpx_gt_u32_e64 s3, v3
	s_cbranch_execz .LBB219_11
; %bb.3:
	v_lshlrev_b32_e32 v2, 1, v3
	v_add_nc_u32_e32 v8, 0x1000, v3
	s_mov_b32 s8, exec_lo
	global_load_b128 v[4:7], v2, s[12:13]
	s_waitcnt vmcnt(0)
	ds_store_b128 v2, v[4:7]
	v_cmpx_gt_u32_e64 s3, v8
	s_xor_b32 s8, exec_lo, s8
	s_cbranch_execz .LBB219_11
; %bb.4:
	v_add_co_u32 v4, s8, s12, v2
	s_delay_alu instid0(VALU_DEP_1) | instskip(SKIP_1) | instid1(VALU_DEP_3)
	v_add_co_ci_u32_e64 v5, null, s13, 0, s8
	v_add_nc_u32_e32 v10, 0x2000, v3
	v_add_co_u32 v6, vcc_lo, 0x2000, v4
	s_delay_alu instid0(VALU_DEP_3)
	v_add_co_ci_u32_e32 v7, vcc_lo, 0, v5, vcc_lo
	s_mov_b32 s8, exec_lo
	global_load_b128 v[6:9], v[6:7], off
	s_waitcnt vmcnt(0)
	ds_store_b128 v2, v[6:9] offset:8192
	v_cmpx_gt_u32_e64 s3, v10
	s_xor_b32 s8, exec_lo, s8
	s_cbranch_execz .LBB219_11
; %bb.5:
	v_add_co_u32 v6, vcc_lo, 0x4000, v4
	v_add_co_ci_u32_e32 v7, vcc_lo, 0, v5, vcc_lo
	v_add_nc_u32_e32 v10, 0x3000, v3
	s_mov_b32 s8, exec_lo
	global_load_b128 v[6:9], v[6:7], off
	s_waitcnt vmcnt(0)
	ds_store_b128 v2, v[6:9] offset:16384
	v_cmpx_gt_u32_e64 s3, v10
	s_xor_b32 s8, exec_lo, s8
	s_cbranch_execz .LBB219_11
; %bb.6:
	v_add_co_u32 v6, vcc_lo, 0x6000, v4
	v_add_co_ci_u32_e32 v7, vcc_lo, 0, v5, vcc_lo
	v_add_nc_u32_e32 v10, 0x4000, v3
	;; [unrolled: 11-line block ×5, first 2 shown]
	global_load_b128 v[6:9], v[6:7], off
	v_cmp_gt_u32_e32 vcc_lo, s3, v3
	s_waitcnt vmcnt(0)
	ds_store_b128 v2, v[6:9] offset:49152
	s_and_saveexec_b32 s3, vcc_lo
	s_delay_alu instid0(SALU_CYCLE_1)
	s_xor_b32 s3, exec_lo, s3
	s_cbranch_execz .LBB219_11
; %bb.10:
	v_add_co_u32 v3, vcc_lo, 0xe000, v4
	v_add_co_ci_u32_e32 v4, vcc_lo, 0, v5, vcc_lo
	global_load_b128 v[3:6], v[3:4], off
	s_waitcnt vmcnt(0)
	ds_store_b128 v2, v[3:6] offset:57344
.LBB219_11:
	s_or_b32 exec_lo, exec_lo, s2
	v_cmp_gt_u32_e32 vcc_lo, s18, v1
	v_cmp_gt_u32_e64 s2, s7, v64
	s_waitcnt lgkmcnt(0)
	s_barrier
	buffer_gl0_inv
	s_and_b32 s2, vcc_lo, s2
	s_delay_alu instid0(SALU_CYCLE_1)
	s_and_saveexec_b32 s3, s2
	s_cbranch_execz .LBB219_90
; %bb.12:
	s_clause 0x1
	s_load_b128 s[8:11], s[0:1], 0x28
	s_load_b64 s[14:15], s[0:1], 0x18
	s_cmp_lg_u32 s4, 0
	v_cvt_f32_u32_e32 v2, s16
	s_cselect_b32 s3, -1, 0
	s_add_i32 s20, s4, -8
	s_add_i32 s21, s7, -1
	v_mbcnt_lo_u32_b32 v3, -1, 0
	v_rcp_iflag_f32_e32 v2, v2
	v_cmp_eq_u32_e64 s0, 31, v0
	v_add_nc_u32_e32 v77, s6, v75
	s_mul_i32 s18, s19, s18
	v_mov_b32_e32 v66, 0
	s_waitcnt lgkmcnt(0)
	s_cmp_lg_u64 s[8:9], 0
	s_cselect_b32 s22, -1, 0
	s_abs_i32 s1, s17
	s_sub_i32 s23, s18, s7
	v_cvt_f32_u32_e32 v1, s1
	s_sub_i32 s24, 0, s1
	s_lshl_b32 s19, s6, 1
	s_sub_i32 s25, 0, s16
	s_add_i32 s23, s23, 2
	v_rcp_iflag_f32_e32 v1, v1
	s_sub_i32 s26, 1, s1
	v_add_nc_u32_e32 v79, s19, v75
	s_mov_b32 s17, 0
	s_waitcnt_depctr 0xfff
	v_mul_f32_e32 v1, 0x4f7ffffe, v1
	s_delay_alu instid0(VALU_DEP_1) | instskip(NEXT) | instid1(VALU_DEP_1)
	v_cvt_u32_f32_e32 v1, v1
	v_readfirstlane_b32 s2, v1
	v_xor_b32_e32 v1, 16, v3
	s_delay_alu instid0(VALU_DEP_2) | instskip(NEXT) | instid1(VALU_DEP_1)
	s_mul_i32 s24, s24, s2
	v_cmp_gt_i32_e32 vcc_lo, 32, v1
	v_lshlrev_b32_e32 v76, 4, v0
	v_mul_f32_e32 v0, 0x4f7ffffe, v2
	s_mul_hi_u32 s24, s2, s24
	v_cndmask_b32_e32 v1, v3, v1, vcc_lo
	s_add_i32 s2, s2, s24
	s_delay_alu instid0(VALU_DEP_2)
	v_cvt_u32_f32_e32 v0, v0
	s_cmp_lt_u32 s1, 2
	s_cselect_b32 s24, s26, 1
	v_lshlrev_b32_e32 v78, 2, v1
	s_sub_i32 s26, s24, s1
	v_mul_lo_u32 v2, s25, v0
	s_cmp_ge_u32 s24, s1
	s_cselect_b32 s24, s26, s24
	s_lshr_b32 s2, s2, 31
	s_mul_i32 s24, s24, s16
	s_mul_i32 s2, s2, s1
	s_delay_alu instid0(SALU_CYCLE_1) | instskip(NEXT) | instid1(VALU_DEP_1)
	s_sub_i32 s2, 2, s2
	v_mul_hi_u32 v2, v0, v2
	s_sub_i32 s25, s2, s1
	s_cmp_ge_u32 s2, s1
	s_cselect_b32 s2, s25, s2
	s_delay_alu instid0(SALU_CYCLE_1) | instskip(SKIP_1) | instid1(VALU_DEP_1)
	s_sub_i32 s25, s2, s1
	s_cmp_ge_u32 s2, s1
	v_add_nc_u32_e32 v80, v0, v2
	s_cselect_b32 s25, s25, s2
	s_lshl_b32 s6, s6, 2
	s_mul_i32 s25, s25, s16
	s_branch .LBB219_15
.LBB219_13:                             ;   in Loop: Header=BB219_15 Depth=1
	s_or_b32 exec_lo, exec_lo, s2
	v_add_nc_u32_e32 v65, s7, v65
	s_delay_alu instid0(VALU_DEP_1) | instskip(NEXT) | instid1(VALU_DEP_1)
	v_lshlrev_b64 v[1:2], 1, v[65:66]
	v_add_co_u32 v1, vcc_lo, s10, v1
	s_delay_alu instid0(VALU_DEP_2)
	v_add_co_ci_u32_e32 v2, vcc_lo, s11, v2, vcc_lo
	global_store_d16_hi_b16 v[1:2], v0, off
.LBB219_14:                             ;   in Loop: Header=BB219_15 Depth=1
	s_or_b32 exec_lo, exec_lo, s1
	v_add_nc_u32_e32 v0, s18, v64
	s_waitcnt lgkmcnt(0)
	s_delay_alu instid0(VALU_DEP_1) | instskip(SKIP_1) | instid1(VALU_DEP_2)
	v_add_nc_u32_e32 v1, 1, v0
	v_cmp_le_u32_e32 vcc_lo, s7, v0
	v_cmp_gt_u32_e64 s1, s7, v1
	v_add_nc_u32_e32 v1, s23, v64
	s_delay_alu instid0(VALU_DEP_2) | instskip(NEXT) | instid1(VALU_DEP_1)
	s_or_b32 vcc_lo, vcc_lo, s1
	v_cmp_eq_u32_e64 s1, 1, v1
	v_cndmask_b32_e32 v64, s21, v0, vcc_lo
	s_delay_alu instid0(VALU_DEP_2) | instskip(NEXT) | instid1(VALU_DEP_1)
	s_or_b32 vcc_lo, vcc_lo, s1
	v_cmp_le_u32_e64 s2, s7, v64
	v_cndmask_b32_e32 v74, 0, v74, vcc_lo
	s_delay_alu instid0(VALU_DEP_2) | instskip(NEXT) | instid1(SALU_CYCLE_1)
	s_or_b32 s17, s2, s17
	s_and_not1_b32 exec_lo, exec_lo, s17
	s_cbranch_execz .LBB219_90
.LBB219_15:                             ; =>This Loop Header: Depth=1
                                        ;     Child Loop BB219_22 Depth 2
	v_mov_b32_e32 v84, v66
	v_mov_b32_e32 v85, v66
	;; [unrolled: 1-line block ×3, first 2 shown]
	s_and_not1_b32 vcc_lo, exec_lo, s3
	s_cbranch_vccnz .LBB219_74
; %bb.16:                               ;   in Loop: Header=BB219_15 Depth=1
	v_min_u32_e32 v0, s21, v64
	v_dual_mov_b32 v86, 0 :: v_dual_mov_b32 v81, v76
	v_dual_mov_b32 v85, 0 :: v_dual_mov_b32 v84, 0
	s_delay_alu instid0(VALU_DEP_3) | instskip(SKIP_1) | instid1(VALU_DEP_1)
	v_mul_lo_u32 v65, v0, s5
	s_mov_b32 s1, 0
	v_lshlrev_b64 v[0:1], 1, v[65:66]
	s_delay_alu instid0(VALU_DEP_1) | instskip(NEXT) | instid1(VALU_DEP_2)
	v_add_co_u32 v82, vcc_lo, s14, v0
	v_add_co_ci_u32_e32 v83, vcc_lo, s15, v1, vcc_lo
	s_branch .LBB219_22
.LBB219_17:                             ;   in Loop: Header=BB219_22 Depth=2
	s_or_b32 exec_lo, exec_lo, s29
.LBB219_18:                             ;   in Loop: Header=BB219_22 Depth=2
	s_delay_alu instid0(SALU_CYCLE_1)
	s_or_b32 exec_lo, exec_lo, s28
.LBB219_19:                             ;   in Loop: Header=BB219_22 Depth=2
	s_delay_alu instid0(SALU_CYCLE_1)
	s_or_b32 exec_lo, exec_lo, s27
.LBB219_20:                             ;   in Loop: Header=BB219_22 Depth=2
	s_delay_alu instid0(SALU_CYCLE_1)
	s_or_b32 exec_lo, exec_lo, s26
.LBB219_21:                             ;   in Loop: Header=BB219_22 Depth=2
	s_delay_alu instid0(SALU_CYCLE_1)
	s_or_b32 exec_lo, exec_lo, s2
	s_waitcnt vmcnt(0) lgkmcnt(0)
	v_and_b32_e32 v68, 0xffff0000, v29
	v_and_b32_e32 v71, 0xffff0000, v23
	;; [unrolled: 1-line block ×5, first 2 shown]
	v_lshlrev_b32_e32 v21, 16, v21
	v_lshlrev_b32_e32 v23, 16, v23
	;; [unrolled: 1-line block ×4, first 2 shown]
	v_dual_mul_f32 v68, v68, v69 :: v_dual_and_b32 v67, 0xffff0000, v20
	v_lshlrev_b32_e32 v20, 16, v20
	s_addk_i32 s1, 0x400
	v_add_nc_u32_e32 v81, 0x800, v81
	s_delay_alu instid0(VALU_DEP_3) | instskip(SKIP_2) | instid1(VALU_DEP_1)
	v_fmac_f32_e32 v68, v29, v21
	v_dual_mul_f32 v65, v65, v67 :: v_dual_lshlrev_b32 v28, 16, v28
	s_cmp_ge_u32 s1, s4
	v_fmac_f32_e32 v65, v28, v20
	s_delay_alu instid0(VALU_DEP_1) | instskip(NEXT) | instid1(VALU_DEP_1)
	v_dual_add_f32 v29, v86, v65 :: v_dual_and_b32 v28, 0xffff0000, v30
	v_dual_add_f32 v29, v29, v68 :: v_dual_lshlrev_b32 v30, 16, v30
	s_delay_alu instid0(VALU_DEP_2) | instskip(SKIP_2) | instid1(VALU_DEP_3)
	v_mul_f32_e32 v28, v28, v70
	v_and_b32_e32 v68, 0xffff0000, v12
	v_lshlrev_b32_e32 v12, 16, v12
	v_fmac_f32_e32 v28, v30, v22
	v_lshlrev_b32_e32 v30, 16, v31
	s_delay_alu instid0(VALU_DEP_2) | instskip(SKIP_2) | instid1(VALU_DEP_1)
	v_add_f32_e32 v28, v29, v28
	v_lshlrev_b32_e32 v29, 16, v44
	v_and_b32_e32 v65, 0xffff0000, v31
	v_mul_f32_e32 v31, v65, v71
	s_delay_alu instid0(VALU_DEP_1) | instskip(SKIP_2) | instid1(VALU_DEP_3)
	v_fmac_f32_e32 v31, v30, v23
	v_and_b32_e32 v65, 0xffff0000, v44
	v_and_b32_e32 v44, 0xffff0000, v45
	v_add_f32_e32 v28, v28, v31
	s_delay_alu instid0(VALU_DEP_3) | instskip(NEXT) | instid1(VALU_DEP_1)
	v_mul_f32_e32 v30, v65, v68
	v_dual_fmac_f32 v30, v29, v12 :: v_dual_lshlrev_b32 v29, 16, v45
	v_and_b32_e32 v45, 0xffff0000, v14
	v_lshlrev_b32_e32 v14, 16, v14
	s_delay_alu instid0(VALU_DEP_3) | instskip(NEXT) | instid1(VALU_DEP_1)
	v_dual_add_f32 v28, v28, v30 :: v_dual_and_b32 v65, 0xffff0000, v13
	v_dual_mul_f32 v31, v44, v65 :: v_dual_and_b32 v44, 0xffff0000, v46
	s_delay_alu instid0(VALU_DEP_1) | instskip(SKIP_1) | instid1(VALU_DEP_1)
	v_mul_f32_e32 v30, v44, v45
	v_lshlrev_b32_e32 v13, 16, v13
	v_dual_fmac_f32 v31, v29, v13 :: v_dual_and_b32 v44, 0xffff0000, v47
	v_lshlrev_b32_e32 v29, 16, v46
	v_and_b32_e32 v46, 0xffff0000, v15
	s_delay_alu instid0(VALU_DEP_3) | instskip(NEXT) | instid1(VALU_DEP_3)
	v_add_f32_e32 v28, v28, v31
	v_dual_fmac_f32 v30, v29, v14 :: v_dual_lshlrev_b32 v29, 16, v47
	s_delay_alu instid0(VALU_DEP_3) | instskip(NEXT) | instid1(VALU_DEP_2)
	v_dual_mul_f32 v31, v44, v46 :: v_dual_and_b32 v44, 0xffff0000, v56
	v_dual_add_f32 v28, v28, v30 :: v_dual_and_b32 v47, 0xffff0000, v8
	v_lshlrev_b32_e32 v8, 16, v8
	s_delay_alu instid0(VALU_DEP_2) | instskip(SKIP_1) | instid1(VALU_DEP_1)
	v_mul_f32_e32 v30, v44, v47
	v_lshlrev_b32_e32 v15, 16, v15
	v_dual_fmac_f32 v31, v29, v15 :: v_dual_and_b32 v44, 0xffff0000, v57
	v_lshlrev_b32_e32 v29, 16, v56
	v_and_b32_e32 v56, 0xffff0000, v9
	s_delay_alu instid0(VALU_DEP_3) | instskip(NEXT) | instid1(VALU_DEP_3)
	v_add_f32_e32 v28, v28, v31
	v_dual_fmac_f32 v30, v29, v8 :: v_dual_lshlrev_b32 v29, 16, v57
	s_delay_alu instid0(VALU_DEP_3) | instskip(SKIP_1) | instid1(VALU_DEP_3)
	v_dual_mul_f32 v31, v44, v56 :: v_dual_and_b32 v44, 0xffff0000, v58
	v_and_b32_e32 v57, 0xffff0000, v10
	v_add_f32_e32 v28, v28, v30
	v_lshlrev_b32_e32 v10, 16, v10
	s_delay_alu instid0(VALU_DEP_3) | instskip(SKIP_1) | instid1(VALU_DEP_1)
	v_mul_f32_e32 v30, v44, v57
	v_lshlrev_b32_e32 v9, 16, v9
	v_dual_fmac_f32 v31, v29, v9 :: v_dual_and_b32 v44, 0xffff0000, v59
	v_lshlrev_b32_e32 v29, 16, v58
	v_and_b32_e32 v58, 0xffff0000, v11
	s_delay_alu instid0(VALU_DEP_3) | instskip(NEXT) | instid1(VALU_DEP_3)
	v_add_f32_e32 v28, v28, v31
	v_dual_fmac_f32 v30, v29, v10 :: v_dual_lshlrev_b32 v29, 16, v59
	s_delay_alu instid0(VALU_DEP_3) | instskip(NEXT) | instid1(VALU_DEP_2)
	v_dual_mul_f32 v31, v44, v58 :: v_dual_and_b32 v44, 0xffff0000, v60
	v_dual_add_f32 v28, v28, v30 :: v_dual_and_b32 v59, 0xffff0000, v0
	v_lshlrev_b32_e32 v0, 16, v0
	s_delay_alu instid0(VALU_DEP_2) | instskip(SKIP_1) | instid1(VALU_DEP_1)
	v_mul_f32_e32 v30, v44, v59
	v_lshlrev_b32_e32 v11, 16, v11
	v_dual_fmac_f32 v31, v29, v11 :: v_dual_lshlrev_b32 v44, 16, v61
	v_lshlrev_b32_e32 v29, 16, v60
	v_and_b32_e32 v60, 0xffff0000, v1
	s_delay_alu instid0(VALU_DEP_3) | instskip(NEXT) | instid1(VALU_DEP_3)
	v_add_f32_e32 v28, v28, v31
	v_fmac_f32_e32 v30, v29, v0
	v_and_b32_e32 v29, 0xffff0000, v16
	v_lshlrev_b32_e32 v16, 16, v16
	s_delay_alu instid0(VALU_DEP_3) | instskip(NEXT) | instid1(VALU_DEP_3)
	v_dual_add_f32 v28, v28, v30 :: v_dual_and_b32 v31, 0xffff0000, v17
	v_mul_f32_e32 v29, v29, v67
	s_delay_alu instid0(VALU_DEP_1) | instskip(NEXT) | instid1(VALU_DEP_3)
	v_dual_fmac_f32 v29, v16, v20 :: v_dual_lshlrev_b32 v16, 16, v17
	v_mul_f32_e32 v17, v31, v69
	v_and_b32_e32 v31, 0xffff0000, v18
	s_delay_alu instid0(VALU_DEP_3) | instskip(NEXT) | instid1(VALU_DEP_3)
	v_add_f32_e32 v29, v85, v29
	v_dual_fmac_f32 v17, v16, v21 :: v_dual_lshlrev_b32 v16, 16, v18
	s_delay_alu instid0(VALU_DEP_3) | instskip(NEXT) | instid1(VALU_DEP_1)
	v_dual_mul_f32 v18, v31, v70 :: v_dual_and_b32 v31, 0xffff0000, v19
	v_dual_add_f32 v17, v29, v17 :: v_dual_fmac_f32 v18, v16, v22
	v_lshlrev_b32_e32 v16, 16, v19
	s_delay_alu instid0(VALU_DEP_3) | instskip(SKIP_3) | instid1(VALU_DEP_3)
	v_mul_f32_e32 v19, v31, v71
	v_and_b32_e32 v31, 0xffff0000, v32
	v_lshlrev_b32_e32 v1, 16, v1
	v_add_f32_e32 v17, v17, v18
	v_dual_fmac_f32 v19, v16, v23 :: v_dual_mul_f32 v18, v31, v68
	v_lshlrev_b32_e32 v16, 16, v32
	v_and_b32_e32 v31, 0xffff0000, v33
	s_delay_alu instid0(VALU_DEP_2) | instskip(SKIP_1) | instid1(VALU_DEP_3)
	v_dual_add_f32 v17, v17, v19 :: v_dual_fmac_f32 v18, v16, v12
	v_lshlrev_b32_e32 v16, 16, v33
	v_mul_f32_e32 v19, v31, v65
	v_and_b32_e32 v31, 0xffff0000, v40
	s_delay_alu instid0(VALU_DEP_4) | instskip(NEXT) | instid1(VALU_DEP_3)
	v_add_f32_e32 v17, v17, v18
	v_dual_fmac_f32 v19, v16, v13 :: v_dual_lshlrev_b32 v16, 16, v34
	s_delay_alu instid0(VALU_DEP_1) | instskip(NEXT) | instid1(VALU_DEP_1)
	v_dual_add_f32 v17, v17, v19 :: v_dual_and_b32 v30, 0xffff0000, v61
	v_mul_f32_e32 v30, v30, v60
	s_delay_alu instid0(VALU_DEP_1) | instskip(NEXT) | instid1(VALU_DEP_1)
	v_fmac_f32_e32 v30, v44, v1
	v_add_f32_e32 v28, v28, v30
	v_and_b32_e32 v30, 0xffff0000, v34
	v_lshlrev_b32_e32 v29, 16, v62
	s_delay_alu instid0(VALU_DEP_2) | instskip(NEXT) | instid1(VALU_DEP_1)
	v_dual_mul_f32 v18, v30, v45 :: v_dual_and_b32 v61, 0xffff0000, v2
	v_fmac_f32_e32 v18, v16, v14
	v_lshlrev_b32_e32 v16, 16, v35
	v_and_b32_e32 v44, 0xffff0000, v62
	s_delay_alu instid0(VALU_DEP_3) | instskip(SKIP_1) | instid1(VALU_DEP_1)
	v_dual_add_f32 v17, v17, v18 :: v_dual_mul_f32 v18, v31, v47
	v_and_b32_e32 v31, 0xffff0000, v41
	v_dual_mul_f32 v32, v44, v61 :: v_dual_mul_f32 v31, v31, v56
	v_lshlrev_b32_e32 v2, 16, v2
	s_delay_alu instid0(VALU_DEP_1) | instskip(NEXT) | instid1(VALU_DEP_1)
	v_dual_fmac_f32 v32, v29, v2 :: v_dual_and_b32 v29, 0xffff0000, v35
	v_dual_add_f32 v28, v28, v32 :: v_dual_mul_f32 v19, v29, v46
	v_lshlrev_b32_e32 v29, 16, v63
	s_delay_alu instid0(VALU_DEP_2) | instskip(NEXT) | instid1(VALU_DEP_1)
	v_dual_fmac_f32 v19, v16, v15 :: v_dual_lshlrev_b32 v16, 16, v40
	v_add_f32_e32 v17, v17, v19
	v_and_b32_e32 v19, 0xffff0000, v4
	s_delay_alu instid0(VALU_DEP_3) | instskip(NEXT) | instid1(VALU_DEP_2)
	v_fmac_f32_e32 v18, v16, v8
	v_dual_mul_f32 v19, v19, v67 :: v_dual_lshlrev_b32 v4, 16, v4
	s_delay_alu instid0(VALU_DEP_2) | instskip(NEXT) | instid1(VALU_DEP_2)
	v_dual_add_f32 v17, v17, v18 :: v_dual_and_b32 v18, 0xffff0000, v5
	v_dual_fmac_f32 v19, v4, v20 :: v_dual_lshlrev_b32 v4, 16, v5
	s_delay_alu instid0(VALU_DEP_2) | instskip(NEXT) | instid1(VALU_DEP_2)
	v_dual_mul_f32 v5, v18, v69 :: v_dual_and_b32 v30, 0xffff0000, v63
	v_dual_add_f32 v19, v84, v19 :: v_dual_lshlrev_b32 v16, 16, v41
	s_delay_alu instid0(VALU_DEP_2) | instskip(NEXT) | instid1(VALU_DEP_2)
	v_dual_fmac_f32 v5, v4, v21 :: v_dual_and_b32 v18, 0xffff0000, v6
	v_fmac_f32_e32 v31, v16, v9
	s_delay_alu instid0(VALU_DEP_2) | instskip(SKIP_1) | instid1(VALU_DEP_3)
	v_add_f32_e32 v5, v19, v5
	v_and_b32_e32 v19, 0xffff0000, v43
	v_add_f32_e32 v17, v17, v31
	s_delay_alu instid0(VALU_DEP_2) | instskip(SKIP_2) | instid1(VALU_DEP_1)
	v_mul_f32_e32 v19, v19, v58
	v_lshlrev_b32_e32 v4, 16, v6
	v_dual_mul_f32 v6, v18, v70 :: v_dual_and_b32 v21, 0xffff0000, v7
	v_fmac_f32_e32 v6, v4, v22
	v_lshlrev_b32_e32 v4, 16, v7
	s_delay_alu instid0(VALU_DEP_3) | instskip(NEXT) | instid1(VALU_DEP_3)
	v_mul_f32_e32 v7, v21, v71
	v_dual_add_f32 v5, v5, v6 :: v_dual_and_b32 v32, 0xffff0000, v3
	v_lshlrev_b32_e32 v3, 16, v3
	s_delay_alu instid0(VALU_DEP_2) | instskip(SKIP_2) | instid1(VALU_DEP_3)
	v_dual_fmac_f32 v7, v4, v23 :: v_dual_mul_f32 v16, v30, v32
	v_lshlrev_b32_e32 v4, 16, v24
	v_and_b32_e32 v21, 0xffff0000, v25
	v_dual_add_f32 v5, v5, v7 :: v_dual_and_b32 v20, 0xffff0000, v42
	s_delay_alu instid0(VALU_DEP_4) | instskip(NEXT) | instid1(VALU_DEP_3)
	v_fmac_f32_e32 v16, v29, v3
	v_dual_mul_f32 v7, v21, v65 :: v_dual_lshlrev_b32 v18, 16, v42
	s_delay_alu instid0(VALU_DEP_3) | instskip(NEXT) | instid1(VALU_DEP_3)
	v_mul_f32_e32 v20, v20, v57
	v_add_f32_e32 v86, v28, v16
	s_delay_alu instid0(VALU_DEP_2) | instskip(SKIP_1) | instid1(VALU_DEP_1)
	v_fmac_f32_e32 v20, v18, v10
	v_and_b32_e32 v18, 0xffff0000, v24
	v_mul_f32_e32 v6, v18, v68
	s_delay_alu instid0(VALU_DEP_1) | instskip(NEXT) | instid1(VALU_DEP_1)
	v_fmac_f32_e32 v6, v4, v12
	v_dual_add_f32 v5, v5, v6 :: v_dual_lshlrev_b32 v4, 16, v25
	s_delay_alu instid0(VALU_DEP_1) | instskip(SKIP_2) | instid1(VALU_DEP_3)
	v_fmac_f32_e32 v7, v4, v13
	v_dual_add_f32 v12, v17, v20 :: v_dual_and_b32 v13, 0xffff0000, v27
	v_and_b32_e32 v17, 0xffff0000, v26
	v_add_f32_e32 v5, v5, v7
	s_delay_alu instid0(VALU_DEP_3) | instskip(NEXT) | instid1(VALU_DEP_3)
	v_mul_f32_e32 v7, v13, v46
	v_dual_mul_f32 v6, v17, v45 :: v_dual_lshlrev_b32 v13, 16, v48
	v_and_b32_e32 v17, 0xffff0000, v48
	s_delay_alu instid0(VALU_DEP_1) | instskip(NEXT) | instid1(VALU_DEP_1)
	v_dual_mul_f32 v17, v17, v59 :: v_dual_lshlrev_b32 v4, 16, v26
	v_dual_fmac_f32 v17, v13, v0 :: v_dual_fmac_f32 v6, v4, v14
	v_lshlrev_b32_e32 v18, 16, v43
	v_and_b32_e32 v13, 0xffff0000, v37
	v_lshlrev_b32_e32 v4, 16, v27
	s_delay_alu instid0(VALU_DEP_4) | instskip(NEXT) | instid1(VALU_DEP_4)
	v_dual_add_f32 v5, v5, v6 :: v_dual_and_b32 v14, 0xffff0000, v36
	v_fmac_f32_e32 v19, v18, v11
	s_delay_alu instid0(VALU_DEP_3) | instskip(NEXT) | instid1(VALU_DEP_3)
	v_fmac_f32_e32 v7, v4, v15
	v_mul_f32_e32 v6, v14, v47
	s_delay_alu instid0(VALU_DEP_3) | instskip(NEXT) | instid1(VALU_DEP_3)
	v_add_f32_e32 v12, v12, v19
	v_dual_add_f32 v5, v5, v7 :: v_dual_lshlrev_b32 v4, 16, v36
	v_mul_f32_e32 v7, v13, v56
	s_delay_alu instid0(VALU_DEP_2) | instskip(NEXT) | instid1(VALU_DEP_1)
	v_dual_fmac_f32 v6, v4, v8 :: v_dual_and_b32 v13, 0xffff0000, v38
	v_dual_add_f32 v5, v5, v6 :: v_dual_lshlrev_b32 v4, 16, v37
	s_delay_alu instid0(VALU_DEP_1) | instskip(SKIP_1) | instid1(VALU_DEP_4)
	v_dual_fmac_f32 v7, v4, v9 :: v_dual_lshlrev_b32 v4, 16, v38
	v_and_b32_e32 v14, 0xffff0000, v49
	v_mul_f32_e32 v6, v13, v57
	v_dual_add_f32 v9, v12, v17 :: v_dual_and_b32 v12, 0xffff0000, v39
	s_delay_alu instid0(VALU_DEP_3) | instskip(NEXT) | instid1(VALU_DEP_3)
	v_dual_add_f32 v5, v5, v7 :: v_dual_mul_f32 v14, v14, v60
	v_fmac_f32_e32 v6, v4, v10
	s_delay_alu instid0(VALU_DEP_3) | instskip(NEXT) | instid1(VALU_DEP_1)
	v_dual_mul_f32 v7, v12, v58 :: v_dual_lshlrev_b32 v4, 16, v39
	v_dual_fmac_f32 v7, v4, v11 :: v_dual_and_b32 v10, 0xffff0000, v50
	v_and_b32_e32 v11, 0xffff0000, v53
	s_delay_alu instid0(VALU_DEP_4) | instskip(SKIP_1) | instid1(VALU_DEP_4)
	v_dual_add_f32 v5, v5, v6 :: v_dual_lshlrev_b32 v8, 16, v49
	v_lshlrev_b32_e32 v4, 16, v52
	v_mul_f32_e32 v10, v10, v61
	s_delay_alu instid0(VALU_DEP_3) | instskip(SKIP_1) | instid1(VALU_DEP_2)
	v_dual_fmac_f32 v14, v8, v1 :: v_dual_add_f32 v5, v5, v7
	v_and_b32_e32 v7, 0xffff0000, v54
	v_dual_add_f32 v8, v9, v14 :: v_dual_and_b32 v9, 0xffff0000, v52
	s_delay_alu instid0(VALU_DEP_1) | instskip(NEXT) | instid1(VALU_DEP_1)
	v_dual_mul_f32 v6, v9, v59 :: v_dual_lshlrev_b32 v9, 16, v50
	v_fmac_f32_e32 v6, v4, v0
	v_lshlrev_b32_e32 v0, 16, v53
	s_delay_alu instid0(VALU_DEP_2) | instskip(SKIP_1) | instid1(VALU_DEP_2)
	v_dual_mul_f32 v4, v11, v60 :: v_dual_add_f32 v5, v5, v6
	v_lshlrev_b32_e32 v6, 16, v51
	v_fmac_f32_e32 v4, v0, v1
	v_mul_f32_e32 v1, v7, v61
	v_dual_fmac_f32 v10, v9, v2 :: v_dual_and_b32 v7, 0xffff0000, v55
	s_delay_alu instid0(VALU_DEP_3) | instskip(NEXT) | instid1(VALU_DEP_1)
	v_dual_add_f32 v4, v5, v4 :: v_dual_and_b32 v9, 0xffff0000, v51
	v_dual_mul_f32 v9, v9, v32 :: v_dual_lshlrev_b32 v0, 16, v54
	s_delay_alu instid0(VALU_DEP_1) | instskip(NEXT) | instid1(VALU_DEP_2)
	v_dual_fmac_f32 v1, v0, v2 :: v_dual_lshlrev_b32 v0, 16, v55
	v_dual_mul_f32 v2, v7, v32 :: v_dual_fmac_f32 v9, v6, v3
	v_add_f32_e32 v5, v8, v10
	s_delay_alu instid0(VALU_DEP_3) | instskip(NEXT) | instid1(VALU_DEP_2)
	v_add_f32_e32 v1, v4, v1
	v_dual_fmac_f32 v2, v0, v3 :: v_dual_add_f32 v85, v5, v9
	s_delay_alu instid0(VALU_DEP_1)
	v_add_f32_e32 v84, v1, v2
	s_cbranch_scc1 .LBB219_74
.LBB219_22:                             ;   Parent Loop BB219_15 Depth=1
                                        ; =>  This Inner Loop Header: Depth=2
	v_dual_mov_b32 v55, 0 :: v_dual_add_nc_u32 v68, s1, v75
	v_dual_mov_b32 v51, 0 :: v_dual_mov_b32 v50, 0
	v_dual_mov_b32 v49, 0 :: v_dual_mov_b32 v48, 0
	s_delay_alu instid0(VALU_DEP_3) | instskip(SKIP_2) | instid1(VALU_DEP_3)
	v_min_u32_e32 v65, s20, v68
	v_dual_mov_b32 v53, 0 :: v_dual_add_nc_u32 v72, 0x100, v68
	v_dual_mov_b32 v54, 0 :: v_dual_add_nc_u32 v71, 0x200, v68
	v_lshlrev_b64 v[0:1], 1, v[65:66]
	s_delay_alu instid0(VALU_DEP_3) | instskip(SKIP_2) | instid1(VALU_DEP_3)
	v_min_u32_e32 v65, s20, v72
	v_dual_mov_b32 v52, 0 :: v_dual_add_nc_u32 v67, 0x300, v68
	v_dual_mov_b32 v63, 0 :: v_dual_mov_b32 v62, 0
	v_lshlrev_b64 v[2:3], 1, v[65:66]
	v_min_u32_e32 v65, s20, v71
	v_add_co_u32 v0, vcc_lo, v82, v0
	v_add_co_ci_u32_e32 v1, vcc_lo, v83, v1, vcc_lo
	s_waitcnt vmcnt(0)
	s_delay_alu instid0(VALU_DEP_3) | instskip(SKIP_3) | instid1(VALU_DEP_3)
	v_lshlrev_b64 v[4:5], 1, v[65:66]
	v_min_u32_e32 v65, s20, v67
	v_add_co_u32 v2, vcc_lo, v82, v2
	v_add_co_ci_u32_e32 v3, vcc_lo, v83, v3, vcc_lo
	v_lshlrev_b64 v[6:7], 1, v[65:66]
	v_add_co_u32 v4, vcc_lo, v82, v4
	v_add_co_ci_u32_e32 v5, vcc_lo, v83, v5, vcc_lo
	v_dual_mov_b32 v61, 0 :: v_dual_mov_b32 v60, 0
	s_delay_alu instid0(VALU_DEP_4)
	v_add_co_u32 v6, vcc_lo, v82, v6
	v_add_co_ci_u32_e32 v7, vcc_lo, v83, v7, vcc_lo
	s_clause 0x3
	global_load_b128 v[20:23], v[0:1], off slc dlc
	global_load_b128 v[12:15], v[2:3], off slc dlc
	;; [unrolled: 1-line block ×4, first 2 shown]
	v_cmp_gt_u32_e32 vcc_lo, s4, v68
	v_dual_mov_b32 v39, 0 :: v_dual_mov_b32 v38, 0
	v_dual_mov_b32 v37, 0 :: v_dual_mov_b32 v36, 0
	v_dual_mov_b32 v43, 0 :: v_dual_mov_b32 v42, 0
	v_dual_mov_b32 v41, 0 :: v_dual_mov_b32 v40, 0
	v_dual_mov_b32 v59, 0 :: v_dual_mov_b32 v58, 0
	v_dual_mov_b32 v57, 0 :: v_dual_mov_b32 v56, 0
	v_dual_mov_b32 v27, 0 :: v_dual_mov_b32 v26, 0
	v_dual_mov_b32 v25, 0 :: v_dual_mov_b32 v24, 0
	v_dual_mov_b32 v35, 0 :: v_dual_mov_b32 v34, 0
	v_dual_mov_b32 v33, 0 :: v_dual_mov_b32 v32, 0
	v_dual_mov_b32 v47, 0 :: v_dual_mov_b32 v46, 0
	v_dual_mov_b32 v45, 0 :: v_dual_mov_b32 v44, 0
	v_dual_mov_b32 v7, 0 :: v_dual_mov_b32 v6, 0
	v_dual_mov_b32 v5, 0 :: v_dual_mov_b32 v4, 0
	v_dual_mov_b32 v19, 0 :: v_dual_mov_b32 v18, 0
	v_dual_mov_b32 v17, 0 :: v_dual_mov_b32 v16, 0
	v_dual_mov_b32 v31, 0 :: v_dual_mov_b32 v30, 0
	v_dual_mov_b32 v29, 0 :: v_dual_mov_b32 v28, 0
	s_and_saveexec_b32 s2, vcc_lo
	s_cbranch_execz .LBB219_21
; %bb.23:                               ;   in Loop: Header=BB219_22 Depth=2
	s_mov_b32 s26, exec_lo
                                        ; implicit-def: $vgpr31
	v_cmpx_lt_u32_e32 0x7fff, v68
	s_xor_b32 s26, exec_lo, s26
	s_cbranch_execz .LBB219_25
; %bb.24:                               ;   in Loop: Header=BB219_22 Depth=2
	v_mov_b32_e32 v69, v66
	s_delay_alu instid0(VALU_DEP_1) | instskip(NEXT) | instid1(VALU_DEP_1)
	v_lshlrev_b64 v[4:5], 1, v[68:69]
	v_add_co_u32 v4, vcc_lo, s12, v4
	s_delay_alu instid0(VALU_DEP_2)
	v_add_co_ci_u32_e32 v5, vcc_lo, s13, v5, vcc_lo
	global_load_b128 v[28:31], v[4:5], off
.LBB219_25:                             ;   in Loop: Header=BB219_22 Depth=2
	s_and_not1_saveexec_b32 s26, s26
	s_cbranch_execz .LBB219_27
; %bb.26:                               ;   in Loop: Header=BB219_22 Depth=2
	s_waitcnt vmcnt(0)
	ds_load_b128 v[28:31], v81
.LBB219_27:                             ;   in Loop: Header=BB219_22 Depth=2
	s_or_b32 exec_lo, exec_lo, s26
	v_add_nc_u32_e32 v65, s1, v77
	s_mov_b32 s26, exec_lo
                                        ; implicit-def: $vgpr19
	s_delay_alu instid0(VALU_DEP_1)
	v_cmpx_lt_u32_e32 0x7fff, v65
	s_xor_b32 s26, exec_lo, s26
	s_cbranch_execz .LBB219_29
; %bb.28:                               ;   in Loop: Header=BB219_22 Depth=2
	v_lshlrev_b64 v[4:5], 1, v[65:66]
	s_delay_alu instid0(VALU_DEP_1) | instskip(NEXT) | instid1(VALU_DEP_2)
	v_add_co_u32 v4, vcc_lo, s12, v4
	v_add_co_ci_u32_e32 v5, vcc_lo, s13, v5, vcc_lo
	global_load_b128 v[16:19], v[4:5], off
.LBB219_29:                             ;   in Loop: Header=BB219_22 Depth=2
	s_and_not1_saveexec_b32 s26, s26
	s_cbranch_execz .LBB219_31
; %bb.30:                               ;   in Loop: Header=BB219_22 Depth=2
	v_add_nc_u32_e32 v4, s19, v81
	s_waitcnt vmcnt(0)
	ds_load_b128 v[16:19], v4
.LBB219_31:                             ;   in Loop: Header=BB219_22 Depth=2
	s_or_b32 exec_lo, exec_lo, s26
	v_add_nc_u32_e32 v69, s1, v79
	s_mov_b32 s26, exec_lo
                                        ; implicit-def: $vgpr7
	s_delay_alu instid0(VALU_DEP_1)
	v_cmpx_lt_u32_e32 0x7fff, v69
	s_xor_b32 s26, exec_lo, s26
	s_cbranch_execz .LBB219_33
; %bb.32:                               ;   in Loop: Header=BB219_22 Depth=2
	v_mov_b32_e32 v70, v66
	s_delay_alu instid0(VALU_DEP_1) | instskip(NEXT) | instid1(VALU_DEP_1)
	v_lshlrev_b64 v[4:5], 1, v[69:70]
	v_add_co_u32 v4, vcc_lo, s12, v4
	s_delay_alu instid0(VALU_DEP_2)
	v_add_co_ci_u32_e32 v5, vcc_lo, s13, v5, vcc_lo
	global_load_b128 v[4:7], v[4:5], off
.LBB219_33:                             ;   in Loop: Header=BB219_22 Depth=2
	s_and_not1_saveexec_b32 s26, s26
	s_cbranch_execz .LBB219_35
; %bb.34:                               ;   in Loop: Header=BB219_22 Depth=2
	s_waitcnt vmcnt(0)
	v_add_nc_u32_e32 v6, s6, v81
	ds_load_2addr_b32 v[4:5], v6 offset1:1
	ds_load_2addr_b32 v[6:7], v6 offset0:2 offset1:3
.LBB219_35:                             ;   in Loop: Header=BB219_22 Depth=2
	s_or_b32 exec_lo, exec_lo, s26
	v_cmp_gt_u32_e32 vcc_lo, s4, v72
	v_dual_mov_b32 v55, 0 :: v_dual_mov_b32 v54, 0
	v_dual_mov_b32 v53, 0 :: v_dual_mov_b32 v52, 0
	v_dual_mov_b32 v51, 0 :: v_dual_mov_b32 v50, 0
	v_dual_mov_b32 v49, 0 :: v_dual_mov_b32 v48, 0
	v_dual_mov_b32 v63, 0 :: v_dual_mov_b32 v62, 0
	v_dual_mov_b32 v61, 0 :: v_dual_mov_b32 v60, 0
	v_dual_mov_b32 v39, 0 :: v_dual_mov_b32 v38, 0
	v_dual_mov_b32 v37, 0 :: v_dual_mov_b32 v36, 0
	v_dual_mov_b32 v43, 0 :: v_dual_mov_b32 v42, 0
	v_dual_mov_b32 v41, 0 :: v_dual_mov_b32 v40, 0
	v_dual_mov_b32 v59, 0 :: v_dual_mov_b32 v58, 0
	v_dual_mov_b32 v57, 0 :: v_dual_mov_b32 v56, 0
	v_dual_mov_b32 v27, 0 :: v_dual_mov_b32 v26, 0
	v_dual_mov_b32 v25, 0 :: v_dual_mov_b32 v24, 0
	v_dual_mov_b32 v35, 0 :: v_dual_mov_b32 v34, 0
	v_dual_mov_b32 v33, 0 :: v_dual_mov_b32 v32, 0
	v_dual_mov_b32 v47, 0 :: v_dual_mov_b32 v46, 0
	v_dual_mov_b32 v45, 0 :: v_dual_mov_b32 v44, 0
	s_and_saveexec_b32 s26, vcc_lo
	s_cbranch_execz .LBB219_20
; %bb.36:                               ;   in Loop: Header=BB219_22 Depth=2
	s_mov_b32 s27, exec_lo
                                        ; implicit-def: $vgpr47
	v_cmpx_lt_u32_e32 0x7fff, v72
	s_xor_b32 s27, exec_lo, s27
	s_cbranch_execz .LBB219_38
; %bb.37:                               ;   in Loop: Header=BB219_22 Depth=2
	v_mov_b32_e32 v73, v66
	s_delay_alu instid0(VALU_DEP_1) | instskip(NEXT) | instid1(VALU_DEP_1)
	v_lshlrev_b64 v[24:25], 1, v[72:73]
	v_add_co_u32 v24, vcc_lo, s12, v24
	s_delay_alu instid0(VALU_DEP_2)
	v_add_co_ci_u32_e32 v25, vcc_lo, s13, v25, vcc_lo
	global_load_b128 v[44:47], v[24:25], off
.LBB219_38:                             ;   in Loop: Header=BB219_22 Depth=2
	s_and_not1_saveexec_b32 s27, s27
	s_cbranch_execz .LBB219_40
; %bb.39:                               ;   in Loop: Header=BB219_22 Depth=2
	s_waitcnt vmcnt(0)
	ds_load_b128 v[44:47], v81 offset:512
.LBB219_40:                             ;   in Loop: Header=BB219_22 Depth=2
	s_or_b32 exec_lo, exec_lo, s27
	v_add_nc_u32_e32 v24, 0x100, v65
	s_mov_b32 s27, exec_lo
                                        ; implicit-def: $vgpr35
	s_delay_alu instid0(VALU_DEP_1)
	v_cmpx_lt_u32_e32 0x7fff, v24
	s_xor_b32 s27, exec_lo, s27
	s_cbranch_execz .LBB219_42
; %bb.41:                               ;   in Loop: Header=BB219_22 Depth=2
	v_mov_b32_e32 v25, v66
	s_delay_alu instid0(VALU_DEP_1) | instskip(NEXT) | instid1(VALU_DEP_1)
	v_lshlrev_b64 v[24:25], 1, v[24:25]
	v_add_co_u32 v24, vcc_lo, s12, v24
	s_delay_alu instid0(VALU_DEP_2)
	v_add_co_ci_u32_e32 v25, vcc_lo, s13, v25, vcc_lo
	global_load_b128 v[32:35], v[24:25], off
.LBB219_42:                             ;   in Loop: Header=BB219_22 Depth=2
	s_and_not1_saveexec_b32 s27, s27
	s_cbranch_execz .LBB219_44
; %bb.43:                               ;   in Loop: Header=BB219_22 Depth=2
	v_add_nc_u32_e32 v24, s19, v81
	s_waitcnt vmcnt(0)
	ds_load_b128 v[32:35], v24 offset:512
.LBB219_44:                             ;   in Loop: Header=BB219_22 Depth=2
	s_or_b32 exec_lo, exec_lo, s27
	v_add_nc_u32_e32 v24, 0x100, v69
	s_mov_b32 s27, exec_lo
                                        ; implicit-def: $vgpr27
	s_delay_alu instid0(VALU_DEP_1)
	v_cmpx_lt_u32_e32 0x7fff, v24
	s_xor_b32 s27, exec_lo, s27
	s_cbranch_execz .LBB219_46
; %bb.45:                               ;   in Loop: Header=BB219_22 Depth=2
	v_mov_b32_e32 v25, v66
	s_delay_alu instid0(VALU_DEP_1) | instskip(NEXT) | instid1(VALU_DEP_1)
	v_lshlrev_b64 v[24:25], 1, v[24:25]
	v_add_co_u32 v24, vcc_lo, s12, v24
	s_delay_alu instid0(VALU_DEP_2)
	v_add_co_ci_u32_e32 v25, vcc_lo, s13, v25, vcc_lo
	global_load_b128 v[24:27], v[24:25], off
.LBB219_46:                             ;   in Loop: Header=BB219_22 Depth=2
	s_and_not1_saveexec_b32 s27, s27
	s_cbranch_execz .LBB219_48
; %bb.47:                               ;   in Loop: Header=BB219_22 Depth=2
	s_waitcnt vmcnt(0)
	v_add_nc_u32_e32 v26, s6, v81
	ds_load_2addr_b32 v[24:25], v26 offset0:128 offset1:129
	ds_load_2addr_b32 v[26:27], v26 offset0:130 offset1:131
.LBB219_48:                             ;   in Loop: Header=BB219_22 Depth=2
	s_or_b32 exec_lo, exec_lo, s27
	v_cmp_gt_u32_e32 vcc_lo, s4, v71
	v_dual_mov_b32 v55, 0 :: v_dual_mov_b32 v54, 0
	v_dual_mov_b32 v53, 0 :: v_dual_mov_b32 v52, 0
	;; [unrolled: 1-line block ×12, first 2 shown]
	s_and_saveexec_b32 s27, vcc_lo
	s_cbranch_execz .LBB219_19
; %bb.49:                               ;   in Loop: Header=BB219_22 Depth=2
	s_mov_b32 s28, exec_lo
                                        ; implicit-def: $vgpr59
	v_cmpx_lt_u32_e32 0x7fff, v71
	s_xor_b32 s28, exec_lo, s28
	s_cbranch_execz .LBB219_51
; %bb.50:                               ;   in Loop: Header=BB219_22 Depth=2
	v_mov_b32_e32 v72, v66
	s_delay_alu instid0(VALU_DEP_1) | instskip(NEXT) | instid1(VALU_DEP_1)
	v_lshlrev_b64 v[36:37], 1, v[71:72]
	v_add_co_u32 v36, vcc_lo, s12, v36
	s_delay_alu instid0(VALU_DEP_2)
	v_add_co_ci_u32_e32 v37, vcc_lo, s13, v37, vcc_lo
	global_load_b128 v[56:59], v[36:37], off
.LBB219_51:                             ;   in Loop: Header=BB219_22 Depth=2
	s_and_not1_saveexec_b32 s28, s28
	s_cbranch_execz .LBB219_53
; %bb.52:                               ;   in Loop: Header=BB219_22 Depth=2
	s_waitcnt vmcnt(0)
	ds_load_b128 v[56:59], v81 offset:1024
.LBB219_53:                             ;   in Loop: Header=BB219_22 Depth=2
	s_or_b32 exec_lo, exec_lo, s28
	v_add_nc_u32_e32 v36, 0x200, v65
	s_mov_b32 s28, exec_lo
                                        ; implicit-def: $vgpr43
	s_delay_alu instid0(VALU_DEP_1)
	v_cmpx_lt_u32_e32 0x7fff, v36
	s_xor_b32 s28, exec_lo, s28
	s_cbranch_execz .LBB219_55
; %bb.54:                               ;   in Loop: Header=BB219_22 Depth=2
	v_mov_b32_e32 v37, v66
	s_delay_alu instid0(VALU_DEP_1) | instskip(NEXT) | instid1(VALU_DEP_1)
	v_lshlrev_b64 v[36:37], 1, v[36:37]
	v_add_co_u32 v36, vcc_lo, s12, v36
	s_delay_alu instid0(VALU_DEP_2)
	v_add_co_ci_u32_e32 v37, vcc_lo, s13, v37, vcc_lo
	global_load_b128 v[40:43], v[36:37], off
.LBB219_55:                             ;   in Loop: Header=BB219_22 Depth=2
	s_and_not1_saveexec_b32 s28, s28
	s_cbranch_execz .LBB219_57
; %bb.56:                               ;   in Loop: Header=BB219_22 Depth=2
	v_add_nc_u32_e32 v36, s19, v81
	s_waitcnt vmcnt(0)
	ds_load_b128 v[40:43], v36 offset:1024
.LBB219_57:                             ;   in Loop: Header=BB219_22 Depth=2
	s_or_b32 exec_lo, exec_lo, s28
	v_add_nc_u32_e32 v36, 0x200, v69
	s_mov_b32 s28, exec_lo
                                        ; implicit-def: $vgpr39
	s_delay_alu instid0(VALU_DEP_1)
	v_cmpx_lt_u32_e32 0x7fff, v36
	s_xor_b32 s28, exec_lo, s28
	s_cbranch_execz .LBB219_59
; %bb.58:                               ;   in Loop: Header=BB219_22 Depth=2
	v_mov_b32_e32 v37, v66
	s_delay_alu instid0(VALU_DEP_1) | instskip(NEXT) | instid1(VALU_DEP_1)
	v_lshlrev_b64 v[36:37], 1, v[36:37]
	v_add_co_u32 v36, vcc_lo, s12, v36
	s_delay_alu instid0(VALU_DEP_2)
	v_add_co_ci_u32_e32 v37, vcc_lo, s13, v37, vcc_lo
	global_load_b128 v[36:39], v[36:37], off
.LBB219_59:                             ;   in Loop: Header=BB219_22 Depth=2
	s_and_not1_saveexec_b32 s28, s28
	s_cbranch_execz .LBB219_61
; %bb.60:                               ;   in Loop: Header=BB219_22 Depth=2
	s_waitcnt vmcnt(0)
	v_add_nc_u32_e32 v36, s6, v81
	s_delay_alu instid0(VALU_DEP_1)
	v_add_nc_u32_e32 v37, 0x400, v36
	v_add_nc_u32_e32 v38, 0x408, v36
	ds_load_2addr_b32 v[36:37], v37 offset1:1
	ds_load_2addr_b32 v[38:39], v38 offset1:1
.LBB219_61:                             ;   in Loop: Header=BB219_22 Depth=2
	s_or_b32 exec_lo, exec_lo, s28
	v_dual_mov_b32 v55, 0 :: v_dual_mov_b32 v54, 0
	v_dual_mov_b32 v53, 0 :: v_dual_mov_b32 v52, 0
	;; [unrolled: 1-line block ×6, first 2 shown]
	s_mov_b32 s28, exec_lo
	v_cmpx_gt_u32_e64 s4, v67
	s_cbranch_execz .LBB219_18
; %bb.62:                               ;   in Loop: Header=BB219_22 Depth=2
	s_mov_b32 s29, exec_lo
                                        ; implicit-def: $vgpr63
	v_cmpx_lt_u32_e32 0x7fff, v67
	s_xor_b32 s29, exec_lo, s29
	s_cbranch_execz .LBB219_64
; %bb.63:                               ;   in Loop: Header=BB219_22 Depth=2
	v_mov_b32_e32 v68, v66
	s_delay_alu instid0(VALU_DEP_1) | instskip(NEXT) | instid1(VALU_DEP_1)
	v_lshlrev_b64 v[48:49], 1, v[67:68]
	v_add_co_u32 v48, vcc_lo, s12, v48
	s_delay_alu instid0(VALU_DEP_2)
	v_add_co_ci_u32_e32 v49, vcc_lo, s13, v49, vcc_lo
	global_load_b128 v[60:63], v[48:49], off
.LBB219_64:                             ;   in Loop: Header=BB219_22 Depth=2
	s_and_not1_saveexec_b32 s29, s29
	s_cbranch_execz .LBB219_66
; %bb.65:                               ;   in Loop: Header=BB219_22 Depth=2
	s_waitcnt vmcnt(0)
	ds_load_b128 v[60:63], v81 offset:1536
.LBB219_66:                             ;   in Loop: Header=BB219_22 Depth=2
	s_or_b32 exec_lo, exec_lo, s29
	v_add_nc_u32_e32 v65, 0x300, v65
	s_mov_b32 s29, exec_lo
                                        ; implicit-def: $vgpr51
	s_delay_alu instid0(VALU_DEP_1)
	v_cmpx_lt_u32_e32 0x7fff, v65
	s_xor_b32 s29, exec_lo, s29
	s_cbranch_execz .LBB219_68
; %bb.67:                               ;   in Loop: Header=BB219_22 Depth=2
	v_lshlrev_b64 v[48:49], 1, v[65:66]
	s_delay_alu instid0(VALU_DEP_1) | instskip(NEXT) | instid1(VALU_DEP_2)
	v_add_co_u32 v48, vcc_lo, s12, v48
	v_add_co_ci_u32_e32 v49, vcc_lo, s13, v49, vcc_lo
	global_load_b128 v[48:51], v[48:49], off
.LBB219_68:                             ;   in Loop: Header=BB219_22 Depth=2
	s_and_not1_saveexec_b32 s29, s29
	s_cbranch_execz .LBB219_70
; %bb.69:                               ;   in Loop: Header=BB219_22 Depth=2
	s_waitcnt vmcnt(0)
	v_add_nc_u32_e32 v48, s19, v81
	ds_load_b128 v[48:51], v48 offset:1536
.LBB219_70:                             ;   in Loop: Header=BB219_22 Depth=2
	s_or_b32 exec_lo, exec_lo, s29
	v_add_nc_u32_e32 v65, 0x300, v69
	s_mov_b32 s29, exec_lo
                                        ; implicit-def: $vgpr55
	s_delay_alu instid0(VALU_DEP_1)
	v_cmpx_lt_u32_e32 0x7fff, v65
	s_xor_b32 s29, exec_lo, s29
	s_cbranch_execz .LBB219_72
; %bb.71:                               ;   in Loop: Header=BB219_22 Depth=2
	v_lshlrev_b64 v[52:53], 1, v[65:66]
	s_delay_alu instid0(VALU_DEP_1) | instskip(NEXT) | instid1(VALU_DEP_2)
	v_add_co_u32 v52, vcc_lo, s12, v52
	v_add_co_ci_u32_e32 v53, vcc_lo, s13, v53, vcc_lo
	global_load_b128 v[52:55], v[52:53], off
.LBB219_72:                             ;   in Loop: Header=BB219_22 Depth=2
	s_and_not1_saveexec_b32 s29, s29
	s_cbranch_execz .LBB219_17
; %bb.73:                               ;   in Loop: Header=BB219_22 Depth=2
	s_waitcnt vmcnt(0)
	v_add_nc_u32_e32 v52, s6, v81
	s_delay_alu instid0(VALU_DEP_1)
	v_add_nc_u32_e32 v53, 0x600, v52
	v_add_nc_u32_e32 v54, 0x608, v52
	ds_load_2addr_b32 v[52:53], v53 offset1:1
	ds_load_2addr_b32 v[54:55], v54 offset1:1
	s_branch .LBB219_17
.LBB219_74:                             ;   in Loop: Header=BB219_15 Depth=1
	s_delay_alu instid0(VALU_DEP_1) | instskip(NEXT) | instid1(VALU_DEP_3)
	v_cvt_i32_f32_e32 v0, v86
	v_cvt_i32_f32_e32 v1, v85
	s_delay_alu instid0(VALU_DEP_3) | instskip(NEXT) | instid1(VALU_DEP_3)
	v_cvt_i32_f32_e32 v2, v84
	v_cvt_f32_i32_dpp v0, v0 row_shr:8 row_mask:0xf bank_mask:0xf bound_ctrl:1
	s_delay_alu instid0(VALU_DEP_3) | instskip(NEXT) | instid1(VALU_DEP_3)
	v_cvt_f32_i32_dpp v1, v1 row_shr:8 row_mask:0xf bank_mask:0xf bound_ctrl:1
	v_cvt_f32_i32_dpp v2, v2 row_shr:8 row_mask:0xf bank_mask:0xf bound_ctrl:1
	s_delay_alu instid0(VALU_DEP_2) | instskip(NEXT) | instid1(VALU_DEP_1)
	v_dual_add_f32 v0, v86, v0 :: v_dual_add_f32 v1, v85, v1
	v_cvt_i32_f32_e32 v3, v0
	s_waitcnt vmcnt(0)
	s_delay_alu instid0(VALU_DEP_2) | instskip(NEXT) | instid1(VALU_DEP_2)
	v_cvt_i32_f32_e32 v4, v1
	v_cvt_f32_i32_dpp v3, v3 row_shr:4 row_mask:0xf bank_mask:0xf bound_ctrl:1
	s_delay_alu instid0(VALU_DEP_2) | instskip(NEXT) | instid1(VALU_DEP_1)
	v_cvt_f32_i32_dpp v4, v4 row_shr:4 row_mask:0xf bank_mask:0xf bound_ctrl:1
	v_dual_add_f32 v2, v84, v2 :: v_dual_add_f32 v1, v1, v4
	s_delay_alu instid0(VALU_DEP_1) | instskip(NEXT) | instid1(VALU_DEP_2)
	v_cvt_i32_f32_e32 v5, v2
	v_cvt_i32_f32_e32 v4, v1
	s_delay_alu instid0(VALU_DEP_2) | instskip(NEXT) | instid1(VALU_DEP_2)
	v_cvt_f32_i32_dpp v5, v5 row_shr:4 row_mask:0xf bank_mask:0xf bound_ctrl:1
	v_cvt_f32_i32_dpp v4, v4 row_shr:2 row_mask:0xf bank_mask:0xf bound_ctrl:1
	v_add_f32_e32 v0, v0, v3
	s_delay_alu instid0(VALU_DEP_2) | instskip(NEXT) | instid1(VALU_DEP_2)
	v_dual_add_f32 v2, v2, v5 :: v_dual_add_f32 v1, v1, v4
	v_cvt_i32_f32_e32 v3, v0
	s_delay_alu instid0(VALU_DEP_2) | instskip(NEXT) | instid1(VALU_DEP_3)
	v_cvt_i32_f32_e32 v5, v2
	v_cvt_i32_f32_e32 v4, v1
	s_delay_alu instid0(VALU_DEP_3) | instskip(NEXT) | instid1(VALU_DEP_3)
	v_cvt_f32_i32_dpp v3, v3 row_shr:2 row_mask:0xf bank_mask:0xf bound_ctrl:1
	v_cvt_f32_i32_dpp v5, v5 row_shr:2 row_mask:0xf bank_mask:0xf bound_ctrl:1
	s_delay_alu instid0(VALU_DEP_3) | instskip(NEXT) | instid1(VALU_DEP_2)
	v_cvt_f32_i32_dpp v4, v4 row_shr:1 row_mask:0xf bank_mask:0xf bound_ctrl:1
	v_dual_add_f32 v0, v0, v3 :: v_dual_add_f32 v3, v2, v5
	s_delay_alu instid0(VALU_DEP_1) | instskip(NEXT) | instid1(VALU_DEP_2)
	v_cvt_i32_f32_e32 v2, v0
	v_cvt_i32_f32_e32 v5, v3
	s_delay_alu instid0(VALU_DEP_2) | instskip(NEXT) | instid1(VALU_DEP_2)
	v_cvt_f32_i32_dpp v2, v2 row_shr:1 row_mask:0xf bank_mask:0xf bound_ctrl:1
	v_cvt_f32_i32_dpp v6, v5 row_shr:1 row_mask:0xf bank_mask:0xf bound_ctrl:1
	s_delay_alu instid0(VALU_DEP_2) | instskip(NEXT) | instid1(VALU_DEP_2)
	v_dual_add_f32 v5, v0, v2 :: v_dual_add_f32 v2, v1, v4
	v_add_f32_e32 v0, v3, v6
	ds_bpermute_b32 v6, v78, v5
	ds_bpermute_b32 v3, v78, v2
	;; [unrolled: 1-line block ×3, first 2 shown]
	s_and_saveexec_b32 s1, s0
	s_cbranch_execz .LBB219_14
; %bb.75:                               ;   in Loop: Header=BB219_15 Depth=1
	v_dual_mov_b32 v8, 0 :: v_dual_mov_b32 v7, 0
	v_mov_b32_e32 v4, 0
	s_and_not1_b32 vcc_lo, exec_lo, s22
	s_cbranch_vccnz .LBB219_77
; %bb.76:                               ;   in Loop: Header=BB219_15 Depth=1
	v_mul_hi_u32 v4, v64, v80
	v_mov_b32_e32 v8, v66
	s_delay_alu instid0(VALU_DEP_2) | instskip(NEXT) | instid1(VALU_DEP_1)
	v_mul_lo_u32 v4, v4, s16
	v_sub_nc_u32_e32 v4, v64, v4
	s_delay_alu instid0(VALU_DEP_1) | instskip(SKIP_1) | instid1(VALU_DEP_2)
	v_subrev_nc_u32_e32 v7, s16, v4
	v_cmp_le_u32_e32 vcc_lo, s16, v4
	v_cndmask_b32_e32 v4, v4, v7, vcc_lo
	s_delay_alu instid0(VALU_DEP_1) | instskip(SKIP_1) | instid1(VALU_DEP_2)
	v_subrev_nc_u32_e32 v7, s16, v4
	v_cmp_le_u32_e32 vcc_lo, s16, v4
	v_cndmask_b32_e32 v65, v4, v7, vcc_lo
	s_delay_alu instid0(VALU_DEP_1) | instskip(SKIP_2) | instid1(VALU_DEP_3)
	v_add_nc_u32_e32 v7, s24, v65
	v_lshlrev_b64 v[9:10], 1, v[65:66]
	v_add_nc_u32_e32 v65, s25, v65
	v_lshlrev_b64 v[7:8], 1, v[7:8]
	s_delay_alu instid0(VALU_DEP_2) | instskip(NEXT) | instid1(VALU_DEP_4)
	v_lshlrev_b64 v[11:12], 1, v[65:66]
	v_add_co_u32 v9, vcc_lo, s8, v9
	v_add_co_ci_u32_e32 v10, vcc_lo, s9, v10, vcc_lo
	s_delay_alu instid0(VALU_DEP_4)
	v_add_co_u32 v13, vcc_lo, s8, v7
	v_add_co_ci_u32_e32 v14, vcc_lo, s9, v8, vcc_lo
	v_add_co_u32 v11, vcc_lo, s8, v11
	v_add_co_ci_u32_e32 v12, vcc_lo, s9, v12, vcc_lo
	s_clause 0x2
	global_load_u16 v8, v[9:10], off
	global_load_u16 v7, v[13:14], off
	global_load_u16 v4, v[11:12], off
.LBB219_77:                             ;   in Loop: Header=BB219_15 Depth=1
	v_cmp_ne_u32_e32 vcc_lo, 0, v74
	s_and_b32 exec_lo, exec_lo, vcc_lo
	s_cbranch_execz .LBB219_14
; %bb.78:                               ;   in Loop: Header=BB219_15 Depth=1
	s_waitcnt vmcnt(2) lgkmcnt(2)
	v_dual_add_f32 v5, v5, v6 :: v_dual_lshlrev_b32 v6, 16, v8
	s_delay_alu instid0(VALU_DEP_1) | instskip(NEXT) | instid1(VALU_DEP_1)
	v_add_f32_e32 v6, v5, v6
	v_and_b32_e32 v5, 0x7f800000, v6
	s_delay_alu instid0(VALU_DEP_1) | instskip(SKIP_1) | instid1(SALU_CYCLE_1)
	v_cmp_ne_u32_e32 vcc_lo, 0x7f800000, v5
                                        ; implicit-def: $vgpr5
	s_and_saveexec_b32 s2, vcc_lo
	s_xor_b32 s2, exec_lo, s2
; %bb.79:                               ;   in Loop: Header=BB219_15 Depth=1
	v_bfe_u32 v5, v6, 16, 1
	s_delay_alu instid0(VALU_DEP_1)
	v_add3_u32 v5, v6, v5, 0x7fff
                                        ; implicit-def: $vgpr6
; %bb.80:                               ;   in Loop: Header=BB219_15 Depth=1
	s_and_not1_saveexec_b32 s2, s2
; %bb.81:                               ;   in Loop: Header=BB219_15 Depth=1
	v_and_b32_e32 v5, 0xffff, v6
	v_or_b32_e32 v8, 0x10000, v6
	s_delay_alu instid0(VALU_DEP_2) | instskip(NEXT) | instid1(VALU_DEP_2)
	v_cmp_eq_u32_e32 vcc_lo, 0, v5
	v_cndmask_b32_e32 v5, v8, v6, vcc_lo
; %bb.82:                               ;   in Loop: Header=BB219_15 Depth=1
	s_or_b32 exec_lo, exec_lo, s2
	s_waitcnt lgkmcnt(1)
	v_add_f32_e32 v2, v2, v3
	s_waitcnt vmcnt(1)
	v_lshlrev_b32_e32 v3, 16, v7
	s_delay_alu instid0(VALU_DEP_1) | instskip(NEXT) | instid1(VALU_DEP_1)
	v_add_f32_e32 v3, v2, v3
	v_dual_mov_b32 v65, v66 :: v_dual_and_b32 v2, 0x7f800000, v3
	s_delay_alu instid0(VALU_DEP_1) | instskip(NEXT) | instid1(VALU_DEP_1)
	v_lshlrev_b64 v[6:7], 1, v[64:65]
	v_add_co_u32 v6, vcc_lo, s10, v6
	s_delay_alu instid0(VALU_DEP_2) | instskip(NEXT) | instid1(VALU_DEP_4)
	v_add_co_ci_u32_e32 v7, vcc_lo, s11, v7, vcc_lo
	v_cmp_ne_u32_e32 vcc_lo, 0x7f800000, v2
                                        ; implicit-def: $vgpr2
	global_store_d16_hi_b16 v[6:7], v5, off
	s_and_saveexec_b32 s2, vcc_lo
	s_delay_alu instid0(SALU_CYCLE_1)
	s_xor_b32 s2, exec_lo, s2
; %bb.83:                               ;   in Loop: Header=BB219_15 Depth=1
	v_bfe_u32 v2, v3, 16, 1
	s_delay_alu instid0(VALU_DEP_1)
	v_add3_u32 v2, v3, v2, 0x7fff
                                        ; implicit-def: $vgpr3
; %bb.84:                               ;   in Loop: Header=BB219_15 Depth=1
	s_and_not1_saveexec_b32 s2, s2
; %bb.85:                               ;   in Loop: Header=BB219_15 Depth=1
	v_and_b32_e32 v2, 0xffff, v3
	v_or_b32_e32 v5, 0x10000, v3
	s_delay_alu instid0(VALU_DEP_2) | instskip(NEXT) | instid1(VALU_DEP_2)
	v_cmp_eq_u32_e32 vcc_lo, 0, v2
	v_cndmask_b32_e32 v2, v5, v3, vcc_lo
; %bb.86:                               ;   in Loop: Header=BB219_15 Depth=1
	s_or_b32 exec_lo, exec_lo, s2
	s_waitcnt vmcnt(0) lgkmcnt(0)
	v_dual_add_f32 v0, v0, v1 :: v_dual_lshlrev_b32 v1, 16, v4
	v_add_nc_u32_e32 v65, s7, v64
	s_delay_alu instid0(VALU_DEP_2) | instskip(NEXT) | instid1(VALU_DEP_2)
	v_add_f32_e32 v1, v0, v1
	v_lshlrev_b64 v[3:4], 1, v[65:66]
	s_delay_alu instid0(VALU_DEP_2) | instskip(NEXT) | instid1(VALU_DEP_2)
	v_and_b32_e32 v0, 0x7f800000, v1
	v_add_co_u32 v3, vcc_lo, s10, v3
	s_delay_alu instid0(VALU_DEP_3) | instskip(NEXT) | instid1(VALU_DEP_3)
	v_add_co_ci_u32_e32 v4, vcc_lo, s11, v4, vcc_lo
	v_cmp_ne_u32_e32 vcc_lo, 0x7f800000, v0
                                        ; implicit-def: $vgpr0
	global_store_d16_hi_b16 v[3:4], v2, off
	s_and_saveexec_b32 s2, vcc_lo
	s_delay_alu instid0(SALU_CYCLE_1)
	s_xor_b32 s2, exec_lo, s2
; %bb.87:                               ;   in Loop: Header=BB219_15 Depth=1
	v_bfe_u32 v0, v1, 16, 1
	s_delay_alu instid0(VALU_DEP_1)
	v_add3_u32 v0, v1, v0, 0x7fff
                                        ; implicit-def: $vgpr1
; %bb.88:                               ;   in Loop: Header=BB219_15 Depth=1
	s_and_not1_saveexec_b32 s2, s2
	s_cbranch_execz .LBB219_13
; %bb.89:                               ;   in Loop: Header=BB219_15 Depth=1
	v_and_b32_e32 v0, 0xffff, v1
	v_or_b32_e32 v2, 0x10000, v1
	s_delay_alu instid0(VALU_DEP_2) | instskip(NEXT) | instid1(VALU_DEP_2)
	v_cmp_eq_u32_e32 vcc_lo, 0, v0
	v_cndmask_b32_e32 v0, v2, v1, vcc_lo
	s_branch .LBB219_13
.LBB219_90:
	s_nop 0
	s_sendmsg sendmsg(MSG_DEALLOC_VGPRS)
	s_endpgm
	.section	.rodata,"a",@progbits
	.p2align	6, 0x0
	.amdhsa_kernel _Z12wvSplitK_hf_I14__hip_bfloat16Li32ELi1ELi16ELi8ELi4ELi3EEviiiiiiPKT_S3_S3_PS1_ii
		.amdhsa_group_segment_fixed_size 65536
		.amdhsa_private_segment_fixed_size 0
		.amdhsa_kernarg_size 64
		.amdhsa_user_sgpr_count 15
		.amdhsa_user_sgpr_dispatch_ptr 0
		.amdhsa_user_sgpr_queue_ptr 0
		.amdhsa_user_sgpr_kernarg_segment_ptr 1
		.amdhsa_user_sgpr_dispatch_id 0
		.amdhsa_user_sgpr_private_segment_size 0
		.amdhsa_wavefront_size32 1
		.amdhsa_uses_dynamic_stack 0
		.amdhsa_enable_private_segment 0
		.amdhsa_system_sgpr_workgroup_id_x 1
		.amdhsa_system_sgpr_workgroup_id_y 0
		.amdhsa_system_sgpr_workgroup_id_z 0
		.amdhsa_system_sgpr_workgroup_info 0
		.amdhsa_system_vgpr_workitem_id 1
		.amdhsa_next_free_vgpr 87
		.amdhsa_next_free_sgpr 30
		.amdhsa_reserve_vcc 1
		.amdhsa_float_round_mode_32 0
		.amdhsa_float_round_mode_16_64 0
		.amdhsa_float_denorm_mode_32 3
		.amdhsa_float_denorm_mode_16_64 3
		.amdhsa_dx10_clamp 1
		.amdhsa_ieee_mode 1
		.amdhsa_fp16_overflow 0
		.amdhsa_workgroup_processor_mode 1
		.amdhsa_memory_ordered 1
		.amdhsa_forward_progress 0
		.amdhsa_shared_vgpr_count 0
		.amdhsa_exception_fp_ieee_invalid_op 0
		.amdhsa_exception_fp_denorm_src 0
		.amdhsa_exception_fp_ieee_div_zero 0
		.amdhsa_exception_fp_ieee_overflow 0
		.amdhsa_exception_fp_ieee_underflow 0
		.amdhsa_exception_fp_ieee_inexact 0
		.amdhsa_exception_int_div_zero 0
	.end_amdhsa_kernel
	.section	.text._Z12wvSplitK_hf_I14__hip_bfloat16Li32ELi1ELi16ELi8ELi4ELi3EEviiiiiiPKT_S3_S3_PS1_ii,"axG",@progbits,_Z12wvSplitK_hf_I14__hip_bfloat16Li32ELi1ELi16ELi8ELi4ELi3EEviiiiiiPKT_S3_S3_PS1_ii,comdat
.Lfunc_end219:
	.size	_Z12wvSplitK_hf_I14__hip_bfloat16Li32ELi1ELi16ELi8ELi4ELi3EEviiiiiiPKT_S3_S3_PS1_ii, .Lfunc_end219-_Z12wvSplitK_hf_I14__hip_bfloat16Li32ELi1ELi16ELi8ELi4ELi3EEviiiiiiPKT_S3_S3_PS1_ii
                                        ; -- End function
	.section	.AMDGPU.csdata,"",@progbits
; Kernel info:
; codeLenInByte = 5700
; NumSgprs: 32
; NumVgprs: 87
; ScratchSize: 0
; MemoryBound: 0
; FloatMode: 240
; IeeeMode: 1
; LDSByteSize: 65536 bytes/workgroup (compile time only)
; SGPRBlocks: 3
; VGPRBlocks: 10
; NumSGPRsForWavesPerEU: 32
; NumVGPRsForWavesPerEU: 87
; Occupancy: 8
; WaveLimiterHint : 0
; COMPUTE_PGM_RSRC2:SCRATCH_EN: 0
; COMPUTE_PGM_RSRC2:USER_SGPR: 15
; COMPUTE_PGM_RSRC2:TRAP_HANDLER: 0
; COMPUTE_PGM_RSRC2:TGID_X_EN: 1
; COMPUTE_PGM_RSRC2:TGID_Y_EN: 0
; COMPUTE_PGM_RSRC2:TGID_Z_EN: 0
; COMPUTE_PGM_RSRC2:TIDIG_COMP_CNT: 1
	.section	.text._Z16wvSplitK_hf_big_I14__hip_bfloat16Li32ELi1ELi16ELi8ELi4ELi3EEviiiiiiPKT_S3_S3_PS1_ii,"axG",@progbits,_Z16wvSplitK_hf_big_I14__hip_bfloat16Li32ELi1ELi16ELi8ELi4ELi3EEviiiiiiPKT_S3_S3_PS1_ii,comdat
	.protected	_Z16wvSplitK_hf_big_I14__hip_bfloat16Li32ELi1ELi16ELi8ELi4ELi3EEviiiiiiPKT_S3_S3_PS1_ii ; -- Begin function _Z16wvSplitK_hf_big_I14__hip_bfloat16Li32ELi1ELi16ELi8ELi4ELi3EEviiiiiiPKT_S3_S3_PS1_ii
	.globl	_Z16wvSplitK_hf_big_I14__hip_bfloat16Li32ELi1ELi16ELi8ELi4ELi3EEviiiiiiPKT_S3_S3_PS1_ii
	.p2align	8
	.type	_Z16wvSplitK_hf_big_I14__hip_bfloat16Li32ELi1ELi16ELi8ELi4ELi3EEviiiiiiPKT_S3_S3_PS1_ii,@function
_Z16wvSplitK_hf_big_I14__hip_bfloat16Li32ELi1ELi16ELi8ELi4ELi3EEviiiiiiPKT_S3_S3_PS1_ii: ; @_Z16wvSplitK_hf_big_I14__hip_bfloat16Li32ELi1ELi16ELi8ELi4ELi3EEviiiiiiPKT_S3_S3_PS1_ii
; %bb.0:
	s_load_b64 s[20:21], s[0:1], 0x38
	v_bfe_u32 v1, v0, 10, 10
	s_mov_b32 s2, exec_lo
	s_waitcnt lgkmcnt(0)
	s_delay_alu instid0(VALU_DEP_1)
	v_cmpx_gt_u32_e64 s20, v1
	s_cbranch_execz .LBB220_50
; %bb.1:
	s_load_b128 s[16:19], s[0:1], 0x0
	v_mad_u64_u32 v[64:65], null, s15, s20, v[1:2]
	s_delay_alu instid0(VALU_DEP_1) | instskip(SKIP_2) | instid1(VALU_DEP_2)
	v_dual_mov_b32 v67, 1 :: v_dual_add_nc_u32 v2, 1, v64
	s_waitcnt lgkmcnt(0)
	v_cmp_gt_u32_e32 vcc_lo, s19, v64
	v_cmp_le_u32_e64 s2, s19, v2
	s_delay_alu instid0(VALU_DEP_1) | instskip(NEXT) | instid1(SALU_CYCLE_1)
	s_and_b32 s3, vcc_lo, s2
	s_and_saveexec_b32 s2, s3
; %bb.2:
	v_subrev_nc_u32_e32 v2, s19, v64
	s_add_i32 s3, s19, -1
	s_delay_alu instid0(SALU_CYCLE_1) | instskip(NEXT) | instid1(VALU_DEP_2)
	v_mov_b32_e32 v64, s3
	v_cmp_eq_u32_e32 vcc_lo, -1, v2
	v_cndmask_b32_e64 v67, 0, 1, vcc_lo
; %bb.3:
	s_or_b32 exec_lo, exec_lo, s2
	s_abs_i32 s2, s20
	s_abs_i32 s5, s19
	v_cvt_f32_u32_e32 v2, s2
	s_sub_i32 s4, 0, s2
	s_mov_b32 s14, 0
	s_delay_alu instid0(VALU_DEP_1) | instskip(SKIP_2) | instid1(VALU_DEP_1)
	v_rcp_iflag_f32_e32 v2, v2
	s_waitcnt_depctr 0xfff
	v_mul_f32_e32 v2, 0x4f7ffffe, v2
	v_cvt_u32_f32_e32 v2, v2
	s_delay_alu instid0(VALU_DEP_1) | instskip(NEXT) | instid1(VALU_DEP_1)
	v_readfirstlane_b32 s3, v2
	s_mul_i32 s4, s4, s3
	s_delay_alu instid0(SALU_CYCLE_1) | instskip(NEXT) | instid1(SALU_CYCLE_1)
	s_mul_hi_u32 s4, s3, s4
	s_add_i32 s3, s3, s4
	s_ashr_i32 s4, s19, 31
	s_mul_hi_u32 s3, s5, s3
	s_delay_alu instid0(SALU_CYCLE_1) | instskip(NEXT) | instid1(SALU_CYCLE_1)
	s_mul_i32 s3, s3, s2
	s_sub_i32 s3, s5, s3
	s_delay_alu instid0(SALU_CYCLE_1) | instskip(SKIP_2) | instid1(SALU_CYCLE_1)
	s_sub_i32 s5, s3, s2
	s_cmp_ge_u32 s3, s2
	s_cselect_b32 s3, s5, s3
	s_sub_i32 s5, s3, s2
	s_cmp_ge_u32 s3, s2
	s_cselect_b32 s2, s5, s3
	s_add_i32 s3, s20, s19
	s_xor_b32 s2, s2, s4
	s_delay_alu instid0(SALU_CYCLE_1) | instskip(NEXT) | instid1(SALU_CYCLE_1)
	s_sub_i32 s2, s2, s4
	s_sub_i32 s3, s3, s2
	s_cmp_eq_u32 s2, 0
	s_cselect_b32 s3, s19, s3
	s_delay_alu instid0(SALU_CYCLE_1)
	v_cmp_gt_u32_e32 vcc_lo, s3, v64
	s_and_b32 exec_lo, exec_lo, vcc_lo
	s_cbranch_execz .LBB220_50
; %bb.4:
	s_load_b256 s[4:11], s[0:1], 0x10
	s_min_u32 s15, s18, 0x2800
	s_cmp_lg_u32 s16, 0
	v_and_b32_e32 v0, 0x3ff, v0
	s_cselect_b32 s22, -1, 0
	s_cmp_lg_u32 s18, 0
	s_load_b64 s[12:13], s[0:1], 0x30
	s_cselect_b32 s23, -1, 0
	s_lshl_b32 s24, s20, 8
	s_add_i32 s25, s16, -8
	s_add_i32 s26, s19, -1
	v_cmp_eq_u32_e64 s0, 31, v0
	v_mbcnt_lo_u32_b32 v68, -1, 0
	v_lshlrev_b32_e32 v69, 3, v0
	v_lshlrev_b32_e32 v0, 4, v0
	s_delay_alu instid0(VALU_DEP_2)
	v_lshl_add_u32 v70, v1, 8, v69
	v_mov_b32_e32 v66, 0
	s_waitcnt lgkmcnt(0)
	s_cmp_lg_u64 s[10:11], 0
	v_cvt_f32_u32_e32 v3, s4
	s_cselect_b32 s27, -1, 0
	v_add_nc_u32_e32 v73, s18, v70
	s_abs_i32 s2, s5
	s_mul_i32 s5, s21, s20
	v_cvt_f32_u32_e32 v2, s2
	v_rcp_iflag_f32_e32 v3, v3
	s_sub_i32 s29, 0, s2
	s_sub_i32 s21, s5, s19
	;; [unrolled: 1-line block ×3, first 2 shown]
	v_rcp_iflag_f32_e32 v2, v2
	s_add_i32 s21, s21, 2
	s_sub_i32 s30, 1, s2
	v_lshl_add_u32 v71, v1, 9, v0
	v_lshl_add_u32 v72, s18, 1, v70
	s_waitcnt_depctr 0xfff
	v_mul_f32_e32 v2, 0x4f7ffffe, v2
	s_delay_alu instid0(VALU_DEP_1) | instskip(NEXT) | instid1(VALU_DEP_1)
	v_cvt_u32_f32_e32 v2, v2
	v_readfirstlane_b32 s1, v2
	v_mul_f32_e32 v2, 0x4f7ffffe, v3
	s_delay_alu instid0(VALU_DEP_2) | instskip(NEXT) | instid1(VALU_DEP_1)
	s_mul_i32 s29, s29, s1
	v_cvt_u32_f32_e32 v2, v2
	s_mul_hi_u32 s29, s1, s29
	s_delay_alu instid0(SALU_CYCLE_1) | instskip(SKIP_1) | instid1(VALU_DEP_1)
	s_add_i32 s1, s1, s29
	s_cmp_lt_u32 s2, 2
	v_mul_lo_u32 v3, s28, v2
	s_cselect_b32 s28, s30, 1
	s_delay_alu instid0(SALU_CYCLE_1) | instskip(SKIP_3) | instid1(VALU_DEP_1)
	s_sub_i32 s29, s28, s2
	s_cmp_ge_u32 s28, s2
	s_cselect_b32 s28, s29, s28
	s_lshr_b32 s1, s1, 31
	v_mul_hi_u32 v3, v2, v3
	s_mul_i32 s1, s1, s2
	s_mul_i32 s28, s28, s4
	s_sub_i32 s1, 2, s1
	s_delay_alu instid0(SALU_CYCLE_1) | instskip(SKIP_2) | instid1(VALU_DEP_1)
	s_sub_i32 s29, s1, s2
	s_cmp_ge_u32 s1, s2
	s_cselect_b32 s1, s29, s1
	v_add_nc_u32_e32 v74, v2, v3
	s_sub_i32 s29, s1, s2
	s_cmp_ge_u32 s1, s2
	s_cselect_b32 s30, s29, s1
	s_lshl_b32 s29, s15, 2
	s_lshl_b32 s20, s20, 9
	s_mul_i32 s30, s30, s4
	s_lshl_b32 s31, s15, 1
	s_branch .LBB220_7
.LBB220_5:                              ;   in Loop: Header=BB220_7 Depth=1
	s_or_b32 exec_lo, exec_lo, s1
.LBB220_6:                              ;   in Loop: Header=BB220_7 Depth=1
	s_delay_alu instid0(SALU_CYCLE_1) | instskip(NEXT) | instid1(VALU_DEP_1)
	s_or_b32 exec_lo, exec_lo, s2
	v_cmp_le_u32_e32 vcc_lo, s3, v0
	v_mov_b32_e32 v64, v0
	s_or_b32 s14, vcc_lo, s14
	s_delay_alu instid0(SALU_CYCLE_1)
	s_and_not1_b32 exec_lo, exec_lo, s14
	s_cbranch_execz .LBB220_50
.LBB220_7:                              ; =>This Loop Header: Depth=1
                                        ;     Child Loop BB220_14 Depth 2
                                        ;       Child Loop BB220_19 Depth 3
	v_mov_b32_e32 v77, v66
	v_mov_b32_e32 v78, v66
	;; [unrolled: 1-line block ×3, first 2 shown]
	s_and_not1_b32 vcc_lo, exec_lo, s22
	s_mov_b32 s33, 0
	s_cbranch_vccnz .LBB220_28
; %bb.8:                                ;   in Loop: Header=BB220_7 Depth=1
	v_min_u32_e32 v0, s26, v64
	v_cmp_gt_u32_e64 s1, s19, v64
	v_dual_mov_b32 v79, 0 :: v_dual_mov_b32 v78, 0
	v_mov_b32_e32 v77, 0
	s_delay_alu instid0(VALU_DEP_4) | instskip(SKIP_1) | instid1(VALU_DEP_1)
	v_mul_lo_u32 v65, v0, s17
	s_mov_b32 s34, 0
	v_lshlrev_b64 v[0:1], 1, v[65:66]
	s_delay_alu instid0(VALU_DEP_1) | instskip(NEXT) | instid1(VALU_DEP_2)
	v_add_co_u32 v75, vcc_lo, s6, v0
	v_add_co_ci_u32_e32 v76, vcc_lo, s7, v1, vcc_lo
	s_branch .LBB220_14
.LBB220_9:                              ;   in Loop: Header=BB220_14 Depth=2
	s_or_b32 exec_lo, exec_lo, s38
.LBB220_10:                             ;   in Loop: Header=BB220_14 Depth=2
	s_delay_alu instid0(SALU_CYCLE_1)
	s_or_b32 exec_lo, exec_lo, s37
.LBB220_11:                             ;   in Loop: Header=BB220_14 Depth=2
	s_delay_alu instid0(SALU_CYCLE_1)
	s_or_b32 exec_lo, exec_lo, s36
.LBB220_12:                             ;   in Loop: Header=BB220_14 Depth=2
	s_delay_alu instid0(SALU_CYCLE_1)
	s_or_b32 exec_lo, exec_lo, s35
	s_waitcnt lgkmcnt(2)
	v_and_b32_e32 v65, 0xffff0000, v60
	v_lshlrev_b32_e32 v60, 16, v60
	v_and_b32_e32 v81, 0xffff0000, v61
	s_waitcnt vmcnt(3)
	v_and_b32_e32 v82, 0xffff0000, v49
	v_and_b32_e32 v80, 0xffff0000, v48
	v_lshlrev_b32_e32 v61, 16, v61
	s_delay_alu instid0(VALU_DEP_3) | instskip(NEXT) | instid1(VALU_DEP_3)
	v_mul_f32_e32 v81, v81, v82
	v_mul_f32_e32 v65, v65, v80
	v_lshlrev_b32_e32 v49, 16, v49
	s_delay_alu instid0(VALU_DEP_1) | instskip(NEXT) | instid1(VALU_DEP_1)
	v_dual_fmac_f32 v81, v61, v49 :: v_dual_lshlrev_b32 v48, 16, v48
	v_dual_fmac_f32 v65, v60, v48 :: v_dual_and_b32 v60, 0xffff0000, v50
	s_waitcnt lgkmcnt(1)
	v_and_b32_e32 v61, 0xffff0000, v56
	v_lshlrev_b32_e32 v50, 16, v50
	s_delay_alu instid0(VALU_DEP_3) | instskip(SKIP_1) | instid1(VALU_DEP_4)
	v_dual_add_f32 v65, v79, v65 :: v_dual_lshlrev_b32 v56, 16, v56
	v_and_b32_e32 v83, 0xffff0000, v62
	v_dual_mul_f32 v61, v61, v80 :: v_dual_lshlrev_b32 v62, 16, v62
	s_delay_alu instid0(VALU_DEP_2) | instskip(SKIP_1) | instid1(VALU_DEP_3)
	v_mul_f32_e32 v79, v83, v60
	v_and_b32_e32 v83, 0xffff0000, v51
	v_dual_fmac_f32 v61, v56, v48 :: v_dual_lshlrev_b32 v56, 16, v57
	s_delay_alu instid0(VALU_DEP_3) | instskip(SKIP_2) | instid1(VALU_DEP_3)
	v_dual_fmac_f32 v79, v62, v50 :: v_dual_add_f32 v62, v65, v81
	v_and_b32_e32 v81, 0xffff0000, v57
	s_waitcnt lgkmcnt(0)
	v_dual_add_f32 v61, v78, v61 :: v_dual_and_b32 v78, 0xffff0000, v52
	v_lshlrev_b32_e32 v52, 16, v52
	s_delay_alu instid0(VALU_DEP_3) | instskip(SKIP_1) | instid1(VALU_DEP_2)
	v_dual_add_f32 v62, v62, v79 :: v_dual_mul_f32 v57, v81, v82
	v_and_b32_e32 v81, 0xffff0000, v58
	v_dual_fmac_f32 v57, v56, v49 :: v_dual_lshlrev_b32 v56, 16, v58
	s_delay_alu instid0(VALU_DEP_2) | instskip(NEXT) | instid1(VALU_DEP_1)
	v_mul_f32_e32 v58, v81, v60
	v_dual_add_f32 v57, v61, v57 :: v_dual_fmac_f32 v58, v56, v50
	v_dual_mul_f32 v56, v78, v80 :: v_dual_and_b32 v65, 0xffff0000, v63
	s_delay_alu instid0(VALU_DEP_1) | instskip(SKIP_1) | instid1(VALU_DEP_3)
	v_dual_add_f32 v57, v57, v58 :: v_dual_fmac_f32 v56, v52, v48
	v_lshlrev_b32_e32 v63, 16, v63
	v_dual_mul_f32 v65, v65, v83 :: v_dual_lshlrev_b32 v48, 16, v53
	v_and_b32_e32 v58, 0xffff0000, v59
	s_delay_alu instid0(VALU_DEP_4) | instskip(NEXT) | instid1(VALU_DEP_1)
	v_dual_add_f32 v56, v77, v56 :: v_dual_lshlrev_b32 v51, 16, v51
	v_fmac_f32_e32 v65, v63, v51
	s_delay_alu instid0(VALU_DEP_1) | instskip(SKIP_1) | instid1(VALU_DEP_1)
	v_add_f32_e32 v61, v62, v65
	v_and_b32_e32 v62, 0xffff0000, v53
	v_dual_mul_f32 v52, v62, v82 :: v_dual_lshlrev_b32 v53, 16, v59
	s_delay_alu instid0(VALU_DEP_1)
	v_dual_fmac_f32 v52, v48, v49 :: v_dual_and_b32 v59, 0xffff0000, v54
	v_mul_f32_e32 v58, v58, v83
	v_lshlrev_b32_e32 v48, 16, v54
	s_waitcnt vmcnt(2)
	v_and_b32_e32 v54, 0xffff0000, v36
	v_add_f32_e32 v52, v56, v52
	v_dual_fmac_f32 v58, v53, v51 :: v_dual_and_b32 v53, 0xffff0000, v44
	v_dual_mul_f32 v49, v59, v60 :: v_dual_and_b32 v56, 0xffff0000, v37
	v_and_b32_e32 v59, 0xffff0000, v38
	v_lshlrev_b32_e32 v38, 16, v38
	s_delay_alu instid0(VALU_DEP_3) | instskip(SKIP_3) | instid1(VALU_DEP_4)
	v_dual_fmac_f32 v49, v48, v50 :: v_dual_lshlrev_b32 v44, 16, v44
	v_and_b32_e32 v50, 0xffff0000, v55
	v_lshlrev_b32_e32 v55, 16, v55
	v_lshlrev_b32_e32 v37, 16, v37
	v_dual_add_f32 v49, v52, v49 :: v_dual_lshlrev_b32 v36, 16, v36
	s_delay_alu instid0(VALU_DEP_4) | instskip(SKIP_1) | instid1(VALU_DEP_2)
	v_mul_f32_e32 v50, v50, v83
	v_and_b32_e32 v52, 0xffff0000, v41
	v_fmac_f32_e32 v50, v55, v51
	v_dual_mul_f32 v48, v53, v54 :: v_dual_and_b32 v51, 0xffff0000, v39
	s_delay_alu instid0(VALU_DEP_1) | instskip(SKIP_1) | instid1(VALU_DEP_2)
	v_dual_fmac_f32 v48, v44, v36 :: v_dual_and_b32 v53, 0xffff0000, v45
	v_lshlrev_b32_e32 v44, 16, v45
	v_add_f32_e32 v48, v61, v48
	s_delay_alu instid0(VALU_DEP_3) | instskip(NEXT) | instid1(VALU_DEP_1)
	v_mul_f32_e32 v45, v53, v56
	v_dual_fmac_f32 v45, v44, v37 :: v_dual_lshlrev_b32 v44, 16, v46
	s_delay_alu instid0(VALU_DEP_1) | instskip(NEXT) | instid1(VALU_DEP_1)
	v_dual_add_f32 v45, v48, v45 :: v_dual_and_b32 v48, 0xffff0000, v47
	v_dual_mul_f32 v48, v48, v51 :: v_dual_and_b32 v53, 0xffff0000, v46
	s_delay_alu instid0(VALU_DEP_1) | instskip(SKIP_1) | instid1(VALU_DEP_2)
	v_mul_f32_e32 v46, v53, v59
	v_add_f32_e32 v53, v57, v58
	v_dual_fmac_f32 v46, v44, v38 :: v_dual_lshlrev_b32 v39, 16, v39
	v_and_b32_e32 v44, 0xffff0000, v40
	v_lshlrev_b32_e32 v47, 16, v47
	s_delay_alu instid0(VALU_DEP_3) | instskip(NEXT) | instid1(VALU_DEP_3)
	v_add_f32_e32 v45, v45, v46
	v_mul_f32_e32 v44, v44, v54
	s_delay_alu instid0(VALU_DEP_3) | instskip(SKIP_3) | instid1(VALU_DEP_3)
	v_dual_fmac_f32 v48, v47, v39 :: v_dual_and_b32 v47, 0xffff0000, v42
	v_lshlrev_b32_e32 v40, 16, v40
	v_lshlrev_b32_e32 v42, 16, v42
	v_add_f32_e32 v46, v49, v50
	v_dual_fmac_f32 v44, v40, v36 :: v_dual_mul_f32 v47, v47, v59
	v_dual_mul_f32 v41, v52, v56 :: v_dual_lshlrev_b32 v40, 16, v41
	s_delay_alu instid0(VALU_DEP_2) | instskip(SKIP_1) | instid1(VALU_DEP_3)
	v_dual_add_f32 v44, v53, v44 :: v_dual_fmac_f32 v47, v42, v38
	v_and_b32_e32 v42, 0xffff0000, v33
	v_dual_fmac_f32 v41, v40, v37 :: v_dual_add_f32 v40, v45, v48
	s_delay_alu instid0(VALU_DEP_1) | instskip(SKIP_2) | instid1(VALU_DEP_2)
	v_dual_add_f32 v41, v44, v41 :: v_dual_and_b32 v44, 0xffff0000, v43
	v_and_b32_e32 v45, 0xffff0000, v32
	v_lshlrev_b32_e32 v32, 16, v32
	v_dual_mul_f32 v44, v44, v51 :: v_dual_mul_f32 v45, v45, v54
	s_delay_alu instid0(VALU_DEP_1) | instskip(SKIP_3) | instid1(VALU_DEP_4)
	v_fmac_f32_e32 v45, v32, v36
	v_lshlrev_b32_e32 v43, 16, v43
	v_dual_mul_f32 v33, v42, v56 :: v_dual_lshlrev_b32 v32, 16, v33
	v_dual_add_f32 v36, v41, v47 :: v_dual_and_b32 v41, 0xffff0000, v34
	v_add_f32_e32 v42, v46, v45
	s_delay_alu instid0(VALU_DEP_3)
	v_dual_fmac_f32 v44, v43, v39 :: v_dual_fmac_f32 v33, v32, v37
	v_and_b32_e32 v37, 0xffff0000, v28
	s_waitcnt vmcnt(1)
	v_and_b32_e32 v43, 0xffff0000, v18
	v_lshlrev_b32_e32 v18, 16, v18
	v_dual_add_f32 v36, v36, v44 :: v_dual_add_f32 v33, v42, v33
	v_and_b32_e32 v42, 0xffff0000, v17
	v_lshlrev_b32_e32 v17, 16, v17
	v_lshlrev_b32_e32 v32, 16, v34
	v_dual_mul_f32 v34, v41, v59 :: v_dual_and_b32 v41, 0xffff0000, v16
	s_delay_alu instid0(VALU_DEP_1) | instskip(NEXT) | instid1(VALU_DEP_2)
	v_fmac_f32_e32 v34, v32, v38
	v_dual_mul_f32 v32, v37, v41 :: v_dual_and_b32 v37, 0xffff0000, v35
	v_lshlrev_b32_e32 v35, 16, v35
	s_delay_alu instid0(VALU_DEP_3) | instskip(NEXT) | instid1(VALU_DEP_3)
	v_dual_add_f32 v33, v33, v34 :: v_dual_lshlrev_b32 v28, 16, v28
	v_dual_mul_f32 v37, v37, v51 :: v_dual_and_b32 v38, 0xffff0000, v29
	v_lshlrev_b32_e32 v16, 16, v16
	s_delay_alu instid0(VALU_DEP_2) | instskip(NEXT) | instid1(VALU_DEP_2)
	v_dual_fmac_f32 v37, v35, v39 :: v_dual_and_b32 v34, 0xffff0000, v24
	v_fmac_f32_e32 v32, v28, v16
	s_delay_alu instid0(VALU_DEP_4) | instskip(SKIP_2) | instid1(VALU_DEP_4)
	v_dual_mul_f32 v29, v38, v42 :: v_dual_lshlrev_b32 v28, 16, v29
	v_and_b32_e32 v35, 0xffff0000, v19
	v_lshlrev_b32_e32 v24, 16, v24
	v_dual_add_f32 v32, v40, v32 :: v_dual_lshlrev_b32 v19, 16, v19
	s_delay_alu instid0(VALU_DEP_4) | instskip(NEXT) | instid1(VALU_DEP_1)
	v_dual_fmac_f32 v29, v28, v17 :: v_dual_and_b32 v38, 0xffff0000, v30
	v_dual_add_f32 v29, v32, v29 :: v_dual_lshlrev_b32 v28, 16, v30
	s_delay_alu instid0(VALU_DEP_2) | instskip(SKIP_1) | instid1(VALU_DEP_2)
	v_mul_f32_e32 v30, v38, v43
	v_and_b32_e32 v32, 0xffff0000, v31
	v_dual_fmac_f32 v30, v28, v18 :: v_dual_lshlrev_b32 v31, 16, v31
	v_mul_f32_e32 v28, v34, v41
	s_delay_alu instid0(VALU_DEP_2) | instskip(NEXT) | instid1(VALU_DEP_2)
	v_dual_add_f32 v29, v29, v30 :: v_dual_and_b32 v34, 0xffff0000, v25
	v_fmac_f32_e32 v28, v24, v16
	s_delay_alu instid0(VALU_DEP_2) | instskip(SKIP_2) | instid1(VALU_DEP_4)
	v_dual_mul_f32 v25, v34, v42 :: v_dual_lshlrev_b32 v24, 16, v25
	v_and_b32_e32 v34, 0xffff0000, v26
	v_and_b32_e32 v30, 0xffff0000, v20
	v_add_f32_e32 v28, v36, v28
	s_delay_alu instid0(VALU_DEP_4) | instskip(SKIP_1) | instid1(VALU_DEP_2)
	v_dual_fmac_f32 v25, v24, v17 :: v_dual_lshlrev_b32 v20, 16, v20
	v_lshlrev_b32_e32 v24, 16, v26
	v_dual_mul_f32 v26, v34, v43 :: v_dual_add_f32 v25, v28, v25
	v_add_f32_e32 v28, v33, v37
	s_delay_alu instid0(VALU_DEP_2) | instskip(SKIP_2) | instid1(VALU_DEP_2)
	v_fmac_f32_e32 v26, v24, v18
	v_mul_f32_e32 v24, v30, v41
	v_and_b32_e32 v30, 0xffff0000, v21
	v_fmac_f32_e32 v24, v20, v16
	s_delay_alu instid0(VALU_DEP_2) | instskip(NEXT) | instid1(VALU_DEP_2)
	v_mul_f32_e32 v20, v30, v42
	v_add_f32_e32 v24, v28, v24
	s_waitcnt vmcnt(0)
	v_and_b32_e32 v28, 0xffff0000, v2
	v_lshlrev_b32_e32 v16, 16, v21
	v_and_b32_e32 v21, 0xffff0000, v27
	v_lshlrev_b32_e32 v27, 16, v27
	v_add_f32_e32 v25, v25, v26
	v_and_b32_e32 v26, 0xffff0000, v22
	v_fmac_f32_e32 v20, v16, v17
	v_lshlrev_b32_e32 v16, 16, v22
	v_lshlrev_b32_e32 v2, 16, v2
	s_delay_alu instid0(VALU_DEP_4) | instskip(SKIP_3) | instid1(VALU_DEP_4)
	v_dual_mul_f32 v17, v26, v43 :: v_dual_and_b32 v22, 0xffff0000, v12
	v_and_b32_e32 v26, 0xffff0000, v0
	v_add_f32_e32 v20, v24, v20
	v_lshlrev_b32_e32 v12, 16, v12
	v_dual_fmac_f32 v17, v16, v18 :: v_dual_lshlrev_b32 v0, 16, v0
	s_delay_alu instid0(VALU_DEP_4) | instskip(SKIP_3) | instid1(VALU_DEP_4)
	v_mul_f32_e32 v16, v22, v26
	v_and_b32_e32 v22, 0xffff0000, v13
	v_and_b32_e32 v24, 0xffff0000, v1
	v_dual_mul_f32 v32, v32, v35 :: v_dual_lshlrev_b32 v1, 16, v1
	v_fmac_f32_e32 v16, v12, v0
	s_delay_alu instid0(VALU_DEP_3)
	v_dual_mul_f32 v13, v22, v24 :: v_dual_lshlrev_b32 v12, 16, v13
	v_and_b32_e32 v22, 0xffff0000, v14
	v_and_b32_e32 v18, 0xffff0000, v23
	v_mul_f32_e32 v21, v21, v35
	v_lshlrev_b32_e32 v23, 16, v23
	v_dual_fmac_f32 v13, v12, v1 :: v_dual_lshlrev_b32 v12, 16, v14
	v_mul_f32_e32 v14, v22, v28
	v_mul_f32_e32 v18, v18, v35
	s_delay_alu instid0(VALU_DEP_2) | instskip(SKIP_1) | instid1(VALU_DEP_3)
	v_dual_fmac_f32 v21, v27, v19 :: v_dual_fmac_f32 v14, v12, v2
	v_fmac_f32_e32 v32, v31, v19
	v_fmac_f32_e32 v18, v23, v19
	v_and_b32_e32 v19, 0xffff0000, v3
	v_lshlrev_b32_e32 v3, 16, v3
	v_and_b32_e32 v12, 0xffff0000, v4
	v_add_f32_e32 v29, v29, v32
	v_lshlrev_b32_e32 v4, 16, v4
	s_delay_alu instid0(VALU_DEP_3) | instskip(NEXT) | instid1(VALU_DEP_3)
	v_mul_f32_e32 v12, v12, v26
	v_add_f32_e32 v16, v29, v16
	s_delay_alu instid0(VALU_DEP_2) | instskip(NEXT) | instid1(VALU_DEP_2)
	v_fmac_f32_e32 v12, v4, v0
	v_add_f32_e32 v13, v16, v13
	v_lshlrev_b32_e32 v4, 16, v5
	v_add_f32_e32 v16, v25, v21
	s_delay_alu instid0(VALU_DEP_3) | instskip(NEXT) | instid1(VALU_DEP_2)
	v_dual_add_f32 v13, v13, v14 :: v_dual_and_b32 v14, 0xffff0000, v15
	v_dual_add_f32 v12, v16, v12 :: v_dual_lshlrev_b32 v15, 16, v15
	s_delay_alu instid0(VALU_DEP_2) | instskip(NEXT) | instid1(VALU_DEP_1)
	v_mul_f32_e32 v14, v14, v19
	v_fmac_f32_e32 v14, v15, v3
	s_delay_alu instid0(VALU_DEP_1) | instskip(SKIP_1) | instid1(VALU_DEP_1)
	v_add_f32_e32 v79, v13, v14
	v_add_f32_e32 v17, v20, v17
	v_dual_add_f32 v17, v17, v18 :: v_dual_and_b32 v18, 0xffff0000, v5
	s_delay_alu instid0(VALU_DEP_1) | instskip(SKIP_1) | instid1(VALU_DEP_2)
	v_mul_f32_e32 v5, v18, v24
	v_and_b32_e32 v18, 0xffff0000, v8
	v_dual_fmac_f32 v5, v4, v1 :: v_dual_lshlrev_b32 v8, 16, v8
	v_and_b32_e32 v4, 0xffff0000, v6
	s_delay_alu instid0(VALU_DEP_3)
	v_mul_f32_e32 v16, v18, v26
	v_lshlrev_b32_e32 v6, 16, v6
	v_and_b32_e32 v18, 0xffff0000, v9
	v_add_f32_e32 v5, v12, v5
	v_mul_f32_e32 v4, v4, v28
	v_fmac_f32_e32 v16, v8, v0
	v_lshlrev_b32_e32 v0, 16, v9
	v_dual_mul_f32 v8, v18, v24 :: v_dual_and_b32 v9, 0xffff0000, v7
	s_delay_alu instid0(VALU_DEP_4) | instskip(SKIP_2) | instid1(VALU_DEP_4)
	v_fmac_f32_e32 v4, v6, v2
	v_and_b32_e32 v6, 0xffff0000, v10
	v_add_f32_e32 v12, v17, v16
	v_fmac_f32_e32 v8, v0, v1
	v_dual_mul_f32 v9, v9, v19 :: v_dual_lshlrev_b32 v0, 16, v10
	s_delay_alu instid0(VALU_DEP_4) | instskip(NEXT) | instid1(VALU_DEP_3)
	v_dual_mul_f32 v1, v6, v28 :: v_dual_lshlrev_b32 v6, 16, v7
	v_dual_add_f32 v8, v12, v8 :: v_dual_and_b32 v7, 0xffff0000, v11
	s_delay_alu instid0(VALU_DEP_2) | instskip(SKIP_1) | instid1(VALU_DEP_3)
	v_dual_add_f32 v4, v5, v4 :: v_dual_fmac_f32 v1, v0, v2
	v_lshlrev_b32_e32 v0, 16, v11
	v_mul_f32_e32 v2, v7, v19
	v_fmac_f32_e32 v9, v6, v3
	s_delay_alu instid0(VALU_DEP_4) | instskip(NEXT) | instid1(VALU_DEP_3)
	v_add_f32_e32 v1, v8, v1
	v_fmac_f32_e32 v2, v0, v3
	s_delay_alu instid0(VALU_DEP_1)
	v_dual_add_f32 v78, v4, v9 :: v_dual_add_f32 v77, v1, v2
.LBB220_13:                             ;   in Loop: Header=BB220_14 Depth=2
	s_or_b32 exec_lo, exec_lo, s2
	s_addk_i32 s34, 0x400
	s_delay_alu instid0(SALU_CYCLE_1)
	s_cmp_ge_u32 s34, s16
	s_cbranch_scc1 .LBB220_28
.LBB220_14:                             ;   Parent Loop BB220_7 Depth=1
                                        ; =>  This Loop Header: Depth=2
                                        ;       Child Loop BB220_19 Depth 3
	s_cmp_eq_u32 s34, 0
	s_cselect_b32 s35, -1, 0
	s_add_i32 s2, s33, s15
	s_delay_alu instid0(SALU_CYCLE_1) | instskip(SKIP_1) | instid1(SALU_CYCLE_1)
	s_cmp_eq_u32 s34, s2
	s_cselect_b32 s36, -1, 0
	s_or_b32 s36, s35, s36
	s_delay_alu instid0(SALU_CYCLE_1)
	s_and_not1_b32 vcc_lo, exec_lo, s36
	s_cbranch_vccz .LBB220_16
; %bb.15:                               ;   in Loop: Header=BB220_14 Depth=2
	s_and_saveexec_b32 s2, s1
	s_cbranch_execz .LBB220_13
	s_branch .LBB220_23
.LBB220_16:                             ;   in Loop: Header=BB220_14 Depth=2
	s_and_b32 s35, s35, exec_lo
	s_cselect_b32 s33, s33, s2
	s_and_not1_b32 vcc_lo, exec_lo, s23
	s_waitcnt vmcnt(0)
	s_waitcnt_vscnt null, 0x0
	s_barrier
	buffer_gl0_inv
	s_cbranch_vccnz .LBB220_22
; %bb.17:                               ;   in Loop: Header=BB220_14 Depth=2
	v_dual_mov_b32 v3, v71 :: v_dual_add_nc_u32 v0, s33, v72
	v_add_nc_u32_e32 v1, s33, v73
	v_add_nc_u32_e32 v2, s33, v70
	s_mov_b32 s35, 0
	s_mov_b32 s36, 0
                                        ; implicit-def: $sgpr37
	s_branch .LBB220_19
.LBB220_18:                             ;   in Loop: Header=BB220_19 Depth=3
	s_or_b32 exec_lo, exec_lo, s2
	s_delay_alu instid0(SALU_CYCLE_1) | instskip(NEXT) | instid1(SALU_CYCLE_1)
	s_and_b32 s2, exec_lo, s37
	s_or_b32 s35, s2, s35
	s_delay_alu instid0(SALU_CYCLE_1)
	s_and_not1_b32 exec_lo, exec_lo, s35
	s_cbranch_execz .LBB220_21
.LBB220_19:                             ;   Parent Loop BB220_7 Depth=1
                                        ;     Parent Loop BB220_14 Depth=2
                                        ; =>    This Inner Loop Header: Depth=3
	s_delay_alu instid0(VALU_DEP_1) | instskip(SKIP_2) | instid1(VALU_DEP_2)
	v_add_nc_u32_e32 v65, s36, v2
	v_add_nc_u32_e32 v4, s36, v70
	s_or_b32 s37, s37, exec_lo
	v_cmp_gt_u32_e32 vcc_lo, s18, v65
	s_delay_alu instid0(VALU_DEP_2) | instskip(NEXT) | instid1(VALU_DEP_1)
	v_cmp_gt_u32_e64 s2, s15, v4
	s_and_b32 s38, s2, vcc_lo
	s_delay_alu instid0(SALU_CYCLE_1)
	s_and_saveexec_b32 s2, s38
	s_cbranch_execz .LBB220_18
; %bb.20:                               ;   in Loop: Header=BB220_19 Depth=3
	v_lshlrev_b64 v[4:5], 1, v[65:66]
	v_add_nc_u32_e32 v65, s36, v1
	v_add_nc_u32_e32 v16, s31, v3
	;; [unrolled: 1-line block ×3, first 2 shown]
	s_delay_alu instid0(VALU_DEP_3) | instskip(SKIP_3) | instid1(VALU_DEP_3)
	v_lshlrev_b64 v[6:7], 1, v[65:66]
	v_add_nc_u32_e32 v65, s36, v0
	v_add_co_u32 v4, vcc_lo, s8, v4
	v_add_co_ci_u32_e32 v5, vcc_lo, s9, v5, vcc_lo
	v_lshlrev_b64 v[8:9], 1, v[65:66]
	v_add_co_u32 v10, vcc_lo, s8, v6
	v_add_co_ci_u32_e32 v11, vcc_lo, s9, v7, vcc_lo
	s_add_i32 s36, s36, s24
	s_delay_alu instid0(VALU_DEP_3) | instskip(NEXT) | instid1(VALU_DEP_4)
	v_add_co_u32 v12, vcc_lo, s8, v8
	v_add_co_ci_u32_e32 v13, vcc_lo, s9, v9, vcc_lo
	s_clause 0x2
	global_load_b128 v[4:7], v[4:5], off
	global_load_b128 v[8:11], v[10:11], off
	;; [unrolled: 1-line block ×3, first 2 shown]
	s_cmp_ge_u32 s36, s15
	s_cselect_b32 s38, -1, 0
	s_and_not1_b32 s37, s37, exec_lo
	s_and_b32 s38, s38, exec_lo
	s_delay_alu instid0(SALU_CYCLE_1)
	s_or_b32 s37, s37, s38
	s_waitcnt vmcnt(2)
	ds_store_b128 v3, v[4:7]
	v_add_nc_u32_e32 v3, s20, v3
	s_waitcnt vmcnt(1)
	ds_store_2addr_b64 v16, v[8:9], v[10:11] offset1:1
	s_waitcnt vmcnt(0)
	ds_store_2addr_b32 v17, v12, v13 offset1:1
	ds_store_2addr_b32 v17, v14, v15 offset0:2 offset1:3
	s_branch .LBB220_18
.LBB220_21:                             ;   in Loop: Header=BB220_14 Depth=2
	s_or_b32 exec_lo, exec_lo, s35
.LBB220_22:                             ;   in Loop: Header=BB220_14 Depth=2
	s_waitcnt lgkmcnt(0)
	s_barrier
	buffer_gl0_inv
	s_and_saveexec_b32 s2, s1
	s_cbranch_execz .LBB220_13
.LBB220_23:                             ;   in Loop: Header=BB220_14 Depth=2
	v_dual_mov_b32 v11, 0 :: v_dual_add_nc_u32 v82, s34, v69
	v_dual_mov_b32 v15, 0 :: v_dual_mov_b32 v14, 0
	v_dual_mov_b32 v13, 0 :: v_dual_mov_b32 v12, 0
	s_delay_alu instid0(VALU_DEP_3) | instskip(SKIP_3) | instid1(VALU_DEP_3)
	v_min_u32_e32 v65, s25, v82
	v_dual_mov_b32 v10, 0 :: v_dual_add_nc_u32 v83, 0x100, v82
	s_waitcnt vmcnt(2)
	v_dual_mov_b32 v8, 0 :: v_dual_add_nc_u32 v81, 0x200, v82
	v_lshlrev_b64 v[0:1], 1, v[65:66]
	s_delay_alu instid0(VALU_DEP_3) | instskip(SKIP_2) | instid1(VALU_DEP_3)
	v_min_u32_e32 v65, s25, v83
	v_dual_mov_b32 v9, 0 :: v_dual_add_nc_u32 v80, 0x300, v82
	v_dual_mov_b32 v23, 0 :: v_dual_mov_b32 v22, 0
	v_lshlrev_b64 v[2:3], 1, v[65:66]
	v_min_u32_e32 v65, s25, v81
	v_add_co_u32 v0, vcc_lo, v75, v0
	v_add_co_ci_u32_e32 v1, vcc_lo, v76, v1, vcc_lo
	s_waitcnt vmcnt(0)
	s_delay_alu instid0(VALU_DEP_3) | instskip(SKIP_3) | instid1(VALU_DEP_3)
	v_lshlrev_b64 v[4:5], 1, v[65:66]
	v_min_u32_e32 v65, s25, v80
	v_add_co_u32 v2, vcc_lo, v75, v2
	v_add_co_ci_u32_e32 v3, vcc_lo, v76, v3, vcc_lo
	v_lshlrev_b64 v[6:7], 1, v[65:66]
	v_add_co_u32 v4, vcc_lo, v75, v4
	v_add_co_ci_u32_e32 v5, vcc_lo, v76, v5, vcc_lo
	v_dual_mov_b32 v21, 0 :: v_dual_mov_b32 v20, 0
	s_delay_alu instid0(VALU_DEP_4)
	v_add_co_u32 v6, vcc_lo, v75, v6
	v_add_co_ci_u32_e32 v7, vcc_lo, v76, v7, vcc_lo
	s_clause 0x3
	global_load_b128 v[48:51], v[0:1], off slc dlc
	global_load_b128 v[36:39], v[2:3], off slc dlc
	global_load_b128 v[16:19], v[4:5], off slc dlc
	global_load_b128 v[0:3], v[6:7], off slc dlc
	v_cmp_gt_u32_e32 vcc_lo, s16, v82
	v_dual_mov_b32 v7, 0 :: v_dual_mov_b32 v6, 0
	v_dual_mov_b32 v5, 0 :: v_dual_mov_b32 v4, 0
	;; [unrolled: 1-line block ×18, first 2 shown]
	s_and_saveexec_b32 s35, vcc_lo
	s_cbranch_execz .LBB220_12
; %bb.24:                               ;   in Loop: Header=BB220_14 Depth=2
	v_subrev_nc_u32_e32 v4, s33, v82
	v_mov_b32_e32 v46, 0
	v_cmp_gt_u32_e32 vcc_lo, s16, v83
	v_dual_mov_b32 v44, 0 :: v_dual_mov_b32 v45, 0
	s_delay_alu instid0(VALU_DEP_4) | instskip(SKIP_2) | instid1(VALU_DEP_3)
	v_lshlrev_b32_e32 v65, 1, v4
	v_dual_mov_b32 v47, 0 :: v_dual_mov_b32 v40, 0
	v_dual_mov_b32 v41, 0 :: v_dual_mov_b32 v42, 0
	v_dual_mov_b32 v43, 0 :: v_dual_add_nc_u32 v82, s31, v65
	v_mov_b32_e32 v34, 0
	v_dual_mov_b32 v32, 0 :: v_dual_mov_b32 v33, 0
	s_delay_alu instid0(VALU_DEP_3)
	v_add_nc_u32_e32 v83, s31, v82
	v_dual_mov_b32 v35, 0 :: v_dual_mov_b32 v28, 0
	ds_load_b128 v[60:63], v65
	ds_load_b128 v[56:59], v82
	;; [unrolled: 1-line block ×3, first 2 shown]
	v_dual_mov_b32 v29, 0 :: v_dual_mov_b32 v30, 0
	v_dual_mov_b32 v31, 0 :: v_dual_mov_b32 v24, 0
	;; [unrolled: 1-line block ×11, first 2 shown]
	v_mov_b32_e32 v11, 0
	s_and_saveexec_b32 s36, vcc_lo
	s_cbranch_execz .LBB220_11
; %bb.25:                               ;   in Loop: Header=BB220_14 Depth=2
	ds_load_b128 v[44:47], v65 offset:512
	ds_load_b128 v[40:43], v82 offset:512
	;; [unrolled: 1-line block ×3, first 2 shown]
	v_cmp_gt_u32_e32 vcc_lo, s16, v81
	v_dual_mov_b32 v28, 0 :: v_dual_mov_b32 v29, 0
	v_dual_mov_b32 v30, 0 :: v_dual_mov_b32 v31, 0
	;; [unrolled: 1-line block ×12, first 2 shown]
	s_and_saveexec_b32 s37, vcc_lo
	s_cbranch_execz .LBB220_10
; %bb.26:                               ;   in Loop: Header=BB220_14 Depth=2
	ds_load_b128 v[28:31], v65 offset:1024
	ds_load_b128 v[24:27], v82 offset:1024
	;; [unrolled: 1-line block ×3, first 2 shown]
	v_dual_mov_b32 v12, 0 :: v_dual_mov_b32 v13, 0
	v_dual_mov_b32 v14, 0 :: v_dual_mov_b32 v15, 0
	v_dual_mov_b32 v4, 0 :: v_dual_mov_b32 v5, 0
	v_dual_mov_b32 v6, 0 :: v_dual_mov_b32 v7, 0
	v_dual_mov_b32 v8, 0 :: v_dual_mov_b32 v9, 0
	v_dual_mov_b32 v10, 0 :: v_dual_mov_b32 v11, 0
	s_mov_b32 s38, exec_lo
	v_cmpx_gt_u32_e64 s16, v80
	s_cbranch_execz .LBB220_9
; %bb.27:                               ;   in Loop: Header=BB220_14 Depth=2
	ds_load_b128 v[12:15], v65 offset:1536
	ds_load_b128 v[4:7], v82 offset:1536
	;; [unrolled: 1-line block ×3, first 2 shown]
	s_branch .LBB220_9
.LBB220_28:                             ;   in Loop: Header=BB220_7 Depth=1
	s_mov_b32 s1, exec_lo
                                        ; implicit-def: $vgpr0
	v_cmpx_le_u32_e64 s19, v64
	s_xor_b32 s1, exec_lo, s1
; %bb.29:                               ;   in Loop: Header=BB220_7 Depth=1
	v_add_nc_u32_e32 v0, s5, v64
                                        ; implicit-def: $vgpr64
                                        ; implicit-def: $vgpr79
                                        ; implicit-def: $vgpr78
                                        ; implicit-def: $vgpr77
; %bb.30:                               ;   in Loop: Header=BB220_7 Depth=1
	s_and_not1_saveexec_b32 s2, s1
	s_cbranch_execz .LBB220_6
; %bb.31:                               ;   in Loop: Header=BB220_7 Depth=1
	v_cvt_i32_f32_e32 v0, v79
	v_cvt_i32_f32_e32 v1, v78
	v_cvt_i32_f32_e32 v2, v77
	s_delay_alu instid0(VALU_DEP_3) | instskip(NEXT) | instid1(VALU_DEP_3)
	v_cvt_f32_i32_dpp v0, v0 row_shr:8 row_mask:0xf bank_mask:0xf bound_ctrl:1
	v_cvt_f32_i32_dpp v1, v1 row_shr:8 row_mask:0xf bank_mask:0xf bound_ctrl:1
	s_delay_alu instid0(VALU_DEP_3) | instskip(NEXT) | instid1(VALU_DEP_2)
	v_cvt_f32_i32_dpp v2, v2 row_shr:8 row_mask:0xf bank_mask:0xf bound_ctrl:1
	v_dual_add_f32 v0, v79, v0 :: v_dual_add_f32 v1, v78, v1
	s_delay_alu instid0(VALU_DEP_1) | instskip(SKIP_1) | instid1(VALU_DEP_2)
	v_cvt_i32_f32_e32 v3, v0
	s_waitcnt vmcnt(0)
	v_cvt_i32_f32_e32 v4, v1
	s_delay_alu instid0(VALU_DEP_2) | instskip(NEXT) | instid1(VALU_DEP_2)
	v_cvt_f32_i32_dpp v3, v3 row_shr:4 row_mask:0xf bank_mask:0xf bound_ctrl:1
	v_cvt_f32_i32_dpp v4, v4 row_shr:4 row_mask:0xf bank_mask:0xf bound_ctrl:1
	s_delay_alu instid0(VALU_DEP_1) | instskip(NEXT) | instid1(VALU_DEP_1)
	v_dual_add_f32 v0, v0, v3 :: v_dual_add_f32 v1, v1, v4
	v_cvt_i32_f32_e32 v3, v0
	s_delay_alu instid0(VALU_DEP_2) | instskip(NEXT) | instid1(VALU_DEP_2)
	v_cvt_i32_f32_e32 v4, v1
	v_cvt_f32_i32_dpp v3, v3 row_shr:2 row_mask:0xf bank_mask:0xf bound_ctrl:1
	s_delay_alu instid0(VALU_DEP_2) | instskip(NEXT) | instid1(VALU_DEP_1)
	v_cvt_f32_i32_dpp v4, v4 row_shr:2 row_mask:0xf bank_mask:0xf bound_ctrl:1
	v_dual_add_f32 v0, v0, v3 :: v_dual_add_f32 v1, v1, v4
	s_delay_alu instid0(VALU_DEP_1) | instskip(NEXT) | instid1(VALU_DEP_1)
	v_cvt_i32_f32_e32 v4, v0
	v_cvt_f32_i32_dpp v4, v4 row_shr:1 row_mask:0xf bank_mask:0xf bound_ctrl:1
	v_add_f32_e32 v2, v77, v2
	s_delay_alu instid0(VALU_DEP_1) | instskip(NEXT) | instid1(VALU_DEP_1)
	v_cvt_i32_f32_e32 v5, v2
	v_cvt_f32_i32_dpp v5, v5 row_shr:4 row_mask:0xf bank_mask:0xf bound_ctrl:1
	s_delay_alu instid0(VALU_DEP_1) | instskip(NEXT) | instid1(VALU_DEP_1)
	v_add_f32_e32 v2, v2, v5
	v_cvt_i32_f32_e32 v5, v2
	s_delay_alu instid0(VALU_DEP_1) | instskip(NEXT) | instid1(VALU_DEP_1)
	v_cvt_f32_i32_dpp v5, v5 row_shr:2 row_mask:0xf bank_mask:0xf bound_ctrl:1
	v_add_f32_e32 v3, v2, v5
	v_xor_b32_e32 v2, 16, v68
	v_cvt_i32_f32_e32 v5, v1
	s_delay_alu instid0(VALU_DEP_2) | instskip(NEXT) | instid1(VALU_DEP_2)
	v_cmp_gt_i32_e32 vcc_lo, 32, v2
	v_cvt_f32_i32_dpp v7, v5 row_shr:1 row_mask:0xf bank_mask:0xf bound_ctrl:1
	v_add_f32_e32 v5, v0, v4
	v_cndmask_b32_e32 v2, v68, v2, vcc_lo
	v_cvt_i32_f32_e32 v6, v3
	s_delay_alu instid0(VALU_DEP_2) | instskip(NEXT) | instid1(VALU_DEP_2)
	v_lshlrev_b32_e32 v8, 2, v2
	v_cvt_f32_i32_dpp v6, v6 row_shr:1 row_mask:0xf bank_mask:0xf bound_ctrl:1
	v_add_f32_e32 v2, v1, v7
	s_delay_alu instid0(VALU_DEP_2)
	v_add_f32_e32 v0, v3, v6
	ds_bpermute_b32 v6, v8, v5
	ds_bpermute_b32 v3, v8, v2
	;; [unrolled: 1-line block ×3, first 2 shown]
	s_and_saveexec_b32 s1, s0
	s_cbranch_execz .LBB220_48
; %bb.32:                               ;   in Loop: Header=BB220_7 Depth=1
	v_dual_mov_b32 v8, 0 :: v_dual_mov_b32 v7, 0
	v_mov_b32_e32 v4, 0
	s_and_not1_b32 vcc_lo, exec_lo, s27
	s_cbranch_vccnz .LBB220_34
; %bb.33:                               ;   in Loop: Header=BB220_7 Depth=1
	v_mul_hi_u32 v4, v64, v74
	v_mov_b32_e32 v8, v66
	s_delay_alu instid0(VALU_DEP_2) | instskip(NEXT) | instid1(VALU_DEP_1)
	v_mul_lo_u32 v4, v4, s4
	v_sub_nc_u32_e32 v4, v64, v4
	s_delay_alu instid0(VALU_DEP_1) | instskip(SKIP_1) | instid1(VALU_DEP_2)
	v_subrev_nc_u32_e32 v7, s4, v4
	v_cmp_le_u32_e32 vcc_lo, s4, v4
	v_cndmask_b32_e32 v4, v4, v7, vcc_lo
	s_delay_alu instid0(VALU_DEP_1) | instskip(SKIP_1) | instid1(VALU_DEP_2)
	v_subrev_nc_u32_e32 v7, s4, v4
	v_cmp_le_u32_e32 vcc_lo, s4, v4
	v_cndmask_b32_e32 v65, v4, v7, vcc_lo
	s_delay_alu instid0(VALU_DEP_1) | instskip(SKIP_2) | instid1(VALU_DEP_3)
	v_add_nc_u32_e32 v7, s28, v65
	v_lshlrev_b64 v[9:10], 1, v[65:66]
	v_add_nc_u32_e32 v65, s30, v65
	v_lshlrev_b64 v[7:8], 1, v[7:8]
	s_delay_alu instid0(VALU_DEP_2) | instskip(NEXT) | instid1(VALU_DEP_4)
	v_lshlrev_b64 v[11:12], 1, v[65:66]
	v_add_co_u32 v9, vcc_lo, s10, v9
	v_add_co_ci_u32_e32 v10, vcc_lo, s11, v10, vcc_lo
	s_delay_alu instid0(VALU_DEP_4)
	v_add_co_u32 v13, vcc_lo, s10, v7
	v_add_co_ci_u32_e32 v14, vcc_lo, s11, v8, vcc_lo
	v_add_co_u32 v11, vcc_lo, s10, v11
	v_add_co_ci_u32_e32 v12, vcc_lo, s11, v12, vcc_lo
	s_clause 0x2
	global_load_u16 v8, v[9:10], off
	global_load_u16 v7, v[13:14], off
	;; [unrolled: 1-line block ×3, first 2 shown]
.LBB220_34:                             ;   in Loop: Header=BB220_7 Depth=1
	v_cmp_ne_u32_e32 vcc_lo, 0, v67
	s_and_b32 exec_lo, exec_lo, vcc_lo
	s_cbranch_execz .LBB220_48
; %bb.35:                               ;   in Loop: Header=BB220_7 Depth=1
	s_waitcnt vmcnt(2) lgkmcnt(2)
	v_dual_add_f32 v5, v5, v6 :: v_dual_lshlrev_b32 v6, 16, v8
	s_delay_alu instid0(VALU_DEP_1) | instskip(NEXT) | instid1(VALU_DEP_1)
	v_add_f32_e32 v6, v5, v6
	v_and_b32_e32 v5, 0x7f800000, v6
	s_delay_alu instid0(VALU_DEP_1) | instskip(SKIP_1) | instid1(SALU_CYCLE_1)
	v_cmp_ne_u32_e32 vcc_lo, 0x7f800000, v5
                                        ; implicit-def: $vgpr5
	s_and_saveexec_b32 s33, vcc_lo
	s_xor_b32 s33, exec_lo, s33
; %bb.36:                               ;   in Loop: Header=BB220_7 Depth=1
	v_bfe_u32 v5, v6, 16, 1
	s_delay_alu instid0(VALU_DEP_1)
	v_add3_u32 v5, v6, v5, 0x7fff
                                        ; implicit-def: $vgpr6
; %bb.37:                               ;   in Loop: Header=BB220_7 Depth=1
	s_and_not1_saveexec_b32 s33, s33
; %bb.38:                               ;   in Loop: Header=BB220_7 Depth=1
	v_and_b32_e32 v5, 0xffff, v6
	v_or_b32_e32 v8, 0x10000, v6
	s_delay_alu instid0(VALU_DEP_2) | instskip(NEXT) | instid1(VALU_DEP_2)
	v_cmp_eq_u32_e32 vcc_lo, 0, v5
	v_cndmask_b32_e32 v5, v8, v6, vcc_lo
; %bb.39:                               ;   in Loop: Header=BB220_7 Depth=1
	s_or_b32 exec_lo, exec_lo, s33
	s_waitcnt lgkmcnt(1)
	v_add_f32_e32 v2, v2, v3
	s_waitcnt vmcnt(1)
	v_lshlrev_b32_e32 v3, 16, v7
	s_delay_alu instid0(VALU_DEP_1) | instskip(NEXT) | instid1(VALU_DEP_1)
	v_add_f32_e32 v3, v2, v3
	v_dual_mov_b32 v65, v66 :: v_dual_and_b32 v2, 0x7f800000, v3
	s_delay_alu instid0(VALU_DEP_1) | instskip(NEXT) | instid1(VALU_DEP_1)
	v_lshlrev_b64 v[6:7], 1, v[64:65]
	v_add_co_u32 v6, vcc_lo, s12, v6
	s_delay_alu instid0(VALU_DEP_2) | instskip(NEXT) | instid1(VALU_DEP_4)
	v_add_co_ci_u32_e32 v7, vcc_lo, s13, v7, vcc_lo
	v_cmp_ne_u32_e32 vcc_lo, 0x7f800000, v2
                                        ; implicit-def: $vgpr2
	global_store_d16_hi_b16 v[6:7], v5, off
	s_and_saveexec_b32 s33, vcc_lo
	s_delay_alu instid0(SALU_CYCLE_1)
	s_xor_b32 s33, exec_lo, s33
; %bb.40:                               ;   in Loop: Header=BB220_7 Depth=1
	v_bfe_u32 v2, v3, 16, 1
	s_delay_alu instid0(VALU_DEP_1)
	v_add3_u32 v2, v3, v2, 0x7fff
                                        ; implicit-def: $vgpr3
; %bb.41:                               ;   in Loop: Header=BB220_7 Depth=1
	s_and_not1_saveexec_b32 s33, s33
; %bb.42:                               ;   in Loop: Header=BB220_7 Depth=1
	v_and_b32_e32 v2, 0xffff, v3
	v_or_b32_e32 v5, 0x10000, v3
	s_delay_alu instid0(VALU_DEP_2) | instskip(NEXT) | instid1(VALU_DEP_2)
	v_cmp_eq_u32_e32 vcc_lo, 0, v2
	v_cndmask_b32_e32 v2, v5, v3, vcc_lo
; %bb.43:                               ;   in Loop: Header=BB220_7 Depth=1
	s_or_b32 exec_lo, exec_lo, s33
	s_waitcnt vmcnt(0) lgkmcnt(0)
	v_dual_add_f32 v0, v0, v1 :: v_dual_lshlrev_b32 v1, 16, v4
	v_add_nc_u32_e32 v65, s19, v64
	s_delay_alu instid0(VALU_DEP_2) | instskip(NEXT) | instid1(VALU_DEP_2)
	v_add_f32_e32 v1, v0, v1
	v_lshlrev_b64 v[3:4], 1, v[65:66]
	s_delay_alu instid0(VALU_DEP_2) | instskip(NEXT) | instid1(VALU_DEP_2)
	v_and_b32_e32 v0, 0x7f800000, v1
	v_add_co_u32 v3, vcc_lo, s12, v3
	s_delay_alu instid0(VALU_DEP_3) | instskip(NEXT) | instid1(VALU_DEP_3)
	v_add_co_ci_u32_e32 v4, vcc_lo, s13, v4, vcc_lo
	v_cmp_ne_u32_e32 vcc_lo, 0x7f800000, v0
                                        ; implicit-def: $vgpr0
	global_store_d16_hi_b16 v[3:4], v2, off
	s_and_saveexec_b32 s33, vcc_lo
	s_delay_alu instid0(SALU_CYCLE_1)
	s_xor_b32 s33, exec_lo, s33
; %bb.44:                               ;   in Loop: Header=BB220_7 Depth=1
	v_bfe_u32 v0, v1, 16, 1
	s_delay_alu instid0(VALU_DEP_1)
	v_add3_u32 v0, v1, v0, 0x7fff
                                        ; implicit-def: $vgpr1
; %bb.45:                               ;   in Loop: Header=BB220_7 Depth=1
	s_and_not1_saveexec_b32 s33, s33
; %bb.46:                               ;   in Loop: Header=BB220_7 Depth=1
	v_and_b32_e32 v0, 0xffff, v1
	v_or_b32_e32 v2, 0x10000, v1
	s_delay_alu instid0(VALU_DEP_2) | instskip(NEXT) | instid1(VALU_DEP_2)
	v_cmp_eq_u32_e32 vcc_lo, 0, v0
	v_cndmask_b32_e32 v0, v2, v1, vcc_lo
; %bb.47:                               ;   in Loop: Header=BB220_7 Depth=1
	s_or_b32 exec_lo, exec_lo, s33
	v_add_nc_u32_e32 v65, s19, v65
	s_delay_alu instid0(VALU_DEP_1) | instskip(NEXT) | instid1(VALU_DEP_1)
	v_lshlrev_b64 v[1:2], 1, v[65:66]
	v_add_co_u32 v1, vcc_lo, s12, v1
	s_delay_alu instid0(VALU_DEP_2)
	v_add_co_ci_u32_e32 v2, vcc_lo, s13, v2, vcc_lo
	global_store_d16_hi_b16 v[1:2], v0, off
.LBB220_48:                             ;   in Loop: Header=BB220_7 Depth=1
	s_or_b32 exec_lo, exec_lo, s1
	v_add_nc_u32_e32 v0, s5, v64
	s_waitcnt lgkmcnt(0)
	s_delay_alu instid0(VALU_DEP_1) | instskip(SKIP_1) | instid1(VALU_DEP_2)
	v_add_nc_u32_e32 v1, 1, v0
	v_cmp_gt_u32_e32 vcc_lo, s19, v0
	v_cmp_le_u32_e64 s1, s19, v1
	s_delay_alu instid0(VALU_DEP_1) | instskip(NEXT) | instid1(SALU_CYCLE_1)
	s_and_b32 s33, vcc_lo, s1
	s_and_saveexec_b32 s1, s33
	s_cbranch_execz .LBB220_5
; %bb.49:                               ;   in Loop: Header=BB220_7 Depth=1
	v_add_nc_u32_e32 v0, s21, v64
	s_delay_alu instid0(VALU_DEP_1)
	v_cmp_eq_u32_e32 vcc_lo, 1, v0
	v_dual_mov_b32 v0, s26 :: v_dual_cndmask_b32 v67, 0, v67
	s_branch .LBB220_5
.LBB220_50:
	s_nop 0
	s_sendmsg sendmsg(MSG_DEALLOC_VGPRS)
	s_endpgm
	.section	.rodata,"a",@progbits
	.p2align	6, 0x0
	.amdhsa_kernel _Z16wvSplitK_hf_big_I14__hip_bfloat16Li32ELi1ELi16ELi8ELi4ELi3EEviiiiiiPKT_S3_S3_PS1_ii
		.amdhsa_group_segment_fixed_size 65536
		.amdhsa_private_segment_fixed_size 0
		.amdhsa_kernarg_size 64
		.amdhsa_user_sgpr_count 15
		.amdhsa_user_sgpr_dispatch_ptr 0
		.amdhsa_user_sgpr_queue_ptr 0
		.amdhsa_user_sgpr_kernarg_segment_ptr 1
		.amdhsa_user_sgpr_dispatch_id 0
		.amdhsa_user_sgpr_private_segment_size 0
		.amdhsa_wavefront_size32 1
		.amdhsa_uses_dynamic_stack 0
		.amdhsa_enable_private_segment 0
		.amdhsa_system_sgpr_workgroup_id_x 1
		.amdhsa_system_sgpr_workgroup_id_y 0
		.amdhsa_system_sgpr_workgroup_id_z 0
		.amdhsa_system_sgpr_workgroup_info 0
		.amdhsa_system_vgpr_workitem_id 1
		.amdhsa_next_free_vgpr 84
		.amdhsa_next_free_sgpr 39
		.amdhsa_reserve_vcc 1
		.amdhsa_float_round_mode_32 0
		.amdhsa_float_round_mode_16_64 0
		.amdhsa_float_denorm_mode_32 3
		.amdhsa_float_denorm_mode_16_64 3
		.amdhsa_dx10_clamp 1
		.amdhsa_ieee_mode 1
		.amdhsa_fp16_overflow 0
		.amdhsa_workgroup_processor_mode 1
		.amdhsa_memory_ordered 1
		.amdhsa_forward_progress 0
		.amdhsa_shared_vgpr_count 0
		.amdhsa_exception_fp_ieee_invalid_op 0
		.amdhsa_exception_fp_denorm_src 0
		.amdhsa_exception_fp_ieee_div_zero 0
		.amdhsa_exception_fp_ieee_overflow 0
		.amdhsa_exception_fp_ieee_underflow 0
		.amdhsa_exception_fp_ieee_inexact 0
		.amdhsa_exception_int_div_zero 0
	.end_amdhsa_kernel
	.section	.text._Z16wvSplitK_hf_big_I14__hip_bfloat16Li32ELi1ELi16ELi8ELi4ELi3EEviiiiiiPKT_S3_S3_PS1_ii,"axG",@progbits,_Z16wvSplitK_hf_big_I14__hip_bfloat16Li32ELi1ELi16ELi8ELi4ELi3EEviiiiiiPKT_S3_S3_PS1_ii,comdat
.Lfunc_end220:
	.size	_Z16wvSplitK_hf_big_I14__hip_bfloat16Li32ELi1ELi16ELi8ELi4ELi3EEviiiiiiPKT_S3_S3_PS1_ii, .Lfunc_end220-_Z16wvSplitK_hf_big_I14__hip_bfloat16Li32ELi1ELi16ELi8ELi4ELi3EEviiiiiiPKT_S3_S3_PS1_ii
                                        ; -- End function
	.section	.AMDGPU.csdata,"",@progbits
; Kernel info:
; codeLenInByte = 4688
; NumSgprs: 41
; NumVgprs: 84
; ScratchSize: 0
; MemoryBound: 0
; FloatMode: 240
; IeeeMode: 1
; LDSByteSize: 65536 bytes/workgroup (compile time only)
; SGPRBlocks: 5
; VGPRBlocks: 10
; NumSGPRsForWavesPerEU: 41
; NumVGPRsForWavesPerEU: 84
; Occupancy: 8
; WaveLimiterHint : 0
; COMPUTE_PGM_RSRC2:SCRATCH_EN: 0
; COMPUTE_PGM_RSRC2:USER_SGPR: 15
; COMPUTE_PGM_RSRC2:TRAP_HANDLER: 0
; COMPUTE_PGM_RSRC2:TGID_X_EN: 1
; COMPUTE_PGM_RSRC2:TGID_Y_EN: 0
; COMPUTE_PGM_RSRC2:TGID_Z_EN: 0
; COMPUTE_PGM_RSRC2:TIDIG_COMP_CNT: 1
	.section	.text._Z16wvSplitK_hf_sml_I14__hip_bfloat16Li32ELi2ELi16ELi8ELi2ELi3EEviiiiiiPKT_S3_S3_PS1_ii,"axG",@progbits,_Z16wvSplitK_hf_sml_I14__hip_bfloat16Li32ELi2ELi16ELi8ELi2ELi3EEviiiiiiPKT_S3_S3_PS1_ii,comdat
	.protected	_Z16wvSplitK_hf_sml_I14__hip_bfloat16Li32ELi2ELi16ELi8ELi2ELi3EEviiiiiiPKT_S3_S3_PS1_ii ; -- Begin function _Z16wvSplitK_hf_sml_I14__hip_bfloat16Li32ELi2ELi16ELi8ELi2ELi3EEviiiiiiPKT_S3_S3_PS1_ii
	.globl	_Z16wvSplitK_hf_sml_I14__hip_bfloat16Li32ELi2ELi16ELi8ELi2ELi3EEviiiiiiPKT_S3_S3_PS1_ii
	.p2align	8
	.type	_Z16wvSplitK_hf_sml_I14__hip_bfloat16Li32ELi2ELi16ELi8ELi2ELi3EEviiiiiiPKT_S3_S3_PS1_ii,@function
_Z16wvSplitK_hf_sml_I14__hip_bfloat16Li32ELi2ELi16ELi8ELi2ELi3EEviiiiiiPKT_S3_S3_PS1_ii: ; @_Z16wvSplitK_hf_sml_I14__hip_bfloat16Li32ELi2ELi16ELi8ELi2ELi3EEviiiiiiPKT_S3_S3_PS1_ii
; %bb.0:
	s_load_b128 s[4:7], s[0:1], 0x0
	v_and_b32_e32 v1, 0x3ff, v0
	v_bfe_u32 v0, v0, 10, 10
	s_mov_b32 s8, exec_lo
	s_delay_alu instid0(VALU_DEP_2) | instskip(NEXT) | instid1(VALU_DEP_1)
	v_lshlrev_b32_e32 v47, 3, v1
	v_lshl_add_u32 v3, v0, 8, v47
	s_waitcnt lgkmcnt(0)
	s_mul_i32 s2, s6, 3
	s_delay_alu instid0(SALU_CYCLE_1)
	s_min_u32 s9, s2, 0x8000
	s_delay_alu instid0(VALU_DEP_1) | instid1(SALU_CYCLE_1)
	v_cmpx_gt_u32_e64 s9, v3
	s_cbranch_execz .LBB221_9
; %bb.1:
	s_load_b64 s[2:3], s[0:1], 0x20
	v_lshlrev_b32_e32 v2, 1, v3
	v_add_nc_u32_e32 v8, 0x1000, v3
	s_mov_b32 s10, exec_lo
	s_waitcnt lgkmcnt(0)
	global_load_b128 v[4:7], v2, s[2:3]
	s_waitcnt vmcnt(0)
	ds_store_b128 v2, v[4:7]
	v_cmpx_gt_u32_e64 s9, v8
	s_xor_b32 s10, exec_lo, s10
	s_cbranch_execz .LBB221_9
; %bb.2:
	v_add_co_u32 v4, s2, s2, v2
	s_delay_alu instid0(VALU_DEP_1) | instskip(SKIP_1) | instid1(VALU_DEP_3)
	v_add_co_ci_u32_e64 v5, null, s3, 0, s2
	v_add_nc_u32_e32 v10, 0x2000, v3
	v_add_co_u32 v6, vcc_lo, 0x2000, v4
	s_delay_alu instid0(VALU_DEP_3)
	v_add_co_ci_u32_e32 v7, vcc_lo, 0, v5, vcc_lo
	s_mov_b32 s2, exec_lo
	global_load_b128 v[6:9], v[6:7], off
	s_waitcnt vmcnt(0)
	ds_store_b128 v2, v[6:9] offset:8192
	v_cmpx_gt_u32_e64 s9, v10
	s_xor_b32 s2, exec_lo, s2
	s_cbranch_execz .LBB221_9
; %bb.3:
	v_add_co_u32 v6, vcc_lo, 0x4000, v4
	v_add_co_ci_u32_e32 v7, vcc_lo, 0, v5, vcc_lo
	v_add_nc_u32_e32 v10, 0x3000, v3
	s_mov_b32 s2, exec_lo
	global_load_b128 v[6:9], v[6:7], off
	s_waitcnt vmcnt(0)
	ds_store_b128 v2, v[6:9] offset:16384
	v_cmpx_gt_u32_e64 s9, v10
	s_xor_b32 s2, exec_lo, s2
	s_cbranch_execz .LBB221_9
; %bb.4:
	v_add_co_u32 v6, vcc_lo, 0x6000, v4
	v_add_co_ci_u32_e32 v7, vcc_lo, 0, v5, vcc_lo
	v_add_nc_u32_e32 v10, 0x4000, v3
	;; [unrolled: 11-line block ×5, first 2 shown]
	s_mov_b32 s2, exec_lo
	global_load_b128 v[6:9], v[6:7], off
	s_waitcnt vmcnt(0)
	ds_store_b128 v2, v[6:9] offset:49152
	v_cmpx_gt_u32_e64 s9, v3
	s_xor_b32 s2, exec_lo, s2
	s_cbranch_execz .LBB221_9
; %bb.8:
	v_add_co_u32 v3, vcc_lo, 0xe000, v4
	v_add_co_ci_u32_e32 v4, vcc_lo, 0, v5, vcc_lo
	global_load_b128 v[3:6], v[3:4], off
	s_waitcnt vmcnt(0)
	ds_store_b128 v2, v[3:6] offset:57344
.LBB221_9:
	s_or_b32 exec_lo, exec_lo, s8
	s_load_b64 s[16:17], s[0:1], 0x38
	s_waitcnt lgkmcnt(0)
	s_barrier
	buffer_gl0_inv
	s_mov_b32 s2, exec_lo
	v_cmpx_gt_u32_e64 s16, v0
	s_cbranch_execz .LBB221_48
; %bb.10:
	s_load_b64 s[2:3], s[0:1], 0x10
	s_mul_i32 s15, s15, s16
	s_delay_alu instid0(SALU_CYCLE_1) | instskip(NEXT) | instid1(VALU_DEP_1)
	v_add_lshl_u32 v32, s15, v0, 1
	v_cmp_gt_u32_e32 vcc_lo, s7, v32
	s_and_b32 exec_lo, exec_lo, vcc_lo
	s_cbranch_execz .LBB221_48
; %bb.11:
	s_clause 0x1
	s_load_b128 s[8:11], s[0:1], 0x28
	s_load_b64 s[12:13], s[0:1], 0x18
	s_cmp_lg_u32 s4, 0
	v_mbcnt_lo_u32_b32 v3, -1, 0
	s_cselect_b32 s1, -1, 0
	s_add_i32 s14, s4, -8
	s_add_i32 s15, s7, -1
	v_cmp_eq_u32_e64 s0, 31, v1
	v_lshlrev_b32_e32 v48, 4, v1
	v_xor_b32_e32 v1, 16, v3
	s_waitcnt lgkmcnt(0)
	v_cvt_f32_u32_e32 v2, s2
	s_mul_i32 s16, s16, s17
	v_mov_b32_e32 v34, 0
	v_cmp_gt_i32_e32 vcc_lo, 32, v1
	s_delay_alu instid0(VALU_DEP_3)
	v_rcp_iflag_f32_e32 v2, v2
	v_cndmask_b32_e32 v1, v3, v1, vcc_lo
	s_cmp_lg_u64 s[8:9], 0
	s_cselect_b32 s18, -1, 0
	s_abs_i32 s19, s3
	s_lshl_b32 s16, s16, 1
	v_cvt_f32_u32_e32 v0, s19
	s_sub_i32 s20, 0, s19
	s_waitcnt_depctr 0xfff
	v_dual_mul_f32 v2, 0x4f7ffffe, v2 :: v_dual_lshlrev_b32 v49, 2, v1
	s_sub_i32 s21, 0, s2
	v_rcp_iflag_f32_e32 v0, v0
	s_sub_i32 s22, 1, s19
	s_mov_b32 s3, 0
	s_waitcnt_depctr 0xfff
	v_mul_f32_e32 v0, 0x4f7ffffe, v0
	s_delay_alu instid0(VALU_DEP_1) | instskip(NEXT) | instid1(VALU_DEP_1)
	v_cvt_u32_f32_e32 v0, v0
	v_readfirstlane_b32 s17, v0
	v_cvt_u32_f32_e32 v0, v2
	s_delay_alu instid0(VALU_DEP_2) | instskip(NEXT) | instid1(VALU_DEP_1)
	s_mul_i32 s20, s20, s17
	v_mul_lo_u32 v2, s21, v0
	s_mul_hi_u32 s20, s17, s20
	s_delay_alu instid0(SALU_CYCLE_1) | instskip(SKIP_2) | instid1(SALU_CYCLE_1)
	s_add_i32 s17, s17, s20
	s_cmp_lt_u32 s19, 2
	s_cselect_b32 s20, s22, 1
	s_sub_i32 s21, s20, s19
	s_cmp_ge_u32 s20, s19
	s_delay_alu instid0(VALU_DEP_1) | instskip(SKIP_2) | instid1(SALU_CYCLE_1)
	v_mul_hi_u32 v2, v0, v2
	s_cselect_b32 s20, s21, s20
	s_lshr_b32 s17, s17, 31
	s_mul_i32 s17, s17, s19
	s_delay_alu instid0(SALU_CYCLE_1) | instskip(NEXT) | instid1(SALU_CYCLE_1)
	s_sub_i32 s17, 2, s17
	s_sub_i32 s21, s17, s19
	s_cmp_ge_u32 s17, s19
	s_delay_alu instid0(VALU_DEP_1)
	v_add_nc_u32_e32 v50, v0, v2
	s_cselect_b32 s21, s21, s17
	s_mul_i32 s17, s20, s2
	s_sub_i32 s22, s21, s19
	s_cmp_ge_u32 s21, s19
	s_cselect_b32 s20, s22, s21
	s_lshl_b32 s19, s6, 2
	s_mul_i32 s20, s20, s2
	s_lshl_b32 s6, s6, 1
	s_branch .LBB221_14
.LBB221_12:                             ;   in Loop: Header=BB221_14 Depth=1
	s_or_b32 exec_lo, exec_lo, s22
	global_store_d16_hi_b16 v[0:1], v3, off offset:2
.LBB221_13:                             ;   in Loop: Header=BB221_14 Depth=1
	s_or_b32 exec_lo, exec_lo, s21
	v_add_nc_u32_e32 v32, s16, v32
	s_delay_alu instid0(VALU_DEP_1) | instskip(SKIP_1) | instid1(SALU_CYCLE_1)
	v_cmp_le_u32_e32 vcc_lo, s7, v32
	s_or_b32 s3, vcc_lo, s3
	s_and_not1_b32 exec_lo, exec_lo, s3
	s_cbranch_execz .LBB221_48
.LBB221_14:                             ; =>This Loop Header: Depth=1
                                        ;     Child Loop BB221_18 Depth 2
	v_mov_b32_e32 v52, v34
	v_mov_b32_e32 v53, v34
	;; [unrolled: 1-line block ×6, first 2 shown]
	s_and_not1_b32 vcc_lo, exec_lo, s1
	s_cbranch_vccnz .LBB221_21
; %bb.15:                               ;   in Loop: Header=BB221_14 Depth=1
	v_or_b32_e32 v0, 1, v32
	s_waitcnt lgkmcnt(0)
	v_min_u32_e32 v1, s15, v32
	v_dual_mov_b32 v51, v48 :: v_dual_mov_b32 v56, 0
	v_dual_mov_b32 v57, 0 :: v_dual_mov_b32 v52, 0
	v_min_u32_e32 v0, s15, v0
	s_delay_alu instid0(VALU_DEP_4) | instskip(SKIP_2) | instid1(VALU_DEP_4)
	v_mul_lo_u32 v33, v1, s5
	v_dual_mov_b32 v1, v34 :: v_dual_mov_b32 v54, 0
	v_mov_b32_e32 v55, 0
	v_mul_lo_u32 v0, v0, s5
	v_mov_b32_e32 v53, 0
	s_mov_b32 s21, 0
	v_lshlrev_b64 v[35:36], 1, v[33:34]
	s_delay_alu instid0(VALU_DEP_3)
	v_lshlrev_b64 v[37:38], 1, v[0:1]
	s_branch .LBB221_18
.LBB221_16:                             ;   in Loop: Header=BB221_18 Depth=2
	s_or_b32 exec_lo, exec_lo, s23
.LBB221_17:                             ;   in Loop: Header=BB221_18 Depth=2
	s_delay_alu instid0(SALU_CYCLE_1)
	s_or_b32 exec_lo, exec_lo, s22
	s_waitcnt lgkmcnt(1)
	v_and_b32_e32 v63, 0xffff0000, v30
	s_waitcnt vmcnt(3)
	v_and_b32_e32 v64, 0xffff0000, v26
	v_and_b32_e32 v59, 0xffff0000, v29
	v_lshlrev_b32_e32 v30, 16, v30
	v_lshlrev_b32_e32 v26, 16, v26
	s_delay_alu instid0(VALU_DEP_4)
	v_dual_mul_f32 v65, v63, v64 :: v_dual_and_b32 v66, 0xffff0000, v27
	v_and_b32_e32 v58, 0xffff0000, v24
	v_lshlrev_b32_e32 v24, 16, v24
	v_and_b32_e32 v60, 0xffff0000, v25
	v_lshlrev_b32_e32 v29, 16, v29
	v_lshlrev_b32_e32 v25, 16, v25
	v_fmac_f32_e32 v65, v30, v26
	s_waitcnt vmcnt(2)
	v_dual_mul_f32 v62, v59, v60 :: v_dual_and_b32 v67, 0xffff0000, v21
	v_and_b32_e32 v33, 0xffff0000, v28
	s_addk_i32 s21, 0x200
	v_add_nc_u32_e32 v51, 0x400, v51
	s_cmp_ge_u32 s21, s4
	v_fmac_f32_e32 v62, v29, v25
	v_dual_mul_f32 v61, v33, v58 :: v_dual_lshlrev_b32 v28, 16, v28
	s_delay_alu instid0(VALU_DEP_1) | instskip(NEXT) | instid1(VALU_DEP_1)
	v_fmac_f32_e32 v61, v28, v24
	v_add_f32_e32 v54, v54, v61
	s_delay_alu instid0(VALU_DEP_1) | instskip(SKIP_2) | instid1(VALU_DEP_3)
	v_dual_add_f32 v54, v54, v62 :: v_dual_and_b32 v61, 0xffff0000, v20
	v_lshlrev_b32_e32 v20, 16, v20
	v_lshlrev_b32_e32 v21, 16, v21
	v_add_f32_e32 v54, v54, v65
	s_delay_alu instid0(VALU_DEP_4) | instskip(NEXT) | instid1(VALU_DEP_1)
	v_dual_mul_f32 v33, v33, v61 :: v_dual_and_b32 v62, 0xffff0000, v31
	v_dual_fmac_f32 v33, v28, v20 :: v_dual_mul_f32 v28, v59, v67
	v_lshlrev_b32_e32 v31, 16, v31
	s_delay_alu instid0(VALU_DEP_2) | instskip(NEXT) | instid1(VALU_DEP_3)
	v_add_f32_e32 v33, v57, v33
	v_dual_fmac_f32 v28, v29, v21 :: v_dual_lshlrev_b32 v27, 16, v27
	s_delay_alu instid0(VALU_DEP_1) | instskip(SKIP_1) | instid1(VALU_DEP_1)
	v_dual_add_f32 v28, v33, v28 :: v_dual_and_b32 v33, 0xffff0000, v23
	v_and_b32_e32 v57, 0xffff0000, v22
	v_dual_mul_f32 v59, v63, v57 :: v_dual_mul_f32 v68, v62, v66
	s_delay_alu instid0(VALU_DEP_1) | instskip(NEXT) | instid1(VALU_DEP_1)
	v_fmac_f32_e32 v68, v31, v27
	v_add_f32_e32 v29, v54, v68
	v_mul_f32_e32 v62, v62, v33
	v_and_b32_e32 v54, 0xffff0000, v16
	s_delay_alu instid0(VALU_DEP_1) | instskip(NEXT) | instid1(VALU_DEP_1)
	v_dual_mul_f32 v63, v54, v58 :: v_dual_lshlrev_b32 v16, 16, v16
	v_dual_fmac_f32 v63, v16, v24 :: v_dual_lshlrev_b32 v22, 16, v22
	s_delay_alu instid0(VALU_DEP_1) | instskip(SKIP_1) | instid1(VALU_DEP_2)
	v_fmac_f32_e32 v59, v30, v22
	v_dual_mul_f32 v54, v54, v61 :: v_dual_lshlrev_b32 v23, 16, v23
	v_dual_add_f32 v28, v28, v59 :: v_dual_and_b32 v59, 0xffff0000, v18
	s_delay_alu instid0(VALU_DEP_2) | instskip(SKIP_1) | instid1(VALU_DEP_4)
	v_fmac_f32_e32 v62, v31, v23
	v_dual_add_f32 v31, v56, v63 :: v_dual_lshlrev_b32 v18, 16, v18
	v_fmac_f32_e32 v54, v16, v20
	s_delay_alu instid0(VALU_DEP_4) | instskip(NEXT) | instid1(VALU_DEP_4)
	v_mul_f32_e32 v56, v59, v64
	v_add_f32_e32 v28, v28, v62
	v_and_b32_e32 v62, 0xffff0000, v19
	s_delay_alu instid0(VALU_DEP_4) | instskip(NEXT) | instid1(VALU_DEP_4)
	v_add_f32_e32 v54, v55, v54
	v_dual_fmac_f32 v56, v18, v26 :: v_dual_and_b32 v55, 0xffff0000, v45
	v_and_b32_e32 v30, 0xffff0000, v17
	v_lshlrev_b32_e32 v17, 16, v17
	v_lshlrev_b32_e32 v16, 16, v19
	;; [unrolled: 1-line block ×3, first 2 shown]
	s_delay_alu instid0(VALU_DEP_4) | instskip(NEXT) | instid1(VALU_DEP_1)
	v_mul_f32_e32 v65, v30, v60
	v_fmac_f32_e32 v65, v17, v25
	s_delay_alu instid0(VALU_DEP_1) | instskip(NEXT) | instid1(VALU_DEP_1)
	v_add_f32_e32 v31, v31, v65
	v_add_f32_e32 v31, v31, v56
	v_mul_f32_e32 v19, v30, v67
	s_delay_alu instid0(VALU_DEP_1) | instskip(NEXT) | instid1(VALU_DEP_1)
	v_dual_mul_f32 v30, v62, v66 :: v_dual_fmac_f32 v19, v17, v21
	v_dual_mul_f32 v17, v59, v57 :: v_dual_fmac_f32 v30, v16, v27
	s_delay_alu instid0(VALU_DEP_2) | instskip(NEXT) | instid1(VALU_DEP_2)
	v_dual_mul_f32 v56, v55, v58 :: v_dual_add_f32 v19, v54, v19
	v_fmac_f32_e32 v17, v18, v22
	v_and_b32_e32 v54, 0xffff0000, v46
	s_delay_alu instid0(VALU_DEP_4) | instskip(SKIP_4) | instid1(VALU_DEP_3)
	v_add_f32_e32 v18, v31, v30
	s_waitcnt lgkmcnt(0)
	v_dual_fmac_f32 v56, v45, v24 :: v_dual_and_b32 v31, 0xffff0000, v43
	v_dual_add_f32 v17, v19, v17 :: v_dual_lshlrev_b32 v24, 16, v46
	v_dual_mul_f32 v30, v54, v60 :: v_dual_lshlrev_b32 v43, 16, v43
	v_dual_mul_f32 v19, v62, v33 :: v_dual_add_f32 v46, v53, v56
	s_delay_alu instid0(VALU_DEP_2) | instskip(SKIP_1) | instid1(VALU_DEP_3)
	v_dual_mul_f32 v53, v31, v64 :: v_dual_fmac_f32 v30, v24, v25
	v_mul_f32_e32 v25, v55, v61
	v_fmac_f32_e32 v19, v16, v23
	s_delay_alu instid0(VALU_DEP_3) | instskip(NEXT) | instid1(VALU_DEP_3)
	v_fmac_f32_e32 v53, v43, v26
	v_dual_add_f32 v16, v46, v30 :: v_dual_fmac_f32 v25, v45, v20
	v_mul_f32_e32 v20, v54, v67
	s_delay_alu instid0(VALU_DEP_4) | instskip(NEXT) | instid1(VALU_DEP_3)
	v_add_f32_e32 v17, v17, v19
	v_dual_add_f32 v16, v16, v53 :: v_dual_and_b32 v19, 0xffff0000, v44
	s_delay_alu instid0(VALU_DEP_4) | instskip(NEXT) | instid1(VALU_DEP_4)
	v_add_f32_e32 v25, v52, v25
	v_dual_fmac_f32 v20, v24, v21 :: v_dual_lshlrev_b32 v21, 16, v44
	v_mul_f32_e32 v24, v31, v57
	s_delay_alu instid0(VALU_DEP_4)
	v_mul_f32_e32 v26, v19, v66
	s_waitcnt vmcnt(1)
	v_dual_mul_f32 v19, v19, v33 :: v_dual_and_b32 v30, 0xffff0000, v8
	v_add_f32_e32 v20, v25, v20
	v_dual_fmac_f32 v24, v43, v22 :: v_dual_and_b32 v25, 0xffff0000, v12
	v_fmac_f32_e32 v26, v21, v27
	s_delay_alu instid0(VALU_DEP_4) | instskip(NEXT) | instid1(VALU_DEP_3)
	v_dual_fmac_f32 v19, v21, v23 :: v_dual_lshlrev_b32 v8, 16, v8
	v_dual_mul_f32 v22, v25, v30 :: v_dual_and_b32 v27, 0xffff0000, v9
	s_delay_alu instid0(VALU_DEP_4)
	v_dual_add_f32 v20, v20, v24 :: v_dual_lshlrev_b32 v9, 16, v9
	v_and_b32_e32 v21, 0xffff0000, v14
	v_and_b32_e32 v23, 0xffff0000, v10
	;; [unrolled: 1-line block ×3, first 2 shown]
	v_lshlrev_b32_e32 v12, 16, v12
	v_dual_add_f32 v16, v16, v26 :: v_dual_lshlrev_b32 v13, 16, v13
	v_add_f32_e32 v19, v20, v19
	s_delay_alu instid0(VALU_DEP_4) | instskip(NEXT) | instid1(VALU_DEP_4)
	v_mul_f32_e32 v31, v24, v27
	v_fmac_f32_e32 v22, v12, v8
	v_and_b32_e32 v26, 0xffff0000, v15
	s_waitcnt vmcnt(0)
	v_and_b32_e32 v33, 0xffff0000, v1
	v_dual_fmac_f32 v31, v13, v9 :: v_dual_and_b32 v44, 0xffff0000, v3
	v_add_f32_e32 v22, v29, v22
	s_delay_alu instid0(VALU_DEP_1) | instskip(SKIP_4) | instid1(VALU_DEP_4)
	v_add_f32_e32 v20, v22, v31
	v_and_b32_e32 v31, 0xffff0000, v11
	v_dual_mul_f32 v29, v21, v23 :: v_dual_lshlrev_b32 v14, 16, v14
	v_lshlrev_b32_e32 v15, 16, v15
	v_lshlrev_b32_e32 v11, 16, v11
	v_dual_mul_f32 v43, v26, v31 :: v_dual_and_b32 v22, 0xffff0000, v0
	s_delay_alu instid0(VALU_DEP_1) | instskip(NEXT) | instid1(VALU_DEP_2)
	v_dual_fmac_f32 v43, v15, v11 :: v_dual_lshlrev_b32 v0, 16, v0
	v_mul_f32_e32 v25, v25, v22
	v_lshlrev_b32_e32 v10, 16, v10
	v_dual_mul_f32 v26, v26, v44 :: v_dual_lshlrev_b32 v3, 16, v3
	s_delay_alu instid0(VALU_DEP_3) | instskip(SKIP_1) | instid1(VALU_DEP_4)
	v_fmac_f32_e32 v25, v12, v0
	v_mul_f32_e32 v12, v24, v33
	v_dual_fmac_f32 v29, v14, v10 :: v_dual_and_b32 v24, 0xffff0000, v4
	s_delay_alu instid0(VALU_DEP_3) | instskip(NEXT) | instid1(VALU_DEP_2)
	v_dual_fmac_f32 v26, v15, v3 :: v_dual_add_f32 v25, v28, v25
	v_dual_mul_f32 v28, v24, v30 :: v_dual_lshlrev_b32 v1, 16, v1
	s_delay_alu instid0(VALU_DEP_3) | instskip(NEXT) | instid1(VALU_DEP_2)
	v_add_f32_e32 v20, v20, v29
	v_dual_mul_f32 v15, v24, v22 :: v_dual_fmac_f32 v12, v13, v1
	v_and_b32_e32 v13, 0xffff0000, v2
	v_lshlrev_b32_e32 v4, 16, v4
	s_delay_alu instid0(VALU_DEP_4) | instskip(NEXT) | instid1(VALU_DEP_4)
	v_add_f32_e32 v54, v20, v43
	v_add_f32_e32 v12, v25, v12
	s_delay_alu instid0(VALU_DEP_4) | instskip(NEXT) | instid1(VALU_DEP_4)
	v_mul_f32_e32 v21, v21, v13
	v_dual_fmac_f32 v28, v4, v8 :: v_dual_and_b32 v29, 0xffff0000, v5
	v_lshlrev_b32_e32 v2, 16, v2
	v_lshlrev_b32_e32 v5, 16, v5
	v_fmac_f32_e32 v15, v4, v0
	s_delay_alu instid0(VALU_DEP_4) | instskip(NEXT) | instid1(VALU_DEP_4)
	v_dual_mul_f32 v25, v29, v27 :: v_dual_add_f32 v18, v18, v28
	v_fmac_f32_e32 v21, v14, v2
	v_and_b32_e32 v14, 0xffff0000, v6
	s_delay_alu instid0(VALU_DEP_3) | instskip(SKIP_1) | instid1(VALU_DEP_4)
	v_dual_fmac_f32 v25, v5, v9 :: v_dual_lshlrev_b32 v6, 16, v6
	v_mul_f32_e32 v24, v29, v33
	v_dual_add_f32 v12, v12, v21 :: v_dual_add_f32 v15, v17, v15
	s_delay_alu instid0(VALU_DEP_4) | instskip(NEXT) | instid1(VALU_DEP_4)
	v_mul_f32_e32 v28, v14, v23
	v_add_f32_e32 v18, v18, v25
	v_and_b32_e32 v20, 0xffff0000, v7
	v_and_b32_e32 v21, 0xffff0000, v41
	v_fmac_f32_e32 v24, v5, v1
	v_dual_fmac_f32 v28, v6, v10 :: v_dual_lshlrev_b32 v25, 16, v41
	v_mul_f32_e32 v5, v14, v13
	v_lshlrev_b32_e32 v7, 16, v7
	s_delay_alu instid0(VALU_DEP_4) | instskip(NEXT) | instid1(VALU_DEP_4)
	v_dual_mul_f32 v4, v20, v31 :: v_dual_add_f32 v15, v15, v24
	v_dual_add_f32 v18, v18, v28 :: v_dual_and_b32 v17, 0xffff0000, v42
	s_delay_alu instid0(VALU_DEP_4) | instskip(SKIP_1) | instid1(VALU_DEP_3)
	v_fmac_f32_e32 v5, v6, v2
	v_mul_f32_e32 v28, v21, v30
	v_dual_add_f32 v57, v12, v26 :: v_dual_mul_f32 v14, v17, v27
	s_delay_alu instid0(VALU_DEP_2) | instskip(SKIP_2) | instid1(VALU_DEP_3)
	v_dual_add_f32 v5, v15, v5 :: v_dual_fmac_f32 v28, v25, v8
	v_dual_mul_f32 v15, v20, v44 :: v_dual_lshlrev_b32 v8, 16, v42
	v_and_b32_e32 v20, 0xffff0000, v40
	v_add_f32_e32 v6, v16, v28
	s_delay_alu instid0(VALU_DEP_3) | instskip(SKIP_1) | instid1(VALU_DEP_2)
	v_dual_fmac_f32 v14, v8, v9 :: v_dual_fmac_f32 v15, v7, v3
	v_mul_f32_e32 v9, v21, v22
	v_dual_add_f32 v6, v6, v14 :: v_dual_add_f32 v55, v5, v15
	s_delay_alu instid0(VALU_DEP_2)
	v_fmac_f32_e32 v9, v25, v0
	v_mul_f32_e32 v0, v17, v33
	v_lshlrev_b32_e32 v14, 16, v39
	v_and_b32_e32 v16, 0xffff0000, v39
	v_fmac_f32_e32 v4, v7, v11
	v_add_f32_e32 v9, v19, v9
	v_fmac_f32_e32 v0, v8, v1
	s_delay_alu instid0(VALU_DEP_4) | instskip(NEXT) | instid1(VALU_DEP_4)
	v_dual_mul_f32 v1, v16, v13 :: v_dual_lshlrev_b32 v8, 16, v40
	v_add_f32_e32 v56, v18, v4
	s_delay_alu instid0(VALU_DEP_2) | instskip(SKIP_2) | instid1(VALU_DEP_2)
	v_dual_add_f32 v0, v9, v0 :: v_dual_fmac_f32 v1, v14, v2
	v_mul_f32_e32 v17, v16, v23
	v_mul_f32_e32 v2, v20, v44
	v_dual_add_f32 v0, v0, v1 :: v_dual_fmac_f32 v17, v14, v10
	v_mul_f32_e32 v10, v20, v31
	s_delay_alu instid0(VALU_DEP_3) | instskip(NEXT) | instid1(VALU_DEP_3)
	v_fmac_f32_e32 v2, v8, v3
	v_add_f32_e32 v6, v6, v17
	s_delay_alu instid0(VALU_DEP_3) | instskip(NEXT) | instid1(VALU_DEP_3)
	v_fmac_f32_e32 v10, v8, v11
	v_add_f32_e32 v52, v0, v2
	s_delay_alu instid0(VALU_DEP_2)
	v_add_f32_e32 v53, v6, v10
	s_cbranch_scc1 .LBB221_21
.LBB221_18:                             ;   Parent Loop BB221_14 Depth=1
                                        ; =>  This Inner Loop Header: Depth=2
	v_dual_mov_b32 v39, 0 :: v_dual_add_nc_u32 v12, s21, v47
	v_mov_b32_e32 v40, 0
	v_mov_b32_e32 v42, 0
	v_dual_mov_b32 v14, 0 :: v_dual_mov_b32 v43, 0
	s_delay_alu instid0(VALU_DEP_4) | instskip(SKIP_2) | instid1(VALU_DEP_3)
	v_min_u32_e32 v33, s14, v12
	v_dual_mov_b32 v41, 0 :: v_dual_add_nc_u32 v58, 0x100, v12
	v_dual_mov_b32 v44, 0 :: v_dual_mov_b32 v19, 0
	v_lshlrev_b64 v[0:1], 1, v[33:34]
	s_delay_alu instid0(VALU_DEP_3) | instskip(SKIP_2) | instid1(VALU_DEP_4)
	v_min_u32_e32 v33, s14, v58
	v_dual_mov_b32 v46, 0 :: v_dual_mov_b32 v17, 0
	v_dual_mov_b32 v18, 0 :: v_dual_mov_b32 v31, 0
	v_add_co_u32 v4, vcc_lo, s12, v0
	v_add_co_ci_u32_e32 v5, vcc_lo, s13, v1, vcc_lo
	v_lshlrev_b64 v[0:1], 1, v[33:34]
	s_delay_alu instid0(VALU_DEP_3) | instskip(NEXT) | instid1(VALU_DEP_3)
	v_add_co_u32 v2, vcc_lo, v4, v35
	v_add_co_ci_u32_e32 v3, vcc_lo, v5, v36, vcc_lo
	v_dual_mov_b32 v16, 0 :: v_dual_mov_b32 v29, 0
	s_delay_alu instid0(VALU_DEP_4) | instskip(SKIP_3) | instid1(VALU_DEP_4)
	v_add_co_u32 v6, vcc_lo, s12, v0
	v_add_co_ci_u32_e32 v7, vcc_lo, s13, v1, vcc_lo
	v_add_co_u32 v0, vcc_lo, v4, v37
	v_add_co_ci_u32_e32 v1, vcc_lo, v5, v38, vcc_lo
	v_add_co_u32 v4, vcc_lo, v6, v35
	s_delay_alu instid0(VALU_DEP_4)
	v_add_co_ci_u32_e32 v5, vcc_lo, v7, v36, vcc_lo
	v_add_co_u32 v6, vcc_lo, v6, v37
	v_add_co_ci_u32_e32 v7, vcc_lo, v7, v38, vcc_lo
	s_clause 0x3
	global_load_b128 v[24:27], v[2:3], off slc dlc
	global_load_b128 v[20:23], v[0:1], off slc dlc
	;; [unrolled: 1-line block ×4, first 2 shown]
	v_cmp_gt_u32_e32 vcc_lo, s4, v12
	v_dual_mov_b32 v7, 0 :: v_dual_mov_b32 v6, 0
	v_mov_b32_e32 v15, 0
	v_dual_mov_b32 v5, 0 :: v_dual_mov_b32 v4, 0
	v_dual_mov_b32 v13, 0 :: v_dual_mov_b32 v12, 0
	;; [unrolled: 1-line block ×3, first 2 shown]
	v_mov_b32_e32 v28, 0
	s_and_saveexec_b32 s22, vcc_lo
	s_cbranch_execz .LBB221_17
; %bb.19:                               ;   in Loop: Header=BB221_18 Depth=2
	v_dual_mov_b32 v12, 0 :: v_dual_add_nc_u32 v59, s6, v51
	v_dual_mov_b32 v14, 0 :: v_dual_add_nc_u32 v33, s19, v51
	v_dual_mov_b32 v13, 0 :: v_dual_mov_b32 v4, 0
	ds_load_b128 v[16:19], v59
	ds_load_2addr_b32 v[45:46], v33 offset1:1
	ds_load_b128 v[28:31], v51
	ds_load_2addr_b32 v[43:44], v33 offset0:2 offset1:3
	v_dual_mov_b32 v15, 0 :: v_dual_mov_b32 v6, 0
	v_dual_mov_b32 v5, 0 :: v_dual_mov_b32 v42, 0
	;; [unrolled: 1-line block ×3, first 2 shown]
	v_mov_b32_e32 v41, 0
	v_mov_b32_e32 v39, 0
	s_mov_b32 s23, exec_lo
	v_cmpx_gt_u32_e64 s4, v58
	s_cbranch_execz .LBB221_16
; %bb.20:                               ;   in Loop: Header=BB221_18 Depth=2
	ds_load_b128 v[4:7], v59 offset:512
	ds_load_2addr_b32 v[41:42], v33 offset0:128 offset1:129
	ds_load_b128 v[12:15], v51 offset:512
	ds_load_2addr_b32 v[39:40], v33 offset0:130 offset1:131
	s_branch .LBB221_16
.LBB221_21:                             ;   in Loop: Header=BB221_14 Depth=1
	; sched_barrier mask(0x00000000)
	s_delay_alu instid0(VALU_DEP_1)
	v_cvt_i32_f32_e32 v0, v54
	s_waitcnt lgkmcnt(0)
	v_cvt_i32_f32_e32 v1, v57
	v_cvt_i32_f32_e32 v2, v56
	;; [unrolled: 1-line block ×4, first 2 shown]
	v_cvt_f32_i32_dpp v0, v0 row_shr:8 row_mask:0xf bank_mask:0xf bound_ctrl:1
	v_cvt_i32_f32_e32 v5, v52
	v_cvt_f32_i32_dpp v1, v1 row_shr:8 row_mask:0xf bank_mask:0xf bound_ctrl:1
	v_cvt_f32_i32_dpp v2, v2 row_shr:8 row_mask:0xf bank_mask:0xf bound_ctrl:1
	;; [unrolled: 1-line block ×3, first 2 shown]
	v_add_f32_e32 v0, v54, v0
	v_cvt_f32_i32_dpp v4, v4 row_shr:8 row_mask:0xf bank_mask:0xf bound_ctrl:1
	v_add_f32_e32 v1, v57, v1
	v_cvt_f32_i32_dpp v5, v5 row_shr:8 row_mask:0xf bank_mask:0xf bound_ctrl:1
	v_dual_add_f32 v2, v56, v2 :: v_dual_add_f32 v3, v55, v3
	v_cvt_i32_f32_e32 v6, v0
	s_delay_alu instid0(VALU_DEP_3) | instskip(SKIP_1) | instid1(VALU_DEP_4)
	v_dual_add_f32 v4, v53, v4 :: v_dual_add_f32 v5, v52, v5
	v_cvt_i32_f32_e32 v7, v1
	v_cvt_i32_f32_e32 v8, v2
	s_delay_alu instid0(VALU_DEP_4) | instskip(SKIP_3) | instid1(VALU_DEP_4)
	v_cvt_f32_i32_dpp v6, v6 row_shr:4 row_mask:0xf bank_mask:0xf bound_ctrl:1
	v_cvt_i32_f32_e32 v9, v3
	v_cvt_i32_f32_e32 v10, v4
	v_cvt_i32_f32_e32 v11, v5
	v_add_f32_e32 v0, v0, v6
	v_cvt_f32_i32_dpp v6, v7 row_shr:4 row_mask:0xf bank_mask:0xf bound_ctrl:1
	v_cvt_f32_i32_dpp v7, v8 row_shr:4 row_mask:0xf bank_mask:0xf bound_ctrl:1
	;; [unrolled: 1-line block ×5, first 2 shown]
	s_delay_alu instid0(VALU_DEP_4) | instskip(NEXT) | instid1(VALU_DEP_4)
	v_dual_add_f32 v1, v1, v6 :: v_dual_add_f32 v2, v2, v7
	v_add_f32_e32 v3, v3, v8
	v_cvt_i32_f32_e32 v10, v0
	s_delay_alu instid0(VALU_DEP_4) | instskip(NEXT) | instid1(VALU_DEP_4)
	v_dual_add_f32 v4, v4, v9 :: v_dual_add_f32 v5, v5, v11
	v_cvt_i32_f32_e32 v7, v1
	v_cvt_i32_f32_e32 v8, v2
	s_delay_alu instid0(VALU_DEP_4) | instskip(NEXT) | instid1(VALU_DEP_4)
	v_cvt_f32_i32_dpp v6, v10 row_shr:2 row_mask:0xf bank_mask:0xf bound_ctrl:1
	v_cvt_i32_f32_e32 v9, v4
	v_cvt_i32_f32_e32 v10, v5
	v_cvt_f32_i32_dpp v7, v7 row_shr:2 row_mask:0xf bank_mask:0xf bound_ctrl:1
	v_cvt_f32_i32_dpp v8, v8 row_shr:2 row_mask:0xf bank_mask:0xf bound_ctrl:1
	v_add_f32_e32 v0, v0, v6
	v_cvt_i32_f32_e32 v6, v3
	v_cvt_f32_i32_dpp v9, v9 row_shr:2 row_mask:0xf bank_mask:0xf bound_ctrl:1
	v_add_f32_e32 v1, v1, v7
	v_cvt_f32_i32_dpp v10, v10 row_shr:2 row_mask:0xf bank_mask:0xf bound_ctrl:1
	v_cvt_i32_f32_e32 v11, v0
	v_cvt_f32_i32_dpp v6, v6 row_shr:2 row_mask:0xf bank_mask:0xf bound_ctrl:1
	v_add_f32_e32 v2, v2, v8
	s_delay_alu instid0(VALU_DEP_4) | instskip(NEXT) | instid1(VALU_DEP_4)
	v_dual_add_f32 v4, v4, v9 :: v_dual_add_f32 v5, v5, v10
	v_cvt_f32_i32_dpp v11, v11 row_shr:1 row_mask:0xf bank_mask:0xf bound_ctrl:1
	s_delay_alu instid0(VALU_DEP_4) | instskip(NEXT) | instid1(VALU_DEP_4)
	v_add_f32_e32 v3, v3, v6
	v_cvt_i32_f32_e32 v6, v2
	s_delay_alu instid0(VALU_DEP_4) | instskip(SKIP_1) | instid1(VALU_DEP_4)
	v_cvt_i32_f32_e32 v8, v4
	v_cvt_i32_f32_e32 v9, v5
	;; [unrolled: 1-line block ×3, first 2 shown]
	s_delay_alu instid0(VALU_DEP_4)
	v_cvt_f32_i32_dpp v6, v6 row_shr:1 row_mask:0xf bank_mask:0xf bound_ctrl:1
	v_add_f32_e32 v12, v0, v11
	v_cvt_i32_f32_e32 v0, v1
	v_cvt_f32_i32_dpp v8, v8 row_shr:1 row_mask:0xf bank_mask:0xf bound_ctrl:1
	v_cvt_f32_i32_dpp v7, v7 row_shr:1 row_mask:0xf bank_mask:0xf bound_ctrl:1
	;; [unrolled: 1-line block ×3, first 2 shown]
	v_add_f32_e32 v9, v2, v6
	v_cvt_f32_i32_dpp v0, v0 row_shr:1 row_mask:0xf bank_mask:0xf bound_ctrl:1
	v_add_f32_e32 v4, v4, v8
	v_add_f32_e32 v6, v3, v7
	;; [unrolled: 1-line block ×3, first 2 shown]
	ds_bpermute_b32 v14, v49, v12
	v_add_f32_e32 v0, v1, v0
	ds_bpermute_b32 v10, v49, v9
	ds_bpermute_b32 v7, v49, v6
	;; [unrolled: 1-line block ×5, first 2 shown]
	s_and_saveexec_b32 s21, s0
	s_cbranch_execz .LBB221_13
; %bb.22:                               ;   in Loop: Header=BB221_14 Depth=1
	v_dual_mov_b32 v17, 0 :: v_dual_mov_b32 v16, 0
	v_dual_mov_b32 v15, 0 :: v_dual_mov_b32 v8, 0
	v_mov_b32_e32 v13, 0
	v_mov_b32_e32 v11, 0
	s_and_not1_b32 vcc_lo, exec_lo, s18
	s_cbranch_vccnz .LBB221_24
; %bb.23:                               ;   in Loop: Header=BB221_14 Depth=1
	v_or_b32_e32 v8, 1, v32
	v_mul_hi_u32 v11, v32, v50
	v_mov_b32_e32 v16, v34
	v_mov_b32_e32 v22, v34
	s_delay_alu instid0(VALU_DEP_4) | instskip(NEXT) | instid1(VALU_DEP_4)
	v_mul_hi_u32 v13, v8, v50
	v_mul_lo_u32 v11, v11, s2
	s_delay_alu instid0(VALU_DEP_2) | instskip(NEXT) | instid1(VALU_DEP_2)
	v_mul_lo_u32 v13, v13, s2
	v_sub_nc_u32_e32 v11, v32, v11
	s_delay_alu instid0(VALU_DEP_2) | instskip(NEXT) | instid1(VALU_DEP_2)
	v_sub_nc_u32_e32 v8, v8, v13
	v_subrev_nc_u32_e32 v13, s2, v11
	v_cmp_le_u32_e32 vcc_lo, s2, v11
	s_delay_alu instid0(VALU_DEP_3) | instskip(NEXT) | instid1(VALU_DEP_3)
	v_subrev_nc_u32_e32 v15, s2, v8
	v_cndmask_b32_e32 v11, v11, v13, vcc_lo
	v_cmp_le_u32_e32 vcc_lo, s2, v8
	s_delay_alu instid0(VALU_DEP_3) | instskip(NEXT) | instid1(VALU_DEP_3)
	v_cndmask_b32_e32 v8, v8, v15, vcc_lo
	v_subrev_nc_u32_e32 v13, s2, v11
	v_cmp_le_u32_e32 vcc_lo, s2, v11
	s_delay_alu instid0(VALU_DEP_3) | instskip(NEXT) | instid1(VALU_DEP_3)
	v_subrev_nc_u32_e32 v15, s2, v8
	v_cndmask_b32_e32 v33, v11, v13, vcc_lo
	v_cmp_le_u32_e32 vcc_lo, s2, v8
	v_mov_b32_e32 v18, v34
	s_delay_alu instid0(VALU_DEP_3) | instskip(SKIP_3) | instid1(VALU_DEP_3)
	v_lshlrev_b64 v[19:20], 1, v[33:34]
	v_cndmask_b32_e32 v15, v8, v15, vcc_lo
	v_add_nc_u32_e32 v17, s17, v33
	v_add_nc_u32_e32 v33, s20, v33
	v_lshlrev_b64 v[23:24], 1, v[15:16]
	v_add_nc_u32_e32 v21, s17, v15
	s_delay_alu instid0(VALU_DEP_4)
	v_lshlrev_b64 v[16:17], 1, v[17:18]
	v_add_co_u32 v18, vcc_lo, s8, v19
	v_add_co_ci_u32_e32 v19, vcc_lo, s9, v20, vcc_lo
	v_lshlrev_b64 v[25:26], 1, v[33:34]
	v_lshlrev_b64 v[20:21], 1, v[21:22]
	v_add_co_u32 v22, vcc_lo, s8, v23
	v_add_nc_u32_e32 v33, s20, v15
	v_add_co_ci_u32_e32 v23, vcc_lo, s9, v24, vcc_lo
	v_add_co_u32 v29, vcc_lo, s8, v16
	v_add_co_ci_u32_e32 v30, vcc_lo, s9, v17, vcc_lo
	s_delay_alu instid0(VALU_DEP_4)
	v_lshlrev_b64 v[27:28], 1, v[33:34]
	v_add_co_u32 v24, vcc_lo, s8, v25
	v_add_co_ci_u32_e32 v25, vcc_lo, s9, v26, vcc_lo
	v_add_co_u32 v20, vcc_lo, s8, v20
	v_add_co_ci_u32_e32 v21, vcc_lo, s9, v21, vcc_lo
	;; [unrolled: 2-line block ×3, first 2 shown]
	s_clause 0x5
	global_load_u16 v17, v[18:19], off
	global_load_u16 v16, v[22:23], off
	;; [unrolled: 1-line block ×6, first 2 shown]
.LBB221_24:                             ;   in Loop: Header=BB221_14 Depth=1
	s_waitcnt lgkmcnt(5)
	v_add_f32_e32 v12, v12, v14
	s_waitcnt vmcnt(5)
	v_lshlrev_b32_e32 v14, 16, v17
	s_delay_alu instid0(VALU_DEP_1) | instskip(NEXT) | instid1(VALU_DEP_1)
	v_add_f32_e32 v14, v12, v14
	v_and_b32_e32 v12, 0x7f800000, v14
	s_delay_alu instid0(VALU_DEP_1) | instskip(SKIP_1) | instid1(SALU_CYCLE_1)
	v_cmp_ne_u32_e32 vcc_lo, 0x7f800000, v12
                                        ; implicit-def: $vgpr12
	s_and_saveexec_b32 s22, vcc_lo
	s_xor_b32 s22, exec_lo, s22
; %bb.25:                               ;   in Loop: Header=BB221_14 Depth=1
	v_bfe_u32 v12, v14, 16, 1
	s_delay_alu instid0(VALU_DEP_1)
	v_add3_u32 v12, v14, v12, 0x7fff
                                        ; implicit-def: $vgpr14
; %bb.26:                               ;   in Loop: Header=BB221_14 Depth=1
	s_and_not1_saveexec_b32 s22, s22
; %bb.27:                               ;   in Loop: Header=BB221_14 Depth=1
	v_and_b32_e32 v12, 0xffff, v14
	v_or_b32_e32 v17, 0x10000, v14
	s_delay_alu instid0(VALU_DEP_2) | instskip(NEXT) | instid1(VALU_DEP_2)
	v_cmp_eq_u32_e32 vcc_lo, 0, v12
	v_cndmask_b32_e32 v12, v17, v14, vcc_lo
; %bb.28:                               ;   in Loop: Header=BB221_14 Depth=1
	s_or_b32 exec_lo, exec_lo, s22
	s_waitcnt vmcnt(4) lgkmcnt(0)
	v_dual_add_f32 v0, v0, v1 :: v_dual_lshlrev_b32 v1, 16, v16
	v_mov_b32_e32 v33, v34
	s_mov_b32 s22, exec_lo
	s_delay_alu instid0(VALU_DEP_2) | instskip(NEXT) | instid1(VALU_DEP_2)
	v_add_f32_e32 v14, v0, v1
	v_lshlrev_b64 v[0:1], 1, v[32:33]
	s_delay_alu instid0(VALU_DEP_2) | instskip(NEXT) | instid1(VALU_DEP_2)
	v_and_b32_e32 v16, 0x7f800000, v14
	v_add_co_u32 v0, vcc_lo, s10, v0
	s_delay_alu instid0(VALU_DEP_3)
	v_add_co_ci_u32_e32 v1, vcc_lo, s11, v1, vcc_lo
	global_store_d16_hi_b16 v[0:1], v12, off
                                        ; implicit-def: $vgpr12
	v_cmpx_ne_u32_e32 0x7f800000, v16
	s_xor_b32 s22, exec_lo, s22
; %bb.29:                               ;   in Loop: Header=BB221_14 Depth=1
	v_bfe_u32 v12, v14, 16, 1
	s_delay_alu instid0(VALU_DEP_1)
	v_add3_u32 v12, v14, v12, 0x7fff
                                        ; implicit-def: $vgpr14
; %bb.30:                               ;   in Loop: Header=BB221_14 Depth=1
	s_and_not1_saveexec_b32 s22, s22
; %bb.31:                               ;   in Loop: Header=BB221_14 Depth=1
	v_and_b32_e32 v12, 0xffff, v14
	v_or_b32_e32 v16, 0x10000, v14
	s_delay_alu instid0(VALU_DEP_2) | instskip(NEXT) | instid1(VALU_DEP_2)
	v_cmp_eq_u32_e32 vcc_lo, 0, v12
	v_cndmask_b32_e32 v12, v16, v14, vcc_lo
; %bb.32:                               ;   in Loop: Header=BB221_14 Depth=1
	s_or_b32 exec_lo, exec_lo, s22
	s_waitcnt vmcnt(3)
	v_dual_add_f32 v9, v9, v10 :: v_dual_lshlrev_b32 v10, 16, v15
	s_mov_b32 s22, exec_lo
	global_store_d16_hi_b16 v[0:1], v12, off offset:2
                                        ; implicit-def: $vgpr0
	v_add_f32_e32 v9, v9, v10
	s_delay_alu instid0(VALU_DEP_1) | instskip(NEXT) | instid1(VALU_DEP_1)
	v_and_b32_e32 v10, 0x7f800000, v9
	v_cmpx_ne_u32_e32 0x7f800000, v10
	s_xor_b32 s22, exec_lo, s22
; %bb.33:                               ;   in Loop: Header=BB221_14 Depth=1
	v_bfe_u32 v0, v9, 16, 1
	s_delay_alu instid0(VALU_DEP_1)
	v_add3_u32 v0, v9, v0, 0x7fff
                                        ; implicit-def: $vgpr9
; %bb.34:                               ;   in Loop: Header=BB221_14 Depth=1
	s_and_not1_saveexec_b32 s22, s22
; %bb.35:                               ;   in Loop: Header=BB221_14 Depth=1
	v_and_b32_e32 v0, 0xffff, v9
	v_or_b32_e32 v1, 0x10000, v9
	s_delay_alu instid0(VALU_DEP_2) | instskip(NEXT) | instid1(VALU_DEP_2)
	v_cmp_eq_u32_e32 vcc_lo, 0, v0
	v_cndmask_b32_e32 v0, v1, v9, vcc_lo
; %bb.36:                               ;   in Loop: Header=BB221_14 Depth=1
	s_or_b32 exec_lo, exec_lo, s22
	s_waitcnt vmcnt(2)
	v_dual_add_f32 v1, v6, v7 :: v_dual_lshlrev_b32 v6, 16, v13
	v_add_nc_u32_e32 v33, s7, v32
	s_mov_b32 s22, exec_lo
	s_delay_alu instid0(VALU_DEP_2) | instskip(NEXT) | instid1(VALU_DEP_2)
	v_add_f32_e32 v1, v1, v6
	v_lshlrev_b64 v[6:7], 1, v[33:34]
	s_delay_alu instid0(VALU_DEP_2) | instskip(NEXT) | instid1(VALU_DEP_2)
	v_and_b32_e32 v9, 0x7f800000, v1
	v_add_co_u32 v6, vcc_lo, s10, v6
	s_delay_alu instid0(VALU_DEP_3)
	v_add_co_ci_u32_e32 v7, vcc_lo, s11, v7, vcc_lo
	global_store_d16_hi_b16 v[6:7], v0, off
                                        ; implicit-def: $vgpr0
	v_cmpx_ne_u32_e32 0x7f800000, v9
	s_xor_b32 s22, exec_lo, s22
; %bb.37:                               ;   in Loop: Header=BB221_14 Depth=1
	v_bfe_u32 v0, v1, 16, 1
	s_delay_alu instid0(VALU_DEP_1)
	v_add3_u32 v0, v1, v0, 0x7fff
                                        ; implicit-def: $vgpr1
; %bb.38:                               ;   in Loop: Header=BB221_14 Depth=1
	s_and_not1_saveexec_b32 s22, s22
; %bb.39:                               ;   in Loop: Header=BB221_14 Depth=1
	v_and_b32_e32 v0, 0xffff, v1
	v_or_b32_e32 v6, 0x10000, v1
	s_delay_alu instid0(VALU_DEP_2) | instskip(NEXT) | instid1(VALU_DEP_2)
	v_cmp_eq_u32_e32 vcc_lo, 0, v0
	v_cndmask_b32_e32 v0, v6, v1, vcc_lo
; %bb.40:                               ;   in Loop: Header=BB221_14 Depth=1
	s_or_b32 exec_lo, exec_lo, s22
	s_waitcnt vmcnt(1)
	v_dual_add_f32 v1, v4, v5 :: v_dual_lshlrev_b32 v6, 16, v11
	v_dual_mov_b32 v5, v34 :: v_dual_add_nc_u32 v4, 1, v33
	s_mov_b32 s22, exec_lo
	s_delay_alu instid0(VALU_DEP_2) | instskip(NEXT) | instid1(VALU_DEP_2)
	v_add_f32_e32 v1, v1, v6
	v_lshlrev_b64 v[4:5], 1, v[4:5]
	s_delay_alu instid0(VALU_DEP_2) | instskip(NEXT) | instid1(VALU_DEP_2)
	v_and_b32_e32 v6, 0x7f800000, v1
	v_add_co_u32 v4, vcc_lo, s10, v4
	s_delay_alu instid0(VALU_DEP_3)
	v_add_co_ci_u32_e32 v5, vcc_lo, s11, v5, vcc_lo
	global_store_d16_hi_b16 v[4:5], v0, off
                                        ; implicit-def: $vgpr4
	v_cmpx_ne_u32_e32 0x7f800000, v6
	s_xor_b32 s22, exec_lo, s22
; %bb.41:                               ;   in Loop: Header=BB221_14 Depth=1
	v_bfe_u32 v0, v1, 16, 1
	s_delay_alu instid0(VALU_DEP_1)
	v_add3_u32 v4, v1, v0, 0x7fff
                                        ; implicit-def: $vgpr1
; %bb.42:                               ;   in Loop: Header=BB221_14 Depth=1
	s_and_not1_saveexec_b32 s22, s22
; %bb.43:                               ;   in Loop: Header=BB221_14 Depth=1
	v_and_b32_e32 v0, 0xffff, v1
	v_or_b32_e32 v4, 0x10000, v1
	s_delay_alu instid0(VALU_DEP_2) | instskip(NEXT) | instid1(VALU_DEP_2)
	v_cmp_eq_u32_e32 vcc_lo, 0, v0
	v_cndmask_b32_e32 v4, v4, v1, vcc_lo
; %bb.44:                               ;   in Loop: Header=BB221_14 Depth=1
	s_or_b32 exec_lo, exec_lo, s22
	s_waitcnt vmcnt(0)
	v_dual_add_f32 v0, v2, v3 :: v_dual_lshlrev_b32 v1, 16, v8
	v_add_nc_u32_e32 v33, s7, v33
	s_delay_alu instid0(VALU_DEP_2) | instskip(NEXT) | instid1(VALU_DEP_2)
	v_add_f32_e32 v2, v0, v1
	v_lshlrev_b64 v[0:1], 1, v[33:34]
	s_delay_alu instid0(VALU_DEP_2) | instskip(NEXT) | instid1(VALU_DEP_2)
	v_and_b32_e32 v3, 0x7f800000, v2
	v_add_co_u32 v0, vcc_lo, s10, v0
	s_delay_alu instid0(VALU_DEP_3) | instskip(NEXT) | instid1(VALU_DEP_3)
	v_add_co_ci_u32_e32 v1, vcc_lo, s11, v1, vcc_lo
	v_cmp_ne_u32_e32 vcc_lo, 0x7f800000, v3
                                        ; implicit-def: $vgpr3
	global_store_d16_hi_b16 v[0:1], v4, off
	s_and_saveexec_b32 s22, vcc_lo
	s_delay_alu instid0(SALU_CYCLE_1)
	s_xor_b32 s22, exec_lo, s22
; %bb.45:                               ;   in Loop: Header=BB221_14 Depth=1
	v_bfe_u32 v3, v2, 16, 1
	s_delay_alu instid0(VALU_DEP_1)
	v_add3_u32 v3, v2, v3, 0x7fff
                                        ; implicit-def: $vgpr2
; %bb.46:                               ;   in Loop: Header=BB221_14 Depth=1
	s_and_not1_saveexec_b32 s22, s22
	s_cbranch_execz .LBB221_12
; %bb.47:                               ;   in Loop: Header=BB221_14 Depth=1
	v_and_b32_e32 v3, 0xffff, v2
	v_or_b32_e32 v4, 0x10000, v2
	s_delay_alu instid0(VALU_DEP_2) | instskip(NEXT) | instid1(VALU_DEP_2)
	v_cmp_eq_u32_e32 vcc_lo, 0, v3
	v_cndmask_b32_e32 v3, v4, v2, vcc_lo
	s_branch .LBB221_12
.LBB221_48:
	s_nop 0
	s_sendmsg sendmsg(MSG_DEALLOC_VGPRS)
	s_endpgm
	.section	.rodata,"a",@progbits
	.p2align	6, 0x0
	.amdhsa_kernel _Z16wvSplitK_hf_sml_I14__hip_bfloat16Li32ELi2ELi16ELi8ELi2ELi3EEviiiiiiPKT_S3_S3_PS1_ii
		.amdhsa_group_segment_fixed_size 65536
		.amdhsa_private_segment_fixed_size 0
		.amdhsa_kernarg_size 64
		.amdhsa_user_sgpr_count 15
		.amdhsa_user_sgpr_dispatch_ptr 0
		.amdhsa_user_sgpr_queue_ptr 0
		.amdhsa_user_sgpr_kernarg_segment_ptr 1
		.amdhsa_user_sgpr_dispatch_id 0
		.amdhsa_user_sgpr_private_segment_size 0
		.amdhsa_wavefront_size32 1
		.amdhsa_uses_dynamic_stack 0
		.amdhsa_enable_private_segment 0
		.amdhsa_system_sgpr_workgroup_id_x 1
		.amdhsa_system_sgpr_workgroup_id_y 0
		.amdhsa_system_sgpr_workgroup_id_z 0
		.amdhsa_system_sgpr_workgroup_info 0
		.amdhsa_system_vgpr_workitem_id 1
		.amdhsa_next_free_vgpr 69
		.amdhsa_next_free_sgpr 24
		.amdhsa_reserve_vcc 1
		.amdhsa_float_round_mode_32 0
		.amdhsa_float_round_mode_16_64 0
		.amdhsa_float_denorm_mode_32 3
		.amdhsa_float_denorm_mode_16_64 3
		.amdhsa_dx10_clamp 1
		.amdhsa_ieee_mode 1
		.amdhsa_fp16_overflow 0
		.amdhsa_workgroup_processor_mode 1
		.amdhsa_memory_ordered 1
		.amdhsa_forward_progress 0
		.amdhsa_shared_vgpr_count 0
		.amdhsa_exception_fp_ieee_invalid_op 0
		.amdhsa_exception_fp_denorm_src 0
		.amdhsa_exception_fp_ieee_div_zero 0
		.amdhsa_exception_fp_ieee_overflow 0
		.amdhsa_exception_fp_ieee_underflow 0
		.amdhsa_exception_fp_ieee_inexact 0
		.amdhsa_exception_int_div_zero 0
	.end_amdhsa_kernel
	.section	.text._Z16wvSplitK_hf_sml_I14__hip_bfloat16Li32ELi2ELi16ELi8ELi2ELi3EEviiiiiiPKT_S3_S3_PS1_ii,"axG",@progbits,_Z16wvSplitK_hf_sml_I14__hip_bfloat16Li32ELi2ELi16ELi8ELi2ELi3EEviiiiiiPKT_S3_S3_PS1_ii,comdat
.Lfunc_end221:
	.size	_Z16wvSplitK_hf_sml_I14__hip_bfloat16Li32ELi2ELi16ELi8ELi2ELi3EEviiiiiiPKT_S3_S3_PS1_ii, .Lfunc_end221-_Z16wvSplitK_hf_sml_I14__hip_bfloat16Li32ELi2ELi16ELi8ELi2ELi3EEviiiiiiPKT_S3_S3_PS1_ii
                                        ; -- End function
	.section	.AMDGPU.csdata,"",@progbits
; Kernel info:
; codeLenInByte = 4512
; NumSgprs: 26
; NumVgprs: 69
; ScratchSize: 0
; MemoryBound: 0
; FloatMode: 240
; IeeeMode: 1
; LDSByteSize: 65536 bytes/workgroup (compile time only)
; SGPRBlocks: 3
; VGPRBlocks: 8
; NumSGPRsForWavesPerEU: 26
; NumVGPRsForWavesPerEU: 69
; Occupancy: 8
; WaveLimiterHint : 0
; COMPUTE_PGM_RSRC2:SCRATCH_EN: 0
; COMPUTE_PGM_RSRC2:USER_SGPR: 15
; COMPUTE_PGM_RSRC2:TRAP_HANDLER: 0
; COMPUTE_PGM_RSRC2:TGID_X_EN: 1
; COMPUTE_PGM_RSRC2:TGID_Y_EN: 0
; COMPUTE_PGM_RSRC2:TGID_Z_EN: 0
; COMPUTE_PGM_RSRC2:TIDIG_COMP_CNT: 1
	.section	.text._Z12wvSplitK_hf_I14__hip_bfloat16Li32ELi2ELi16ELi8ELi2ELi3EEviiiiiiPKT_S3_S3_PS1_ii,"axG",@progbits,_Z12wvSplitK_hf_I14__hip_bfloat16Li32ELi2ELi16ELi8ELi2ELi3EEviiiiiiPKT_S3_S3_PS1_ii,comdat
	.protected	_Z12wvSplitK_hf_I14__hip_bfloat16Li32ELi2ELi16ELi8ELi2ELi3EEviiiiiiPKT_S3_S3_PS1_ii ; -- Begin function _Z12wvSplitK_hf_I14__hip_bfloat16Li32ELi2ELi16ELi8ELi2ELi3EEviiiiiiPKT_S3_S3_PS1_ii
	.globl	_Z12wvSplitK_hf_I14__hip_bfloat16Li32ELi2ELi16ELi8ELi2ELi3EEviiiiiiPKT_S3_S3_PS1_ii
	.p2align	8
	.type	_Z12wvSplitK_hf_I14__hip_bfloat16Li32ELi2ELi16ELi8ELi2ELi3EEviiiiiiPKT_S3_S3_PS1_ii,@function
_Z12wvSplitK_hf_I14__hip_bfloat16Li32ELi2ELi16ELi8ELi2ELi3EEviiiiiiPKT_S3_S3_PS1_ii: ; @_Z12wvSplitK_hf_I14__hip_bfloat16Li32ELi2ELi16ELi8ELi2ELi3EEviiiiiiPKT_S3_S3_PS1_ii
; %bb.0:
	s_clause 0x1
	s_load_b64 s[18:19], s[0:1], 0x38
	s_load_b128 s[4:7], s[0:1], 0x0
	v_bfe_u32 v1, v0, 10, 10
	s_clause 0x1
	s_load_b64 s[12:13], s[0:1], 0x20
	s_load_b64 s[16:17], s[0:1], 0x10
	s_mov_b32 s8, 1
	s_delay_alu instid0(SALU_CYCLE_1) | instskip(NEXT) | instid1(SALU_CYCLE_1)
	s_mov_b32 s9, s8
	v_dual_mov_b32 v41, s9 :: v_dual_mov_b32 v40, s8
	s_waitcnt lgkmcnt(0)
	s_mul_i32 s15, s15, s18
	s_delay_alu instid0(SALU_CYCLE_1) | instskip(NEXT) | instid1(VALU_DEP_1)
	v_add_lshl_u32 v42, s15, v1, 1
	v_add_nc_u32_e32 v2, 2, v42
	v_cmp_gt_u32_e32 vcc_lo, s7, v42
	s_delay_alu instid0(VALU_DEP_2) | instskip(NEXT) | instid1(VALU_DEP_1)
	v_cmp_le_u32_e64 s2, s7, v2
	s_and_b32 s2, vcc_lo, s2
	s_delay_alu instid0(SALU_CYCLE_1)
	s_and_saveexec_b32 s10, s2
	s_cbranch_execz .LBB222_6
; %bb.1:
	v_dual_mov_b32 v41, s9 :: v_dual_mov_b32 v40, s8
	s_add_i32 s11, s7, -2
	s_mov_b32 s14, exec_lo
	v_cmpx_ne_u32_e64 s11, v42
	s_cbranch_execz .LBB222_5
; %bb.2:
	v_subrev_nc_u32_e32 v2, s11, v42
	s_mov_b32 s2, 1
	s_mov_b32 s15, 0
	s_mov_b64 s[8:9], 0
	s_mov_b32 s3, s2
	v_cmp_lt_u32_e32 vcc_lo, 1, v2
	v_cndmask_b32_e32 v2, 1, v2, vcc_lo
.LBB222_3:                              ; =>This Inner Loop Header: Depth=1
	s_cmp_lg_u32 s8, 1
	s_cselect_b32 s3, s3, 0
	s_cmp_lg_u32 s8, 0
	s_cselect_b32 s2, s2, 0
	s_add_u32 s8, s8, 1
	v_dual_mov_b32 v41, s3 :: v_dual_mov_b32 v40, s2
	v_cmp_eq_u32_e32 vcc_lo, s8, v2
	s_addc_u32 s9, s9, 0
	s_or_b32 s15, vcc_lo, s15
	s_delay_alu instid0(SALU_CYCLE_1)
	s_and_not1_b32 exec_lo, exec_lo, s15
	s_cbranch_execnz .LBB222_3
; %bb.4:
	s_or_b32 exec_lo, exec_lo, s15
	v_mov_b32_e32 v42, s11
.LBB222_5:
	s_or_b32 exec_lo, exec_lo, s14
.LBB222_6:
	s_delay_alu instid0(SALU_CYCLE_1) | instskip(SKIP_2) | instid1(SALU_CYCLE_1)
	s_or_b32 exec_lo, exec_lo, s10
	v_and_b32_e32 v0, 0x3ff, v0
	s_mul_i32 s2, s6, 3
	s_min_u32 s3, s2, 0x8000
	s_mov_b32 s2, exec_lo
	s_delay_alu instid0(VALU_DEP_1) | instskip(NEXT) | instid1(VALU_DEP_1)
	v_lshlrev_b32_e32 v54, 3, v0
	v_lshl_add_u32 v3, v1, 8, v54
	s_delay_alu instid0(VALU_DEP_1)
	v_cmpx_gt_u32_e64 s3, v3
	s_cbranch_execz .LBB222_15
; %bb.7:
	v_lshlrev_b32_e32 v2, 1, v3
	v_add_nc_u32_e32 v8, 0x1000, v3
	s_mov_b32 s8, exec_lo
	global_load_b128 v[4:7], v2, s[12:13]
	s_waitcnt vmcnt(0)
	ds_store_b128 v2, v[4:7]
	v_cmpx_gt_u32_e64 s3, v8
	s_xor_b32 s8, exec_lo, s8
	s_cbranch_execz .LBB222_15
; %bb.8:
	v_add_co_u32 v4, s8, s12, v2
	s_delay_alu instid0(VALU_DEP_1) | instskip(SKIP_1) | instid1(VALU_DEP_3)
	v_add_co_ci_u32_e64 v5, null, s13, 0, s8
	v_add_nc_u32_e32 v10, 0x2000, v3
	v_add_co_u32 v6, vcc_lo, 0x2000, v4
	s_delay_alu instid0(VALU_DEP_3)
	v_add_co_ci_u32_e32 v7, vcc_lo, 0, v5, vcc_lo
	s_mov_b32 s8, exec_lo
	global_load_b128 v[6:9], v[6:7], off
	s_waitcnt vmcnt(0)
	ds_store_b128 v2, v[6:9] offset:8192
	v_cmpx_gt_u32_e64 s3, v10
	s_xor_b32 s8, exec_lo, s8
	s_cbranch_execz .LBB222_15
; %bb.9:
	v_add_co_u32 v6, vcc_lo, 0x4000, v4
	v_add_co_ci_u32_e32 v7, vcc_lo, 0, v5, vcc_lo
	v_add_nc_u32_e32 v10, 0x3000, v3
	s_mov_b32 s8, exec_lo
	global_load_b128 v[6:9], v[6:7], off
	s_waitcnt vmcnt(0)
	ds_store_b128 v2, v[6:9] offset:16384
	v_cmpx_gt_u32_e64 s3, v10
	s_xor_b32 s8, exec_lo, s8
	s_cbranch_execz .LBB222_15
; %bb.10:
	v_add_co_u32 v6, vcc_lo, 0x6000, v4
	v_add_co_ci_u32_e32 v7, vcc_lo, 0, v5, vcc_lo
	v_add_nc_u32_e32 v10, 0x4000, v3
	;; [unrolled: 11-line block ×5, first 2 shown]
	global_load_b128 v[6:9], v[6:7], off
	v_cmp_gt_u32_e32 vcc_lo, s3, v3
	s_waitcnt vmcnt(0)
	ds_store_b128 v2, v[6:9] offset:49152
	s_and_saveexec_b32 s3, vcc_lo
	s_delay_alu instid0(SALU_CYCLE_1)
	s_xor_b32 s3, exec_lo, s3
	s_cbranch_execz .LBB222_15
; %bb.14:
	v_add_co_u32 v3, vcc_lo, 0xe000, v4
	v_add_co_ci_u32_e32 v4, vcc_lo, 0, v5, vcc_lo
	global_load_b128 v[3:6], v[3:4], off
	s_waitcnt vmcnt(0)
	ds_store_b128 v2, v[3:6] offset:57344
.LBB222_15:
	s_or_b32 exec_lo, exec_lo, s2
	v_cmp_gt_u32_e32 vcc_lo, s18, v1
	v_cmp_gt_u32_e64 s2, s7, v42
	s_waitcnt lgkmcnt(0)
	s_barrier
	buffer_gl0_inv
	s_and_b32 s2, vcc_lo, s2
	s_delay_alu instid0(SALU_CYCLE_1)
	s_and_saveexec_b32 s3, s2
	s_cbranch_execz .LBB222_94
; %bb.16:
	s_clause 0x1
	s_load_b128 s[8:11], s[0:1], 0x28
	s_load_b64 s[14:15], s[0:1], 0x18
	s_cmp_lg_u32 s4, 0
	v_cvt_f32_u32_e32 v2, s16
	s_cselect_b32 s3, -1, 0
	s_add_i32 s20, s4, -8
	s_add_i32 s21, s7, -1
	s_mul_i32 s2, s18, s19
	v_rcp_iflag_f32_e32 v2, v2
	v_mbcnt_lo_u32_b32 v3, -1, 0
	v_cmp_eq_u32_e64 s0, 31, v0
	v_add_nc_u32_e32 v56, s6, v54
	v_mov_b32_e32 v44, 0
	s_waitcnt lgkmcnt(0)
	s_cmp_lg_u64 s[8:9], 0
	s_cselect_b32 s22, -1, 0
	s_abs_i32 s1, s17
	s_lshl_b32 s23, s2, 1
	v_cvt_f32_u32_e32 v1, s1
	s_sub_i32 s2, 0, s1
	s_add_i32 s24, s7, -2
	s_sub_i32 s19, 0, s16
	s_sub_i32 s25, 1, s1
	v_rcp_iflag_f32_e32 v1, v1
	s_mov_b32 s17, 0
	s_waitcnt_depctr 0xfff
	v_mul_f32_e32 v1, 0x4f7ffffe, v1
	s_delay_alu instid0(VALU_DEP_1) | instskip(NEXT) | instid1(VALU_DEP_1)
	v_cvt_u32_f32_e32 v1, v1
	v_readfirstlane_b32 s18, v1
	v_mul_f32_e32 v1, 0x4f7ffffe, v2
	v_xor_b32_e32 v2, 16, v3
	s_delay_alu instid0(VALU_DEP_3) | instskip(NEXT) | instid1(VALU_DEP_2)
	s_mul_i32 s2, s2, s18
	v_cvt_u32_f32_e32 v1, v1
	s_mul_hi_u32 s2, s18, s2
	s_delay_alu instid0(VALU_DEP_2)
	v_cmp_gt_i32_e32 vcc_lo, 32, v2
	s_add_i32 s18, s18, s2
	s_cmp_lt_u32 s1, 2
	v_mul_lo_u32 v4, s19, v1
	s_cselect_b32 s2, s25, 1
	v_dual_cndmask_b32 v0, v3, v2 :: v_dual_lshlrev_b32 v55, 4, v0
	s_sub_i32 s25, s2, s1
	s_cmp_ge_u32 s2, s1
	s_cselect_b32 s26, s25, s2
	s_lshr_b32 s2, s18, 31
	s_delay_alu instid0(VALU_DEP_2)
	v_mul_hi_u32 v2, v1, v4
	s_mul_i32 s2, s2, s1
	v_lshlrev_b32_e32 v57, 2, v0
	s_sub_i32 s2, 2, s2
	s_mul_i32 s26, s26, s16
	s_sub_i32 s18, s2, s1
	s_cmp_ge_u32 s2, s1
	s_cselect_b32 s2, s18, s2
	v_add_nc_u32_e32 v58, v1, v2
	s_sub_i32 s18, s2, s1
	s_cmp_ge_u32 s2, s1
	s_cselect_b32 s27, s18, s2
	s_lshl_b32 s25, s6, 1
	s_mul_i32 s27, s27, s16
	v_add_nc_u32_e32 v59, s25, v54
	s_lshl_b32 s6, s6, 2
	s_branch .LBB222_19
.LBB222_17:                             ;   in Loop: Header=BB222_19 Depth=1
	s_or_b32 exec_lo, exec_lo, s29
	v_mov_b32_e32 v42, s24
.LBB222_18:                             ;   in Loop: Header=BB222_19 Depth=1
	s_or_b32 exec_lo, exec_lo, s28
	s_delay_alu instid0(VALU_DEP_1) | instskip(SKIP_1) | instid1(SALU_CYCLE_1)
	v_cmp_le_u32_e32 vcc_lo, s7, v42
	s_or_b32 s17, vcc_lo, s17
	s_and_not1_b32 exec_lo, exec_lo, s17
	s_cbranch_execz .LBB222_94
.LBB222_19:                             ; =>This Loop Header: Depth=1
                                        ;     Child Loop BB222_24 Depth 2
                                        ;     Child Loop BB222_92 Depth 2
	v_dual_mov_b32 v60, v44 :: v_dual_add_nc_u32 v45, 1, v42
	v_mov_b32_e32 v62, v44
	v_mov_b32_e32 v64, v44
	;; [unrolled: 1-line block ×5, first 2 shown]
	s_and_not1_b32 vcc_lo, exec_lo, s3
	s_cbranch_vccnz .LBB222_50
; %bb.20:                               ;   in Loop: Header=BB222_19 Depth=1
	v_min_u32_e32 v0, s21, v42
	s_waitcnt lgkmcnt(0)
	v_min_u32_e32 v1, s21, v45
	v_dual_mov_b32 v63, 0 :: v_dual_mov_b32 v64, 0
	v_dual_mov_b32 v61, v55 :: v_dual_mov_b32 v62, 0
	v_mul_lo_u32 v43, v0, s5
	s_delay_alu instid0(VALU_DEP_4) | instskip(SKIP_3) | instid1(VALU_DEP_4)
	v_mul_lo_u32 v0, v1, s5
	v_dual_mov_b32 v1, v44 :: v_dual_mov_b32 v66, 0
	v_dual_mov_b32 v65, 0 :: v_dual_mov_b32 v60, 0
	s_mov_b32 s1, 0
	v_lshlrev_b64 v[46:47], 1, v[43:44]
	s_delay_alu instid0(VALU_DEP_3)
	v_lshlrev_b64 v[48:49], 1, v[0:1]
	s_branch .LBB222_24
.LBB222_21:                             ;   in Loop: Header=BB222_24 Depth=2
	s_or_b32 exec_lo, exec_lo, s19
.LBB222_22:                             ;   in Loop: Header=BB222_24 Depth=2
	s_delay_alu instid0(SALU_CYCLE_1)
	s_or_b32 exec_lo, exec_lo, s18
.LBB222_23:                             ;   in Loop: Header=BB222_24 Depth=2
	s_delay_alu instid0(SALU_CYCLE_1)
	s_or_b32 exec_lo, exec_lo, s2
	s_waitcnt vmcnt(0) lgkmcnt(0)
	v_and_b32_e32 v51, 0xffff0000, v29
	v_and_b32_e32 v53, 0xffff0000, v25
	v_and_b32_e32 v50, 0xffff0000, v24
	v_lshlrev_b32_e32 v29, 16, v29
	v_and_b32_e32 v71, 0xffff0000, v17
	v_lshlrev_b32_e32 v25, 16, v25
	v_dual_mul_f32 v69, v51, v53 :: v_dual_lshlrev_b32 v24, 16, v24
	v_and_b32_e32 v70, 0xffff0000, v16
	v_lshlrev_b32_e32 v17, 16, v17
	v_and_b32_e32 v67, 0xffff0000, v30
	s_delay_alu instid0(VALU_DEP_4)
	v_fmac_f32_e32 v69, v29, v25
	v_and_b32_e32 v43, 0xffff0000, v28
	v_lshlrev_b32_e32 v16, 16, v16
	v_and_b32_e32 v68, 0xffff0000, v26
	v_lshlrev_b32_e32 v30, 16, v30
	v_and_b32_e32 v72, 0xffff0000, v27
	v_mul_f32_e32 v52, v43, v50
	v_lshlrev_b32_e32 v26, 16, v26
	v_lshlrev_b32_e32 v28, 16, v28
	v_and_b32_e32 v75, 0xffff0000, v0
	s_addk_i32 s1, 0x200
	v_and_b32_e32 v74, 0xffff0000, v10
	v_lshlrev_b32_e32 v10, 16, v10
	v_fmac_f32_e32 v52, v28, v24
	s_cmp_ge_u32 s1, s4
	v_and_b32_e32 v76, 0xffff0000, v11
	s_delay_alu instid0(VALU_DEP_2) | instskip(NEXT) | instid1(VALU_DEP_1)
	v_dual_add_f32 v52, v63, v52 :: v_dual_add_nc_u32 v61, 0x400, v61
	v_dual_mul_f32 v63, v67, v68 :: v_dual_add_f32 v52, v52, v69
	v_and_b32_e32 v69, 0xffff0000, v31
	v_mul_f32_e32 v43, v43, v70
	s_delay_alu instid0(VALU_DEP_2) | instskip(NEXT) | instid1(VALU_DEP_4)
	v_mul_f32_e32 v73, v69, v72
	v_fmac_f32_e32 v63, v30, v26
	s_delay_alu instid0(VALU_DEP_3) | instskip(NEXT) | instid1(VALU_DEP_2)
	v_fmac_f32_e32 v43, v28, v16
	v_add_f32_e32 v52, v52, v63
	v_dual_mul_f32 v28, v51, v71 :: v_dual_and_b32 v51, 0xffff0000, v18
	s_delay_alu instid0(VALU_DEP_3) | instskip(NEXT) | instid1(VALU_DEP_2)
	v_dual_add_f32 v43, v66, v43 :: v_dual_lshlrev_b32 v18, 16, v18
	v_dual_fmac_f32 v28, v29, v17 :: v_dual_lshlrev_b32 v31, 16, v31
	s_delay_alu instid0(VALU_DEP_3) | instskip(SKIP_1) | instid1(VALU_DEP_3)
	v_dual_mul_f32 v29, v67, v51 :: v_dual_and_b32 v66, 0xffff0000, v37
	v_and_b32_e32 v67, 0xffff0000, v9
	v_dual_add_f32 v28, v43, v28 :: v_dual_lshlrev_b32 v37, 16, v37
	s_delay_alu instid0(VALU_DEP_3) | instskip(SKIP_2) | instid1(VALU_DEP_2)
	v_fmac_f32_e32 v29, v30, v18
	v_lshlrev_b32_e32 v27, 16, v27
	v_lshlrev_b32_e32 v9, 16, v9
	v_dual_add_f32 v28, v28, v29 :: v_dual_fmac_f32 v73, v31, v27
	s_delay_alu instid0(VALU_DEP_1) | instskip(SKIP_2) | instid1(VALU_DEP_1)
	v_add_f32_e32 v30, v52, v73
	v_and_b32_e32 v52, 0xffff0000, v8
	v_dual_mul_f32 v73, v66, v67 :: v_dual_lshlrev_b32 v8, 16, v8
	v_fmac_f32_e32 v73, v37, v9
	v_and_b32_e32 v43, 0xffff0000, v36
	v_lshlrev_b32_e32 v36, 16, v36
	s_delay_alu instid0(VALU_DEP_2) | instskip(NEXT) | instid1(VALU_DEP_1)
	v_mul_f32_e32 v63, v43, v52
	v_fmac_f32_e32 v63, v36, v8
	s_delay_alu instid0(VALU_DEP_1) | instskip(NEXT) | instid1(VALU_DEP_1)
	v_add_f32_e32 v30, v30, v63
	v_add_f32_e32 v30, v30, v73
	v_dual_mul_f32 v43, v43, v75 :: v_dual_lshlrev_b32 v0, 16, v0
	v_and_b32_e32 v73, 0xffff0000, v1
	v_and_b32_e32 v29, 0xffff0000, v19
	v_lshlrev_b32_e32 v1, 16, v1
	s_delay_alu instid0(VALU_DEP_3) | instskip(SKIP_3) | instid1(VALU_DEP_4)
	v_dual_fmac_f32 v43, v36, v0 :: v_dual_mul_f32 v36, v66, v73
	v_and_b32_e32 v66, 0xffff0000, v2
	v_lshlrev_b32_e32 v19, 16, v19
	v_dual_mul_f32 v69, v69, v29 :: v_dual_lshlrev_b32 v2, 16, v2
	v_dual_fmac_f32 v36, v37, v1 :: v_dual_and_b32 v37, 0xffff0000, v12
	s_delay_alu instid0(VALU_DEP_2) | instskip(SKIP_2) | instid1(VALU_DEP_3)
	v_dual_fmac_f32 v69, v31, v19 :: v_dual_lshlrev_b32 v12, 16, v12
	v_and_b32_e32 v31, 0xffff0000, v38
	v_lshlrev_b32_e32 v38, 16, v38
	v_add_f32_e32 v28, v28, v69
	s_delay_alu instid0(VALU_DEP_1) | instskip(SKIP_1) | instid1(VALU_DEP_2)
	v_dual_add_f32 v28, v28, v43 :: v_dual_and_b32 v43, 0xffff0000, v14
	v_lshlrev_b32_e32 v14, 16, v14
	v_add_f32_e32 v28, v28, v36
	v_mul_f32_e32 v36, v37, v50
	s_delay_alu instid0(VALU_DEP_1) | instskip(NEXT) | instid1(VALU_DEP_1)
	v_dual_fmac_f32 v36, v12, v24 :: v_dual_mul_f32 v63, v31, v74
	v_dual_mul_f32 v31, v31, v66 :: v_dual_add_f32 v36, v65, v36
	s_delay_alu instid0(VALU_DEP_2) | instskip(NEXT) | instid1(VALU_DEP_2)
	v_fmac_f32_e32 v63, v38, v10
	v_dual_fmac_f32 v31, v38, v2 :: v_dual_and_b32 v38, 0xffff0000, v13
	v_and_b32_e32 v69, 0xffff0000, v39
	v_lshlrev_b32_e32 v39, 16, v39
	v_lshlrev_b32_e32 v13, 16, v13
	;; [unrolled: 1-line block ×3, first 2 shown]
	s_delay_alu instid0(VALU_DEP_4) | instskip(SKIP_1) | instid1(VALU_DEP_2)
	v_dual_add_f32 v30, v30, v63 :: v_dual_mul_f32 v77, v69, v76
	v_mul_f32_e32 v65, v43, v68
	v_fmac_f32_e32 v77, v39, v11
	s_delay_alu instid0(VALU_DEP_2) | instskip(NEXT) | instid1(VALU_DEP_2)
	v_fmac_f32_e32 v65, v14, v26
	v_add_f32_e32 v63, v30, v77
	v_mul_f32_e32 v30, v38, v53
	s_delay_alu instid0(VALU_DEP_1) | instskip(NEXT) | instid1(VALU_DEP_1)
	v_fmac_f32_e32 v30, v13, v25
	v_add_f32_e32 v30, v36, v30
	v_and_b32_e32 v36, 0xffff0000, v15
	s_delay_alu instid0(VALU_DEP_2) | instskip(NEXT) | instid1(VALU_DEP_1)
	v_dual_add_f32 v30, v30, v65 :: v_dual_mul_f32 v37, v37, v70
	v_dual_fmac_f32 v37, v12, v16 :: v_dual_lshlrev_b32 v12, 16, v15
	s_delay_alu instid0(VALU_DEP_3) | instskip(SKIP_1) | instid1(VALU_DEP_3)
	v_dual_mul_f32 v15, v38, v71 :: v_dual_mul_f32 v38, v36, v72
	v_add_f32_e32 v28, v28, v31
	v_dual_add_f32 v37, v64, v37 :: v_dual_and_b32 v64, 0xffff0000, v32
	s_delay_alu instid0(VALU_DEP_3) | instskip(SKIP_2) | instid1(VALU_DEP_3)
	v_dual_fmac_f32 v15, v13, v17 :: v_dual_fmac_f32 v38, v12, v27
	v_mul_f32_e32 v13, v43, v51
	v_and_b32_e32 v31, 0xffff0000, v3
	v_dual_add_f32 v15, v37, v15 :: v_dual_lshlrev_b32 v32, 16, v32
	v_dual_mul_f32 v36, v36, v29 :: v_dual_lshlrev_b32 v3, 16, v3
	s_delay_alu instid0(VALU_DEP_4) | instskip(NEXT) | instid1(VALU_DEP_4)
	v_fmac_f32_e32 v13, v14, v18
	v_dual_add_f32 v14, v30, v38 :: v_dual_mul_f32 v69, v69, v31
	v_lshlrev_b32_e32 v30, 16, v33
	s_delay_alu instid0(VALU_DEP_3) | instskip(SKIP_2) | instid1(VALU_DEP_2)
	v_dual_fmac_f32 v36, v12, v19 :: v_dual_add_f32 v13, v15, v13
	v_and_b32_e32 v15, 0xffff0000, v34
	v_lshlrev_b32_e32 v34, 16, v34
	v_dual_mul_f32 v38, v15, v74 :: v_dual_mul_f32 v43, v64, v52
	s_delay_alu instid0(VALU_DEP_1) | instskip(NEXT) | instid1(VALU_DEP_2)
	v_dual_fmac_f32 v38, v34, v10 :: v_dual_and_b32 v37, 0xffff0000, v33
	v_fmac_f32_e32 v43, v32, v8
	s_delay_alu instid0(VALU_DEP_2) | instskip(NEXT) | instid1(VALU_DEP_2)
	v_mul_f32_e32 v33, v37, v67
	v_dual_add_f32 v14, v14, v43 :: v_dual_and_b32 v43, 0xffff0000, v5
	v_lshlrev_b32_e32 v5, 16, v5
	s_delay_alu instid0(VALU_DEP_3) | instskip(NEXT) | instid1(VALU_DEP_1)
	v_fmac_f32_e32 v33, v30, v9
	v_add_f32_e32 v12, v14, v33
	v_and_b32_e32 v14, 0xffff0000, v35
	v_lshlrev_b32_e32 v33, 16, v35
	v_and_b32_e32 v35, 0xffff0000, v4
	v_lshlrev_b32_e32 v4, 16, v4
	v_add_f32_e32 v12, v12, v38
	v_mul_f32_e32 v38, v64, v75
	s_delay_alu instid0(VALU_DEP_1) | instskip(SKIP_4) | instid1(VALU_DEP_3)
	v_fmac_f32_e32 v38, v32, v0
	v_dual_mul_f32 v32, v37, v73 :: v_dual_fmac_f32 v69, v39, v3
	v_mul_f32_e32 v39, v35, v50
	v_add_f32_e32 v13, v13, v36
	v_mul_f32_e32 v36, v14, v76
	v_dual_fmac_f32 v32, v30, v1 :: v_dual_fmac_f32 v39, v4, v24
	v_mul_f32_e32 v24, v43, v53
	s_delay_alu instid0(VALU_DEP_2) | instskip(NEXT) | instid1(VALU_DEP_2)
	v_add_f32_e32 v30, v62, v39
	v_fmac_f32_e32 v24, v5, v25
	v_fmac_f32_e32 v36, v33, v11
	s_delay_alu instid0(VALU_DEP_2) | instskip(SKIP_4) | instid1(VALU_DEP_4)
	v_add_f32_e32 v24, v30, v24
	v_mul_f32_e32 v30, v35, v70
	v_add_f32_e32 v13, v13, v38
	v_and_b32_e32 v37, 0xffff0000, v6
	v_dual_add_f32 v65, v12, v36 :: v_dual_lshlrev_b32 v6, 16, v6
	v_fmac_f32_e32 v30, v4, v16
	s_delay_alu instid0(VALU_DEP_4) | instskip(NEXT) | instid1(VALU_DEP_4)
	v_add_f32_e32 v13, v13, v32
	v_dual_mul_f32 v25, v37, v68 :: v_dual_mul_f32 v16, v43, v71
	v_and_b32_e32 v32, 0xffff0000, v7
	v_lshlrev_b32_e32 v7, 16, v7
	s_delay_alu instid0(VALU_DEP_2) | instskip(NEXT) | instid1(VALU_DEP_4)
	v_dual_fmac_f32 v25, v6, v26 :: v_dual_mul_f32 v26, v32, v72
	v_dual_fmac_f32 v16, v5, v17 :: v_dual_lshlrev_b32 v17, 16, v20
	s_delay_alu instid0(VALU_DEP_2) | instskip(SKIP_1) | instid1(VALU_DEP_4)
	v_add_f32_e32 v4, v24, v25
	v_add_f32_e32 v24, v60, v30
	v_dual_fmac_f32 v26, v7, v27 :: v_dual_and_b32 v25, 0xffff0000, v20
	s_delay_alu instid0(VALU_DEP_2) | instskip(SKIP_1) | instid1(VALU_DEP_3)
	v_dual_mul_f32 v5, v37, v51 :: v_dual_add_f32 v16, v24, v16
	v_and_b32_e32 v24, 0xffff0000, v21
	v_add_f32_e32 v4, v4, v26
	s_delay_alu instid0(VALU_DEP_4) | instskip(NEXT) | instid1(VALU_DEP_4)
	v_dual_mul_f32 v15, v15, v66 :: v_dual_mul_f32 v20, v25, v52
	v_dual_fmac_f32 v5, v6, v18 :: v_dual_mul_f32 v6, v32, v29
	s_delay_alu instid0(VALU_DEP_2) | instskip(SKIP_1) | instid1(VALU_DEP_3)
	v_dual_fmac_f32 v15, v34, v2 :: v_dual_fmac_f32 v20, v17, v8
	v_lshlrev_b32_e32 v8, 16, v21
	v_dual_add_f32 v5, v16, v5 :: v_dual_fmac_f32 v6, v7, v19
	v_mul_f32_e32 v18, v24, v67
	s_delay_alu instid0(VALU_DEP_4) | instskip(SKIP_1) | instid1(VALU_DEP_3)
	v_dual_add_f32 v4, v4, v20 :: v_dual_mul_f32 v7, v25, v75
	v_add_f32_e32 v13, v13, v15
	v_dual_add_f32 v5, v5, v6 :: v_dual_fmac_f32 v18, v8, v9
	v_dual_mul_f32 v9, v14, v31 :: v_dual_and_b32 v6, 0xffff0000, v22
	s_delay_alu instid0(VALU_DEP_4) | instskip(NEXT) | instid1(VALU_DEP_3)
	v_dual_fmac_f32 v7, v17, v0 :: v_dual_mul_f32 v0, v24, v73
	v_add_f32_e32 v4, v4, v18
	s_delay_alu instid0(VALU_DEP_3) | instskip(NEXT) | instid1(VALU_DEP_3)
	v_dual_mul_f32 v15, v6, v74 :: v_dual_and_b32 v16, 0xffff0000, v23
	v_dual_add_f32 v5, v5, v7 :: v_dual_fmac_f32 v0, v8, v1
	v_mul_f32_e32 v1, v6, v66
	s_delay_alu instid0(VALU_DEP_3) | instskip(SKIP_1) | instid1(VALU_DEP_2)
	v_dual_mul_f32 v7, v16, v76 :: v_dual_lshlrev_b32 v14, 16, v22
	v_lshlrev_b32_e32 v6, 16, v23
	v_dual_add_f32 v66, v28, v69 :: v_dual_fmac_f32 v1, v14, v2
	v_dual_fmac_f32 v15, v14, v10 :: v_dual_add_f32 v0, v5, v0
	s_delay_alu instid0(VALU_DEP_3) | instskip(SKIP_2) | instid1(VALU_DEP_4)
	v_fmac_f32_e32 v7, v6, v11
	v_mul_f32_e32 v2, v16, v31
	v_fmac_f32_e32 v9, v33, v3
	v_add_f32_e32 v4, v4, v15
	v_add_f32_e32 v0, v0, v1
	s_delay_alu instid0(VALU_DEP_4) | instskip(NEXT) | instid1(VALU_DEP_4)
	v_fmac_f32_e32 v2, v6, v3
	v_add_f32_e32 v64, v13, v9
	s_delay_alu instid0(VALU_DEP_4) | instskip(NEXT) | instid1(VALU_DEP_3)
	v_add_f32_e32 v62, v4, v7
	v_add_f32_e32 v60, v0, v2
	s_cbranch_scc1 .LBB222_50
.LBB222_24:                             ;   Parent Loop BB222_19 Depth=1
                                        ; =>  This Inner Loop Header: Depth=2
	v_dual_mov_b32 v22, 0 :: v_dual_add_nc_u32 v51, s1, v54
	v_dual_mov_b32 v21, 0 :: v_dual_mov_b32 v20, 0
	v_dual_mov_b32 v35, 0 :: v_dual_mov_b32 v34, 0
	s_delay_alu instid0(VALU_DEP_3) | instskip(SKIP_2) | instid1(VALU_DEP_3)
	v_min_u32_e32 v43, s20, v51
	v_dual_mov_b32 v23, 0 :: v_dual_add_nc_u32 v50, 0x100, v51
	v_dual_mov_b32 v33, 0 :: v_dual_mov_b32 v32, 0
	v_lshlrev_b64 v[0:1], 1, v[43:44]
	s_delay_alu instid0(VALU_DEP_3) | instskip(SKIP_2) | instid1(VALU_DEP_4)
	v_min_u32_e32 v43, s20, v50
	v_dual_mov_b32 v39, 0 :: v_dual_mov_b32 v38, 0
	v_dual_mov_b32 v37, 0 :: v_dual_mov_b32 v36, 0
	v_add_co_u32 v4, vcc_lo, s14, v0
	v_add_co_ci_u32_e32 v5, vcc_lo, s15, v1, vcc_lo
	v_lshlrev_b64 v[0:1], 1, v[43:44]
	s_delay_alu instid0(VALU_DEP_3) | instskip(NEXT) | instid1(VALU_DEP_3)
	v_add_co_u32 v2, vcc_lo, v4, v46
	v_add_co_ci_u32_e32 v3, vcc_lo, v5, v47, vcc_lo
	s_waitcnt vmcnt(3)
	v_dual_mov_b32 v15, 0 :: v_dual_mov_b32 v14, 0
	s_waitcnt vmcnt(0)
	v_add_co_u32 v6, vcc_lo, s14, v0
	v_add_co_ci_u32_e32 v7, vcc_lo, s15, v1, vcc_lo
	v_add_co_u32 v0, vcc_lo, v4, v48
	v_add_co_ci_u32_e32 v1, vcc_lo, v5, v49, vcc_lo
	s_delay_alu instid0(VALU_DEP_4) | instskip(NEXT) | instid1(VALU_DEP_4)
	v_add_co_u32 v4, vcc_lo, v6, v46
	v_add_co_ci_u32_e32 v5, vcc_lo, v7, v47, vcc_lo
	v_add_co_u32 v6, vcc_lo, v6, v48
	v_add_co_ci_u32_e32 v7, vcc_lo, v7, v49, vcc_lo
	s_clause 0x3
	global_load_b128 v[24:27], v[2:3], off slc dlc
	global_load_b128 v[16:19], v[0:1], off slc dlc
	;; [unrolled: 1-line block ×4, first 2 shown]
	v_cmp_gt_u32_e32 vcc_lo, s4, v51
	v_dual_mov_b32 v7, 0 :: v_dual_mov_b32 v6, 0
	v_dual_mov_b32 v5, 0 :: v_dual_mov_b32 v4, 0
	;; [unrolled: 1-line block ×5, first 2 shown]
	s_and_saveexec_b32 s2, vcc_lo
	s_cbranch_execz .LBB222_23
; %bb.25:                               ;   in Loop: Header=BB222_24 Depth=2
	s_mov_b32 s18, exec_lo
                                        ; implicit-def: $vgpr31
	v_cmpx_lt_u32_e32 0x7fff, v51
	s_xor_b32 s18, exec_lo, s18
	s_cbranch_execz .LBB222_27
; %bb.26:                               ;   in Loop: Header=BB222_24 Depth=2
	v_mov_b32_e32 v52, v44
	s_delay_alu instid0(VALU_DEP_1) | instskip(NEXT) | instid1(VALU_DEP_1)
	v_lshlrev_b64 v[4:5], 1, v[51:52]
	v_add_co_u32 v4, vcc_lo, s12, v4
	s_delay_alu instid0(VALU_DEP_2)
	v_add_co_ci_u32_e32 v5, vcc_lo, s13, v5, vcc_lo
	global_load_b128 v[28:31], v[4:5], off
.LBB222_27:                             ;   in Loop: Header=BB222_24 Depth=2
	s_and_not1_saveexec_b32 s18, s18
	s_cbranch_execz .LBB222_29
; %bb.28:                               ;   in Loop: Header=BB222_24 Depth=2
	s_waitcnt vmcnt(0)
	ds_load_b128 v[28:31], v61
.LBB222_29:                             ;   in Loop: Header=BB222_24 Depth=2
	s_or_b32 exec_lo, exec_lo, s18
	v_add_nc_u32_e32 v43, s1, v56
	s_mov_b32 s18, exec_lo
                                        ; implicit-def: $vgpr15
	s_delay_alu instid0(VALU_DEP_1)
	v_cmpx_lt_u32_e32 0x7fff, v43
	s_xor_b32 s18, exec_lo, s18
	s_cbranch_execz .LBB222_31
; %bb.30:                               ;   in Loop: Header=BB222_24 Depth=2
	v_lshlrev_b64 v[4:5], 1, v[43:44]
	s_delay_alu instid0(VALU_DEP_1) | instskip(NEXT) | instid1(VALU_DEP_2)
	v_add_co_u32 v4, vcc_lo, s12, v4
	v_add_co_ci_u32_e32 v5, vcc_lo, s13, v5, vcc_lo
	global_load_b128 v[12:15], v[4:5], off
.LBB222_31:                             ;   in Loop: Header=BB222_24 Depth=2
	s_and_not1_saveexec_b32 s18, s18
	s_cbranch_execz .LBB222_33
; %bb.32:                               ;   in Loop: Header=BB222_24 Depth=2
	v_add_nc_u32_e32 v4, s25, v61
	s_waitcnt vmcnt(0)
	ds_load_b128 v[12:15], v4
.LBB222_33:                             ;   in Loop: Header=BB222_24 Depth=2
	s_or_b32 exec_lo, exec_lo, s18
	v_add_nc_u32_e32 v52, s1, v59
	s_mov_b32 s18, exec_lo
                                        ; implicit-def: $vgpr7
	s_delay_alu instid0(VALU_DEP_1)
	v_cmpx_lt_u32_e32 0x7fff, v52
	s_xor_b32 s18, exec_lo, s18
	s_cbranch_execz .LBB222_35
; %bb.34:                               ;   in Loop: Header=BB222_24 Depth=2
	v_mov_b32_e32 v53, v44
	s_delay_alu instid0(VALU_DEP_1) | instskip(NEXT) | instid1(VALU_DEP_1)
	v_lshlrev_b64 v[4:5], 1, v[52:53]
	v_add_co_u32 v4, vcc_lo, s12, v4
	s_delay_alu instid0(VALU_DEP_2)
	v_add_co_ci_u32_e32 v5, vcc_lo, s13, v5, vcc_lo
	global_load_b128 v[4:7], v[4:5], off
.LBB222_35:                             ;   in Loop: Header=BB222_24 Depth=2
	s_and_not1_saveexec_b32 s18, s18
	s_cbranch_execz .LBB222_37
; %bb.36:                               ;   in Loop: Header=BB222_24 Depth=2
	s_waitcnt vmcnt(0)
	v_add_nc_u32_e32 v6, s6, v61
	ds_load_2addr_b32 v[4:5], v6 offset1:1
	ds_load_2addr_b32 v[6:7], v6 offset0:2 offset1:3
.LBB222_37:                             ;   in Loop: Header=BB222_24 Depth=2
	s_or_b32 exec_lo, exec_lo, s18
	v_dual_mov_b32 v23, 0 :: v_dual_mov_b32 v22, 0
	v_dual_mov_b32 v21, 0 :: v_dual_mov_b32 v20, 0
	;; [unrolled: 1-line block ×6, first 2 shown]
	s_mov_b32 s18, exec_lo
	v_cmpx_gt_u32_e64 s4, v50
	s_cbranch_execz .LBB222_22
; %bb.38:                               ;   in Loop: Header=BB222_24 Depth=2
	s_mov_b32 s19, exec_lo
                                        ; implicit-def: $vgpr39
	v_cmpx_lt_u32_e32 0x7fff, v50
	s_xor_b32 s19, exec_lo, s19
	s_cbranch_execz .LBB222_40
; %bb.39:                               ;   in Loop: Header=BB222_24 Depth=2
	v_mov_b32_e32 v51, v44
	s_delay_alu instid0(VALU_DEP_1) | instskip(NEXT) | instid1(VALU_DEP_1)
	v_lshlrev_b64 v[20:21], 1, v[50:51]
	v_add_co_u32 v20, vcc_lo, s12, v20
	s_delay_alu instid0(VALU_DEP_2)
	v_add_co_ci_u32_e32 v21, vcc_lo, s13, v21, vcc_lo
	global_load_b128 v[36:39], v[20:21], off
.LBB222_40:                             ;   in Loop: Header=BB222_24 Depth=2
	s_and_not1_saveexec_b32 s19, s19
	s_cbranch_execz .LBB222_42
; %bb.41:                               ;   in Loop: Header=BB222_24 Depth=2
	s_waitcnt vmcnt(0)
	ds_load_b128 v[36:39], v61 offset:512
.LBB222_42:                             ;   in Loop: Header=BB222_24 Depth=2
	s_or_b32 exec_lo, exec_lo, s19
	v_add_nc_u32_e32 v43, 0x100, v43
	s_mov_b32 s19, exec_lo
                                        ; implicit-def: $vgpr35
	s_delay_alu instid0(VALU_DEP_1)
	v_cmpx_lt_u32_e32 0x7fff, v43
	s_xor_b32 s19, exec_lo, s19
	s_cbranch_execz .LBB222_44
; %bb.43:                               ;   in Loop: Header=BB222_24 Depth=2
	v_lshlrev_b64 v[20:21], 1, v[43:44]
	s_delay_alu instid0(VALU_DEP_1) | instskip(NEXT) | instid1(VALU_DEP_2)
	v_add_co_u32 v20, vcc_lo, s12, v20
	v_add_co_ci_u32_e32 v21, vcc_lo, s13, v21, vcc_lo
	global_load_b128 v[32:35], v[20:21], off
.LBB222_44:                             ;   in Loop: Header=BB222_24 Depth=2
	s_and_not1_saveexec_b32 s19, s19
	s_cbranch_execz .LBB222_46
; %bb.45:                               ;   in Loop: Header=BB222_24 Depth=2
	v_add_nc_u32_e32 v20, s25, v61
	s_waitcnt vmcnt(0)
	ds_load_b128 v[32:35], v20 offset:512
.LBB222_46:                             ;   in Loop: Header=BB222_24 Depth=2
	s_or_b32 exec_lo, exec_lo, s19
	v_add_nc_u32_e32 v43, 0x100, v52
	s_mov_b32 s19, exec_lo
                                        ; implicit-def: $vgpr23
	s_delay_alu instid0(VALU_DEP_1)
	v_cmpx_lt_u32_e32 0x7fff, v43
	s_xor_b32 s19, exec_lo, s19
	s_cbranch_execz .LBB222_48
; %bb.47:                               ;   in Loop: Header=BB222_24 Depth=2
	v_lshlrev_b64 v[20:21], 1, v[43:44]
	s_delay_alu instid0(VALU_DEP_1) | instskip(NEXT) | instid1(VALU_DEP_2)
	v_add_co_u32 v20, vcc_lo, s12, v20
	v_add_co_ci_u32_e32 v21, vcc_lo, s13, v21, vcc_lo
	global_load_b128 v[20:23], v[20:21], off
.LBB222_48:                             ;   in Loop: Header=BB222_24 Depth=2
	s_and_not1_saveexec_b32 s19, s19
	s_cbranch_execz .LBB222_21
; %bb.49:                               ;   in Loop: Header=BB222_24 Depth=2
	s_waitcnt vmcnt(0)
	v_add_nc_u32_e32 v22, s6, v61
	ds_load_2addr_b32 v[20:21], v22 offset0:128 offset1:129
	ds_load_2addr_b32 v[22:23], v22 offset0:130 offset1:131
	s_branch .LBB222_21
.LBB222_50:                             ;   in Loop: Header=BB222_19 Depth=1
	s_delay_alu instid0(VALU_DEP_1)
	v_cvt_i32_f32_e32 v0, v63
	s_waitcnt lgkmcnt(0)
	v_cvt_i32_f32_e32 v1, v66
	v_cvt_i32_f32_e32 v2, v65
	;; [unrolled: 1-line block ×4, first 2 shown]
	v_cvt_f32_i32_dpp v0, v0 row_shr:8 row_mask:0xf bank_mask:0xf bound_ctrl:1
	v_cvt_f32_i32_dpp v1, v1 row_shr:8 row_mask:0xf bank_mask:0xf bound_ctrl:1
	;; [unrolled: 1-line block ×4, first 2 shown]
	v_cvt_i32_f32_e32 v5, v60
	s_delay_alu instid0(VALU_DEP_4) | instskip(SKIP_1) | instid1(VALU_DEP_4)
	v_dual_add_f32 v0, v63, v0 :: v_dual_add_f32 v1, v66, v1
	v_cvt_f32_i32_dpp v4, v4 row_shr:8 row_mask:0xf bank_mask:0xf bound_ctrl:1
	v_dual_add_f32 v2, v65, v2 :: v_dual_add_f32 v3, v64, v3
	s_waitcnt vmcnt(0)
	s_delay_alu instid0(VALU_DEP_3)
	v_cvt_i32_f32_e32 v6, v0
	v_cvt_f32_i32_dpp v5, v5 row_shr:8 row_mask:0xf bank_mask:0xf bound_ctrl:1
	v_add_f32_e32 v4, v62, v4
	v_cvt_i32_f32_e32 v7, v1
	v_cvt_i32_f32_e32 v8, v2
	v_cvt_f32_i32_dpp v6, v6 row_shr:4 row_mask:0xf bank_mask:0xf bound_ctrl:1
	v_add_f32_e32 v5, v60, v5
	v_cvt_i32_f32_e32 v9, v3
	v_cvt_i32_f32_e32 v10, v4
	s_delay_alu instid0(VALU_DEP_4)
	v_add_f32_e32 v0, v0, v6
	v_cvt_f32_i32_dpp v6, v7 row_shr:4 row_mask:0xf bank_mask:0xf bound_ctrl:1
	v_cvt_f32_i32_dpp v7, v8 row_shr:4 row_mask:0xf bank_mask:0xf bound_ctrl:1
	v_cvt_f32_i32_dpp v8, v9 row_shr:4 row_mask:0xf bank_mask:0xf bound_ctrl:1
	v_cvt_i32_f32_e32 v11, v5
	v_cvt_f32_i32_dpp v9, v10 row_shr:4 row_mask:0xf bank_mask:0xf bound_ctrl:1
	s_delay_alu instid0(VALU_DEP_4) | instskip(NEXT) | instid1(VALU_DEP_4)
	v_dual_add_f32 v1, v1, v6 :: v_dual_add_f32 v2, v2, v7
	v_add_f32_e32 v3, v3, v8
	v_cvt_i32_f32_e32 v10, v0
	v_cvt_f32_i32_dpp v11, v11 row_shr:4 row_mask:0xf bank_mask:0xf bound_ctrl:1
	s_delay_alu instid0(VALU_DEP_4)
	v_cvt_i32_f32_e32 v7, v1
	v_add_f32_e32 v4, v4, v9
	v_cvt_i32_f32_e32 v8, v2
	v_cvt_f32_i32_dpp v6, v10 row_shr:2 row_mask:0xf bank_mask:0xf bound_ctrl:1
	v_add_f32_e32 v5, v5, v11
	v_cvt_f32_i32_dpp v7, v7 row_shr:2 row_mask:0xf bank_mask:0xf bound_ctrl:1
	v_cvt_i32_f32_e32 v9, v4
	v_cvt_f32_i32_dpp v8, v8 row_shr:2 row_mask:0xf bank_mask:0xf bound_ctrl:1
	v_add_f32_e32 v0, v0, v6
	v_cvt_i32_f32_e32 v6, v3
	v_add_f32_e32 v1, v1, v7
	v_cvt_i32_f32_e32 v10, v5
	v_cvt_f32_i32_dpp v9, v9 row_shr:2 row_mask:0xf bank_mask:0xf bound_ctrl:1
	v_cvt_i32_f32_e32 v11, v0
	v_cvt_f32_i32_dpp v6, v6 row_shr:2 row_mask:0xf bank_mask:0xf bound_ctrl:1
	v_add_f32_e32 v2, v2, v8
	v_cvt_f32_i32_dpp v10, v10 row_shr:2 row_mask:0xf bank_mask:0xf bound_ctrl:1
	s_delay_alu instid0(VALU_DEP_4) | instskip(NEXT) | instid1(VALU_DEP_4)
	v_cvt_f32_i32_dpp v11, v11 row_shr:1 row_mask:0xf bank_mask:0xf bound_ctrl:1
	v_dual_add_f32 v3, v3, v6 :: v_dual_add_f32 v6, v4, v9
	v_cvt_i32_f32_e32 v4, v1
	s_delay_alu instid0(VALU_DEP_3) | instskip(SKIP_1) | instid1(VALU_DEP_4)
	v_dual_add_f32 v13, v0, v11 :: v_dual_add_f32 v0, v5, v10
	v_cvt_i32_f32_e32 v5, v2
	v_cvt_i32_f32_e32 v7, v3
	;; [unrolled: 1-line block ×3, first 2 shown]
	v_cvt_f32_i32_dpp v4, v4 row_shr:1 row_mask:0xf bank_mask:0xf bound_ctrl:1
	v_cvt_i32_f32_e32 v9, v0
	v_cvt_f32_i32_dpp v5, v5 row_shr:1 row_mask:0xf bank_mask:0xf bound_ctrl:1
	v_cvt_f32_i32_dpp v11, v7 row_shr:1 row_mask:0xf bank_mask:0xf bound_ctrl:1
	;; [unrolled: 1-line block ×3, first 2 shown]
	v_add_f32_e32 v10, v1, v4
	v_cvt_f32_i32_dpp v9, v9 row_shr:1 row_mask:0xf bank_mask:0xf bound_ctrl:1
	s_delay_alu instid0(VALU_DEP_4) | instskip(NEXT) | instid1(VALU_DEP_4)
	v_dual_add_f32 v7, v2, v5 :: v_dual_add_f32 v4, v3, v11
	v_add_f32_e32 v2, v6, v8
	ds_bpermute_b32 v14, v57, v13
	v_add_f32_e32 v0, v0, v9
	ds_bpermute_b32 v11, v57, v10
	ds_bpermute_b32 v8, v57, v7
	;; [unrolled: 1-line block ×5, first 2 shown]
	s_and_saveexec_b32 s18, s0
	s_cbranch_execz .LBB222_89
; %bb.51:                               ;   in Loop: Header=BB222_19 Depth=1
	v_dual_mov_b32 v17, 0 :: v_dual_mov_b32 v16, 0
	v_dual_mov_b32 v15, 0 :: v_dual_mov_b32 v12, 0
	;; [unrolled: 1-line block ×3, first 2 shown]
	s_and_not1_b32 vcc_lo, exec_lo, s22
	s_cbranch_vccnz .LBB222_53
; %bb.52:                               ;   in Loop: Header=BB222_19 Depth=1
	v_mul_hi_u32 v6, v42, v58
	v_mul_hi_u32 v9, v45, v58
	v_mov_b32_e32 v18, v44
	s_delay_alu instid0(VALU_DEP_3) | instskip(NEXT) | instid1(VALU_DEP_3)
	v_mul_lo_u32 v6, v6, s16
	v_mul_lo_u32 v9, v9, s16
	s_delay_alu instid0(VALU_DEP_2) | instskip(NEXT) | instid1(VALU_DEP_2)
	v_sub_nc_u32_e32 v6, v42, v6
	v_sub_nc_u32_e32 v9, v45, v9
	s_delay_alu instid0(VALU_DEP_2) | instskip(SKIP_1) | instid1(VALU_DEP_3)
	v_subrev_nc_u32_e32 v12, s16, v6
	v_cmp_le_u32_e32 vcc_lo, s16, v6
	v_subrev_nc_u32_e32 v15, s16, v9
	s_delay_alu instid0(VALU_DEP_3) | instskip(SKIP_1) | instid1(VALU_DEP_3)
	v_cndmask_b32_e32 v6, v6, v12, vcc_lo
	v_cmp_le_u32_e32 vcc_lo, s16, v9
	v_cndmask_b32_e32 v9, v9, v15, vcc_lo
	s_delay_alu instid0(VALU_DEP_3) | instskip(SKIP_2) | instid1(VALU_DEP_4)
	v_subrev_nc_u32_e32 v12, s16, v6
	v_cmp_le_u32_e32 vcc_lo, s16, v6
	v_mov_b32_e32 v16, v44
	v_subrev_nc_u32_e32 v15, s16, v9
	s_delay_alu instid0(VALU_DEP_4) | instskip(SKIP_1) | instid1(VALU_DEP_2)
	v_cndmask_b32_e32 v43, v6, v12, vcc_lo
	v_cmp_le_u32_e32 vcc_lo, s16, v9
	v_dual_mov_b32 v20, v44 :: v_dual_add_nc_u32 v17, s26, v43
	s_delay_alu instid0(VALU_DEP_4) | instskip(SKIP_2) | instid1(VALU_DEP_3)
	v_cndmask_b32_e32 v15, v9, v15, vcc_lo
	v_lshlrev_b64 v[21:22], 1, v[43:44]
	v_add_nc_u32_e32 v43, s27, v43
	v_add_nc_u32_e32 v19, s26, v15
	v_lshlrev_b64 v[23:24], 1, v[15:16]
	v_lshlrev_b64 v[16:17], 1, v[17:18]
	s_delay_alu instid0(VALU_DEP_4)
	v_lshlrev_b64 v[25:26], 1, v[43:44]
	v_add_nc_u32_e32 v43, s27, v15
	v_lshlrev_b64 v[18:19], 1, v[19:20]
	v_add_co_u32 v20, vcc_lo, s8, v21
	v_add_co_ci_u32_e32 v21, vcc_lo, s9, v22, vcc_lo
	v_add_co_u32 v22, vcc_lo, s8, v23
	v_add_co_ci_u32_e32 v23, vcc_lo, s9, v24, vcc_lo
	;; [unrolled: 2-line block ×3, first 2 shown]
	v_lshlrev_b64 v[27:28], 1, v[43:44]
	v_add_co_u32 v18, vcc_lo, s8, v18
	v_add_co_ci_u32_e32 v19, vcc_lo, s9, v19, vcc_lo
	v_add_co_u32 v24, vcc_lo, s8, v25
	v_add_co_ci_u32_e32 v25, vcc_lo, s9, v26, vcc_lo
	;; [unrolled: 2-line block ×3, first 2 shown]
	s_clause 0x5
	global_load_u16 v17, v[20:21], off
	global_load_u16 v16, v[22:23], off
	;; [unrolled: 1-line block ×6, first 2 shown]
.LBB222_53:                             ;   in Loop: Header=BB222_19 Depth=1
	v_cmp_ne_u32_e32 vcc_lo, 0, v40
	s_and_saveexec_b32 s2, vcc_lo
	s_cbranch_execnz .LBB222_59
; %bb.54:                               ;   in Loop: Header=BB222_19 Depth=1
	s_or_b32 exec_lo, exec_lo, s2
	v_cmp_ne_u32_e64 s1, 0, v41
	s_delay_alu instid0(VALU_DEP_1)
	s_and_saveexec_b32 s19, s1
	s_cbranch_execnz .LBB222_64
.LBB222_55:                             ;   in Loop: Header=BB222_19 Depth=1
	s_or_b32 exec_lo, exec_lo, s19
	v_add_nc_u32_e32 v43, s7, v42
	s_and_saveexec_b32 s19, vcc_lo
	s_cbranch_execnz .LBB222_69
.LBB222_56:                             ;   in Loop: Header=BB222_19 Depth=1
	s_or_b32 exec_lo, exec_lo, s19
	s_and_saveexec_b32 s19, s1
	s_cbranch_execnz .LBB222_74
.LBB222_57:                             ;   in Loop: Header=BB222_19 Depth=1
	s_or_b32 exec_lo, exec_lo, s19
	v_add_nc_u32_e32 v43, s7, v43
	s_and_saveexec_b32 s2, vcc_lo
	s_cbranch_execnz .LBB222_79
.LBB222_58:                             ;   in Loop: Header=BB222_19 Depth=1
	s_or_b32 exec_lo, exec_lo, s2
	s_delay_alu instid0(SALU_CYCLE_1)
	s_and_b32 exec_lo, exec_lo, s1
	s_cbranch_execnz .LBB222_84
	s_branch .LBB222_89
.LBB222_59:                             ;   in Loop: Header=BB222_19 Depth=1
	s_waitcnt vmcnt(5) lgkmcnt(5)
	v_dual_add_f32 v13, v13, v14 :: v_dual_lshlrev_b32 v14, 16, v17
	s_delay_alu instid0(VALU_DEP_1) | instskip(NEXT) | instid1(VALU_DEP_1)
	v_add_f32_e32 v14, v13, v14
	v_and_b32_e32 v13, 0x7f800000, v14
	s_delay_alu instid0(VALU_DEP_1) | instskip(NEXT) | instid1(VALU_DEP_1)
	v_cmp_ne_u32_e64 s1, 0x7f800000, v13
                                        ; implicit-def: $vgpr13
	s_and_saveexec_b32 s19, s1
	s_delay_alu instid0(SALU_CYCLE_1)
	s_xor_b32 s1, exec_lo, s19
; %bb.60:                               ;   in Loop: Header=BB222_19 Depth=1
	v_bfe_u32 v13, v14, 16, 1
	s_delay_alu instid0(VALU_DEP_1)
	v_add3_u32 v13, v14, v13, 0x7fff
                                        ; implicit-def: $vgpr14
; %bb.61:                               ;   in Loop: Header=BB222_19 Depth=1
	s_and_not1_saveexec_b32 s19, s1
; %bb.62:                               ;   in Loop: Header=BB222_19 Depth=1
	v_and_b32_e32 v13, 0xffff, v14
	v_or_b32_e32 v17, 0x10000, v14
	s_delay_alu instid0(VALU_DEP_2) | instskip(NEXT) | instid1(VALU_DEP_1)
	v_cmp_eq_u32_e64 s1, 0, v13
	v_cndmask_b32_e64 v13, v17, v14, s1
; %bb.63:                               ;   in Loop: Header=BB222_19 Depth=1
	s_or_b32 exec_lo, exec_lo, s19
	v_mov_b32_e32 v43, v44
	s_delay_alu instid0(VALU_DEP_1) | instskip(NEXT) | instid1(VALU_DEP_1)
	v_lshlrev_b64 v[17:18], 1, v[42:43]
	v_add_co_u32 v17, s1, s10, v17
	s_delay_alu instid0(VALU_DEP_1) | instskip(SKIP_3) | instid1(VALU_DEP_1)
	v_add_co_ci_u32_e64 v18, s1, s11, v18, s1
	global_store_d16_hi_b16 v[17:18], v13, off
	s_or_b32 exec_lo, exec_lo, s2
	v_cmp_ne_u32_e64 s1, 0, v41
	s_and_saveexec_b32 s19, s1
	s_cbranch_execz .LBB222_55
.LBB222_64:                             ;   in Loop: Header=BB222_19 Depth=1
	s_waitcnt vmcnt(4) lgkmcnt(4)
	v_dual_add_f32 v10, v10, v11 :: v_dual_lshlrev_b32 v11, 16, v16
	s_delay_alu instid0(VALU_DEP_1) | instskip(NEXT) | instid1(VALU_DEP_1)
	v_add_f32_e32 v11, v10, v11
	v_and_b32_e32 v10, 0x7f800000, v11
	s_delay_alu instid0(VALU_DEP_1) | instskip(NEXT) | instid1(VALU_DEP_1)
	v_cmp_ne_u32_e64 s2, 0x7f800000, v10
                                        ; implicit-def: $vgpr10
	s_and_saveexec_b32 s28, s2
	s_delay_alu instid0(SALU_CYCLE_1)
	s_xor_b32 s2, exec_lo, s28
; %bb.65:                               ;   in Loop: Header=BB222_19 Depth=1
	v_bfe_u32 v10, v11, 16, 1
	s_delay_alu instid0(VALU_DEP_1)
	v_add3_u32 v10, v11, v10, 0x7fff
                                        ; implicit-def: $vgpr11
; %bb.66:                               ;   in Loop: Header=BB222_19 Depth=1
	s_and_not1_saveexec_b32 s28, s2
; %bb.67:                               ;   in Loop: Header=BB222_19 Depth=1
	v_and_b32_e32 v10, 0xffff, v11
	v_or_b32_e32 v13, 0x10000, v11
	s_delay_alu instid0(VALU_DEP_2) | instskip(NEXT) | instid1(VALU_DEP_1)
	v_cmp_eq_u32_e64 s2, 0, v10
	v_cndmask_b32_e64 v10, v13, v11, s2
; %bb.68:                               ;   in Loop: Header=BB222_19 Depth=1
	s_or_b32 exec_lo, exec_lo, s28
	v_mov_b32_e32 v46, v44
	s_delay_alu instid0(VALU_DEP_1) | instskip(NEXT) | instid1(VALU_DEP_1)
	v_lshlrev_b64 v[13:14], 1, v[45:46]
	v_add_co_u32 v13, s2, s10, v13
	s_delay_alu instid0(VALU_DEP_1)
	v_add_co_ci_u32_e64 v14, s2, s11, v14, s2
	global_store_d16_hi_b16 v[13:14], v10, off
	s_or_b32 exec_lo, exec_lo, s19
	v_add_nc_u32_e32 v43, s7, v42
	s_and_saveexec_b32 s19, vcc_lo
	s_cbranch_execz .LBB222_56
.LBB222_69:                             ;   in Loop: Header=BB222_19 Depth=1
	s_waitcnt vmcnt(3) lgkmcnt(3)
	v_dual_add_f32 v7, v7, v8 :: v_dual_lshlrev_b32 v8, 16, v15
	s_delay_alu instid0(VALU_DEP_1) | instskip(NEXT) | instid1(VALU_DEP_1)
	v_add_f32_e32 v8, v7, v8
	v_and_b32_e32 v7, 0x7f800000, v8
	s_delay_alu instid0(VALU_DEP_1) | instskip(NEXT) | instid1(VALU_DEP_1)
	v_cmp_ne_u32_e64 s2, 0x7f800000, v7
                                        ; implicit-def: $vgpr7
	s_and_saveexec_b32 s28, s2
	s_delay_alu instid0(SALU_CYCLE_1)
	s_xor_b32 s2, exec_lo, s28
; %bb.70:                               ;   in Loop: Header=BB222_19 Depth=1
	v_bfe_u32 v7, v8, 16, 1
	s_delay_alu instid0(VALU_DEP_1)
	v_add3_u32 v7, v8, v7, 0x7fff
                                        ; implicit-def: $vgpr8
; %bb.71:                               ;   in Loop: Header=BB222_19 Depth=1
	s_and_not1_saveexec_b32 s28, s2
; %bb.72:                               ;   in Loop: Header=BB222_19 Depth=1
	v_and_b32_e32 v7, 0xffff, v8
	v_or_b32_e32 v10, 0x10000, v8
	s_delay_alu instid0(VALU_DEP_2) | instskip(NEXT) | instid1(VALU_DEP_1)
	v_cmp_eq_u32_e64 s2, 0, v7
	v_cndmask_b32_e64 v7, v10, v8, s2
; %bb.73:                               ;   in Loop: Header=BB222_19 Depth=1
	s_or_b32 exec_lo, exec_lo, s28
	v_lshlrev_b64 v[10:11], 1, v[43:44]
	s_delay_alu instid0(VALU_DEP_1) | instskip(NEXT) | instid1(VALU_DEP_1)
	v_add_co_u32 v10, s2, s10, v10
	v_add_co_ci_u32_e64 v11, s2, s11, v11, s2
	global_store_d16_hi_b16 v[10:11], v7, off
	s_or_b32 exec_lo, exec_lo, s19
	s_and_saveexec_b32 s19, s1
	s_cbranch_execz .LBB222_57
.LBB222_74:                             ;   in Loop: Header=BB222_19 Depth=1
	s_waitcnt vmcnt(2) lgkmcnt(2)
	v_dual_add_f32 v4, v4, v5 :: v_dual_lshlrev_b32 v5, 16, v12
	s_delay_alu instid0(VALU_DEP_1) | instskip(NEXT) | instid1(VALU_DEP_1)
	v_add_f32_e32 v5, v4, v5
	v_and_b32_e32 v4, 0x7f800000, v5
	s_delay_alu instid0(VALU_DEP_1) | instskip(NEXT) | instid1(VALU_DEP_1)
	v_cmp_ne_u32_e64 s2, 0x7f800000, v4
                                        ; implicit-def: $vgpr4
	s_and_saveexec_b32 s28, s2
	s_delay_alu instid0(SALU_CYCLE_1)
	s_xor_b32 s2, exec_lo, s28
; %bb.75:                               ;   in Loop: Header=BB222_19 Depth=1
	v_bfe_u32 v4, v5, 16, 1
	s_delay_alu instid0(VALU_DEP_1)
	v_add3_u32 v4, v5, v4, 0x7fff
                                        ; implicit-def: $vgpr5
; %bb.76:                               ;   in Loop: Header=BB222_19 Depth=1
	s_and_not1_saveexec_b32 s28, s2
; %bb.77:                               ;   in Loop: Header=BB222_19 Depth=1
	v_and_b32_e32 v4, 0xffff, v5
	v_or_b32_e32 v7, 0x10000, v5
	s_delay_alu instid0(VALU_DEP_2) | instskip(NEXT) | instid1(VALU_DEP_1)
	v_cmp_eq_u32_e64 s2, 0, v4
	v_cndmask_b32_e64 v4, v7, v5, s2
; %bb.78:                               ;   in Loop: Header=BB222_19 Depth=1
	s_or_b32 exec_lo, exec_lo, s28
	v_dual_mov_b32 v8, v44 :: v_dual_add_nc_u32 v7, 1, v43
	s_delay_alu instid0(VALU_DEP_1) | instskip(NEXT) | instid1(VALU_DEP_1)
	v_lshlrev_b64 v[7:8], 1, v[7:8]
	v_add_co_u32 v7, s2, s10, v7
	s_delay_alu instid0(VALU_DEP_1)
	v_add_co_ci_u32_e64 v8, s2, s11, v8, s2
	global_store_d16_hi_b16 v[7:8], v4, off
	s_or_b32 exec_lo, exec_lo, s19
	v_add_nc_u32_e32 v43, s7, v43
	s_and_saveexec_b32 s2, vcc_lo
	s_cbranch_execz .LBB222_58
.LBB222_79:                             ;   in Loop: Header=BB222_19 Depth=1
	s_waitcnt vmcnt(1) lgkmcnt(1)
	v_dual_add_f32 v2, v2, v3 :: v_dual_lshlrev_b32 v3, 16, v9
	s_delay_alu instid0(VALU_DEP_1) | instskip(NEXT) | instid1(VALU_DEP_1)
	v_add_f32_e32 v3, v2, v3
	v_and_b32_e32 v2, 0x7f800000, v3
	s_delay_alu instid0(VALU_DEP_1) | instskip(SKIP_1) | instid1(SALU_CYCLE_1)
	v_cmp_ne_u32_e32 vcc_lo, 0x7f800000, v2
                                        ; implicit-def: $vgpr2
	s_and_saveexec_b32 s19, vcc_lo
	s_xor_b32 s19, exec_lo, s19
; %bb.80:                               ;   in Loop: Header=BB222_19 Depth=1
	v_bfe_u32 v2, v3, 16, 1
	s_delay_alu instid0(VALU_DEP_1)
	v_add3_u32 v2, v3, v2, 0x7fff
                                        ; implicit-def: $vgpr3
; %bb.81:                               ;   in Loop: Header=BB222_19 Depth=1
	s_and_not1_saveexec_b32 s19, s19
; %bb.82:                               ;   in Loop: Header=BB222_19 Depth=1
	v_and_b32_e32 v2, 0xffff, v3
	v_or_b32_e32 v4, 0x10000, v3
	s_delay_alu instid0(VALU_DEP_2) | instskip(NEXT) | instid1(VALU_DEP_2)
	v_cmp_eq_u32_e32 vcc_lo, 0, v2
	v_cndmask_b32_e32 v2, v4, v3, vcc_lo
; %bb.83:                               ;   in Loop: Header=BB222_19 Depth=1
	s_or_b32 exec_lo, exec_lo, s19
	v_lshlrev_b64 v[3:4], 1, v[43:44]
	s_delay_alu instid0(VALU_DEP_1) | instskip(NEXT) | instid1(VALU_DEP_2)
	v_add_co_u32 v3, vcc_lo, s10, v3
	v_add_co_ci_u32_e32 v4, vcc_lo, s11, v4, vcc_lo
	global_store_d16_hi_b16 v[3:4], v2, off
	s_or_b32 exec_lo, exec_lo, s2
	s_delay_alu instid0(SALU_CYCLE_1)
	s_and_b32 exec_lo, exec_lo, s1
	s_cbranch_execz .LBB222_89
.LBB222_84:                             ;   in Loop: Header=BB222_19 Depth=1
	s_waitcnt vmcnt(0) lgkmcnt(0)
	v_dual_add_f32 v0, v0, v1 :: v_dual_lshlrev_b32 v1, 16, v6
	s_delay_alu instid0(VALU_DEP_1) | instskip(NEXT) | instid1(VALU_DEP_1)
	v_add_f32_e32 v1, v0, v1
	v_and_b32_e32 v0, 0x7f800000, v1
	s_delay_alu instid0(VALU_DEP_1) | instskip(SKIP_1) | instid1(SALU_CYCLE_1)
	v_cmp_ne_u32_e32 vcc_lo, 0x7f800000, v0
                                        ; implicit-def: $vgpr0
	s_and_saveexec_b32 s1, vcc_lo
	s_xor_b32 s1, exec_lo, s1
; %bb.85:                               ;   in Loop: Header=BB222_19 Depth=1
	v_bfe_u32 v0, v1, 16, 1
	s_delay_alu instid0(VALU_DEP_1)
	v_add3_u32 v0, v1, v0, 0x7fff
                                        ; implicit-def: $vgpr1
; %bb.86:                               ;   in Loop: Header=BB222_19 Depth=1
	s_and_not1_saveexec_b32 s1, s1
; %bb.87:                               ;   in Loop: Header=BB222_19 Depth=1
	v_and_b32_e32 v0, 0xffff, v1
	v_or_b32_e32 v2, 0x10000, v1
	s_delay_alu instid0(VALU_DEP_2) | instskip(NEXT) | instid1(VALU_DEP_2)
	v_cmp_eq_u32_e32 vcc_lo, 0, v0
	v_cndmask_b32_e32 v0, v2, v1, vcc_lo
; %bb.88:                               ;   in Loop: Header=BB222_19 Depth=1
	s_or_b32 exec_lo, exec_lo, s1
	v_add_nc_u32_e32 v43, 1, v43
	s_delay_alu instid0(VALU_DEP_1) | instskip(NEXT) | instid1(VALU_DEP_1)
	v_lshlrev_b64 v[1:2], 1, v[43:44]
	v_add_co_u32 v1, vcc_lo, s10, v1
	s_delay_alu instid0(VALU_DEP_2)
	v_add_co_ci_u32_e32 v2, vcc_lo, s11, v2, vcc_lo
	global_store_d16_hi_b16 v[1:2], v0, off
.LBB222_89:                             ;   in Loop: Header=BB222_19 Depth=1
	s_or_b32 exec_lo, exec_lo, s18
	v_add_nc_u32_e32 v42, s23, v42
	s_delay_alu instid0(VALU_DEP_1) | instskip(SKIP_1) | instid1(VALU_DEP_2)
	v_add_nc_u32_e32 v0, 2, v42
	v_cmp_gt_u32_e32 vcc_lo, s7, v42
	v_cmp_le_u32_e64 s1, s7, v0
	s_delay_alu instid0(VALU_DEP_1) | instskip(NEXT) | instid1(SALU_CYCLE_1)
	s_and_b32 s1, vcc_lo, s1
	s_and_saveexec_b32 s28, s1
	s_cbranch_execz .LBB222_18
; %bb.90:                               ;   in Loop: Header=BB222_19 Depth=1
	s_mov_b32 s29, exec_lo
	v_cmpx_ne_u32_e64 s24, v42
	s_cbranch_execz .LBB222_17
; %bb.91:                               ;   in Loop: Header=BB222_19 Depth=1
	v_subrev_nc_u32_e32 v0, s24, v42
	s_mov_b32 s30, 0
	s_mov_b64 s[18:19], 0
	s_delay_alu instid0(VALU_DEP_1)
	v_cmp_lt_u32_e32 vcc_lo, 1, v0
	v_cndmask_b32_e32 v0, 1, v0, vcc_lo
.LBB222_92:                             ;   Parent Loop BB222_19 Depth=1
                                        ; =>  This Inner Loop Header: Depth=2
	s_cmp_lg_u32 s18, 1
	s_cselect_b32 vcc_lo, -1, 0
	s_cmp_lg_u32 s18, 0
	v_cndmask_b32_e32 v41, 0, v41, vcc_lo
	s_cselect_b32 s1, -1, 0
	s_add_u32 s18, s18, 1
	v_cndmask_b32_e64 v40, 0, v40, s1
	v_cmp_eq_u32_e64 s2, s18, v0
	s_addc_u32 s19, s19, 0
	s_delay_alu instid0(VALU_DEP_1) | instskip(NEXT) | instid1(SALU_CYCLE_1)
	s_or_b32 s30, s2, s30
	s_and_not1_b32 exec_lo, exec_lo, s30
	s_cbranch_execnz .LBB222_92
; %bb.93:                               ;   in Loop: Header=BB222_19 Depth=1
	s_or_b32 exec_lo, exec_lo, s30
	s_branch .LBB222_17
.LBB222_94:
	s_nop 0
	s_sendmsg sendmsg(MSG_DEALLOC_VGPRS)
	s_endpgm
	.section	.rodata,"a",@progbits
	.p2align	6, 0x0
	.amdhsa_kernel _Z12wvSplitK_hf_I14__hip_bfloat16Li32ELi2ELi16ELi8ELi2ELi3EEviiiiiiPKT_S3_S3_PS1_ii
		.amdhsa_group_segment_fixed_size 65536
		.amdhsa_private_segment_fixed_size 0
		.amdhsa_kernarg_size 64
		.amdhsa_user_sgpr_count 15
		.amdhsa_user_sgpr_dispatch_ptr 0
		.amdhsa_user_sgpr_queue_ptr 0
		.amdhsa_user_sgpr_kernarg_segment_ptr 1
		.amdhsa_user_sgpr_dispatch_id 0
		.amdhsa_user_sgpr_private_segment_size 0
		.amdhsa_wavefront_size32 1
		.amdhsa_uses_dynamic_stack 0
		.amdhsa_enable_private_segment 0
		.amdhsa_system_sgpr_workgroup_id_x 1
		.amdhsa_system_sgpr_workgroup_id_y 0
		.amdhsa_system_sgpr_workgroup_id_z 0
		.amdhsa_system_sgpr_workgroup_info 0
		.amdhsa_system_vgpr_workitem_id 1
		.amdhsa_next_free_vgpr 78
		.amdhsa_next_free_sgpr 31
		.amdhsa_reserve_vcc 1
		.amdhsa_float_round_mode_32 0
		.amdhsa_float_round_mode_16_64 0
		.amdhsa_float_denorm_mode_32 3
		.amdhsa_float_denorm_mode_16_64 3
		.amdhsa_dx10_clamp 1
		.amdhsa_ieee_mode 1
		.amdhsa_fp16_overflow 0
		.amdhsa_workgroup_processor_mode 1
		.amdhsa_memory_ordered 1
		.amdhsa_forward_progress 0
		.amdhsa_shared_vgpr_count 0
		.amdhsa_exception_fp_ieee_invalid_op 0
		.amdhsa_exception_fp_denorm_src 0
		.amdhsa_exception_fp_ieee_div_zero 0
		.amdhsa_exception_fp_ieee_overflow 0
		.amdhsa_exception_fp_ieee_underflow 0
		.amdhsa_exception_fp_ieee_inexact 0
		.amdhsa_exception_int_div_zero 0
	.end_amdhsa_kernel
	.section	.text._Z12wvSplitK_hf_I14__hip_bfloat16Li32ELi2ELi16ELi8ELi2ELi3EEviiiiiiPKT_S3_S3_PS1_ii,"axG",@progbits,_Z12wvSplitK_hf_I14__hip_bfloat16Li32ELi2ELi16ELi8ELi2ELi3EEviiiiiiPKT_S3_S3_PS1_ii,comdat
.Lfunc_end222:
	.size	_Z12wvSplitK_hf_I14__hip_bfloat16Li32ELi2ELi16ELi8ELi2ELi3EEviiiiiiPKT_S3_S3_PS1_ii, .Lfunc_end222-_Z12wvSplitK_hf_I14__hip_bfloat16Li32ELi2ELi16ELi8ELi2ELi3EEviiiiiiPKT_S3_S3_PS1_ii
                                        ; -- End function
	.section	.AMDGPU.csdata,"",@progbits
; Kernel info:
; codeLenInByte = 5608
; NumSgprs: 33
; NumVgprs: 78
; ScratchSize: 0
; MemoryBound: 0
; FloatMode: 240
; IeeeMode: 1
; LDSByteSize: 65536 bytes/workgroup (compile time only)
; SGPRBlocks: 4
; VGPRBlocks: 9
; NumSGPRsForWavesPerEU: 33
; NumVGPRsForWavesPerEU: 78
; Occupancy: 8
; WaveLimiterHint : 0
; COMPUTE_PGM_RSRC2:SCRATCH_EN: 0
; COMPUTE_PGM_RSRC2:USER_SGPR: 15
; COMPUTE_PGM_RSRC2:TRAP_HANDLER: 0
; COMPUTE_PGM_RSRC2:TGID_X_EN: 1
; COMPUTE_PGM_RSRC2:TGID_Y_EN: 0
; COMPUTE_PGM_RSRC2:TGID_Z_EN: 0
; COMPUTE_PGM_RSRC2:TIDIG_COMP_CNT: 1
	.section	.text._Z16wvSplitK_hf_big_I14__hip_bfloat16Li32ELi2ELi16ELi8ELi2ELi3EEviiiiiiPKT_S3_S3_PS1_ii,"axG",@progbits,_Z16wvSplitK_hf_big_I14__hip_bfloat16Li32ELi2ELi16ELi8ELi2ELi3EEviiiiiiPKT_S3_S3_PS1_ii,comdat
	.protected	_Z16wvSplitK_hf_big_I14__hip_bfloat16Li32ELi2ELi16ELi8ELi2ELi3EEviiiiiiPKT_S3_S3_PS1_ii ; -- Begin function _Z16wvSplitK_hf_big_I14__hip_bfloat16Li32ELi2ELi16ELi8ELi2ELi3EEviiiiiiPKT_S3_S3_PS1_ii
	.globl	_Z16wvSplitK_hf_big_I14__hip_bfloat16Li32ELi2ELi16ELi8ELi2ELi3EEviiiiiiPKT_S3_S3_PS1_ii
	.p2align	8
	.type	_Z16wvSplitK_hf_big_I14__hip_bfloat16Li32ELi2ELi16ELi8ELi2ELi3EEviiiiiiPKT_S3_S3_PS1_ii,@function
_Z16wvSplitK_hf_big_I14__hip_bfloat16Li32ELi2ELi16ELi8ELi2ELi3EEviiiiiiPKT_S3_S3_PS1_ii: ; @_Z16wvSplitK_hf_big_I14__hip_bfloat16Li32ELi2ELi16ELi8ELi2ELi3EEviiiiiiPKT_S3_S3_PS1_ii
; %bb.0:
	s_load_b64 s[20:21], s[0:1], 0x38
	v_bfe_u32 v1, v0, 10, 10
	s_mov_b32 s2, exec_lo
	s_waitcnt lgkmcnt(0)
	s_delay_alu instid0(VALU_DEP_1)
	v_cmpx_gt_u32_e64 s20, v1
	s_cbranch_execz .LBB223_76
; %bb.1:
	s_load_b128 s[16:19], s[0:1], 0x0
	s_mul_i32 s15, s15, s20
	s_mov_b32 s4, 1
	v_add_lshl_u32 v42, s15, v1, 1
	s_mov_b32 s5, s4
	s_delay_alu instid0(SALU_CYCLE_1) | instskip(NEXT) | instid1(VALU_DEP_2)
	v_dual_mov_b32 v41, s5 :: v_dual_mov_b32 v40, s4
	v_add_nc_u32_e32 v2, 2, v42
	s_waitcnt lgkmcnt(0)
	v_cmp_gt_u32_e32 vcc_lo, s19, v42
	s_delay_alu instid0(VALU_DEP_2) | instskip(NEXT) | instid1(VALU_DEP_1)
	v_cmp_le_u32_e64 s2, s19, v2
	s_and_b32 s2, vcc_lo, s2
	s_delay_alu instid0(SALU_CYCLE_1)
	s_and_saveexec_b32 s6, s2
	s_cbranch_execz .LBB223_7
; %bb.2:
	v_dual_mov_b32 v41, s5 :: v_dual_mov_b32 v40, s4
	s_add_i32 s7, s19, -2
	s_mov_b32 s8, exec_lo
	v_cmpx_ne_u32_e64 s7, v42
	s_cbranch_execz .LBB223_6
; %bb.3:
	v_subrev_nc_u32_e32 v2, s7, v42
	s_mov_b32 s2, 1
	s_mov_b32 s9, 0
	s_mov_b64 s[4:5], 0
	s_mov_b32 s3, s2
	v_cmp_lt_u32_e32 vcc_lo, 1, v2
	v_cndmask_b32_e32 v2, 1, v2, vcc_lo
.LBB223_4:                              ; =>This Inner Loop Header: Depth=1
	s_cmp_lg_u32 s4, 1
	s_cselect_b32 s3, s3, 0
	s_cmp_lg_u32 s4, 0
	s_cselect_b32 s2, s2, 0
	s_add_u32 s4, s4, 1
	v_dual_mov_b32 v41, s3 :: v_dual_mov_b32 v40, s2
	v_cmp_eq_u32_e32 vcc_lo, s4, v2
	s_addc_u32 s5, s5, 0
	s_or_b32 s9, vcc_lo, s9
	s_delay_alu instid0(SALU_CYCLE_1)
	s_and_not1_b32 exec_lo, exec_lo, s9
	s_cbranch_execnz .LBB223_4
; %bb.5:
	s_or_b32 exec_lo, exec_lo, s9
	v_mov_b32_e32 v42, s7
.LBB223_6:
	s_or_b32 exec_lo, exec_lo, s8
.LBB223_7:
	s_delay_alu instid0(SALU_CYCLE_1)
	s_or_b32 exec_lo, exec_lo, s6
	s_lshl_b32 s2, s20, 1
	s_abs_i32 s6, s19
	s_abs_i32 s3, s2
	s_mov_b32 s22, 0
	v_cvt_f32_u32_e32 v2, s3
	s_sub_i32 s5, 0, s3
	s_delay_alu instid0(VALU_DEP_1) | instskip(SKIP_2) | instid1(VALU_DEP_1)
	v_rcp_iflag_f32_e32 v2, v2
	s_waitcnt_depctr 0xfff
	v_mul_f32_e32 v2, 0x4f7ffffe, v2
	v_cvt_u32_f32_e32 v2, v2
	s_delay_alu instid0(VALU_DEP_1) | instskip(NEXT) | instid1(VALU_DEP_1)
	v_readfirstlane_b32 s4, v2
	s_mul_i32 s5, s5, s4
	s_delay_alu instid0(SALU_CYCLE_1) | instskip(NEXT) | instid1(SALU_CYCLE_1)
	s_mul_hi_u32 s5, s4, s5
	s_add_i32 s4, s4, s5
	s_ashr_i32 s5, s19, 31
	s_mul_hi_u32 s4, s6, s4
	s_delay_alu instid0(SALU_CYCLE_1) | instskip(NEXT) | instid1(SALU_CYCLE_1)
	s_mul_i32 s4, s4, s3
	s_sub_i32 s4, s6, s4
	s_delay_alu instid0(SALU_CYCLE_1) | instskip(SKIP_2) | instid1(SALU_CYCLE_1)
	s_sub_i32 s6, s4, s3
	s_cmp_ge_u32 s4, s3
	s_cselect_b32 s4, s6, s4
	s_sub_i32 s6, s4, s3
	s_cmp_ge_u32 s4, s3
	s_cselect_b32 s3, s6, s4
	s_add_i32 s2, s2, s19
	s_xor_b32 s3, s3, s5
	s_delay_alu instid0(SALU_CYCLE_1) | instskip(NEXT) | instid1(SALU_CYCLE_1)
	s_sub_i32 s3, s3, s5
	s_sub_i32 s2, s2, s3
	s_cmp_eq_u32 s3, 0
	s_cselect_b32 s3, s19, s2
	s_delay_alu instid0(SALU_CYCLE_1)
	v_cmp_gt_u32_e32 vcc_lo, s3, v42
	s_and_b32 exec_lo, exec_lo, vcc_lo
	s_cbranch_execz .LBB223_76
; %bb.8:
	s_load_b256 s[4:11], s[0:1], 0x10
	s_min_u32 s23, s18, 0x2a00
	s_cmp_lg_u32 s16, 0
	s_mul_i32 s2, s21, s20
	s_cselect_b32 s24, -1, 0
	s_cmp_lg_u32 s18, 0
	s_load_b64 s[12:13], s[0:1], 0x30
	s_cselect_b32 s21, -1, 0
	s_lshl_b32 s25, s20, 8
	s_add_i32 s26, s16, -8
	s_add_i32 s27, s19, -1
	s_lshl_b32 s28, s2, 1
	v_and_b32_e32 v0, 0x3ff, v0
	v_mbcnt_lo_u32_b32 v49, -1, 0
	s_delay_alu instid0(VALU_DEP_2)
	v_lshlrev_b32_e32 v50, 3, v0
	v_cmp_eq_u32_e64 s0, 31, v0
	v_lshlrev_b32_e32 v0, 4, v0
	s_waitcnt lgkmcnt(0)
	s_cmp_lg_u64 s[10:11], 0
	v_cvt_f32_u32_e32 v3, s4
	s_cselect_b32 s29, -1, 0
	s_abs_i32 s2, s5
	s_add_i32 s5, s19, -2
	v_cvt_f32_u32_e32 v2, s2
	v_rcp_iflag_f32_e32 v3, v3
	s_sub_i32 s14, 0, s2
	s_sub_i32 s15, 0, s4
	;; [unrolled: 1-line block ×3, first 2 shown]
	v_rcp_iflag_f32_e32 v2, v2
	v_lshl_add_u32 v51, v1, 8, v50
	v_lshl_add_u32 v52, v1, 9, v0
	s_delay_alu instid0(VALU_DEP_2) | instskip(SKIP_3) | instid1(VALU_DEP_1)
	v_lshl_add_u32 v53, s18, 1, v51
	v_add_nc_u32_e32 v54, s18, v51
	s_waitcnt_depctr 0xfff
	v_mul_f32_e32 v2, 0x4f7ffffe, v2
	v_cvt_u32_f32_e32 v2, v2
	s_delay_alu instid0(VALU_DEP_1) | instskip(SKIP_1) | instid1(VALU_DEP_2)
	v_readfirstlane_b32 s1, v2
	v_mul_f32_e32 v2, 0x4f7ffffe, v3
	s_mul_i32 s14, s14, s1
	s_delay_alu instid0(VALU_DEP_1) | instskip(SKIP_1) | instid1(SALU_CYCLE_1)
	v_cvt_u32_f32_e32 v2, v2
	s_mul_hi_u32 s14, s1, s14
	s_add_i32 s1, s1, s14
	s_cmp_lt_u32 s2, 2
	s_delay_alu instid0(VALU_DEP_1) | instskip(SKIP_1) | instid1(SALU_CYCLE_1)
	v_mul_lo_u32 v3, s15, v2
	s_cselect_b32 s14, s30, 1
	s_sub_i32 s15, s14, s2
	s_cmp_ge_u32 s14, s2
	s_cselect_b32 s30, s15, s14
	s_lshr_b32 s1, s1, 31
	s_delay_alu instid0(VALU_DEP_1)
	v_mul_hi_u32 v3, v2, v3
	s_mul_i32 s1, s1, s2
	v_mov_b32_e32 v44, 0
	s_sub_i32 s1, 2, s1
	s_mul_i32 s30, s30, s4
	s_sub_i32 s14, s1, s2
	s_cmp_ge_u32 s1, s2
	s_delay_alu instid0(VALU_DEP_2) | instskip(SKIP_1) | instid1(SALU_CYCLE_1)
	v_add_nc_u32_e32 v55, v2, v3
	s_cselect_b32 s1, s14, s1
	s_sub_i32 s14, s1, s2
	s_cmp_ge_u32 s1, s2
	s_cselect_b32 s35, s14, s1
	s_add_u32 s31, s12, 2
	s_addc_u32 s33, s13, 0
	s_lshl_b32 s34, s23, 2
	s_lshl_b32 s20, s20, 9
	s_mul_i32 s35, s35, s4
	s_lshl_b32 s36, s23, 1
	s_branch .LBB223_12
.LBB223_9:                              ;   in Loop: Header=BB223_12 Depth=1
	s_or_b32 exec_lo, exec_lo, s39
	v_mov_b32_e32 v42, s5
.LBB223_10:                             ;   in Loop: Header=BB223_12 Depth=1
	s_or_b32 exec_lo, exec_lo, s38
.LBB223_11:                             ;   in Loop: Header=BB223_12 Depth=1
	s_delay_alu instid0(SALU_CYCLE_1) | instskip(NEXT) | instid1(VALU_DEP_1)
	s_or_b32 exec_lo, exec_lo, s37
	v_cmp_le_u32_e32 vcc_lo, s3, v42
	s_or_b32 s22, vcc_lo, s22
	s_delay_alu instid0(SALU_CYCLE_1)
	s_and_not1_b32 exec_lo, exec_lo, s22
	s_cbranch_execz .LBB223_76
.LBB223_12:                             ; =>This Loop Header: Depth=1
                                        ;     Child Loop BB223_17 Depth 2
                                        ;       Child Loop BB223_22 Depth 3
                                        ;     Child Loop BB223_74 Depth 2
	v_mov_b32_e32 v56, v44
	v_mov_b32_e32 v57, v44
	;; [unrolled: 1-line block ×6, first 2 shown]
	s_and_not1_b32 vcc_lo, exec_lo, s24
	s_mov_b32 s14, 0
	s_cbranch_vccnz .LBB223_29
; %bb.13:                               ;   in Loop: Header=BB223_12 Depth=1
	v_add_nc_u32_e32 v0, 1, v42
	s_waitcnt lgkmcnt(0)
	v_min_u32_e32 v1, s27, v42
	v_cmp_gt_u32_e64 s1, s19, v42
	v_dual_mov_b32 v59, 0 :: v_dual_mov_b32 v60, 0
	v_dual_mov_b32 v61, 0 :: v_dual_mov_b32 v58, 0
	s_delay_alu instid0(VALU_DEP_4) | instskip(SKIP_4) | instid1(VALU_DEP_2)
	v_mul_lo_u32 v43, v1, s17
	v_mov_b32_e32 v1, v44
	v_min_u32_e32 v0, s27, v0
	v_dual_mov_b32 v57, 0 :: v_dual_mov_b32 v56, 0
	s_mov_b32 s15, 0
	v_mul_lo_u32 v0, v0, s17
	v_lshlrev_b64 v[45:46], 1, v[43:44]
	s_delay_alu instid0(VALU_DEP_2)
	v_lshlrev_b64 v[47:48], 1, v[0:1]
	s_branch .LBB223_17
.LBB223_14:                             ;   in Loop: Header=BB223_17 Depth=2
	s_or_b32 exec_lo, exec_lo, s38
.LBB223_15:                             ;   in Loop: Header=BB223_17 Depth=2
	s_delay_alu instid0(SALU_CYCLE_1)
	s_or_b32 exec_lo, exec_lo, s37
	s_waitcnt vmcnt(3)
	v_and_b32_e32 v68, 0xffff0000, v34
	v_and_b32_e32 v70, 0xffff0000, v35
	v_lshlrev_b32_e32 v35, 16, v35
	s_waitcnt lgkmcnt(2)
	v_and_b32_e32 v67, 0xffff0000, v38
	v_lshlrev_b32_e32 v38, 16, v38
	v_lshlrev_b32_e32 v34, 16, v34
	v_and_b32_e32 v62, 0xffff0000, v32
	v_and_b32_e32 v63, 0xffff0000, v37
	v_mul_f32_e32 v69, v67, v68
	v_lshlrev_b32_e32 v32, 16, v32
	s_waitcnt vmcnt(2)
	v_and_b32_e32 v71, 0xffff0000, v25
	v_lshlrev_b32_e32 v25, 16, v25
	v_dual_fmac_f32 v69, v38, v34 :: v_dual_and_b32 v64, 0xffff0000, v33
	v_lshlrev_b32_e32 v37, 16, v37
	s_delay_alu instid0(VALU_DEP_2) | instskip(NEXT) | instid1(VALU_DEP_1)
	v_dual_mul_f32 v66, v63, v64 :: v_dual_lshlrev_b32 v33, 16, v33
	v_dual_fmac_f32 v66, v37, v33 :: v_dual_and_b32 v43, 0xffff0000, v36
	s_delay_alu instid0(VALU_DEP_1) | instskip(NEXT) | instid1(VALU_DEP_1)
	v_dual_mul_f32 v65, v43, v62 :: v_dual_lshlrev_b32 v36, 16, v36
	v_fmac_f32_e32 v65, v36, v32
	s_delay_alu instid0(VALU_DEP_1) | instskip(SKIP_1) | instid1(VALU_DEP_2)
	v_add_f32_e32 v59, v59, v65
	v_and_b32_e32 v65, 0xffff0000, v24
	v_dual_add_f32 v59, v59, v66 :: v_dual_lshlrev_b32 v24, 16, v24
	s_delay_alu instid0(VALU_DEP_2) | instskip(NEXT) | instid1(VALU_DEP_2)
	v_dual_mul_f32 v43, v43, v65 :: v_dual_and_b32 v66, 0xffff0000, v39
	v_add_f32_e32 v59, v59, v69
	s_delay_alu instid0(VALU_DEP_2) | instskip(SKIP_1) | instid1(VALU_DEP_2)
	v_dual_fmac_f32 v43, v36, v24 :: v_dual_mul_f32 v72, v66, v70
	v_mul_f32_e32 v36, v63, v71
	v_add_f32_e32 v43, v61, v43
	s_delay_alu instid0(VALU_DEP_2) | instskip(NEXT) | instid1(VALU_DEP_1)
	v_dual_fmac_f32 v36, v37, v25 :: v_dual_lshlrev_b32 v39, 16, v39
	v_dual_add_f32 v36, v43, v36 :: v_dual_and_b32 v43, 0xffff0000, v27
	s_delay_alu instid0(VALU_DEP_2) | instskip(SKIP_1) | instid1(VALU_DEP_3)
	v_fmac_f32_e32 v72, v39, v35
	v_lshlrev_b32_e32 v27, 16, v27
	v_dual_mul_f32 v66, v66, v43 :: v_dual_and_b32 v61, 0xffff0000, v26
	s_delay_alu instid0(VALU_DEP_3) | instskip(NEXT) | instid1(VALU_DEP_2)
	v_dual_add_f32 v37, v59, v72 :: v_dual_lshlrev_b32 v26, 16, v26
	v_fmac_f32_e32 v66, v39, v27
	s_delay_alu instid0(VALU_DEP_3) | instskip(SKIP_1) | instid1(VALU_DEP_1)
	v_mul_f32_e32 v63, v67, v61
	s_waitcnt lgkmcnt(1)
	v_dual_fmac_f32 v63, v38, v26 :: v_dual_and_b32 v38, 0xffff0000, v29
	s_delay_alu instid0(VALU_DEP_1) | instskip(SKIP_1) | instid1(VALU_DEP_2)
	v_dual_add_f32 v36, v36, v63 :: v_dual_and_b32 v59, 0xffff0000, v28
	v_lshlrev_b32_e32 v28, 16, v28
	v_dual_mul_f32 v69, v38, v64 :: v_dual_add_f32 v36, v36, v66
	s_delay_alu instid0(VALU_DEP_3) | instskip(SKIP_1) | instid1(VALU_DEP_2)
	v_mul_f32_e32 v67, v59, v62
	v_dual_mul_f32 v59, v59, v65 :: v_dual_and_b32 v66, 0xffff0000, v31
	v_fmac_f32_e32 v67, v28, v32
	s_delay_alu instid0(VALU_DEP_2)
	v_fmac_f32_e32 v59, v28, v24
	v_lshlrev_b32_e32 v29, 16, v29
	v_lshlrev_b32_e32 v28, 16, v31
	v_mul_f32_e32 v31, v38, v71
	v_mul_f32_e32 v38, v66, v70
	v_dual_add_f32 v58, v58, v59 :: v_dual_and_b32 v63, 0xffff0000, v30
	s_delay_alu instid0(VALU_DEP_3) | instskip(NEXT) | instid1(VALU_DEP_2)
	v_dual_fmac_f32 v31, v29, v25 :: v_dual_lshlrev_b32 v30, 16, v30
	v_dual_add_f32 v39, v60, v67 :: v_dual_mul_f32 v60, v63, v68
	s_delay_alu instid0(VALU_DEP_4) | instskip(SKIP_1) | instid1(VALU_DEP_3)
	v_fmac_f32_e32 v38, v28, v35
	s_waitcnt lgkmcnt(0)
	v_dual_add_f32 v31, v58, v31 :: v_dual_and_b32 v58, 0xffff0000, v21
	v_lshlrev_b32_e32 v21, 16, v21
	v_and_b32_e32 v59, 0xffff0000, v20
	v_dual_fmac_f32 v69, v29, v33 :: v_dual_fmac_f32 v60, v30, v34
	v_dual_mul_f32 v29, v63, v61 :: v_dual_lshlrev_b32 v20, 16, v20
	s_delay_alu instid0(VALU_DEP_2) | instskip(NEXT) | instid1(VALU_DEP_1)
	v_add_f32_e32 v39, v39, v69
	v_add_f32_e32 v39, v39, v60
	v_mul_f32_e32 v60, v59, v62
	s_delay_alu instid0(VALU_DEP_1) | instskip(SKIP_1) | instid1(VALU_DEP_1)
	v_fmac_f32_e32 v60, v20, v32
	v_mul_f32_e32 v32, v58, v64
	v_fmac_f32_e32 v32, v21, v33
	v_mul_f32_e32 v33, v59, v65
	s_delay_alu instid0(VALU_DEP_1) | instskip(SKIP_3) | instid1(VALU_DEP_4)
	v_dual_fmac_f32 v33, v20, v24 :: v_dual_mul_f32 v20, v58, v71
	v_fmac_f32_e32 v29, v30, v26
	v_add_f32_e32 v30, v39, v38
	v_dual_add_f32 v39, v57, v60 :: v_dual_and_b32 v38, 0xffff0000, v22
	v_fmac_f32_e32 v20, v21, v25
	s_delay_alu instid0(VALU_DEP_4) | instskip(SKIP_1) | instid1(VALU_DEP_4)
	v_add_f32_e32 v29, v31, v29
	v_dual_mul_f32 v31, v66, v43 :: v_dual_lshlrev_b32 v22, 16, v22
	v_mul_f32_e32 v25, v38, v61
	s_delay_alu instid0(VALU_DEP_2) | instskip(SKIP_2) | instid1(VALU_DEP_3)
	v_dual_fmac_f32 v31, v28, v27 :: v_dual_add_f32 v28, v39, v32
	s_waitcnt vmcnt(1)
	v_and_b32_e32 v32, 0xffff0000, v12
	v_dual_fmac_f32 v25, v22, v26 :: v_dual_lshlrev_b32 v12, 16, v12
	s_delay_alu instid0(VALU_DEP_3) | instskip(SKIP_2) | instid1(VALU_DEP_1)
	v_add_f32_e32 v24, v29, v31
	v_and_b32_e32 v26, 0xffff0000, v13
	v_add_f32_e32 v31, v56, v33
	v_dual_add_f32 v20, v31, v20 :: v_dual_and_b32 v29, 0xffff0000, v23
	v_mul_f32_e32 v57, v38, v68
	v_and_b32_e32 v31, 0xffff0000, v16
	v_lshlrev_b32_e32 v16, 16, v16
	s_waitcnt vmcnt(0)
	v_and_b32_e32 v38, 0xffff0000, v7
	v_dual_add_f32 v20, v20, v25 :: v_dual_fmac_f32 v57, v22, v34
	v_dual_mul_f32 v22, v31, v32 :: v_dual_lshlrev_b32 v23, 16, v23
	s_delay_alu instid0(VALU_DEP_2) | instskip(NEXT) | instid1(VALU_DEP_2)
	v_add_f32_e32 v21, v28, v57
	v_fmac_f32_e32 v22, v16, v12
	v_mul_f32_e32 v28, v29, v70
	s_delay_alu instid0(VALU_DEP_2) | instskip(SKIP_1) | instid1(VALU_DEP_3)
	v_add_f32_e32 v22, v37, v22
	v_mul_f32_e32 v29, v29, v43
	v_fmac_f32_e32 v28, v23, v35
	s_delay_alu instid0(VALU_DEP_2)
	v_fmac_f32_e32 v29, v23, v27
	v_and_b32_e32 v27, 0xffff0000, v14
	v_and_b32_e32 v35, 0xffff0000, v5
	v_lshlrev_b32_e32 v5, 16, v5
	v_and_b32_e32 v23, 0xffff0000, v18
	v_lshlrev_b32_e32 v18, 16, v18
	v_dual_add_f32 v21, v21, v28 :: v_dual_lshlrev_b32 v14, 16, v14
	v_and_b32_e32 v28, 0xffff0000, v4
	s_delay_alu instid0(VALU_DEP_4) | instskip(SKIP_1) | instid1(VALU_DEP_3)
	v_dual_mul_f32 v34, v23, v27 :: v_dual_and_b32 v25, 0xffff0000, v17
	v_lshlrev_b32_e32 v4, 16, v4
	v_dual_add_f32 v20, v20, v29 :: v_dual_mul_f32 v31, v31, v28
	s_delay_alu instid0(VALU_DEP_3) | instskip(NEXT) | instid1(VALU_DEP_4)
	v_fmac_f32_e32 v34, v18, v14
	v_mul_f32_e32 v33, v25, v26
	v_lshlrev_b32_e32 v17, 16, v17
	v_lshlrev_b32_e32 v13, 16, v13
	v_dual_fmac_f32 v31, v16, v4 :: v_dual_mul_f32 v16, v25, v35
	v_lshlrev_b32_e32 v7, 16, v7
	s_delay_alu instid0(VALU_DEP_3) | instskip(NEXT) | instid1(VALU_DEP_3)
	v_fmac_f32_e32 v33, v17, v13
	v_dual_add_f32 v31, v36, v31 :: v_dual_fmac_f32 v16, v17, v5
	v_and_b32_e32 v17, 0xffff0000, v6
	v_lshlrev_b32_e32 v6, 16, v6
	v_and_b32_e32 v36, 0xffff0000, v9
	s_delay_alu instid0(VALU_DEP_4) | instskip(NEXT) | instid1(VALU_DEP_4)
	v_dual_add_f32 v16, v31, v16 :: v_dual_and_b32 v29, 0xffff0000, v19
	v_mul_f32_e32 v23, v23, v17
	s_delay_alu instid0(VALU_DEP_3) | instskip(NEXT) | instid1(VALU_DEP_2)
	v_mul_f32_e32 v31, v36, v26
	v_fmac_f32_e32 v23, v18, v6
	v_and_b32_e32 v25, 0xffff0000, v8
	v_lshlrev_b32_e32 v8, 16, v8
	v_add_f32_e32 v22, v22, v33
	v_and_b32_e32 v18, 0xffff0000, v10
	v_add_f32_e32 v16, v16, v23
	v_lshlrev_b32_e32 v10, 16, v10
	s_delay_alu instid0(VALU_DEP_4) | instskip(SKIP_1) | instid1(VALU_DEP_1)
	v_dual_add_f32 v22, v22, v34 :: v_dual_and_b32 v23, 0xffff0000, v11
	v_dual_mul_f32 v34, v25, v32 :: v_dual_and_b32 v33, 0xffff0000, v15
	v_dual_fmac_f32 v34, v8, v12 :: v_dual_lshlrev_b32 v11, 16, v11
	s_delay_alu instid0(VALU_DEP_2) | instskip(NEXT) | instid1(VALU_DEP_2)
	v_mul_f32_e32 v37, v29, v33
	v_dual_add_f32 v30, v30, v34 :: v_dual_lshlrev_b32 v19, 16, v19
	v_mul_f32_e32 v34, v18, v27
	s_delay_alu instid0(VALU_DEP_1) | instskip(SKIP_1) | instid1(VALU_DEP_2)
	v_dual_fmac_f32 v34, v10, v14 :: v_dual_lshlrev_b32 v15, 16, v15
	v_mul_f32_e32 v29, v29, v38
	v_fmac_f32_e32 v37, v19, v15
	s_delay_alu instid0(VALU_DEP_2) | instskip(SKIP_1) | instid1(VALU_DEP_3)
	v_fmac_f32_e32 v29, v19, v7
	v_mul_f32_e32 v19, v25, v28
	v_add_f32_e32 v59, v22, v37
	s_delay_alu instid0(VALU_DEP_2) | instskip(NEXT) | instid1(VALU_DEP_1)
	v_dual_fmac_f32 v19, v8, v4 :: v_dual_mul_f32 v8, v23, v33
	v_dual_add_f32 v19, v24, v19 :: v_dual_and_b32 v24, 0xffff0000, v1
	v_lshlrev_b32_e32 v9, 16, v9
	v_and_b32_e32 v25, 0xffff0000, v0
	v_lshlrev_b32_e32 v0, 16, v0
	v_lshlrev_b32_e32 v1, 16, v1
	s_delay_alu instid0(VALU_DEP_4) | instskip(NEXT) | instid1(VALU_DEP_1)
	v_fmac_f32_e32 v31, v9, v13
	v_dual_add_f32 v22, v30, v31 :: v_dual_mul_f32 v31, v25, v32
	v_mul_f32_e32 v30, v36, v35
	s_delay_alu instid0(VALU_DEP_2) | instskip(SKIP_1) | instid1(VALU_DEP_3)
	v_dual_add_f32 v22, v22, v34 :: v_dual_fmac_f32 v31, v0, v12
	v_mul_f32_e32 v12, v24, v26
	v_fmac_f32_e32 v30, v9, v5
	v_mul_f32_e32 v9, v18, v17
	s_delay_alu instid0(VALU_DEP_3) | instskip(NEXT) | instid1(VALU_DEP_3)
	v_fmac_f32_e32 v12, v1, v13
	v_dual_mul_f32 v13, v25, v28 :: v_dual_add_f32 v18, v19, v30
	v_and_b32_e32 v19, 0xffff0000, v2
	v_dual_add_f32 v61, v16, v29 :: v_dual_lshlrev_b32 v2, 16, v2
	s_delay_alu instid0(VALU_DEP_3) | instskip(SKIP_1) | instid1(VALU_DEP_4)
	v_fmac_f32_e32 v13, v0, v4
	v_mul_f32_e32 v0, v24, v35
	v_mul_f32_e32 v4, v19, v27
	s_delay_alu instid0(VALU_DEP_2) | instskip(NEXT) | instid1(VALU_DEP_4)
	v_fmac_f32_e32 v0, v1, v5
	v_dual_fmac_f32 v8, v11, v15 :: v_dual_add_f32 v13, v20, v13
	s_delay_alu instid0(VALU_DEP_3) | instskip(NEXT) | instid1(VALU_DEP_2)
	v_dual_mul_f32 v1, v19, v17 :: v_dual_fmac_f32 v4, v2, v14
	v_add_f32_e32 v60, v22, v8
	s_delay_alu instid0(VALU_DEP_2) | instskip(SKIP_1) | instid1(VALU_DEP_2)
	v_dual_add_f32 v0, v13, v0 :: v_dual_fmac_f32 v1, v2, v6
	v_dual_fmac_f32 v9, v10, v6 :: v_dual_add_f32 v10, v21, v31
	v_add_f32_e32 v0, v0, v1
	s_delay_alu instid0(VALU_DEP_2) | instskip(SKIP_1) | instid1(VALU_DEP_2)
	v_add_f32_e32 v10, v10, v12
	v_and_b32_e32 v12, 0xffff0000, v3
	v_dual_add_f32 v4, v10, v4 :: v_dual_lshlrev_b32 v3, 16, v3
	s_delay_alu instid0(VALU_DEP_2) | instskip(SKIP_2) | instid1(VALU_DEP_3)
	v_mul_f32_e32 v5, v12, v33
	v_dual_mul_f32 v2, v12, v38 :: v_dual_add_f32 v9, v18, v9
	v_mul_f32_e32 v18, v23, v38
	v_fmac_f32_e32 v5, v3, v15
	s_delay_alu instid0(VALU_DEP_3) | instskip(NEXT) | instid1(VALU_DEP_2)
	v_fmac_f32_e32 v2, v3, v7
	v_dual_fmac_f32 v18, v11, v7 :: v_dual_add_f32 v57, v4, v5
	s_delay_alu instid0(VALU_DEP_2) | instskip(NEXT) | instid1(VALU_DEP_2)
	v_add_f32_e32 v56, v0, v2
	v_add_f32_e32 v58, v9, v18
.LBB223_16:                             ;   in Loop: Header=BB223_17 Depth=2
	s_or_b32 exec_lo, exec_lo, s2
	s_addk_i32 s15, 0x200
	s_delay_alu instid0(SALU_CYCLE_1)
	s_cmp_ge_u32 s15, s16
	s_cbranch_scc1 .LBB223_29
.LBB223_17:                             ;   Parent Loop BB223_12 Depth=1
                                        ; =>  This Loop Header: Depth=2
                                        ;       Child Loop BB223_22 Depth 3
	s_cmp_eq_u32 s15, 0
	s_cselect_b32 s37, -1, 0
	s_add_i32 s2, s14, s23
	s_delay_alu instid0(SALU_CYCLE_1) | instskip(SKIP_1) | instid1(SALU_CYCLE_1)
	s_cmp_eq_u32 s15, s2
	s_cselect_b32 s38, -1, 0
	s_or_b32 s38, s37, s38
	s_delay_alu instid0(SALU_CYCLE_1)
	s_and_not1_b32 vcc_lo, exec_lo, s38
	s_cbranch_vccz .LBB223_19
; %bb.18:                               ;   in Loop: Header=BB223_17 Depth=2
	s_and_saveexec_b32 s2, s1
	s_cbranch_execz .LBB223_16
	s_branch .LBB223_26
.LBB223_19:                             ;   in Loop: Header=BB223_17 Depth=2
	s_and_b32 s37, s37, exec_lo
	s_cselect_b32 s14, s14, s2
	s_and_not1_b32 vcc_lo, exec_lo, s21
	s_waitcnt vmcnt(0)
	s_waitcnt_vscnt null, 0x0
	s_barrier
	buffer_gl0_inv
	s_cbranch_vccnz .LBB223_25
; %bb.20:                               ;   in Loop: Header=BB223_17 Depth=2
	v_dual_mov_b32 v3, v52 :: v_dual_add_nc_u32 v0, s14, v53
	v_add_nc_u32_e32 v1, s14, v54
	v_add_nc_u32_e32 v2, s14, v51
	s_mov_b32 s37, 0
	s_mov_b32 s38, 0
                                        ; implicit-def: $sgpr39
	s_branch .LBB223_22
.LBB223_21:                             ;   in Loop: Header=BB223_22 Depth=3
	s_or_b32 exec_lo, exec_lo, s2
	s_delay_alu instid0(SALU_CYCLE_1) | instskip(NEXT) | instid1(SALU_CYCLE_1)
	s_and_b32 s2, exec_lo, s39
	s_or_b32 s37, s2, s37
	s_delay_alu instid0(SALU_CYCLE_1)
	s_and_not1_b32 exec_lo, exec_lo, s37
	s_cbranch_execz .LBB223_24
.LBB223_22:                             ;   Parent Loop BB223_12 Depth=1
                                        ;     Parent Loop BB223_17 Depth=2
                                        ; =>    This Inner Loop Header: Depth=3
	s_delay_alu instid0(VALU_DEP_1) | instskip(SKIP_2) | instid1(VALU_DEP_2)
	v_add_nc_u32_e32 v43, s38, v2
	v_add_nc_u32_e32 v4, s38, v51
	s_or_b32 s39, s39, exec_lo
	v_cmp_gt_u32_e32 vcc_lo, s18, v43
	s_delay_alu instid0(VALU_DEP_2) | instskip(NEXT) | instid1(VALU_DEP_1)
	v_cmp_gt_u32_e64 s2, s23, v4
	s_and_b32 s40, s2, vcc_lo
	s_delay_alu instid0(SALU_CYCLE_1)
	s_and_saveexec_b32 s2, s40
	s_cbranch_execz .LBB223_21
; %bb.23:                               ;   in Loop: Header=BB223_22 Depth=3
	v_lshlrev_b64 v[4:5], 1, v[43:44]
	v_add_nc_u32_e32 v43, s38, v1
	v_add_nc_u32_e32 v16, s36, v3
	;; [unrolled: 1-line block ×3, first 2 shown]
	s_delay_alu instid0(VALU_DEP_3) | instskip(SKIP_3) | instid1(VALU_DEP_3)
	v_lshlrev_b64 v[6:7], 1, v[43:44]
	v_add_nc_u32_e32 v43, s38, v0
	v_add_co_u32 v4, vcc_lo, s8, v4
	v_add_co_ci_u32_e32 v5, vcc_lo, s9, v5, vcc_lo
	v_lshlrev_b64 v[8:9], 1, v[43:44]
	v_add_co_u32 v10, vcc_lo, s8, v6
	v_add_co_ci_u32_e32 v11, vcc_lo, s9, v7, vcc_lo
	s_add_i32 s38, s38, s25
	s_delay_alu instid0(VALU_DEP_3) | instskip(NEXT) | instid1(VALU_DEP_4)
	v_add_co_u32 v12, vcc_lo, s8, v8
	v_add_co_ci_u32_e32 v13, vcc_lo, s9, v9, vcc_lo
	s_clause 0x2
	global_load_b128 v[4:7], v[4:5], off
	global_load_b128 v[8:11], v[10:11], off
	;; [unrolled: 1-line block ×3, first 2 shown]
	s_cmp_ge_u32 s38, s23
	s_cselect_b32 s40, -1, 0
	s_and_not1_b32 s39, s39, exec_lo
	s_and_b32 s40, s40, exec_lo
	s_delay_alu instid0(SALU_CYCLE_1)
	s_or_b32 s39, s39, s40
	s_waitcnt vmcnt(2)
	ds_store_b128 v3, v[4:7]
	v_add_nc_u32_e32 v3, s20, v3
	s_waitcnt vmcnt(1)
	ds_store_2addr_b64 v16, v[8:9], v[10:11] offset1:1
	s_waitcnt vmcnt(0)
	ds_store_2addr_b32 v17, v12, v13 offset1:1
	ds_store_2addr_b32 v17, v14, v15 offset0:2 offset1:3
	s_branch .LBB223_21
.LBB223_24:                             ;   in Loop: Header=BB223_17 Depth=2
	s_or_b32 exec_lo, exec_lo, s37
.LBB223_25:                             ;   in Loop: Header=BB223_17 Depth=2
	s_waitcnt lgkmcnt(0)
	s_barrier
	buffer_gl0_inv
	s_and_saveexec_b32 s2, s1
	s_cbranch_execz .LBB223_16
.LBB223_26:                             ;   in Loop: Header=BB223_17 Depth=2
	v_dual_mov_b32 v11, 0 :: v_dual_add_nc_u32 v62, s15, v50
	s_waitcnt vmcnt(1)
	v_dual_mov_b32 v10, 0 :: v_dual_mov_b32 v9, 0
	v_mov_b32_e32 v8, 0
	s_delay_alu instid0(VALU_DEP_3) | instskip(SKIP_3) | instid1(VALU_DEP_4)
	v_min_u32_e32 v43, s26, v62
	v_add_nc_u32_e32 v63, 0x100, v62
	v_dual_mov_b32 v19, 0 :: v_dual_mov_b32 v18, 0
	v_dual_mov_b32 v17, 0 :: v_dual_mov_b32 v16, 0
	v_lshlrev_b64 v[0:1], 1, v[43:44]
	s_delay_alu instid0(VALU_DEP_4) | instskip(SKIP_2) | instid1(VALU_DEP_4)
	v_min_u32_e32 v43, s26, v63
	v_dual_mov_b32 v23, 0 :: v_dual_mov_b32 v22, 0
	v_dual_mov_b32 v21, 0 :: v_dual_mov_b32 v20, 0
	v_add_co_u32 v4, vcc_lo, s6, v0
	v_add_co_ci_u32_e32 v5, vcc_lo, s7, v1, vcc_lo
	v_lshlrev_b64 v[0:1], 1, v[43:44]
	s_delay_alu instid0(VALU_DEP_3) | instskip(NEXT) | instid1(VALU_DEP_3)
	v_add_co_u32 v2, vcc_lo, v4, v45
	v_add_co_ci_u32_e32 v3, vcc_lo, v5, v46, vcc_lo
	v_dual_mov_b32 v31, 0 :: v_dual_mov_b32 v30, 0
	s_waitcnt vmcnt(0)
	s_delay_alu instid0(VALU_DEP_4) | instskip(SKIP_3) | instid1(VALU_DEP_4)
	v_add_co_u32 v6, vcc_lo, s6, v0
	v_add_co_ci_u32_e32 v7, vcc_lo, s7, v1, vcc_lo
	v_add_co_u32 v0, vcc_lo, v4, v47
	v_add_co_ci_u32_e32 v1, vcc_lo, v5, v48, vcc_lo
	v_add_co_u32 v4, vcc_lo, v6, v45
	s_delay_alu instid0(VALU_DEP_4)
	v_add_co_ci_u32_e32 v5, vcc_lo, v7, v46, vcc_lo
	v_add_co_u32 v6, vcc_lo, v6, v47
	v_add_co_ci_u32_e32 v7, vcc_lo, v7, v48, vcc_lo
	s_clause 0x3
	global_load_b128 v[32:35], v[2:3], off slc dlc
	global_load_b128 v[24:27], v[0:1], off slc dlc
	;; [unrolled: 1-line block ×4, first 2 shown]
	v_mov_b32_e32 v3, 0
	v_cmp_gt_u32_e32 vcc_lo, s16, v62
	v_dual_mov_b32 v2, 0 :: v_dual_mov_b32 v1, 0
	v_dual_mov_b32 v0, 0 :: v_dual_mov_b32 v29, 0
	;; [unrolled: 1-line block ×4, first 2 shown]
	v_mov_b32_e32 v36, 0
	s_and_saveexec_b32 s37, vcc_lo
	s_cbranch_execz .LBB223_15
; %bb.27:                               ;   in Loop: Header=BB223_17 Depth=2
	v_subrev_nc_u32_e32 v0, s14, v62
	v_dual_mov_b32 v18, 0 :: v_dual_mov_b32 v9, 0
	v_dual_mov_b32 v8, 0 :: v_dual_mov_b32 v11, 0
	s_delay_alu instid0(VALU_DEP_3) | instskip(SKIP_2) | instid1(VALU_DEP_3)
	v_dual_mov_b32 v17, 0 :: v_dual_lshlrev_b32 v64, 1, v0
	v_dual_mov_b32 v10, 0 :: v_dual_mov_b32 v1, 0
	v_dual_mov_b32 v0, 0 :: v_dual_mov_b32 v3, 0
	v_dual_mov_b32 v19, 0 :: v_dual_add_nc_u32 v62, s36, v64
	v_mov_b32_e32 v2, 0
	s_mov_b32 s38, exec_lo
	s_delay_alu instid0(VALU_DEP_2)
	v_dual_mov_b32 v16, 0 :: v_dual_add_nc_u32 v43, s36, v62
	ds_load_b128 v[36:39], v64
	ds_load_b128 v[28:31], v62
	ds_load_b128 v[20:23], v43
	v_cmpx_gt_u32_e64 s16, v63
	s_cbranch_execz .LBB223_14
; %bb.28:                               ;   in Loop: Header=BB223_17 Depth=2
	ds_load_b128 v[16:19], v64 offset:512
	ds_load_b128 v[8:11], v62 offset:512
	;; [unrolled: 1-line block ×3, first 2 shown]
	s_branch .LBB223_14
.LBB223_29:                             ;   in Loop: Header=BB223_12 Depth=1
	s_mov_b32 s1, exec_lo
	v_cmpx_le_u32_e64 s19, v42
	s_xor_b32 s1, exec_lo, s1
; %bb.30:                               ;   in Loop: Header=BB223_12 Depth=1
	v_add_nc_u32_e32 v42, s28, v42
                                        ; implicit-def: $vgpr59
                                        ; implicit-def: $vgpr61
                                        ; implicit-def: $vgpr60
                                        ; implicit-def: $vgpr58
                                        ; implicit-def: $vgpr57
                                        ; implicit-def: $vgpr56
; %bb.31:                               ;   in Loop: Header=BB223_12 Depth=1
	s_and_not1_saveexec_b32 s37, s1
	s_cbranch_execz .LBB223_11
; %bb.32:                               ;   in Loop: Header=BB223_12 Depth=1
	v_cvt_i32_f32_e32 v0, v59
	s_waitcnt lgkmcnt(0)
	v_xor_b32_e32 v1, 16, v49
	v_cvt_i32_f32_e32 v5, v57
	s_waitcnt vmcnt(0)
	v_cvt_i32_f32_e32 v6, v56
	v_cvt_i32_f32_e32 v3, v60
	v_cvt_f32_i32_dpp v0, v0 row_shr:8 row_mask:0xf bank_mask:0xf bound_ctrl:1
	v_cmp_gt_i32_e32 vcc_lo, 32, v1
	v_cvt_f32_i32_dpp v5, v5 row_shr:8 row_mask:0xf bank_mask:0xf bound_ctrl:1
	v_cvt_f32_i32_dpp v6, v6 row_shr:8 row_mask:0xf bank_mask:0xf bound_ctrl:1
	v_cvt_i32_f32_e32 v4, v58
	v_dual_add_f32 v0, v59, v0 :: v_dual_cndmask_b32 v1, v49, v1
	s_delay_alu instid0(VALU_DEP_3) | instskip(SKIP_1) | instid1(VALU_DEP_3)
	v_dual_add_f32 v5, v57, v5 :: v_dual_add_f32 v6, v56, v6
	v_cvt_i32_f32_e32 v2, v61
	v_cvt_i32_f32_e32 v7, v0
	v_cvt_f32_i32_dpp v3, v3 row_shr:8 row_mask:0xf bank_mask:0xf bound_ctrl:1
	s_delay_alu instid0(VALU_DEP_4)
	v_cvt_i32_f32_e32 v10, v5
	v_cvt_f32_i32_dpp v4, v4 row_shr:8 row_mask:0xf bank_mask:0xf bound_ctrl:1
	v_cvt_f32_i32_dpp v2, v2 row_shr:8 row_mask:0xf bank_mask:0xf bound_ctrl:1
	;; [unrolled: 1-line block ×3, first 2 shown]
	v_add_f32_e32 v3, v60, v3
	v_cvt_f32_i32_dpp v10, v10 row_shr:4 row_mask:0xf bank_mask:0xf bound_ctrl:1
	v_add_f32_e32 v4, v58, v4
	v_cvt_i32_f32_e32 v11, v6
	v_dual_add_f32 v0, v0, v7 :: v_dual_lshlrev_b32 v1, 2, v1
	v_add_f32_e32 v2, v61, v2
	v_add_f32_e32 v5, v5, v10
	v_cvt_i32_f32_e32 v9, v4
	s_delay_alu instid0(VALU_DEP_4)
	v_cvt_i32_f32_e32 v12, v0
	v_cvt_f32_i32_dpp v11, v11 row_shr:4 row_mask:0xf bank_mask:0xf bound_ctrl:1
	v_cvt_i32_f32_e32 v8, v2
	v_cvt_i32_f32_e32 v7, v3
	v_cvt_f32_i32_dpp v9, v9 row_shr:4 row_mask:0xf bank_mask:0xf bound_ctrl:1
	v_cvt_f32_i32_dpp v12, v12 row_shr:2 row_mask:0xf bank_mask:0xf bound_ctrl:1
	s_delay_alu instid0(VALU_DEP_4) | instskip(NEXT) | instid1(VALU_DEP_4)
	v_cvt_f32_i32_dpp v8, v8 row_shr:4 row_mask:0xf bank_mask:0xf bound_ctrl:1
	v_cvt_f32_i32_dpp v7, v7 row_shr:4 row_mask:0xf bank_mask:0xf bound_ctrl:1
	s_delay_alu instid0(VALU_DEP_3) | instskip(SKIP_2) | instid1(VALU_DEP_4)
	v_add_f32_e32 v0, v0, v12
	v_add_f32_e32 v6, v6, v11
	v_cvt_i32_f32_e32 v11, v5
	v_dual_add_f32 v2, v2, v8 :: v_dual_add_f32 v3, v3, v7
	s_delay_alu instid0(VALU_DEP_2) | instskip(SKIP_2) | instid1(VALU_DEP_4)
	v_cvt_f32_i32_dpp v11, v11 row_shr:2 row_mask:0xf bank_mask:0xf bound_ctrl:1
	v_add_f32_e32 v4, v4, v9
	v_cvt_i32_f32_e32 v9, v0
	v_cvt_i32_f32_e32 v7, v2
	;; [unrolled: 1-line block ×3, first 2 shown]
	v_add_f32_e32 v5, v5, v11
	v_cvt_i32_f32_e32 v10, v4
	v_cvt_f32_i32_dpp v9, v9 row_shr:1 row_mask:0xf bank_mask:0xf bound_ctrl:1
	v_cvt_f32_i32_dpp v7, v7 row_shr:2 row_mask:0xf bank_mask:0xf bound_ctrl:1
	;; [unrolled: 1-line block ×3, first 2 shown]
	s_delay_alu instid0(VALU_DEP_4) | instskip(NEXT) | instid1(VALU_DEP_4)
	v_cvt_f32_i32_dpp v10, v10 row_shr:2 row_mask:0xf bank_mask:0xf bound_ctrl:1
	v_add_f32_e32 v13, v0, v9
	v_cvt_i32_f32_e32 v12, v6
	v_add_f32_e32 v0, v2, v7
	s_delay_alu instid0(VALU_DEP_4) | instskip(SKIP_1) | instid1(VALU_DEP_4)
	v_dual_add_f32 v2, v3, v8 :: v_dual_add_f32 v3, v4, v10
	v_cvt_i32_f32_e32 v9, v5
	v_cvt_f32_i32_dpp v12, v12 row_shr:2 row_mask:0xf bank_mask:0xf bound_ctrl:1
	s_delay_alu instid0(VALU_DEP_4) | instskip(NEXT) | instid1(VALU_DEP_4)
	v_cvt_i32_f32_e32 v4, v0
	v_cvt_i32_f32_e32 v7, v2
	;; [unrolled: 1-line block ×3, first 2 shown]
	v_cvt_f32_i32_dpp v9, v9 row_shr:1 row_mask:0xf bank_mask:0xf bound_ctrl:1
	v_add_f32_e32 v6, v6, v12
	v_cvt_f32_i32_dpp v4, v4 row_shr:1 row_mask:0xf bank_mask:0xf bound_ctrl:1
	v_cvt_f32_i32_dpp v7, v7 row_shr:1 row_mask:0xf bank_mask:0xf bound_ctrl:1
	;; [unrolled: 1-line block ×3, first 2 shown]
	ds_bpermute_b32 v14, v1, v13
	v_cvt_i32_f32_e32 v10, v6
	v_dual_add_f32 v7, v2, v7 :: v_dual_add_f32 v2, v5, v9
	s_delay_alu instid0(VALU_DEP_2)
	v_cvt_f32_i32_dpp v11, v10 row_shr:1 row_mask:0xf bank_mask:0xf bound_ctrl:1
	v_add_f32_e32 v10, v0, v4
	v_add_f32_e32 v4, v3, v8
	ds_bpermute_b32 v8, v1, v7
	ds_bpermute_b32 v3, v1, v2
	v_add_f32_e32 v0, v6, v11
	ds_bpermute_b32 v11, v1, v10
	ds_bpermute_b32 v5, v1, v4
	;; [unrolled: 1-line block ×3, first 2 shown]
	s_and_saveexec_b32 s14, s0
	s_cbranch_execz .LBB223_71
; %bb.33:                               ;   in Loop: Header=BB223_12 Depth=1
	v_dual_mov_b32 v17, 0 :: v_dual_mov_b32 v16, 0
	v_dual_mov_b32 v15, 0 :: v_dual_mov_b32 v12, 0
	;; [unrolled: 1-line block ×3, first 2 shown]
	s_and_not1_b32 vcc_lo, exec_lo, s29
	s_cbranch_vccnz .LBB223_35
; %bb.34:                               ;   in Loop: Header=BB223_12 Depth=1
	v_mul_hi_u32 v9, v42, v55
	v_mov_b32_e32 v22, v44
	s_delay_alu instid0(VALU_DEP_2) | instskip(NEXT) | instid1(VALU_DEP_1)
	v_mul_lo_u32 v9, v9, s4
	v_sub_nc_u32_e32 v9, v42, v9
	s_delay_alu instid0(VALU_DEP_1) | instskip(SKIP_1) | instid1(VALU_DEP_1)
	v_cmp_le_u32_e32 vcc_lo, s4, v9
	v_add_nc_u32_e32 v6, 1, v42
	v_mul_hi_u32 v12, v6, v55
	s_delay_alu instid0(VALU_DEP_1) | instskip(NEXT) | instid1(VALU_DEP_1)
	v_mul_lo_u32 v12, v12, s4
	v_sub_nc_u32_e32 v6, v6, v12
	v_subrev_nc_u32_e32 v12, s4, v9
	s_delay_alu instid0(VALU_DEP_2) | instskip(NEXT) | instid1(VALU_DEP_2)
	v_subrev_nc_u32_e32 v15, s4, v6
	v_cndmask_b32_e32 v9, v9, v12, vcc_lo
	v_cmp_le_u32_e32 vcc_lo, s4, v6
	s_delay_alu instid0(VALU_DEP_2) | instskip(NEXT) | instid1(VALU_DEP_4)
	v_subrev_nc_u32_e32 v12, s4, v9
	v_cndmask_b32_e32 v6, v6, v15, vcc_lo
	v_cmp_le_u32_e32 vcc_lo, s4, v9
	s_delay_alu instid0(VALU_DEP_3) | instskip(NEXT) | instid1(VALU_DEP_3)
	v_cndmask_b32_e32 v43, v9, v12, vcc_lo
	v_subrev_nc_u32_e32 v15, s4, v6
	v_cmp_le_u32_e32 vcc_lo, s4, v6
	v_mov_b32_e32 v16, v44
	s_delay_alu instid0(VALU_DEP_4) | instskip(SKIP_3) | instid1(VALU_DEP_2)
	v_dual_mov_b32 v18, v44 :: v_dual_add_nc_u32 v17, s30, v43
	v_lshlrev_b64 v[19:20], 1, v[43:44]
	v_cndmask_b32_e32 v15, v6, v15, vcc_lo
	v_add_nc_u32_e32 v43, s35, v43
	v_lshlrev_b64 v[23:24], 1, v[15:16]
	v_add_nc_u32_e32 v21, s30, v15
	v_lshlrev_b64 v[16:17], 1, v[17:18]
	v_add_co_u32 v18, vcc_lo, s10, v19
	v_add_co_ci_u32_e32 v19, vcc_lo, s11, v20, vcc_lo
	v_lshlrev_b64 v[25:26], 1, v[43:44]
	v_lshlrev_b64 v[20:21], 1, v[21:22]
	v_add_co_u32 v22, vcc_lo, s10, v23
	v_add_nc_u32_e32 v43, s35, v15
	v_add_co_ci_u32_e32 v23, vcc_lo, s11, v24, vcc_lo
	v_add_co_u32 v29, vcc_lo, s10, v16
	v_add_co_ci_u32_e32 v30, vcc_lo, s11, v17, vcc_lo
	s_delay_alu instid0(VALU_DEP_4)
	v_lshlrev_b64 v[27:28], 1, v[43:44]
	v_add_co_u32 v24, vcc_lo, s10, v25
	v_add_co_ci_u32_e32 v25, vcc_lo, s11, v26, vcc_lo
	v_add_co_u32 v20, vcc_lo, s10, v20
	v_add_co_ci_u32_e32 v21, vcc_lo, s11, v21, vcc_lo
	;; [unrolled: 2-line block ×3, first 2 shown]
	s_clause 0x5
	global_load_u16 v17, v[18:19], off
	global_load_u16 v16, v[22:23], off
	;; [unrolled: 1-line block ×6, first 2 shown]
.LBB223_35:                             ;   in Loop: Header=BB223_12 Depth=1
	v_cmp_ne_u32_e32 vcc_lo, 0, v40
	s_and_saveexec_b32 s2, vcc_lo
	s_cbranch_execnz .LBB223_41
; %bb.36:                               ;   in Loop: Header=BB223_12 Depth=1
	s_or_b32 exec_lo, exec_lo, s2
	v_cmp_ne_u32_e64 s1, 0, v41
	s_delay_alu instid0(VALU_DEP_1)
	s_and_saveexec_b32 s15, s1
	s_cbranch_execnz .LBB223_46
.LBB223_37:                             ;   in Loop: Header=BB223_12 Depth=1
	s_or_b32 exec_lo, exec_lo, s15
	v_add_nc_u32_e32 v43, s19, v42
	s_and_saveexec_b32 s15, vcc_lo
	s_cbranch_execnz .LBB223_51
.LBB223_38:                             ;   in Loop: Header=BB223_12 Depth=1
	s_or_b32 exec_lo, exec_lo, s15
	s_and_saveexec_b32 s15, s1
	s_cbranch_execnz .LBB223_56
.LBB223_39:                             ;   in Loop: Header=BB223_12 Depth=1
	s_or_b32 exec_lo, exec_lo, s15
	v_add_nc_u32_e32 v43, s19, v43
	s_and_saveexec_b32 s2, vcc_lo
	s_cbranch_execnz .LBB223_61
.LBB223_40:                             ;   in Loop: Header=BB223_12 Depth=1
	s_or_b32 exec_lo, exec_lo, s2
	s_delay_alu instid0(SALU_CYCLE_1)
	s_and_b32 exec_lo, exec_lo, s1
	s_cbranch_execnz .LBB223_66
	s_branch .LBB223_71
.LBB223_41:                             ;   in Loop: Header=BB223_12 Depth=1
	s_waitcnt vmcnt(5) lgkmcnt(5)
	v_dual_add_f32 v13, v13, v14 :: v_dual_lshlrev_b32 v14, 16, v17
	s_delay_alu instid0(VALU_DEP_1) | instskip(NEXT) | instid1(VALU_DEP_1)
	v_add_f32_e32 v14, v13, v14
	v_and_b32_e32 v13, 0x7f800000, v14
	s_delay_alu instid0(VALU_DEP_1) | instskip(NEXT) | instid1(VALU_DEP_1)
	v_cmp_ne_u32_e64 s1, 0x7f800000, v13
                                        ; implicit-def: $vgpr13
	s_and_saveexec_b32 s15, s1
	s_delay_alu instid0(SALU_CYCLE_1)
	s_xor_b32 s1, exec_lo, s15
; %bb.42:                               ;   in Loop: Header=BB223_12 Depth=1
	v_bfe_u32 v13, v14, 16, 1
	s_delay_alu instid0(VALU_DEP_1)
	v_add3_u32 v13, v14, v13, 0x7fff
                                        ; implicit-def: $vgpr14
; %bb.43:                               ;   in Loop: Header=BB223_12 Depth=1
	s_and_not1_saveexec_b32 s15, s1
; %bb.44:                               ;   in Loop: Header=BB223_12 Depth=1
	v_and_b32_e32 v13, 0xffff, v14
	v_or_b32_e32 v17, 0x10000, v14
	s_delay_alu instid0(VALU_DEP_2) | instskip(NEXT) | instid1(VALU_DEP_1)
	v_cmp_eq_u32_e64 s1, 0, v13
	v_cndmask_b32_e64 v13, v17, v14, s1
; %bb.45:                               ;   in Loop: Header=BB223_12 Depth=1
	s_or_b32 exec_lo, exec_lo, s15
	v_mov_b32_e32 v43, v44
	s_delay_alu instid0(VALU_DEP_1) | instskip(NEXT) | instid1(VALU_DEP_1)
	v_lshlrev_b64 v[17:18], 1, v[42:43]
	v_add_co_u32 v17, s1, s12, v17
	s_delay_alu instid0(VALU_DEP_1) | instskip(SKIP_3) | instid1(VALU_DEP_1)
	v_add_co_ci_u32_e64 v18, s1, s13, v18, s1
	global_store_d16_hi_b16 v[17:18], v13, off
	s_or_b32 exec_lo, exec_lo, s2
	v_cmp_ne_u32_e64 s1, 0, v41
	s_and_saveexec_b32 s15, s1
	s_cbranch_execz .LBB223_37
.LBB223_46:                             ;   in Loop: Header=BB223_12 Depth=1
	s_waitcnt vmcnt(4) lgkmcnt(2)
	v_dual_add_f32 v10, v10, v11 :: v_dual_lshlrev_b32 v11, 16, v16
	s_delay_alu instid0(VALU_DEP_1) | instskip(NEXT) | instid1(VALU_DEP_1)
	v_add_f32_e32 v11, v10, v11
	v_and_b32_e32 v10, 0x7f800000, v11
	s_delay_alu instid0(VALU_DEP_1) | instskip(NEXT) | instid1(VALU_DEP_1)
	v_cmp_ne_u32_e64 s2, 0x7f800000, v10
                                        ; implicit-def: $vgpr10
	s_and_saveexec_b32 s38, s2
	s_delay_alu instid0(SALU_CYCLE_1)
	s_xor_b32 s2, exec_lo, s38
; %bb.47:                               ;   in Loop: Header=BB223_12 Depth=1
	v_bfe_u32 v10, v11, 16, 1
	s_delay_alu instid0(VALU_DEP_1)
	v_add3_u32 v10, v11, v10, 0x7fff
                                        ; implicit-def: $vgpr11
; %bb.48:                               ;   in Loop: Header=BB223_12 Depth=1
	s_and_not1_saveexec_b32 s38, s2
; %bb.49:                               ;   in Loop: Header=BB223_12 Depth=1
	v_and_b32_e32 v10, 0xffff, v11
	v_or_b32_e32 v13, 0x10000, v11
	s_delay_alu instid0(VALU_DEP_2) | instskip(NEXT) | instid1(VALU_DEP_1)
	v_cmp_eq_u32_e64 s2, 0, v10
	v_cndmask_b32_e64 v10, v13, v11, s2
; %bb.50:                               ;   in Loop: Header=BB223_12 Depth=1
	s_or_b32 exec_lo, exec_lo, s38
	v_mov_b32_e32 v43, v44
	s_delay_alu instid0(VALU_DEP_1) | instskip(NEXT) | instid1(VALU_DEP_1)
	v_lshlrev_b64 v[13:14], 1, v[42:43]
	v_add_co_u32 v13, s2, s31, v13
	s_delay_alu instid0(VALU_DEP_1)
	v_add_co_ci_u32_e64 v14, s2, s33, v14, s2
	global_store_d16_hi_b16 v[13:14], v10, off
	s_or_b32 exec_lo, exec_lo, s15
	v_add_nc_u32_e32 v43, s19, v42
	s_and_saveexec_b32 s15, vcc_lo
	s_cbranch_execz .LBB223_38
.LBB223_51:                             ;   in Loop: Header=BB223_12 Depth=1
	s_waitcnt vmcnt(3) lgkmcnt(4)
	v_dual_add_f32 v7, v7, v8 :: v_dual_lshlrev_b32 v8, 16, v15
	s_delay_alu instid0(VALU_DEP_1) | instskip(NEXT) | instid1(VALU_DEP_1)
	v_add_f32_e32 v8, v7, v8
	v_and_b32_e32 v7, 0x7f800000, v8
	s_delay_alu instid0(VALU_DEP_1) | instskip(NEXT) | instid1(VALU_DEP_1)
	v_cmp_ne_u32_e64 s2, 0x7f800000, v7
                                        ; implicit-def: $vgpr7
	s_and_saveexec_b32 s38, s2
	s_delay_alu instid0(SALU_CYCLE_1)
	s_xor_b32 s2, exec_lo, s38
; %bb.52:                               ;   in Loop: Header=BB223_12 Depth=1
	v_bfe_u32 v7, v8, 16, 1
	s_delay_alu instid0(VALU_DEP_1)
	v_add3_u32 v7, v8, v7, 0x7fff
                                        ; implicit-def: $vgpr8
; %bb.53:                               ;   in Loop: Header=BB223_12 Depth=1
	s_and_not1_saveexec_b32 s38, s2
; %bb.54:                               ;   in Loop: Header=BB223_12 Depth=1
	v_and_b32_e32 v7, 0xffff, v8
	v_or_b32_e32 v10, 0x10000, v8
	s_delay_alu instid0(VALU_DEP_2) | instskip(NEXT) | instid1(VALU_DEP_1)
	v_cmp_eq_u32_e64 s2, 0, v7
	v_cndmask_b32_e64 v7, v10, v8, s2
; %bb.55:                               ;   in Loop: Header=BB223_12 Depth=1
	s_or_b32 exec_lo, exec_lo, s38
	s_waitcnt lgkmcnt(2)
	v_lshlrev_b64 v[10:11], 1, v[43:44]
	s_delay_alu instid0(VALU_DEP_1) | instskip(NEXT) | instid1(VALU_DEP_1)
	v_add_co_u32 v10, s2, s12, v10
	v_add_co_ci_u32_e64 v11, s2, s13, v11, s2
	global_store_d16_hi_b16 v[10:11], v7, off
	s_or_b32 exec_lo, exec_lo, s15
	s_and_saveexec_b32 s15, s1
	s_cbranch_execz .LBB223_39
.LBB223_56:                             ;   in Loop: Header=BB223_12 Depth=1
	s_waitcnt vmcnt(2) lgkmcnt(1)
	v_dual_add_f32 v4, v4, v5 :: v_dual_lshlrev_b32 v5, 16, v12
	s_delay_alu instid0(VALU_DEP_1) | instskip(NEXT) | instid1(VALU_DEP_1)
	v_add_f32_e32 v5, v4, v5
	v_and_b32_e32 v4, 0x7f800000, v5
	s_delay_alu instid0(VALU_DEP_1) | instskip(NEXT) | instid1(VALU_DEP_1)
	v_cmp_ne_u32_e64 s2, 0x7f800000, v4
                                        ; implicit-def: $vgpr4
	s_and_saveexec_b32 s38, s2
	s_delay_alu instid0(SALU_CYCLE_1)
	s_xor_b32 s2, exec_lo, s38
; %bb.57:                               ;   in Loop: Header=BB223_12 Depth=1
	v_bfe_u32 v4, v5, 16, 1
	s_delay_alu instid0(VALU_DEP_1)
	v_add3_u32 v4, v5, v4, 0x7fff
                                        ; implicit-def: $vgpr5
; %bb.58:                               ;   in Loop: Header=BB223_12 Depth=1
	s_and_not1_saveexec_b32 s38, s2
; %bb.59:                               ;   in Loop: Header=BB223_12 Depth=1
	v_and_b32_e32 v4, 0xffff, v5
	v_or_b32_e32 v7, 0x10000, v5
	s_delay_alu instid0(VALU_DEP_2) | instskip(NEXT) | instid1(VALU_DEP_1)
	v_cmp_eq_u32_e64 s2, 0, v4
	v_cndmask_b32_e64 v4, v7, v5, s2
; %bb.60:                               ;   in Loop: Header=BB223_12 Depth=1
	s_or_b32 exec_lo, exec_lo, s38
	v_dual_mov_b32 v8, v44 :: v_dual_add_nc_u32 v7, 1, v43
	s_delay_alu instid0(VALU_DEP_1) | instskip(NEXT) | instid1(VALU_DEP_1)
	v_lshlrev_b64 v[7:8], 1, v[7:8]
	v_add_co_u32 v7, s2, s12, v7
	s_delay_alu instid0(VALU_DEP_1)
	v_add_co_ci_u32_e64 v8, s2, s13, v8, s2
	global_store_d16_hi_b16 v[7:8], v4, off
	s_or_b32 exec_lo, exec_lo, s15
	v_add_nc_u32_e32 v43, s19, v43
	s_and_saveexec_b32 s2, vcc_lo
	s_cbranch_execz .LBB223_40
.LBB223_61:                             ;   in Loop: Header=BB223_12 Depth=1
	s_waitcnt vmcnt(1) lgkmcnt(3)
	v_dual_add_f32 v2, v2, v3 :: v_dual_lshlrev_b32 v3, 16, v9
	s_delay_alu instid0(VALU_DEP_1) | instskip(NEXT) | instid1(VALU_DEP_1)
	v_add_f32_e32 v3, v2, v3
	v_and_b32_e32 v2, 0x7f800000, v3
	s_delay_alu instid0(VALU_DEP_1) | instskip(SKIP_1) | instid1(SALU_CYCLE_1)
	v_cmp_ne_u32_e32 vcc_lo, 0x7f800000, v2
                                        ; implicit-def: $vgpr2
	s_and_saveexec_b32 s15, vcc_lo
	s_xor_b32 s15, exec_lo, s15
; %bb.62:                               ;   in Loop: Header=BB223_12 Depth=1
	v_bfe_u32 v2, v3, 16, 1
	s_delay_alu instid0(VALU_DEP_1)
	v_add3_u32 v2, v3, v2, 0x7fff
                                        ; implicit-def: $vgpr3
; %bb.63:                               ;   in Loop: Header=BB223_12 Depth=1
	s_and_not1_saveexec_b32 s15, s15
; %bb.64:                               ;   in Loop: Header=BB223_12 Depth=1
	v_and_b32_e32 v2, 0xffff, v3
	v_or_b32_e32 v4, 0x10000, v3
	s_delay_alu instid0(VALU_DEP_2) | instskip(NEXT) | instid1(VALU_DEP_2)
	v_cmp_eq_u32_e32 vcc_lo, 0, v2
	v_cndmask_b32_e32 v2, v4, v3, vcc_lo
; %bb.65:                               ;   in Loop: Header=BB223_12 Depth=1
	s_or_b32 exec_lo, exec_lo, s15
	v_lshlrev_b64 v[3:4], 1, v[43:44]
	s_delay_alu instid0(VALU_DEP_1) | instskip(NEXT) | instid1(VALU_DEP_2)
	v_add_co_u32 v3, vcc_lo, s12, v3
	v_add_co_ci_u32_e32 v4, vcc_lo, s13, v4, vcc_lo
	global_store_d16_hi_b16 v[3:4], v2, off
	s_or_b32 exec_lo, exec_lo, s2
	s_delay_alu instid0(SALU_CYCLE_1)
	s_and_b32 exec_lo, exec_lo, s1
	s_cbranch_execz .LBB223_71
.LBB223_66:                             ;   in Loop: Header=BB223_12 Depth=1
	s_waitcnt vmcnt(0) lgkmcnt(0)
	v_dual_add_f32 v0, v0, v1 :: v_dual_lshlrev_b32 v1, 16, v6
	s_delay_alu instid0(VALU_DEP_1) | instskip(NEXT) | instid1(VALU_DEP_1)
	v_add_f32_e32 v1, v0, v1
	v_and_b32_e32 v0, 0x7f800000, v1
	s_delay_alu instid0(VALU_DEP_1) | instskip(SKIP_1) | instid1(SALU_CYCLE_1)
	v_cmp_ne_u32_e32 vcc_lo, 0x7f800000, v0
                                        ; implicit-def: $vgpr0
	s_and_saveexec_b32 s1, vcc_lo
	s_xor_b32 s1, exec_lo, s1
; %bb.67:                               ;   in Loop: Header=BB223_12 Depth=1
	v_bfe_u32 v0, v1, 16, 1
	s_delay_alu instid0(VALU_DEP_1)
	v_add3_u32 v0, v1, v0, 0x7fff
                                        ; implicit-def: $vgpr1
; %bb.68:                               ;   in Loop: Header=BB223_12 Depth=1
	s_and_not1_saveexec_b32 s1, s1
; %bb.69:                               ;   in Loop: Header=BB223_12 Depth=1
	v_and_b32_e32 v0, 0xffff, v1
	v_or_b32_e32 v2, 0x10000, v1
	s_delay_alu instid0(VALU_DEP_2) | instskip(NEXT) | instid1(VALU_DEP_2)
	v_cmp_eq_u32_e32 vcc_lo, 0, v0
	v_cndmask_b32_e32 v0, v2, v1, vcc_lo
; %bb.70:                               ;   in Loop: Header=BB223_12 Depth=1
	s_or_b32 exec_lo, exec_lo, s1
	v_add_nc_u32_e32 v43, 1, v43
	s_delay_alu instid0(VALU_DEP_1) | instskip(NEXT) | instid1(VALU_DEP_1)
	v_lshlrev_b64 v[1:2], 1, v[43:44]
	v_add_co_u32 v1, vcc_lo, s12, v1
	s_delay_alu instid0(VALU_DEP_2)
	v_add_co_ci_u32_e32 v2, vcc_lo, s13, v2, vcc_lo
	global_store_d16_hi_b16 v[1:2], v0, off
.LBB223_71:                             ;   in Loop: Header=BB223_12 Depth=1
	s_or_b32 exec_lo, exec_lo, s14
	v_add_nc_u32_e32 v42, s28, v42
	s_delay_alu instid0(VALU_DEP_1) | instskip(SKIP_1) | instid1(VALU_DEP_2)
	v_add_nc_u32_e32 v0, 2, v42
	v_cmp_gt_u32_e32 vcc_lo, s19, v42
	v_cmp_le_u32_e64 s1, s19, v0
	s_delay_alu instid0(VALU_DEP_1) | instskip(NEXT) | instid1(SALU_CYCLE_1)
	s_and_b32 s1, vcc_lo, s1
	s_and_saveexec_b32 s38, s1
	s_cbranch_execz .LBB223_10
; %bb.72:                               ;   in Loop: Header=BB223_12 Depth=1
	s_mov_b32 s39, exec_lo
	v_cmpx_ne_u32_e64 s5, v42
	s_cbranch_execz .LBB223_9
; %bb.73:                               ;   in Loop: Header=BB223_12 Depth=1
	v_subrev_nc_u32_e32 v0, s5, v42
	s_mov_b32 s40, 0
	s_mov_b64 s[14:15], 0
	s_delay_alu instid0(VALU_DEP_1)
	v_cmp_lt_u32_e32 vcc_lo, 1, v0
	v_cndmask_b32_e32 v0, 1, v0, vcc_lo
.LBB223_74:                             ;   Parent Loop BB223_12 Depth=1
                                        ; =>  This Inner Loop Header: Depth=2
	s_cmp_lg_u32 s14, 1
	s_cselect_b32 vcc_lo, -1, 0
	s_cmp_lg_u32 s14, 0
	v_cndmask_b32_e32 v41, 0, v41, vcc_lo
	s_cselect_b32 s1, -1, 0
	s_add_u32 s14, s14, 1
	v_cndmask_b32_e64 v40, 0, v40, s1
	v_cmp_eq_u32_e64 s2, s14, v0
	s_addc_u32 s15, s15, 0
	s_delay_alu instid0(VALU_DEP_1) | instskip(NEXT) | instid1(SALU_CYCLE_1)
	s_or_b32 s40, s2, s40
	s_and_not1_b32 exec_lo, exec_lo, s40
	s_cbranch_execnz .LBB223_74
; %bb.75:                               ;   in Loop: Header=BB223_12 Depth=1
	s_or_b32 exec_lo, exec_lo, s40
	s_branch .LBB223_9
.LBB223_76:
	s_nop 0
	s_sendmsg sendmsg(MSG_DEALLOC_VGPRS)
	s_endpgm
	.section	.rodata,"a",@progbits
	.p2align	6, 0x0
	.amdhsa_kernel _Z16wvSplitK_hf_big_I14__hip_bfloat16Li32ELi2ELi16ELi8ELi2ELi3EEviiiiiiPKT_S3_S3_PS1_ii
		.amdhsa_group_segment_fixed_size 65536
		.amdhsa_private_segment_fixed_size 0
		.amdhsa_kernarg_size 64
		.amdhsa_user_sgpr_count 15
		.amdhsa_user_sgpr_dispatch_ptr 0
		.amdhsa_user_sgpr_queue_ptr 0
		.amdhsa_user_sgpr_kernarg_segment_ptr 1
		.amdhsa_user_sgpr_dispatch_id 0
		.amdhsa_user_sgpr_private_segment_size 0
		.amdhsa_wavefront_size32 1
		.amdhsa_uses_dynamic_stack 0
		.amdhsa_enable_private_segment 0
		.amdhsa_system_sgpr_workgroup_id_x 1
		.amdhsa_system_sgpr_workgroup_id_y 0
		.amdhsa_system_sgpr_workgroup_id_z 0
		.amdhsa_system_sgpr_workgroup_info 0
		.amdhsa_system_vgpr_workitem_id 1
		.amdhsa_next_free_vgpr 73
		.amdhsa_next_free_sgpr 41
		.amdhsa_reserve_vcc 1
		.amdhsa_float_round_mode_32 0
		.amdhsa_float_round_mode_16_64 0
		.amdhsa_float_denorm_mode_32 3
		.amdhsa_float_denorm_mode_16_64 3
		.amdhsa_dx10_clamp 1
		.amdhsa_ieee_mode 1
		.amdhsa_fp16_overflow 0
		.amdhsa_workgroup_processor_mode 1
		.amdhsa_memory_ordered 1
		.amdhsa_forward_progress 0
		.amdhsa_shared_vgpr_count 0
		.amdhsa_exception_fp_ieee_invalid_op 0
		.amdhsa_exception_fp_denorm_src 0
		.amdhsa_exception_fp_ieee_div_zero 0
		.amdhsa_exception_fp_ieee_overflow 0
		.amdhsa_exception_fp_ieee_underflow 0
		.amdhsa_exception_fp_ieee_inexact 0
		.amdhsa_exception_int_div_zero 0
	.end_amdhsa_kernel
	.section	.text._Z16wvSplitK_hf_big_I14__hip_bfloat16Li32ELi2ELi16ELi8ELi2ELi3EEviiiiiiPKT_S3_S3_PS1_ii,"axG",@progbits,_Z16wvSplitK_hf_big_I14__hip_bfloat16Li32ELi2ELi16ELi8ELi2ELi3EEviiiiiiPKT_S3_S3_PS1_ii,comdat
.Lfunc_end223:
	.size	_Z16wvSplitK_hf_big_I14__hip_bfloat16Li32ELi2ELi16ELi8ELi2ELi3EEviiiiiiPKT_S3_S3_PS1_ii, .Lfunc_end223-_Z16wvSplitK_hf_big_I14__hip_bfloat16Li32ELi2ELi16ELi8ELi2ELi3EEviiiiiiPKT_S3_S3_PS1_ii
                                        ; -- End function
	.section	.AMDGPU.csdata,"",@progbits
; Kernel info:
; codeLenInByte = 5256
; NumSgprs: 43
; NumVgprs: 73
; ScratchSize: 0
; MemoryBound: 0
; FloatMode: 240
; IeeeMode: 1
; LDSByteSize: 65536 bytes/workgroup (compile time only)
; SGPRBlocks: 5
; VGPRBlocks: 9
; NumSGPRsForWavesPerEU: 43
; NumVGPRsForWavesPerEU: 73
; Occupancy: 8
; WaveLimiterHint : 0
; COMPUTE_PGM_RSRC2:SCRATCH_EN: 0
; COMPUTE_PGM_RSRC2:USER_SGPR: 15
; COMPUTE_PGM_RSRC2:TRAP_HANDLER: 0
; COMPUTE_PGM_RSRC2:TGID_X_EN: 1
; COMPUTE_PGM_RSRC2:TGID_Y_EN: 0
; COMPUTE_PGM_RSRC2:TGID_Z_EN: 0
; COMPUTE_PGM_RSRC2:TIDIG_COMP_CNT: 1
	.section	.text._Z16wvSplitK_hf_sml_I14__hip_bfloat16Li32ELi3ELi16ELi8ELi2ELi3EEviiiiiiPKT_S3_S3_PS1_ii,"axG",@progbits,_Z16wvSplitK_hf_sml_I14__hip_bfloat16Li32ELi3ELi16ELi8ELi2ELi3EEviiiiiiPKT_S3_S3_PS1_ii,comdat
	.protected	_Z16wvSplitK_hf_sml_I14__hip_bfloat16Li32ELi3ELi16ELi8ELi2ELi3EEviiiiiiPKT_S3_S3_PS1_ii ; -- Begin function _Z16wvSplitK_hf_sml_I14__hip_bfloat16Li32ELi3ELi16ELi8ELi2ELi3EEviiiiiiPKT_S3_S3_PS1_ii
	.globl	_Z16wvSplitK_hf_sml_I14__hip_bfloat16Li32ELi3ELi16ELi8ELi2ELi3EEviiiiiiPKT_S3_S3_PS1_ii
	.p2align	8
	.type	_Z16wvSplitK_hf_sml_I14__hip_bfloat16Li32ELi3ELi16ELi8ELi2ELi3EEviiiiiiPKT_S3_S3_PS1_ii,@function
_Z16wvSplitK_hf_sml_I14__hip_bfloat16Li32ELi3ELi16ELi8ELi2ELi3EEviiiiiiPKT_S3_S3_PS1_ii: ; @_Z16wvSplitK_hf_sml_I14__hip_bfloat16Li32ELi3ELi16ELi8ELi2ELi3EEviiiiiiPKT_S3_S3_PS1_ii
; %bb.0:
	s_load_b128 s[4:7], s[0:1], 0x0
	v_and_b32_e32 v1, 0x3ff, v0
	v_bfe_u32 v0, v0, 10, 10
	s_mov_b32 s8, exec_lo
	s_delay_alu instid0(VALU_DEP_2) | instskip(NEXT) | instid1(VALU_DEP_1)
	v_lshlrev_b32_e32 v58, 3, v1
	v_lshl_add_u32 v3, v0, 8, v58
	s_waitcnt lgkmcnt(0)
	s_mul_i32 s2, s6, 3
	s_delay_alu instid0(SALU_CYCLE_1)
	s_min_u32 s9, s2, 0x8000
	s_delay_alu instid0(VALU_DEP_1) | instid1(SALU_CYCLE_1)
	v_cmpx_gt_u32_e64 s9, v3
	s_cbranch_execz .LBB224_9
; %bb.1:
	s_load_b64 s[2:3], s[0:1], 0x20
	v_lshlrev_b32_e32 v2, 1, v3
	v_add_nc_u32_e32 v8, 0x1000, v3
	s_mov_b32 s10, exec_lo
	s_waitcnt lgkmcnt(0)
	global_load_b128 v[4:7], v2, s[2:3]
	s_waitcnt vmcnt(0)
	ds_store_b128 v2, v[4:7]
	v_cmpx_gt_u32_e64 s9, v8
	s_xor_b32 s10, exec_lo, s10
	s_cbranch_execz .LBB224_9
; %bb.2:
	v_add_co_u32 v4, s2, s2, v2
	s_delay_alu instid0(VALU_DEP_1) | instskip(SKIP_1) | instid1(VALU_DEP_3)
	v_add_co_ci_u32_e64 v5, null, s3, 0, s2
	v_add_nc_u32_e32 v10, 0x2000, v3
	v_add_co_u32 v6, vcc_lo, 0x2000, v4
	s_delay_alu instid0(VALU_DEP_3)
	v_add_co_ci_u32_e32 v7, vcc_lo, 0, v5, vcc_lo
	s_mov_b32 s2, exec_lo
	global_load_b128 v[6:9], v[6:7], off
	s_waitcnt vmcnt(0)
	ds_store_b128 v2, v[6:9] offset:8192
	v_cmpx_gt_u32_e64 s9, v10
	s_xor_b32 s2, exec_lo, s2
	s_cbranch_execz .LBB224_9
; %bb.3:
	v_add_co_u32 v6, vcc_lo, 0x4000, v4
	v_add_co_ci_u32_e32 v7, vcc_lo, 0, v5, vcc_lo
	v_add_nc_u32_e32 v10, 0x3000, v3
	s_mov_b32 s2, exec_lo
	global_load_b128 v[6:9], v[6:7], off
	s_waitcnt vmcnt(0)
	ds_store_b128 v2, v[6:9] offset:16384
	v_cmpx_gt_u32_e64 s9, v10
	s_xor_b32 s2, exec_lo, s2
	s_cbranch_execz .LBB224_9
; %bb.4:
	v_add_co_u32 v6, vcc_lo, 0x6000, v4
	v_add_co_ci_u32_e32 v7, vcc_lo, 0, v5, vcc_lo
	v_add_nc_u32_e32 v10, 0x4000, v3
	;; [unrolled: 11-line block ×5, first 2 shown]
	s_mov_b32 s2, exec_lo
	global_load_b128 v[6:9], v[6:7], off
	s_waitcnt vmcnt(0)
	ds_store_b128 v2, v[6:9] offset:49152
	v_cmpx_gt_u32_e64 s9, v3
	s_xor_b32 s2, exec_lo, s2
	s_cbranch_execz .LBB224_9
; %bb.8:
	v_add_co_u32 v3, vcc_lo, 0xe000, v4
	v_add_co_ci_u32_e32 v4, vcc_lo, 0, v5, vcc_lo
	global_load_b128 v[3:6], v[3:4], off
	s_waitcnt vmcnt(0)
	ds_store_b128 v2, v[3:6] offset:57344
.LBB224_9:
	s_or_b32 exec_lo, exec_lo, s8
	s_load_b64 s[16:17], s[0:1], 0x38
	s_waitcnt lgkmcnt(0)
	s_barrier
	buffer_gl0_inv
	s_mov_b32 s2, exec_lo
	v_cmpx_gt_u32_e64 s16, v0
	s_cbranch_execz .LBB224_60
; %bb.10:
	s_load_b64 s[2:3], s[0:1], 0x10
	v_mad_u64_u32 v[2:3], null, s15, s16, v[0:1]
	s_delay_alu instid0(VALU_DEP_1) | instskip(NEXT) | instid1(VALU_DEP_1)
	v_lshl_add_u32 v40, v2, 1, v2
	v_cmp_gt_u32_e32 vcc_lo, s7, v40
	s_and_b32 exec_lo, exec_lo, vcc_lo
	s_cbranch_execz .LBB224_60
; %bb.11:
	s_clause 0x1
	s_load_b128 s[8:11], s[0:1], 0x28
	s_load_b64 s[12:13], s[0:1], 0x18
	s_cmp_lg_u32 s4, 0
	s_waitcnt lgkmcnt(0)
	v_cvt_f32_u32_e32 v2, s2
	s_cselect_b32 s1, -1, 0
	s_add_i32 s14, s4, -8
	s_add_i32 s15, s7, -1
	s_mul_i32 s16, s16, s17
	v_rcp_iflag_f32_e32 v2, v2
	v_mbcnt_lo_u32_b32 v3, -1, 0
	v_cmp_eq_u32_e64 s0, 31, v1
	v_mov_b32_e32 v42, 0
	s_mul_i32 s16, s16, 3
	s_waitcnt_depctr 0xfff
	v_dual_mul_f32 v2, 0x4f7ffffe, v2 :: v_dual_lshlrev_b32 v59, 4, v1
	s_cmp_lg_u64 s[8:9], 0
	s_cselect_b32 s18, -1, 0
	s_abs_i32 s19, s3
	s_sub_i32 s21, 0, s2
	v_cvt_f32_u32_e32 v0, s19
	s_sub_i32 s20, 0, s19
	s_sub_i32 s22, 1, s19
	s_mov_b32 s3, 0
	s_delay_alu instid0(VALU_DEP_1) | instskip(SKIP_2) | instid1(VALU_DEP_1)
	v_rcp_iflag_f32_e32 v0, v0
	s_waitcnt_depctr 0xfff
	v_mul_f32_e32 v0, 0x4f7ffffe, v0
	v_cvt_u32_f32_e32 v0, v0
	s_delay_alu instid0(VALU_DEP_1) | instskip(SKIP_2) | instid1(VALU_DEP_3)
	v_readfirstlane_b32 s17, v0
	v_cvt_u32_f32_e32 v0, v2
	v_xor_b32_e32 v2, 16, v3
	s_mul_i32 s20, s20, s17
	s_delay_alu instid0(VALU_DEP_2) | instskip(SKIP_1) | instid1(VALU_DEP_2)
	v_mul_lo_u32 v1, s21, v0
	s_mul_hi_u32 s20, s17, s20
	v_cmp_gt_i32_e32 vcc_lo, 32, v2
	s_add_i32 s17, s17, s20
	s_cmp_lt_u32 s19, 2
	s_cselect_b32 s20, s22, 1
	v_cndmask_b32_e32 v2, v3, v2, vcc_lo
	s_sub_i32 s21, s20, s19
	s_cmp_ge_u32 s20, s19
	v_mul_hi_u32 v1, v0, v1
	s_cselect_b32 s20, s21, s20
	s_lshr_b32 s17, s17, 31
	v_lshlrev_b32_e32 v60, 2, v2
	s_mul_i32 s17, s17, s19
	s_delay_alu instid0(SALU_CYCLE_1) | instskip(NEXT) | instid1(SALU_CYCLE_1)
	s_sub_i32 s17, 2, s17
	s_sub_i32 s21, s17, s19
	s_cmp_ge_u32 s17, s19
	v_add_nc_u32_e32 v61, v0, v1
	s_cselect_b32 s21, s21, s17
	s_mul_i32 s17, s20, s2
	s_sub_i32 s22, s21, s19
	s_cmp_ge_u32 s21, s19
	s_cselect_b32 s20, s22, s21
	s_lshl_b32 s19, s6, 2
	s_mul_i32 s20, s20, s2
	s_lshl_b32 s6, s6, 1
	s_branch .LBB224_14
.LBB224_12:                             ;   in Loop: Header=BB224_14 Depth=1
	s_or_b32 exec_lo, exec_lo, s22
	v_add_nc_u32_e32 v41, 2, v41
	s_delay_alu instid0(VALU_DEP_1) | instskip(NEXT) | instid1(VALU_DEP_1)
	v_lshlrev_b64 v[1:2], 1, v[41:42]
	v_add_co_u32 v1, vcc_lo, s10, v1
	s_delay_alu instid0(VALU_DEP_2)
	v_add_co_ci_u32_e32 v2, vcc_lo, s11, v2, vcc_lo
	global_store_d16_hi_b16 v[1:2], v0, off
.LBB224_13:                             ;   in Loop: Header=BB224_14 Depth=1
	s_or_b32 exec_lo, exec_lo, s21
	v_add_nc_u32_e32 v40, s16, v40
	s_delay_alu instid0(VALU_DEP_1) | instskip(SKIP_1) | instid1(SALU_CYCLE_1)
	v_cmp_le_u32_e32 vcc_lo, s7, v40
	s_or_b32 s3, vcc_lo, s3
	s_and_not1_b32 exec_lo, exec_lo, s3
	s_cbranch_execz .LBB224_60
.LBB224_14:                             ; =>This Loop Header: Depth=1
                                        ;     Child Loop BB224_18 Depth 2
	v_dual_mov_b32 v64, v42 :: v_dual_add_nc_u32 v43, 2, v40
	v_mov_b32_e32 v63, v42
	v_mov_b32_e32 v65, v42
	;; [unrolled: 1-line block ×8, first 2 shown]
	s_and_not1_b32 vcc_lo, exec_lo, s1
	s_cbranch_vccnz .LBB224_21
; %bb.15:                               ;   in Loop: Header=BB224_14 Depth=1
	s_waitcnt lgkmcnt(7)
	v_dual_mov_b32 v1, v42 :: v_dual_add_nc_u32 v0, 1, v40
	v_min_u32_e32 v2, s15, v40
	v_min_u32_e32 v4, s15, v43
	s_waitcnt lgkmcnt(0)
	v_dual_mov_b32 v3, v42 :: v_dual_mov_b32 v62, v59
	v_min_u32_e32 v0, s15, v0
	v_mul_lo_u32 v41, v2, s5
	v_mul_lo_u32 v2, v4, s5
	v_dual_mov_b32 v71, 0 :: v_dual_mov_b32 v70, 0
	s_delay_alu instid0(VALU_DEP_4)
	v_mul_lo_u32 v0, v0, s5
	v_dual_mov_b32 v69, 0 :: v_dual_mov_b32 v68, 0
	v_dual_mov_b32 v67, 0 :: v_dual_mov_b32 v66, 0
	v_lshlrev_b64 v[44:45], 1, v[41:42]
	v_lshlrev_b64 v[46:47], 1, v[2:3]
	v_dual_mov_b32 v65, 0 :: v_dual_mov_b32 v64, 0
	v_lshlrev_b64 v[48:49], 1, v[0:1]
	v_mov_b32_e32 v63, 0
	s_mov_b32 s21, 0
	s_branch .LBB224_18
.LBB224_16:                             ;   in Loop: Header=BB224_18 Depth=2
	s_or_b32 exec_lo, exec_lo, s23
.LBB224_17:                             ;   in Loop: Header=BB224_18 Depth=2
	s_delay_alu instid0(SALU_CYCLE_1)
	s_or_b32 exec_lo, exec_lo, s22
	s_waitcnt lgkmcnt(1)
	v_and_b32_e32 v73, 0xffff0000, v37
	s_waitcnt vmcnt(4)
	v_and_b32_e32 v82, 0xffff0000, v29
	v_lshlrev_b32_e32 v37, 16, v37
	v_and_b32_e32 v78, 0xffff0000, v34
	v_lshlrev_b32_e32 v29, 16, v29
	s_waitcnt vmcnt(3)
	v_dual_mul_f32 v84, v73, v82 :: v_dual_and_b32 v85, 0xffff0000, v21
	v_and_b32_e32 v77, 0xffff0000, v38
	v_and_b32_e32 v72, 0xffff0000, v32
	v_lshlrev_b32_e32 v38, 16, v38
	v_add_nc_u32_e32 v62, 0x400, v62
	s_addk_i32 s21, 0x200
	v_dual_mul_f32 v79, v77, v78 :: v_dual_and_b32 v74, 0xffff0000, v33
	v_and_b32_e32 v41, 0xffff0000, v36
	v_lshlrev_b32_e32 v36, 16, v36
	s_cmp_ge_u32 s21, s4
	v_fmac_f32_e32 v84, v37, v29
	v_mul_f32_e32 v76, v73, v74
	v_dual_mul_f32 v75, v41, v72 :: v_dual_lshlrev_b32 v34, 16, v34
	s_delay_alu instid0(VALU_DEP_1) | instskip(NEXT) | instid1(VALU_DEP_1)
	v_dual_fmac_f32 v79, v38, v34 :: v_dual_lshlrev_b32 v32, 16, v32
	v_fmac_f32_e32 v75, v36, v32
	s_delay_alu instid0(VALU_DEP_1) | instskip(SKIP_1) | instid1(VALU_DEP_1)
	v_add_f32_e32 v71, v71, v75
	v_and_b32_e32 v75, 0xffff0000, v28
	v_dual_mul_f32 v81, v41, v75 :: v_dual_lshlrev_b32 v28, 16, v28
	s_delay_alu instid0(VALU_DEP_1) | instskip(NEXT) | instid1(VALU_DEP_1)
	v_dual_fmac_f32 v81, v36, v28 :: v_dual_and_b32 v80, 0xffff0000, v35
	v_add_f32_e32 v69, v69, v81
	s_delay_alu instid0(VALU_DEP_1) | instskip(SKIP_2) | instid1(VALU_DEP_1)
	v_dual_add_f32 v69, v69, v84 :: v_dual_and_b32 v84, 0xffff0000, v31
	v_lshlrev_b32_e32 v31, 16, v31
	v_lshlrev_b32_e32 v33, 16, v33
	v_fmac_f32_e32 v76, v37, v33
	s_delay_alu instid0(VALU_DEP_1) | instskip(NEXT) | instid1(VALU_DEP_1)
	v_add_f32_e32 v71, v71, v76
	v_add_f32_e32 v71, v71, v79
	v_and_b32_e32 v79, 0xffff0000, v30
	s_delay_alu instid0(VALU_DEP_1) | instskip(NEXT) | instid1(VALU_DEP_1)
	v_dual_mul_f32 v81, v77, v79 :: v_dual_lshlrev_b32 v30, 16, v30
	v_dual_fmac_f32 v81, v38, v30 :: v_dual_and_b32 v76, 0xffff0000, v39
	s_delay_alu instid0(VALU_DEP_1)
	v_mul_f32_e32 v83, v76, v80
	v_dual_mul_f32 v86, v76, v84 :: v_dual_lshlrev_b32 v39, 16, v39
	v_lshlrev_b32_e32 v21, 16, v21
	v_lshlrev_b32_e32 v35, 16, v35
	v_add_f32_e32 v69, v69, v81
	v_and_b32_e32 v81, 0xffff0000, v25
	s_delay_alu instid0(VALU_DEP_3) | instskip(NEXT) | instid1(VALU_DEP_1)
	v_fmac_f32_e32 v83, v39, v35
	v_add_f32_e32 v71, v71, v83
	v_and_b32_e32 v83, 0xffff0000, v20
	s_delay_alu instid0(VALU_DEP_1) | instskip(NEXT) | instid1(VALU_DEP_1)
	v_dual_mul_f32 v41, v41, v83 :: v_dual_lshlrev_b32 v20, 16, v20
	v_dual_fmac_f32 v41, v36, v20 :: v_dual_mul_f32 v36, v73, v85
	v_fmac_f32_e32 v86, v39, v31
	s_delay_alu instid0(VALU_DEP_2) | instskip(NEXT) | instid1(VALU_DEP_2)
	v_fmac_f32_e32 v36, v37, v21
	v_add_f32_e32 v69, v69, v86
	v_and_b32_e32 v86, 0xffff0000, v26
	v_dual_add_f32 v41, v70, v41 :: v_dual_lshlrev_b32 v26, 16, v26
	v_and_b32_e32 v70, 0xffff0000, v24
	v_lshlrev_b32_e32 v24, 16, v24
	s_delay_alu instid0(VALU_DEP_3) | instskip(SKIP_3) | instid1(VALU_DEP_3)
	v_dual_add_f32 v36, v41, v36 :: v_dual_lshlrev_b32 v25, 16, v25
	v_and_b32_e32 v41, 0xffff0000, v23
	v_and_b32_e32 v73, 0xffff0000, v22
	v_lshlrev_b32_e32 v22, 16, v22
	v_dual_mul_f32 v76, v76, v41 :: v_dual_lshlrev_b32 v23, 16, v23
	s_delay_alu instid0(VALU_DEP_1) | instskip(NEXT) | instid1(VALU_DEP_1)
	v_dual_mul_f32 v37, v77, v73 :: v_dual_fmac_f32 v76, v39, v23
	v_fmac_f32_e32 v37, v38, v22
	s_delay_alu instid0(VALU_DEP_1) | instskip(NEXT) | instid1(VALU_DEP_1)
	v_dual_mul_f32 v77, v70, v72 :: v_dual_add_f32 v36, v36, v37
	v_dual_mul_f32 v37, v70, v75 :: v_dual_add_f32 v36, v36, v76
	s_delay_alu instid0(VALU_DEP_2) | instskip(SKIP_1) | instid1(VALU_DEP_2)
	v_dual_fmac_f32 v77, v24, v32 :: v_dual_mul_f32 v38, v81, v74
	v_mul_f32_e32 v70, v70, v83
	v_add_f32_e32 v68, v68, v77
	s_delay_alu instid0(VALU_DEP_2) | instskip(NEXT) | instid1(VALU_DEP_4)
	v_fmac_f32_e32 v70, v24, v20
	v_dual_fmac_f32 v38, v25, v33 :: v_dual_and_b32 v39, 0xffff0000, v27
	v_mul_f32_e32 v77, v86, v78
	s_delay_alu instid0(VALU_DEP_3) | instskip(NEXT) | instid1(VALU_DEP_3)
	v_add_f32_e32 v66, v66, v70
	v_add_f32_e32 v38, v68, v38
	v_dual_fmac_f32 v37, v24, v28 :: v_dual_mul_f32 v68, v81, v82
	s_delay_alu instid0(VALU_DEP_1) | instskip(NEXT) | instid1(VALU_DEP_2)
	v_add_f32_e32 v37, v67, v37
	v_dual_fmac_f32 v68, v25, v29 :: v_dual_mul_f32 v67, v86, v79
	s_delay_alu instid0(VALU_DEP_1) | instskip(NEXT) | instid1(VALU_DEP_2)
	v_add_f32_e32 v37, v37, v68
	v_dual_mul_f32 v68, v39, v84 :: v_dual_fmac_f32 v67, v26, v30
	s_delay_alu instid0(VALU_DEP_1) | instskip(SKIP_3) | instid1(VALU_DEP_3)
	v_add_f32_e32 v37, v37, v67
	v_and_b32_e32 v67, 0xffff0000, v56
	v_lshlrev_b32_e32 v27, 16, v27
	v_lshlrev_b32_e32 v56, 16, v56
	v_dual_mul_f32 v70, v67, v72 :: v_dual_fmac_f32 v77, v26, v34
	s_delay_alu instid0(VALU_DEP_3) | instskip(NEXT) | instid1(VALU_DEP_2)
	v_fmac_f32_e32 v68, v27, v31
	v_fmac_f32_e32 v70, v56, v32
	s_delay_alu instid0(VALU_DEP_3) | instskip(NEXT) | instid1(VALU_DEP_1)
	v_dual_add_f32 v38, v38, v77 :: v_dual_mul_f32 v77, v39, v80
	v_dual_fmac_f32 v77, v27, v35 :: v_dual_lshlrev_b32 v32, 16, v57
	s_delay_alu instid0(VALU_DEP_1) | instskip(SKIP_1) | instid1(VALU_DEP_1)
	v_add_f32_e32 v24, v38, v77
	v_mul_f32_e32 v38, v81, v85
	v_fmac_f32_e32 v38, v25, v21
	v_mul_f32_e32 v25, v86, v73
	s_delay_alu instid0(VALU_DEP_2) | instskip(NEXT) | instid1(VALU_DEP_2)
	v_add_f32_e32 v38, v66, v38
	v_dual_fmac_f32 v25, v26, v22 :: v_dual_and_b32 v66, 0xffff0000, v57
	s_delay_alu instid0(VALU_DEP_1) | instskip(NEXT) | instid1(VALU_DEP_1)
	v_dual_mul_f32 v26, v39, v41 :: v_dual_mul_f32 v39, v66, v74
	v_dual_add_f32 v25, v38, v25 :: v_dual_fmac_f32 v26, v27, v23
	v_add_f32_e32 v27, v65, v70
	s_waitcnt lgkmcnt(0)
	s_delay_alu instid0(VALU_DEP_3) | instskip(NEXT) | instid1(VALU_DEP_1)
	v_dual_fmac_f32 v39, v32, v33 :: v_dual_and_b32 v38, 0xffff0000, v54
	v_dual_add_f32 v25, v25, v26 :: v_dual_add_f32 v26, v27, v39
	v_mul_f32_e32 v39, v67, v83
	v_mul_f32_e32 v27, v66, v82
	s_delay_alu instid0(VALU_DEP_2) | instskip(SKIP_1) | instid1(VALU_DEP_3)
	v_dual_fmac_f32 v39, v56, v20 :: v_dual_mul_f32 v20, v66, v85
	v_lshlrev_b32_e32 v33, 16, v54
	v_dual_mul_f32 v54, v38, v78 :: v_dual_fmac_f32 v27, v32, v29
	s_delay_alu instid0(VALU_DEP_3) | instskip(SKIP_2) | instid1(VALU_DEP_3)
	v_dual_mul_f32 v29, v38, v79 :: v_dual_fmac_f32 v20, v32, v21
	s_waitcnt vmcnt(2)
	v_and_b32_e32 v32, 0xffff0000, v12
	v_fmac_f32_e32 v54, v33, v34
	v_lshlrev_b32_e32 v34, 16, v55
	v_lshlrev_b32_e32 v12, 16, v12
	s_delay_alu instid0(VALU_DEP_3)
	v_add_f32_e32 v26, v26, v54
	v_dual_fmac_f32 v29, v33, v30 :: v_dual_add_f32 v30, v63, v39
	v_mul_f32_e32 v57, v67, v75
	s_waitcnt vmcnt(1)
	v_and_b32_e32 v39, 0xffff0000, v9
	v_lshlrev_b32_e32 v9, 16, v9
	v_and_b32_e32 v54, 0xffff0000, v10
	v_add_f32_e32 v20, v30, v20
	v_dual_fmac_f32 v57, v56, v28 :: v_dual_and_b32 v28, 0xffff0000, v55
	v_and_b32_e32 v30, 0xffff0000, v16
	v_lshlrev_b32_e32 v16, 16, v16
	s_delay_alu instid0(VALU_DEP_3) | instskip(NEXT) | instid1(VALU_DEP_4)
	v_dual_add_f32 v55, v64, v57 :: v_dual_lshlrev_b32 v10, 16, v10
	v_mul_f32_e32 v57, v28, v80
	s_delay_alu instid0(VALU_DEP_2) | instskip(NEXT) | instid1(VALU_DEP_2)
	v_add_f32_e32 v27, v55, v27
	v_fmac_f32_e32 v57, v34, v35
	s_waitcnt vmcnt(0)
	v_and_b32_e32 v55, 0xffff0000, v4
	v_lshlrev_b32_e32 v4, 16, v4
	s_delay_alu instid0(VALU_DEP_3) | instskip(SKIP_2) | instid1(VALU_DEP_1)
	v_add_f32_e32 v26, v26, v57
	v_add_f32_e32 v21, v27, v29
	v_mul_f32_e32 v29, v28, v84
	v_dual_mul_f32 v28, v28, v41 :: v_dual_fmac_f32 v29, v34, v31
	s_delay_alu instid0(VALU_DEP_1)
	v_fmac_f32_e32 v28, v34, v23
	v_mul_f32_e32 v27, v38, v73
	v_and_b32_e32 v23, 0xffff0000, v18
	v_and_b32_e32 v34, 0xffff0000, v14
	v_lshlrev_b32_e32 v18, 16, v18
	v_lshlrev_b32_e32 v14, 16, v14
	v_fmac_f32_e32 v27, v33, v22
	v_add_f32_e32 v37, v37, v68
	v_mul_f32_e32 v22, v30, v32
	s_delay_alu instid0(VALU_DEP_3) | instskip(NEXT) | instid1(VALU_DEP_2)
	v_add_f32_e32 v20, v20, v27
	v_fmac_f32_e32 v22, v16, v12
	s_delay_alu instid0(VALU_DEP_2) | instskip(SKIP_4) | instid1(VALU_DEP_4)
	v_add_f32_e32 v20, v20, v28
	v_and_b32_e32 v28, 0xffff0000, v8
	v_and_b32_e32 v27, 0xffff0000, v17
	v_lshlrev_b32_e32 v8, 16, v8
	v_add_f32_e32 v22, v71, v22
	v_mul_f32_e32 v38, v30, v28
	v_dual_mul_f32 v30, v30, v55 :: v_dual_mul_f32 v35, v23, v34
	v_lshlrev_b32_e32 v17, 16, v17
	v_dual_add_f32 v21, v21, v29 :: v_dual_mul_f32 v56, v23, v54
	s_delay_alu instid0(VALU_DEP_3) | instskip(SKIP_2) | instid1(VALU_DEP_4)
	v_dual_fmac_f32 v38, v16, v8 :: v_dual_fmac_f32 v35, v18, v14
	v_and_b32_e32 v31, 0xffff0000, v13
	v_lshlrev_b32_e32 v13, 16, v13
	v_dual_fmac_f32 v56, v18, v10 :: v_dual_and_b32 v29, 0xffff0000, v19
	s_delay_alu instid0(VALU_DEP_3) | instskip(SKIP_1) | instid1(VALU_DEP_1)
	v_dual_add_f32 v38, v69, v38 :: v_dual_mul_f32 v33, v27, v31
	v_dual_fmac_f32 v30, v16, v4 :: v_dual_lshlrev_b32 v19, 16, v19
	v_dual_fmac_f32 v33, v17, v13 :: v_dual_add_f32 v30, v36, v30
	s_delay_alu instid0(VALU_DEP_1) | instskip(NEXT) | instid1(VALU_DEP_1)
	v_add_f32_e32 v22, v22, v33
	v_add_f32_e32 v22, v22, v35
	v_mul_f32_e32 v35, v27, v39
	s_delay_alu instid0(VALU_DEP_1) | instskip(NEXT) | instid1(VALU_DEP_1)
	v_fmac_f32_e32 v35, v17, v9
	v_dual_add_f32 v35, v38, v35 :: v_dual_and_b32 v38, 0xffff0000, v5
	v_and_b32_e32 v33, 0xffff0000, v15
	v_lshlrev_b32_e32 v5, 16, v5
	s_delay_alu instid0(VALU_DEP_3) | instskip(SKIP_1) | instid1(VALU_DEP_4)
	v_dual_mul_f32 v16, v27, v38 :: v_dual_lshlrev_b32 v15, 16, v15
	v_and_b32_e32 v27, 0xffff0000, v6
	v_dual_mul_f32 v41, v29, v33 :: v_dual_lshlrev_b32 v6, 16, v6
	s_delay_alu instid0(VALU_DEP_2) | instskip(SKIP_2) | instid1(VALU_DEP_4)
	v_dual_fmac_f32 v16, v17, v5 :: v_dual_mul_f32 v17, v23, v27
	v_add_f32_e32 v23, v35, v56
	v_and_b32_e32 v35, 0xffff0000, v0
	v_dual_fmac_f32 v41, v19, v15 :: v_dual_lshlrev_b32 v0, 16, v0
	s_delay_alu instid0(VALU_DEP_4) | instskip(SKIP_1) | instid1(VALU_DEP_4)
	v_fmac_f32_e32 v17, v18, v6
	v_add_f32_e32 v16, v30, v16
	v_mul_f32_e32 v18, v35, v32
	s_delay_alu instid0(VALU_DEP_2) | instskip(NEXT) | instid1(VALU_DEP_2)
	v_add_f32_e32 v16, v16, v17
	v_dual_fmac_f32 v18, v0, v12 :: v_dual_and_b32 v57, 0xffff0000, v11
	s_delay_alu instid0(VALU_DEP_1) | instskip(SKIP_3) | instid1(VALU_DEP_3)
	v_dual_add_f32 v18, v24, v18 :: v_dual_mul_f32 v63, v29, v57
	v_and_b32_e32 v24, 0xffff0000, v2
	v_lshlrev_b32_e32 v11, 16, v11
	v_lshlrev_b32_e32 v2, 16, v2
	v_mul_f32_e32 v36, v24, v34
	s_delay_alu instid0(VALU_DEP_1) | instskip(SKIP_1) | instid1(VALU_DEP_1)
	v_fmac_f32_e32 v36, v2, v14
	v_mul_f32_e32 v30, v35, v28
	v_dual_fmac_f32 v30, v0, v8 :: v_dual_add_f32 v71, v22, v41
	v_and_b32_e32 v22, 0xffff0000, v1
	s_delay_alu instid0(VALU_DEP_2) | instskip(NEXT) | instid1(VALU_DEP_2)
	v_dual_add_f32 v30, v37, v30 :: v_dual_lshlrev_b32 v1, 16, v1
	v_mul_f32_e32 v17, v22, v31
	v_mul_f32_e32 v41, v22, v39
	;; [unrolled: 1-line block ×4, first 2 shown]
	s_delay_alu instid0(VALU_DEP_4) | instskip(NEXT) | instid1(VALU_DEP_1)
	v_dual_mul_f32 v24, v24, v27 :: v_dual_fmac_f32 v17, v1, v13
	v_dual_fmac_f32 v41, v1, v9 :: v_dual_fmac_f32 v24, v2, v6
	s_delay_alu instid0(VALU_DEP_2) | instskip(SKIP_2) | instid1(VALU_DEP_3)
	v_dual_add_f32 v17, v18, v17 :: v_dual_and_b32 v18, 0xffff0000, v3
	v_fmac_f32_e32 v63, v19, v11
	v_lshlrev_b32_e32 v3, 16, v3
	v_dual_add_f32 v17, v17, v36 :: v_dual_mul_f32 v56, v18, v33
	s_delay_alu instid0(VALU_DEP_3) | instskip(NEXT) | instid1(VALU_DEP_2)
	v_add_f32_e32 v69, v23, v63
	v_fmac_f32_e32 v56, v3, v15
	v_and_b32_e32 v23, 0xffff0000, v7
	s_delay_alu instid0(VALU_DEP_2) | instskip(NEXT) | instid1(VALU_DEP_2)
	v_dual_add_f32 v68, v17, v56 :: v_dual_lshlrev_b32 v7, 16, v7
	v_mul_f32_e32 v29, v29, v23
	s_delay_alu instid0(VALU_DEP_1) | instskip(SKIP_2) | instid1(VALU_DEP_3)
	v_fmac_f32_e32 v29, v19, v7
	v_dual_add_f32 v19, v30, v41 :: v_dual_mul_f32 v30, v35, v55
	v_fmac_f32_e32 v22, v1, v5
	v_add_f32_e32 v70, v16, v29
	v_and_b32_e32 v16, 0xffff0000, v52
	s_delay_alu instid0(VALU_DEP_4) | instskip(SKIP_1) | instid1(VALU_DEP_2)
	v_dual_fmac_f32 v30, v0, v4 :: v_dual_fmac_f32 v37, v2, v10
	v_mul_f32_e32 v2, v18, v23
	v_dual_add_f32 v25, v25, v30 :: v_dual_lshlrev_b32 v0, 16, v52
	s_delay_alu instid0(VALU_DEP_2) | instskip(NEXT) | instid1(VALU_DEP_4)
	v_fmac_f32_e32 v2, v3, v7
	v_add_f32_e32 v17, v19, v37
	v_dual_mul_f32 v19, v16, v32 :: v_dual_and_b32 v32, 0xffff0000, v53
	s_delay_alu instid0(VALU_DEP_4) | instskip(SKIP_1) | instid1(VALU_DEP_3)
	v_add_f32_e32 v22, v25, v22
	v_and_b32_e32 v1, 0xffff0000, v50
	v_dual_fmac_f32 v19, v0, v12 :: v_dual_lshlrev_b32 v12, 16, v53
	s_delay_alu instid0(VALU_DEP_4) | instskip(NEXT) | instid1(VALU_DEP_2)
	v_mul_f32_e32 v30, v32, v31
	v_dual_add_f32 v19, v26, v19 :: v_dual_mul_f32 v26, v1, v34
	s_delay_alu instid0(VALU_DEP_2) | instskip(SKIP_2) | instid1(VALU_DEP_3)
	v_fmac_f32_e32 v30, v12, v13
	v_mul_f32_e32 v29, v18, v57
	v_lshlrev_b32_e32 v13, 16, v50
	v_add_f32_e32 v18, v19, v30
	s_delay_alu instid0(VALU_DEP_3) | instskip(SKIP_4) | instid1(VALU_DEP_4)
	v_fmac_f32_e32 v29, v3, v11
	v_mul_f32_e32 v3, v16, v28
	v_mul_f32_e32 v16, v16, v55
	v_fmac_f32_e32 v26, v13, v14
	v_add_f32_e32 v14, v22, v24
	v_dual_fmac_f32 v3, v0, v8 :: v_dual_lshlrev_b32 v22, 16, v51
	v_mul_f32_e32 v8, v32, v39
	v_dual_fmac_f32 v16, v0, v4 :: v_dual_and_b32 v19, 0xffff0000, v51
	v_mul_f32_e32 v0, v32, v38
	v_mul_f32_e32 v4, v1, v54
	s_delay_alu instid0(VALU_DEP_4) | instskip(NEXT) | instid1(VALU_DEP_4)
	v_fmac_f32_e32 v8, v12, v9
	v_dual_mul_f32 v24, v19, v33 :: v_dual_add_f32 v9, v20, v16
	s_delay_alu instid0(VALU_DEP_4) | instskip(SKIP_1) | instid1(VALU_DEP_2)
	v_dual_add_f32 v3, v21, v3 :: v_dual_fmac_f32 v0, v12, v5
	v_dual_mul_f32 v1, v1, v27 :: v_dual_add_f32 v66, v14, v2
	v_dual_fmac_f32 v4, v13, v10 :: v_dual_add_f32 v3, v3, v8
	s_delay_alu instid0(VALU_DEP_3) | instskip(NEXT) | instid1(VALU_DEP_3)
	v_dual_mul_f32 v5, v19, v57 :: v_dual_add_f32 v0, v9, v0
	v_dual_fmac_f32 v1, v13, v6 :: v_dual_mul_f32 v6, v19, v23
	v_add_f32_e32 v18, v18, v26
	s_delay_alu instid0(VALU_DEP_4) | instskip(NEXT) | instid1(VALU_DEP_3)
	v_dual_fmac_f32 v24, v22, v15 :: v_dual_add_f32 v3, v3, v4
	v_dual_fmac_f32 v5, v22, v11 :: v_dual_add_f32 v0, v0, v1
	s_delay_alu instid0(VALU_DEP_4) | instskip(NEXT) | instid1(VALU_DEP_2)
	v_dual_fmac_f32 v6, v22, v7 :: v_dual_add_f32 v67, v17, v29
	v_dual_add_f32 v65, v18, v24 :: v_dual_add_f32 v64, v3, v5
	s_delay_alu instid0(VALU_DEP_2)
	v_add_f32_e32 v63, v0, v6
	s_cbranch_scc1 .LBB224_21
.LBB224_18:                             ;   Parent Loop BB224_14 Depth=1
                                        ; =>  This Inner Loop Header: Depth=2
	v_dual_mov_b32 v51, 0 :: v_dual_add_nc_u32 v18, s21, v58
	v_mov_b32_e32 v50, 0
	v_mov_b32_e32 v52, 0
	v_dual_mov_b32 v54, 0 :: v_dual_mov_b32 v27, 0
	s_delay_alu instid0(VALU_DEP_4) | instskip(SKIP_2) | instid1(VALU_DEP_3)
	v_min_u32_e32 v41, s14, v18
	v_dual_mov_b32 v53, 0 :: v_dual_add_nc_u32 v72, 0x100, v18
	v_dual_mov_b32 v56, 0 :: v_dual_mov_b32 v25, 0
	v_lshlrev_b64 v[0:1], 1, v[41:42]
	s_delay_alu instid0(VALU_DEP_3) | instskip(SKIP_2) | instid1(VALU_DEP_4)
	v_min_u32_e32 v41, s14, v72
	v_dual_mov_b32 v26, 0 :: v_dual_mov_b32 v39, 0
	v_dual_mov_b32 v24, 0 :: v_dual_mov_b32 v37, 0
	v_add_co_u32 v6, vcc_lo, s12, v0
	v_add_co_ci_u32_e32 v7, vcc_lo, s13, v1, vcc_lo
	v_lshlrev_b64 v[0:1], 1, v[41:42]
	s_delay_alu instid0(VALU_DEP_3) | instskip(NEXT) | instid1(VALU_DEP_3)
	v_add_co_u32 v2, vcc_lo, v6, v44
	v_add_co_ci_u32_e32 v3, vcc_lo, v7, v45, vcc_lo
	v_add_co_u32 v4, vcc_lo, v6, v48
	v_add_co_ci_u32_e32 v5, vcc_lo, v7, v49, vcc_lo
	;; [unrolled: 2-line block ×4, first 2 shown]
	s_delay_alu instid0(VALU_DEP_4) | instskip(NEXT) | instid1(VALU_DEP_4)
	v_add_co_u32 v6, vcc_lo, v10, v44
	v_add_co_ci_u32_e32 v7, vcc_lo, v11, v45, vcc_lo
	v_add_co_u32 v8, vcc_lo, v10, v48
	v_add_co_ci_u32_e32 v9, vcc_lo, v11, v49, vcc_lo
	;; [unrolled: 2-line block ×3, first 2 shown]
	s_clause 0x5
	global_load_b128 v[32:35], v[2:3], off slc dlc
	global_load_b128 v[28:31], v[4:5], off slc dlc
	;; [unrolled: 1-line block ×6, first 2 shown]
	v_cmp_gt_u32_e32 vcc_lo, s4, v18
	v_dual_mov_b32 v3, 0 :: v_dual_mov_b32 v2, 0
	v_mov_b32_e32 v19, 0
	v_dual_mov_b32 v1, 0 :: v_dual_mov_b32 v0, 0
	v_dual_mov_b32 v17, 0 :: v_dual_mov_b32 v18, 0
	v_dual_mov_b32 v55, 0 :: v_dual_mov_b32 v16, 0
	v_dual_mov_b32 v57, 0 :: v_dual_mov_b32 v38, 0
	v_mov_b32_e32 v36, 0
	s_and_saveexec_b32 s22, vcc_lo
	s_cbranch_execz .LBB224_17
; %bb.19:                               ;   in Loop: Header=BB224_18 Depth=2
	v_dual_mov_b32 v16, 0 :: v_dual_add_nc_u32 v73, s6, v62
	v_dual_mov_b32 v18, 0 :: v_dual_add_nc_u32 v41, s19, v62
	v_dual_mov_b32 v17, 0 :: v_dual_mov_b32 v0, 0
	ds_load_b128 v[24:27], v73
	ds_load_2addr_b32 v[56:57], v41 offset1:1
	ds_load_b128 v[36:39], v62
	ds_load_2addr_b32 v[54:55], v41 offset0:2 offset1:3
	v_dual_mov_b32 v19, 0 :: v_dual_mov_b32 v2, 0
	v_dual_mov_b32 v1, 0 :: v_dual_mov_b32 v52, 0
	;; [unrolled: 1-line block ×3, first 2 shown]
	v_mov_b32_e32 v53, 0
	v_mov_b32_e32 v51, 0
	s_mov_b32 s23, exec_lo
	v_cmpx_gt_u32_e64 s4, v72
	s_cbranch_execz .LBB224_16
; %bb.20:                               ;   in Loop: Header=BB224_18 Depth=2
	ds_load_b128 v[0:3], v73 offset:512
	ds_load_2addr_b32 v[52:53], v41 offset0:128 offset1:129
	ds_load_b128 v[16:19], v62 offset:512
	ds_load_2addr_b32 v[50:51], v41 offset0:130 offset1:131
	s_branch .LBB224_16
.LBB224_21:                             ;   in Loop: Header=BB224_14 Depth=1
	; sched_barrier mask(0x00000000)
	v_cvt_i32_f32_e32 v2, v70
	s_waitcnt lgkmcnt(0)
	v_cvt_i32_f32_e32 v3, v68
	v_cvt_i32_f32_e32 v0, v71
	;; [unrolled: 1-line block ×4, first 2 shown]
	v_cvt_f32_i32_dpp v2, v2 row_shr:8 row_mask:0xf bank_mask:0xf bound_ctrl:1
	v_cvt_f32_i32_dpp v3, v3 row_shr:8 row_mask:0xf bank_mask:0xf bound_ctrl:1
	;; [unrolled: 1-line block ×4, first 2 shown]
	v_cvt_i32_f32_e32 v9, v66
	s_delay_alu instid0(VALU_DEP_4) | instskip(NEXT) | instid1(VALU_DEP_3)
	v_dual_add_f32 v2, v70, v2 :: v_dual_add_f32 v3, v68, v3
	v_dual_add_f32 v0, v71, v0 :: v_dual_add_f32 v1, v69, v1
	v_cvt_i32_f32_e32 v14, v63
	s_delay_alu instid0(VALU_DEP_3) | instskip(NEXT) | instid1(VALU_DEP_4)
	v_cvt_i32_f32_e32 v6, v2
	v_cvt_i32_f32_e32 v7, v3
	s_delay_alu instid0(VALU_DEP_4)
	v_cvt_i32_f32_e32 v4, v0
	v_cvt_i32_f32_e32 v5, v1
	v_cvt_f32_i32_dpp v9, v9 row_shr:8 row_mask:0xf bank_mask:0xf bound_ctrl:1
	v_cvt_f32_i32_dpp v6, v6 row_shr:4 row_mask:0xf bank_mask:0xf bound_ctrl:1
	;; [unrolled: 1-line block ×5, first 2 shown]
	v_cvt_i32_f32_e32 v12, v64
	s_delay_alu instid0(VALU_DEP_4) | instskip(NEXT) | instid1(VALU_DEP_3)
	v_dual_add_f32 v2, v2, v6 :: v_dual_add_f32 v3, v3, v7
	v_dual_add_f32 v0, v0, v4 :: v_dual_add_f32 v1, v1, v5
	v_cvt_i32_f32_e32 v4, v65
	s_delay_alu instid0(VALU_DEP_3) | instskip(NEXT) | instid1(VALU_DEP_4)
	v_cvt_i32_f32_e32 v7, v2
	v_cvt_i32_f32_e32 v10, v3
	s_delay_alu instid0(VALU_DEP_4)
	v_cvt_i32_f32_e32 v5, v0
	v_cvt_i32_f32_e32 v6, v1
	v_cvt_f32_i32_dpp v4, v4 row_shr:8 row_mask:0xf bank_mask:0xf bound_ctrl:1
	v_cvt_f32_i32_dpp v7, v7 row_shr:2 row_mask:0xf bank_mask:0xf bound_ctrl:1
	;; [unrolled: 1-line block ×5, first 2 shown]
	v_add_f32_e32 v4, v65, v4
	s_delay_alu instid0(VALU_DEP_4) | instskip(NEXT) | instid1(VALU_DEP_3)
	v_dual_add_f32 v2, v2, v7 :: v_dual_add_f32 v3, v3, v10
	v_dual_add_f32 v0, v0, v5 :: v_dual_add_f32 v1, v1, v6
	v_cvt_f32_i32_dpp v5, v8 row_shr:8 row_mask:0xf bank_mask:0xf bound_ctrl:1
	s_delay_alu instid0(VALU_DEP_3) | instskip(NEXT) | instid1(VALU_DEP_4)
	v_cvt_i32_f32_e32 v8, v2
	v_cvt_i32_f32_e32 v10, v3
	s_delay_alu instid0(VALU_DEP_4)
	v_cvt_i32_f32_e32 v6, v0
	v_cvt_i32_f32_e32 v7, v1
	v_add_f32_e32 v5, v67, v5
	v_cvt_f32_i32_dpp v8, v8 row_shr:1 row_mask:0xf bank_mask:0xf bound_ctrl:1
	v_cvt_f32_i32_dpp v10, v10 row_shr:1 row_mask:0xf bank_mask:0xf bound_ctrl:1
	;; [unrolled: 1-line block ×4, first 2 shown]
	s_delay_alu instid0(VALU_DEP_3) | instskip(SKIP_1) | instid1(VALU_DEP_3)
	v_dual_add_f32 v16, v2, v8 :: v_dual_add_f32 v11, v3, v10
	v_cvt_f32_i32_dpp v3, v14 row_shr:8 row_mask:0xf bank_mask:0xf bound_ctrl:1
	v_dual_add_f32 v19, v0, v6 :: v_dual_add_f32 v0, v1, v7
	v_add_f32_e32 v6, v66, v9
	v_cvt_f32_i32_dpp v2, v12 row_shr:8 row_mask:0xf bank_mask:0xf bound_ctrl:1
	s_delay_alu instid0(VALU_DEP_4)
	v_add_f32_e32 v3, v63, v3
	v_cvt_i32_f32_e32 v7, v5
	v_cvt_i32_f32_e32 v9, v4
	;; [unrolled: 1-line block ×3, first 2 shown]
	ds_bpermute_b32 v21, v60, v19
	v_cvt_i32_f32_e32 v12, v3
	v_cvt_f32_i32_dpp v7, v7 row_shr:4 row_mask:0xf bank_mask:0xf bound_ctrl:1
	v_add_f32_e32 v2, v64, v2
	v_cvt_f32_i32_dpp v9, v9 row_shr:4 row_mask:0xf bank_mask:0xf bound_ctrl:1
	v_cvt_f32_i32_dpp v8, v8 row_shr:4 row_mask:0xf bank_mask:0xf bound_ctrl:1
	;; [unrolled: 1-line block ×3, first 2 shown]
	v_add_f32_e32 v5, v5, v7
	v_cvt_i32_f32_e32 v10, v2
	v_add_f32_e32 v4, v4, v9
	ds_bpermute_b32 v1, v60, v0
	v_add_f32_e32 v3, v3, v12
	v_cvt_i32_f32_e32 v7, v5
	v_cvt_f32_i32_dpp v10, v10 row_shr:4 row_mask:0xf bank_mask:0xf bound_ctrl:1
	v_cvt_i32_f32_e32 v9, v4
	ds_bpermute_b32 v17, v60, v16
	v_cvt_i32_f32_e32 v12, v3
	v_cvt_f32_i32_dpp v7, v7 row_shr:2 row_mask:0xf bank_mask:0xf bound_ctrl:1
	v_add_f32_e32 v6, v6, v8
	v_cvt_f32_i32_dpp v9, v9 row_shr:2 row_mask:0xf bank_mask:0xf bound_ctrl:1
	ds_bpermute_b32 v13, v60, v11
	v_cvt_f32_i32_dpp v12, v12 row_shr:2 row_mask:0xf bank_mask:0xf bound_ctrl:1
	v_dual_add_f32 v5, v5, v7 :: v_dual_add_f32 v2, v2, v10
	v_cvt_i32_f32_e32 v8, v6
	s_delay_alu instid0(VALU_DEP_3) | instskip(NEXT) | instid1(VALU_DEP_3)
	v_dual_add_f32 v4, v4, v9 :: v_dual_add_f32 v3, v3, v12
	v_cvt_i32_f32_e32 v7, v5
	s_delay_alu instid0(VALU_DEP_4) | instskip(NEXT) | instid1(VALU_DEP_4)
	v_cvt_i32_f32_e32 v10, v2
	v_cvt_f32_i32_dpp v8, v8 row_shr:2 row_mask:0xf bank_mask:0xf bound_ctrl:1
	s_delay_alu instid0(VALU_DEP_4)
	v_cvt_i32_f32_e32 v9, v4
	v_cvt_i32_f32_e32 v12, v3
	v_cvt_f32_i32_dpp v7, v7 row_shr:1 row_mask:0xf bank_mask:0xf bound_ctrl:1
	v_cvt_f32_i32_dpp v10, v10 row_shr:2 row_mask:0xf bank_mask:0xf bound_ctrl:1
	v_add_f32_e32 v6, v6, v8
	v_cvt_f32_i32_dpp v9, v9 row_shr:1 row_mask:0xf bank_mask:0xf bound_ctrl:1
	v_cvt_f32_i32_dpp v14, v12 row_shr:1 row_mask:0xf bank_mask:0xf bound_ctrl:1
	v_add_f32_e32 v12, v5, v7
	v_add_f32_e32 v2, v2, v10
	v_cvt_i32_f32_e32 v8, v6
	s_delay_alu instid0(VALU_DEP_2) | instskip(NEXT) | instid1(VALU_DEP_2)
	v_cvt_i32_f32_e32 v10, v2
	v_cvt_f32_i32_dpp v8, v8 row_shr:1 row_mask:0xf bank_mask:0xf bound_ctrl:1
	s_delay_alu instid0(VALU_DEP_2) | instskip(NEXT) | instid1(VALU_DEP_2)
	v_cvt_f32_i32_dpp v10, v10 row_shr:1 row_mask:0xf bank_mask:0xf bound_ctrl:1
	v_add_f32_e32 v8, v6, v8
	v_add_f32_e32 v6, v4, v9
	s_delay_alu instid0(VALU_DEP_3)
	v_add_f32_e32 v4, v2, v10
	v_add_f32_e32 v2, v3, v14
	ds_bpermute_b32 v14, v60, v12
	ds_bpermute_b32 v9, v60, v8
	;; [unrolled: 1-line block ×5, first 2 shown]
	s_and_saveexec_b32 s21, s0
	s_cbranch_execz .LBB224_13
; %bb.22:                               ;   in Loop: Header=BB224_14 Depth=1
	v_dual_mov_b32 v26, 0 :: v_dual_mov_b32 v25, 0
	v_dual_mov_b32 v24, 0 :: v_dual_mov_b32 v23, 0
	;; [unrolled: 1-line block ×3, first 2 shown]
	v_mov_b32_e32 v20, 0
	v_mov_b32_e32 v18, 0
	;; [unrolled: 1-line block ×3, first 2 shown]
	s_and_not1_b32 vcc_lo, exec_lo, s18
	s_cbranch_vccnz .LBB224_24
; %bb.23:                               ;   in Loop: Header=BB224_14 Depth=1
	v_dual_mov_b32 v23, v42 :: v_dual_add_nc_u32 v10, 1, v40
	v_mul_hi_u32 v15, v40, v61
	v_mul_hi_u32 v18, v43, v61
	v_mov_b32_e32 v27, v42
	s_delay_alu instid0(VALU_DEP_4) | instskip(NEXT) | instid1(VALU_DEP_4)
	v_mul_hi_u32 v20, v10, v61
	v_mul_lo_u32 v15, v15, s2
	s_delay_alu instid0(VALU_DEP_4) | instskip(NEXT) | instid1(VALU_DEP_3)
	v_mul_lo_u32 v18, v18, s2
	v_mul_lo_u32 v20, v20, s2
	s_delay_alu instid0(VALU_DEP_3) | instskip(NEXT) | instid1(VALU_DEP_3)
	v_sub_nc_u32_e32 v15, v40, v15
	v_sub_nc_u32_e32 v18, v43, v18
	s_delay_alu instid0(VALU_DEP_3) | instskip(NEXT) | instid1(VALU_DEP_3)
	v_sub_nc_u32_e32 v10, v10, v20
	v_subrev_nc_u32_e32 v20, s2, v15
	v_cmp_le_u32_e32 vcc_lo, s2, v15
	s_delay_alu instid0(VALU_DEP_4) | instskip(NEXT) | instid1(VALU_DEP_4)
	v_subrev_nc_u32_e32 v22, s2, v18
	v_subrev_nc_u32_e32 v24, s2, v10
	s_delay_alu instid0(VALU_DEP_4) | instskip(SKIP_1) | instid1(VALU_DEP_4)
	v_cndmask_b32_e32 v15, v15, v20, vcc_lo
	v_cmp_le_u32_e32 vcc_lo, s2, v18
	v_cndmask_b32_e32 v18, v18, v22, vcc_lo
	v_cmp_le_u32_e32 vcc_lo, s2, v10
	s_delay_alu instid0(VALU_DEP_4) | instskip(NEXT) | instid1(VALU_DEP_3)
	v_subrev_nc_u32_e32 v20, s2, v15
	v_subrev_nc_u32_e32 v22, s2, v18
	v_cndmask_b32_e32 v10, v10, v24, vcc_lo
	v_cmp_le_u32_e32 vcc_lo, s2, v15
	v_mov_b32_e32 v28, v42
	s_delay_alu instid0(VALU_DEP_3) | instskip(SKIP_3) | instid1(VALU_DEP_3)
	v_subrev_nc_u32_e32 v26, s2, v10
	v_cndmask_b32_e32 v41, v15, v20, vcc_lo
	v_cmp_le_u32_e32 vcc_lo, s2, v18
	v_mov_b32_e32 v25, v42
	v_lshlrev_b64 v[31:32], 1, v[41:42]
	v_cndmask_b32_e32 v24, v18, v22, vcc_lo
	v_cmp_le_u32_e32 vcc_lo, s2, v10
	v_cndmask_b32_e32 v22, v10, v26, vcc_lo
	v_add_nc_u32_e32 v26, s17, v41
	v_add_nc_u32_e32 v41, s20, v41
	v_lshlrev_b64 v[33:34], 1, v[24:25]
	v_add_co_u32 v31, vcc_lo, s8, v31
	v_lshlrev_b64 v[35:36], 1, v[22:23]
	v_add_co_ci_u32_e32 v32, vcc_lo, s9, v32, vcc_lo
	v_lshlrev_b64 v[25:26], 1, v[26:27]
	v_add_co_u32 v33, vcc_lo, s8, v33
	v_add_nc_u32_e32 v27, s17, v22
	v_add_co_ci_u32_e32 v34, vcc_lo, s9, v34, vcc_lo
	v_dual_mov_b32 v30, v42 :: v_dual_add_nc_u32 v29, s17, v24
	v_add_co_u32 v35, vcc_lo, s8, v35
	v_add_co_ci_u32_e32 v36, vcc_lo, s9, v36, vcc_lo
	v_lshlrev_b64 v[27:28], 1, v[27:28]
	v_add_co_u32 v37, vcc_lo, s8, v25
	v_add_co_ci_u32_e32 v38, vcc_lo, s9, v26, vcc_lo
	v_lshlrev_b64 v[25:26], 1, v[29:30]
	v_lshlrev_b64 v[29:30], 1, v[41:42]
	v_add_nc_u32_e32 v41, s20, v22
	v_add_co_u32 v27, vcc_lo, s8, v27
	v_add_co_ci_u32_e32 v28, vcc_lo, s9, v28, vcc_lo
	s_delay_alu instid0(VALU_DEP_3) | instskip(SKIP_4) | instid1(VALU_DEP_4)
	v_lshlrev_b64 v[22:23], 1, v[41:42]
	v_add_nc_u32_e32 v41, s20, v24
	v_add_co_u32 v44, vcc_lo, s8, v25
	v_add_co_ci_u32_e32 v45, vcc_lo, s9, v26, vcc_lo
	v_add_co_u32 v29, vcc_lo, s8, v29
	v_lshlrev_b64 v[24:25], 1, v[41:42]
	v_add_co_ci_u32_e32 v30, vcc_lo, s9, v30, vcc_lo
	v_add_co_u32 v46, vcc_lo, s8, v22
	v_add_co_ci_u32_e32 v47, vcc_lo, s9, v23, vcc_lo
	s_delay_alu instid0(VALU_DEP_4)
	v_add_co_u32 v48, vcc_lo, s8, v24
	v_add_co_ci_u32_e32 v49, vcc_lo, s9, v25, vcc_lo
	s_clause 0x8
	global_load_u16 v26, v[31:32], off
	global_load_u16 v25, v[35:36], off
	global_load_u16 v24, v[33:34], off
	global_load_u16 v23, v[37:38], off
	global_load_u16 v22, v[27:28], off
	global_load_u16 v20, v[44:45], off
	global_load_u16 v18, v[29:30], off
	global_load_u16 v15, v[46:47], off
	global_load_u16 v10, v[48:49], off
.LBB224_24:                             ;   in Loop: Header=BB224_14 Depth=1
	s_waitcnt lgkmcnt(8)
	v_add_f32_e32 v19, v19, v21
	s_waitcnt vmcnt(8)
	v_lshlrev_b32_e32 v21, 16, v26
	s_delay_alu instid0(VALU_DEP_1) | instskip(NEXT) | instid1(VALU_DEP_1)
	v_add_f32_e32 v21, v19, v21
	v_and_b32_e32 v19, 0x7f800000, v21
	s_delay_alu instid0(VALU_DEP_1) | instskip(SKIP_1) | instid1(SALU_CYCLE_1)
	v_cmp_ne_u32_e32 vcc_lo, 0x7f800000, v19
                                        ; implicit-def: $vgpr19
	s_and_saveexec_b32 s22, vcc_lo
	s_xor_b32 s22, exec_lo, s22
; %bb.25:                               ;   in Loop: Header=BB224_14 Depth=1
	v_bfe_u32 v19, v21, 16, 1
	s_delay_alu instid0(VALU_DEP_1)
	v_add3_u32 v19, v21, v19, 0x7fff
                                        ; implicit-def: $vgpr21
; %bb.26:                               ;   in Loop: Header=BB224_14 Depth=1
	s_and_not1_saveexec_b32 s22, s22
; %bb.27:                               ;   in Loop: Header=BB224_14 Depth=1
	v_and_b32_e32 v19, 0xffff, v21
	v_or_b32_e32 v26, 0x10000, v21
	s_delay_alu instid0(VALU_DEP_2) | instskip(NEXT) | instid1(VALU_DEP_2)
	v_cmp_eq_u32_e32 vcc_lo, 0, v19
	v_cndmask_b32_e32 v19, v26, v21, vcc_lo
; %bb.28:                               ;   in Loop: Header=BB224_14 Depth=1
	s_or_b32 exec_lo, exec_lo, s22
	s_waitcnt lgkmcnt(7)
	v_dual_add_f32 v0, v0, v1 :: v_dual_mov_b32 v41, v42
	s_waitcnt vmcnt(7)
	v_lshlrev_b32_e32 v1, 16, v25
	s_mov_b32 s22, exec_lo
	s_delay_alu instid0(VALU_DEP_1) | instskip(SKIP_1) | instid1(VALU_DEP_2)
	v_add_f32_e32 v21, v0, v1
	v_lshlrev_b64 v[0:1], 1, v[40:41]
	v_and_b32_e32 v25, 0x7f800000, v21
	s_delay_alu instid0(VALU_DEP_2) | instskip(NEXT) | instid1(VALU_DEP_3)
	v_add_co_u32 v0, vcc_lo, s10, v0
	v_add_co_ci_u32_e32 v1, vcc_lo, s11, v1, vcc_lo
	global_store_d16_hi_b16 v[0:1], v19, off
                                        ; implicit-def: $vgpr19
	v_cmpx_ne_u32_e32 0x7f800000, v25
	s_xor_b32 s22, exec_lo, s22
; %bb.29:                               ;   in Loop: Header=BB224_14 Depth=1
	v_bfe_u32 v19, v21, 16, 1
	s_delay_alu instid0(VALU_DEP_1)
	v_add3_u32 v19, v21, v19, 0x7fff
                                        ; implicit-def: $vgpr21
; %bb.30:                               ;   in Loop: Header=BB224_14 Depth=1
	s_and_not1_saveexec_b32 s22, s22
; %bb.31:                               ;   in Loop: Header=BB224_14 Depth=1
	v_and_b32_e32 v19, 0xffff, v21
	v_or_b32_e32 v25, 0x10000, v21
	s_delay_alu instid0(VALU_DEP_2) | instskip(NEXT) | instid1(VALU_DEP_2)
	v_cmp_eq_u32_e32 vcc_lo, 0, v19
	v_cndmask_b32_e32 v19, v25, v21, vcc_lo
; %bb.32:                               ;   in Loop: Header=BB224_14 Depth=1
	s_or_b32 exec_lo, exec_lo, s22
	s_waitcnt vmcnt(6) lgkmcnt(6)
	v_dual_add_f32 v16, v16, v17 :: v_dual_lshlrev_b32 v17, 16, v24
	s_mov_b32 s22, exec_lo
	global_store_d16_hi_b16 v[0:1], v19, off offset:2
                                        ; implicit-def: $vgpr0
	v_add_f32_e32 v16, v16, v17
	s_delay_alu instid0(VALU_DEP_1) | instskip(NEXT) | instid1(VALU_DEP_1)
	v_and_b32_e32 v17, 0x7f800000, v16
	v_cmpx_ne_u32_e32 0x7f800000, v17
	s_xor_b32 s22, exec_lo, s22
; %bb.33:                               ;   in Loop: Header=BB224_14 Depth=1
	v_bfe_u32 v0, v16, 16, 1
	s_delay_alu instid0(VALU_DEP_1)
	v_add3_u32 v0, v16, v0, 0x7fff
                                        ; implicit-def: $vgpr16
; %bb.34:                               ;   in Loop: Header=BB224_14 Depth=1
	s_and_not1_saveexec_b32 s22, s22
; %bb.35:                               ;   in Loop: Header=BB224_14 Depth=1
	v_and_b32_e32 v0, 0xffff, v16
	v_or_b32_e32 v1, 0x10000, v16
	s_delay_alu instid0(VALU_DEP_2) | instskip(NEXT) | instid1(VALU_DEP_2)
	v_cmp_eq_u32_e32 vcc_lo, 0, v0
	v_cndmask_b32_e32 v0, v1, v16, vcc_lo
; %bb.36:                               ;   in Loop: Header=BB224_14 Depth=1
	s_or_b32 exec_lo, exec_lo, s22
	s_waitcnt lgkmcnt(5)
	v_dual_add_f32 v1, v11, v13 :: v_dual_mov_b32 v44, v42
	s_waitcnt vmcnt(5)
	v_lshlrev_b32_e32 v11, 16, v23
	s_mov_b32 s22, exec_lo
	s_delay_alu instid0(VALU_DEP_2) | instskip(NEXT) | instid1(VALU_DEP_2)
	v_lshlrev_b64 v[16:17], 1, v[43:44]
	v_add_f32_e32 v1, v1, v11
	s_delay_alu instid0(VALU_DEP_1) | instskip(NEXT) | instid1(VALU_DEP_3)
	v_and_b32_e32 v11, 0x7f800000, v1
	v_add_co_u32 v16, vcc_lo, s10, v16
	s_delay_alu instid0(VALU_DEP_4)
	v_add_co_ci_u32_e32 v17, vcc_lo, s11, v17, vcc_lo
	global_store_d16_hi_b16 v[16:17], v0, off
                                        ; implicit-def: $vgpr0
	v_cmpx_ne_u32_e32 0x7f800000, v11
	s_xor_b32 s22, exec_lo, s22
; %bb.37:                               ;   in Loop: Header=BB224_14 Depth=1
	v_bfe_u32 v0, v1, 16, 1
	s_delay_alu instid0(VALU_DEP_1)
	v_add3_u32 v0, v1, v0, 0x7fff
                                        ; implicit-def: $vgpr1
; %bb.38:                               ;   in Loop: Header=BB224_14 Depth=1
	s_and_not1_saveexec_b32 s22, s22
; %bb.39:                               ;   in Loop: Header=BB224_14 Depth=1
	v_and_b32_e32 v0, 0xffff, v1
	v_or_b32_e32 v11, 0x10000, v1
	s_delay_alu instid0(VALU_DEP_2) | instskip(NEXT) | instid1(VALU_DEP_2)
	v_cmp_eq_u32_e32 vcc_lo, 0, v0
	v_cndmask_b32_e32 v0, v11, v1, vcc_lo
; %bb.40:                               ;   in Loop: Header=BB224_14 Depth=1
	s_or_b32 exec_lo, exec_lo, s22
	s_waitcnt lgkmcnt(4)
	v_add_f32_e32 v1, v12, v14
	s_waitcnt vmcnt(4)
	v_lshlrev_b32_e32 v11, 16, v22
	v_add_nc_u32_e32 v41, s7, v40
	s_mov_b32 s22, exec_lo
	s_delay_alu instid0(VALU_DEP_2) | instskip(NEXT) | instid1(VALU_DEP_2)
	v_add_f32_e32 v1, v1, v11
	v_lshlrev_b64 v[11:12], 1, v[41:42]
	s_delay_alu instid0(VALU_DEP_2) | instskip(NEXT) | instid1(VALU_DEP_2)
	v_and_b32_e32 v13, 0x7f800000, v1
	v_add_co_u32 v11, vcc_lo, s10, v11
	s_delay_alu instid0(VALU_DEP_3)
	v_add_co_ci_u32_e32 v12, vcc_lo, s11, v12, vcc_lo
	global_store_d16_hi_b16 v[11:12], v0, off
                                        ; implicit-def: $vgpr0
	v_cmpx_ne_u32_e32 0x7f800000, v13
	s_xor_b32 s22, exec_lo, s22
; %bb.41:                               ;   in Loop: Header=BB224_14 Depth=1
	v_bfe_u32 v0, v1, 16, 1
	s_delay_alu instid0(VALU_DEP_1)
	v_add3_u32 v0, v1, v0, 0x7fff
                                        ; implicit-def: $vgpr1
; %bb.42:                               ;   in Loop: Header=BB224_14 Depth=1
	s_and_not1_saveexec_b32 s22, s22
; %bb.43:                               ;   in Loop: Header=BB224_14 Depth=1
	v_and_b32_e32 v0, 0xffff, v1
	v_or_b32_e32 v11, 0x10000, v1
	s_delay_alu instid0(VALU_DEP_2) | instskip(NEXT) | instid1(VALU_DEP_2)
	v_cmp_eq_u32_e32 vcc_lo, 0, v0
	v_cndmask_b32_e32 v0, v11, v1, vcc_lo
; %bb.44:                               ;   in Loop: Header=BB224_14 Depth=1
	s_or_b32 exec_lo, exec_lo, s22
	s_waitcnt lgkmcnt(3)
	v_add_f32_e32 v1, v8, v9
	v_dual_mov_b32 v9, v42 :: v_dual_add_nc_u32 v8, 1, v41
	s_waitcnt vmcnt(3)
	v_lshlrev_b32_e32 v11, 16, v20
	s_mov_b32 s22, exec_lo
	s_delay_alu instid0(VALU_DEP_2) | instskip(NEXT) | instid1(VALU_DEP_2)
	v_lshlrev_b64 v[8:9], 1, v[8:9]
	v_add_f32_e32 v1, v1, v11
	s_delay_alu instid0(VALU_DEP_1) | instskip(NEXT) | instid1(VALU_DEP_3)
	v_and_b32_e32 v11, 0x7f800000, v1
	v_add_co_u32 v8, vcc_lo, s10, v8
	s_delay_alu instid0(VALU_DEP_4)
	v_add_co_ci_u32_e32 v9, vcc_lo, s11, v9, vcc_lo
	global_store_d16_hi_b16 v[8:9], v0, off
                                        ; implicit-def: $vgpr0
	v_cmpx_ne_u32_e32 0x7f800000, v11
	s_xor_b32 s22, exec_lo, s22
; %bb.45:                               ;   in Loop: Header=BB224_14 Depth=1
	v_bfe_u32 v0, v1, 16, 1
	s_delay_alu instid0(VALU_DEP_1)
	v_add3_u32 v0, v1, v0, 0x7fff
                                        ; implicit-def: $vgpr1
; %bb.46:                               ;   in Loop: Header=BB224_14 Depth=1
	s_and_not1_saveexec_b32 s22, s22
; %bb.47:                               ;   in Loop: Header=BB224_14 Depth=1
	v_and_b32_e32 v0, 0xffff, v1
	v_or_b32_e32 v8, 0x10000, v1
	s_delay_alu instid0(VALU_DEP_2) | instskip(NEXT) | instid1(VALU_DEP_2)
	v_cmp_eq_u32_e32 vcc_lo, 0, v0
	v_cndmask_b32_e32 v0, v8, v1, vcc_lo
; %bb.48:                               ;   in Loop: Header=BB224_14 Depth=1
	s_or_b32 exec_lo, exec_lo, s22
	s_waitcnt lgkmcnt(2)
	v_dual_add_f32 v1, v6, v7 :: v_dual_add_nc_u32 v6, 2, v41
	s_waitcnt vmcnt(2)
	v_dual_mov_b32 v7, v42 :: v_dual_lshlrev_b32 v8, 16, v18
	s_mov_b32 s22, exec_lo
	s_delay_alu instid0(VALU_DEP_1) | instskip(NEXT) | instid1(VALU_DEP_2)
	v_add_f32_e32 v1, v1, v8
	v_lshlrev_b64 v[6:7], 1, v[6:7]
	s_delay_alu instid0(VALU_DEP_2) | instskip(NEXT) | instid1(VALU_DEP_2)
	v_and_b32_e32 v8, 0x7f800000, v1
	v_add_co_u32 v6, vcc_lo, s10, v6
	s_delay_alu instid0(VALU_DEP_3)
	v_add_co_ci_u32_e32 v7, vcc_lo, s11, v7, vcc_lo
	global_store_d16_hi_b16 v[6:7], v0, off
                                        ; implicit-def: $vgpr0
	v_cmpx_ne_u32_e32 0x7f800000, v8
	s_xor_b32 s22, exec_lo, s22
; %bb.49:                               ;   in Loop: Header=BB224_14 Depth=1
	v_bfe_u32 v0, v1, 16, 1
	s_delay_alu instid0(VALU_DEP_1)
	v_add3_u32 v0, v1, v0, 0x7fff
                                        ; implicit-def: $vgpr1
; %bb.50:                               ;   in Loop: Header=BB224_14 Depth=1
	s_and_not1_saveexec_b32 s22, s22
; %bb.51:                               ;   in Loop: Header=BB224_14 Depth=1
	v_and_b32_e32 v0, 0xffff, v1
	v_or_b32_e32 v6, 0x10000, v1
	s_delay_alu instid0(VALU_DEP_2) | instskip(NEXT) | instid1(VALU_DEP_2)
	v_cmp_eq_u32_e32 vcc_lo, 0, v0
	v_cndmask_b32_e32 v0, v6, v1, vcc_lo
; %bb.52:                               ;   in Loop: Header=BB224_14 Depth=1
	s_or_b32 exec_lo, exec_lo, s22
	s_waitcnt vmcnt(1) lgkmcnt(1)
	v_dual_add_f32 v1, v4, v5 :: v_dual_lshlrev_b32 v4, 16, v15
	v_add_nc_u32_e32 v41, s7, v41
	s_mov_b32 s22, exec_lo
	s_delay_alu instid0(VALU_DEP_2) | instskip(NEXT) | instid1(VALU_DEP_2)
	v_add_f32_e32 v1, v1, v4
	v_lshlrev_b64 v[4:5], 1, v[41:42]
	s_delay_alu instid0(VALU_DEP_2) | instskip(NEXT) | instid1(VALU_DEP_2)
	v_and_b32_e32 v6, 0x7f800000, v1
	v_add_co_u32 v4, vcc_lo, s10, v4
	s_delay_alu instid0(VALU_DEP_3)
	v_add_co_ci_u32_e32 v5, vcc_lo, s11, v5, vcc_lo
	global_store_d16_hi_b16 v[4:5], v0, off
                                        ; implicit-def: $vgpr0
	v_cmpx_ne_u32_e32 0x7f800000, v6
	s_xor_b32 s22, exec_lo, s22
; %bb.53:                               ;   in Loop: Header=BB224_14 Depth=1
	v_bfe_u32 v0, v1, 16, 1
	s_delay_alu instid0(VALU_DEP_1)
	v_add3_u32 v0, v1, v0, 0x7fff
                                        ; implicit-def: $vgpr1
; %bb.54:                               ;   in Loop: Header=BB224_14 Depth=1
	s_and_not1_saveexec_b32 s22, s22
; %bb.55:                               ;   in Loop: Header=BB224_14 Depth=1
	v_and_b32_e32 v0, 0xffff, v1
	v_or_b32_e32 v4, 0x10000, v1
	s_delay_alu instid0(VALU_DEP_2) | instskip(NEXT) | instid1(VALU_DEP_2)
	v_cmp_eq_u32_e32 vcc_lo, 0, v0
	v_cndmask_b32_e32 v0, v4, v1, vcc_lo
; %bb.56:                               ;   in Loop: Header=BB224_14 Depth=1
	s_or_b32 exec_lo, exec_lo, s22
	s_waitcnt lgkmcnt(0)
	v_dual_add_f32 v1, v2, v3 :: v_dual_add_nc_u32 v2, 1, v41
	s_waitcnt vmcnt(0)
	v_dual_mov_b32 v3, v42 :: v_dual_lshlrev_b32 v4, 16, v10
	s_mov_b32 s22, exec_lo
	s_delay_alu instid0(VALU_DEP_1) | instskip(NEXT) | instid1(VALU_DEP_2)
	v_add_f32_e32 v1, v1, v4
	v_lshlrev_b64 v[2:3], 1, v[2:3]
	s_delay_alu instid0(VALU_DEP_2) | instskip(NEXT) | instid1(VALU_DEP_2)
	v_and_b32_e32 v4, 0x7f800000, v1
	v_add_co_u32 v2, vcc_lo, s10, v2
	s_delay_alu instid0(VALU_DEP_3)
	v_add_co_ci_u32_e32 v3, vcc_lo, s11, v3, vcc_lo
	global_store_d16_hi_b16 v[2:3], v0, off
                                        ; implicit-def: $vgpr0
	v_cmpx_ne_u32_e32 0x7f800000, v4
	s_xor_b32 s22, exec_lo, s22
; %bb.57:                               ;   in Loop: Header=BB224_14 Depth=1
	v_bfe_u32 v0, v1, 16, 1
	s_delay_alu instid0(VALU_DEP_1)
	v_add3_u32 v0, v1, v0, 0x7fff
                                        ; implicit-def: $vgpr1
; %bb.58:                               ;   in Loop: Header=BB224_14 Depth=1
	s_and_not1_saveexec_b32 s22, s22
	s_cbranch_execz .LBB224_12
; %bb.59:                               ;   in Loop: Header=BB224_14 Depth=1
	v_and_b32_e32 v0, 0xffff, v1
	v_or_b32_e32 v2, 0x10000, v1
	s_delay_alu instid0(VALU_DEP_2) | instskip(NEXT) | instid1(VALU_DEP_2)
	v_cmp_eq_u32_e32 vcc_lo, 0, v0
	v_cndmask_b32_e32 v0, v2, v1, vcc_lo
	s_branch .LBB224_12
.LBB224_60:
	s_nop 0
	s_sendmsg sendmsg(MSG_DEALLOC_VGPRS)
	s_endpgm
	.section	.rodata,"a",@progbits
	.p2align	6, 0x0
	.amdhsa_kernel _Z16wvSplitK_hf_sml_I14__hip_bfloat16Li32ELi3ELi16ELi8ELi2ELi3EEviiiiiiPKT_S3_S3_PS1_ii
		.amdhsa_group_segment_fixed_size 65536
		.amdhsa_private_segment_fixed_size 0
		.amdhsa_kernarg_size 64
		.amdhsa_user_sgpr_count 15
		.amdhsa_user_sgpr_dispatch_ptr 0
		.amdhsa_user_sgpr_queue_ptr 0
		.amdhsa_user_sgpr_kernarg_segment_ptr 1
		.amdhsa_user_sgpr_dispatch_id 0
		.amdhsa_user_sgpr_private_segment_size 0
		.amdhsa_wavefront_size32 1
		.amdhsa_uses_dynamic_stack 0
		.amdhsa_enable_private_segment 0
		.amdhsa_system_sgpr_workgroup_id_x 1
		.amdhsa_system_sgpr_workgroup_id_y 0
		.amdhsa_system_sgpr_workgroup_id_z 0
		.amdhsa_system_sgpr_workgroup_info 0
		.amdhsa_system_vgpr_workitem_id 1
		.amdhsa_next_free_vgpr 87
		.amdhsa_next_free_sgpr 24
		.amdhsa_reserve_vcc 1
		.amdhsa_float_round_mode_32 0
		.amdhsa_float_round_mode_16_64 0
		.amdhsa_float_denorm_mode_32 3
		.amdhsa_float_denorm_mode_16_64 3
		.amdhsa_dx10_clamp 1
		.amdhsa_ieee_mode 1
		.amdhsa_fp16_overflow 0
		.amdhsa_workgroup_processor_mode 1
		.amdhsa_memory_ordered 1
		.amdhsa_forward_progress 0
		.amdhsa_shared_vgpr_count 0
		.amdhsa_exception_fp_ieee_invalid_op 0
		.amdhsa_exception_fp_denorm_src 0
		.amdhsa_exception_fp_ieee_div_zero 0
		.amdhsa_exception_fp_ieee_overflow 0
		.amdhsa_exception_fp_ieee_underflow 0
		.amdhsa_exception_fp_ieee_inexact 0
		.amdhsa_exception_int_div_zero 0
	.end_amdhsa_kernel
	.section	.text._Z16wvSplitK_hf_sml_I14__hip_bfloat16Li32ELi3ELi16ELi8ELi2ELi3EEviiiiiiPKT_S3_S3_PS1_ii,"axG",@progbits,_Z16wvSplitK_hf_sml_I14__hip_bfloat16Li32ELi3ELi16ELi8ELi2ELi3EEviiiiiiPKT_S3_S3_PS1_ii,comdat
.Lfunc_end224:
	.size	_Z16wvSplitK_hf_sml_I14__hip_bfloat16Li32ELi3ELi16ELi8ELi2ELi3EEviiiiiiPKT_S3_S3_PS1_ii, .Lfunc_end224-_Z16wvSplitK_hf_sml_I14__hip_bfloat16Li32ELi3ELi16ELi8ELi2ELi3EEviiiiiiPKT_S3_S3_PS1_ii
                                        ; -- End function
	.section	.AMDGPU.csdata,"",@progbits
; Kernel info:
; codeLenInByte = 5940
; NumSgprs: 26
; NumVgprs: 87
; ScratchSize: 0
; MemoryBound: 0
; FloatMode: 240
; IeeeMode: 1
; LDSByteSize: 65536 bytes/workgroup (compile time only)
; SGPRBlocks: 3
; VGPRBlocks: 10
; NumSGPRsForWavesPerEU: 26
; NumVGPRsForWavesPerEU: 87
; Occupancy: 8
; WaveLimiterHint : 0
; COMPUTE_PGM_RSRC2:SCRATCH_EN: 0
; COMPUTE_PGM_RSRC2:USER_SGPR: 15
; COMPUTE_PGM_RSRC2:TRAP_HANDLER: 0
; COMPUTE_PGM_RSRC2:TGID_X_EN: 1
; COMPUTE_PGM_RSRC2:TGID_Y_EN: 0
; COMPUTE_PGM_RSRC2:TGID_Z_EN: 0
; COMPUTE_PGM_RSRC2:TIDIG_COMP_CNT: 1
	.section	.text._Z12wvSplitK_hf_I14__hip_bfloat16Li32ELi3ELi16ELi8ELi2ELi3EEviiiiiiPKT_S3_S3_PS1_ii,"axG",@progbits,_Z12wvSplitK_hf_I14__hip_bfloat16Li32ELi3ELi16ELi8ELi2ELi3EEviiiiiiPKT_S3_S3_PS1_ii,comdat
	.protected	_Z12wvSplitK_hf_I14__hip_bfloat16Li32ELi3ELi16ELi8ELi2ELi3EEviiiiiiPKT_S3_S3_PS1_ii ; -- Begin function _Z12wvSplitK_hf_I14__hip_bfloat16Li32ELi3ELi16ELi8ELi2ELi3EEviiiiiiPKT_S3_S3_PS1_ii
	.globl	_Z12wvSplitK_hf_I14__hip_bfloat16Li32ELi3ELi16ELi8ELi2ELi3EEviiiiiiPKT_S3_S3_PS1_ii
	.p2align	8
	.type	_Z12wvSplitK_hf_I14__hip_bfloat16Li32ELi3ELi16ELi8ELi2ELi3EEviiiiiiPKT_S3_S3_PS1_ii,@function
_Z12wvSplitK_hf_I14__hip_bfloat16Li32ELi3ELi16ELi8ELi2ELi3EEviiiiiiPKT_S3_S3_PS1_ii: ; @_Z12wvSplitK_hf_I14__hip_bfloat16Li32ELi3ELi16ELi8ELi2ELi3EEviiiiiiPKT_S3_S3_PS1_ii
; %bb.0:
	s_clause 0x1
	s_load_b64 s[18:19], s[0:1], 0x38
	s_load_b128 s[4:7], s[0:1], 0x0
	v_bfe_u32 v1, v0, 10, 10
	s_mov_b32 s8, 1
	s_delay_alu instid0(SALU_CYCLE_1) | instskip(SKIP_1) | instid1(SALU_CYCLE_1)
	s_mov_b32 s9, s8
	s_mov_b32 s10, s8
	v_mov_b32_e32 v50, s10
	v_dual_mov_b32 v48, s8 :: v_dual_mov_b32 v49, s9
	s_waitcnt lgkmcnt(0)
	v_mad_u64_u32 v[2:3], null, s15, s18, v[1:2]
	s_clause 0x1
	s_load_b64 s[12:13], s[0:1], 0x20
	s_load_b64 s[14:15], s[0:1], 0x10
	s_delay_alu instid0(VALU_DEP_1) | instskip(NEXT) | instid1(VALU_DEP_1)
	v_lshl_add_u32 v51, v2, 1, v2
	v_add_nc_u32_e32 v2, 3, v51
	v_cmp_gt_u32_e32 vcc_lo, s7, v51
	s_delay_alu instid0(VALU_DEP_2) | instskip(NEXT) | instid1(VALU_DEP_1)
	v_cmp_le_u32_e64 s2, s7, v2
	s_and_b32 s2, vcc_lo, s2
	s_delay_alu instid0(SALU_CYCLE_1)
	s_and_saveexec_b32 s11, s2
	s_cbranch_execz .LBB225_6
; %bb.1:
	v_dual_mov_b32 v50, s10 :: v_dual_mov_b32 v49, s9
	v_mov_b32_e32 v48, s8
	s_add_i32 s16, s7, -3
	s_mov_b32 s17, exec_lo
	v_cmpx_ne_u32_e64 s16, v51
	s_cbranch_execz .LBB225_5
; %bb.2:
	v_subrev_nc_u32_e32 v2, s16, v51
	s_mov_b32 s20, 0
	s_mov_b64 s[2:3], 0
	s_mov_b32 s9, s8
	s_mov_b32 s10, s8
	v_cmp_lt_u32_e32 vcc_lo, 1, v2
	v_cndmask_b32_e32 v2, 1, v2, vcc_lo
.LBB225_3:                              ; =>This Inner Loop Header: Depth=1
	s_cmp_lg_u32 s2, 2
	s_cselect_b32 s10, s10, 0
	s_cmp_lg_u32 s2, 1
	s_cselect_b32 s9, s9, 0
	;; [unrolled: 2-line block ×3, first 2 shown]
	s_add_u32 s2, s2, 1
	v_dual_mov_b32 v50, s10 :: v_dual_mov_b32 v49, s9
	v_cmp_eq_u32_e32 vcc_lo, s2, v2
	v_mov_b32_e32 v48, s8
	s_addc_u32 s3, s3, 0
	s_or_b32 s20, vcc_lo, s20
	s_delay_alu instid0(SALU_CYCLE_1)
	s_and_not1_b32 exec_lo, exec_lo, s20
	s_cbranch_execnz .LBB225_3
; %bb.4:
	s_or_b32 exec_lo, exec_lo, s20
	v_mov_b32_e32 v51, s16
.LBB225_5:
	s_or_b32 exec_lo, exec_lo, s17
.LBB225_6:
	s_delay_alu instid0(SALU_CYCLE_1) | instskip(SKIP_2) | instid1(SALU_CYCLE_1)
	s_or_b32 exec_lo, exec_lo, s11
	v_and_b32_e32 v0, 0x3ff, v0
	s_mul_i32 s2, s6, 3
	s_min_u32 s3, s2, 0x8000
	s_mov_b32 s2, exec_lo
	s_delay_alu instid0(VALU_DEP_1) | instskip(NEXT) | instid1(VALU_DEP_1)
	v_lshlrev_b32_e32 v66, 3, v0
	v_lshl_add_u32 v3, v1, 8, v66
	s_delay_alu instid0(VALU_DEP_1)
	v_cmpx_gt_u32_e64 s3, v3
	s_cbranch_execz .LBB225_15
; %bb.7:
	v_lshlrev_b32_e32 v2, 1, v3
	v_add_nc_u32_e32 v8, 0x1000, v3
	s_mov_b32 s8, exec_lo
	s_waitcnt lgkmcnt(0)
	global_load_b128 v[4:7], v2, s[12:13]
	s_waitcnt vmcnt(0)
	ds_store_b128 v2, v[4:7]
	v_cmpx_gt_u32_e64 s3, v8
	s_xor_b32 s8, exec_lo, s8
	s_cbranch_execz .LBB225_15
; %bb.8:
	v_add_co_u32 v4, s8, s12, v2
	s_delay_alu instid0(VALU_DEP_1) | instskip(SKIP_1) | instid1(VALU_DEP_3)
	v_add_co_ci_u32_e64 v5, null, s13, 0, s8
	v_add_nc_u32_e32 v10, 0x2000, v3
	v_add_co_u32 v6, vcc_lo, 0x2000, v4
	s_delay_alu instid0(VALU_DEP_3)
	v_add_co_ci_u32_e32 v7, vcc_lo, 0, v5, vcc_lo
	s_mov_b32 s8, exec_lo
	global_load_b128 v[6:9], v[6:7], off
	s_waitcnt vmcnt(0)
	ds_store_b128 v2, v[6:9] offset:8192
	v_cmpx_gt_u32_e64 s3, v10
	s_xor_b32 s8, exec_lo, s8
	s_cbranch_execz .LBB225_15
; %bb.9:
	v_add_co_u32 v6, vcc_lo, 0x4000, v4
	v_add_co_ci_u32_e32 v7, vcc_lo, 0, v5, vcc_lo
	v_add_nc_u32_e32 v10, 0x3000, v3
	s_mov_b32 s8, exec_lo
	global_load_b128 v[6:9], v[6:7], off
	s_waitcnt vmcnt(0)
	ds_store_b128 v2, v[6:9] offset:16384
	v_cmpx_gt_u32_e64 s3, v10
	s_xor_b32 s8, exec_lo, s8
	s_cbranch_execz .LBB225_15
; %bb.10:
	v_add_co_u32 v6, vcc_lo, 0x6000, v4
	v_add_co_ci_u32_e32 v7, vcc_lo, 0, v5, vcc_lo
	v_add_nc_u32_e32 v10, 0x4000, v3
	;; [unrolled: 11-line block ×5, first 2 shown]
	global_load_b128 v[6:9], v[6:7], off
	v_cmp_gt_u32_e32 vcc_lo, s3, v3
	s_waitcnt vmcnt(0)
	ds_store_b128 v2, v[6:9] offset:49152
	s_and_saveexec_b32 s3, vcc_lo
	s_delay_alu instid0(SALU_CYCLE_1)
	s_xor_b32 s3, exec_lo, s3
	s_cbranch_execz .LBB225_15
; %bb.14:
	v_add_co_u32 v3, vcc_lo, 0xe000, v4
	v_add_co_ci_u32_e32 v4, vcc_lo, 0, v5, vcc_lo
	global_load_b128 v[3:6], v[3:4], off
	s_waitcnt vmcnt(0)
	ds_store_b128 v2, v[3:6] offset:57344
.LBB225_15:
	s_or_b32 exec_lo, exec_lo, s2
	v_cmp_gt_u32_e32 vcc_lo, s18, v1
	v_cmp_gt_u32_e64 s2, s7, v51
	s_waitcnt lgkmcnt(0)
	s_barrier
	buffer_gl0_inv
	s_and_b32 s2, vcc_lo, s2
	s_delay_alu instid0(SALU_CYCLE_1)
	s_and_saveexec_b32 s3, s2
	s_cbranch_execz .LBB225_112
; %bb.16:
	s_clause 0x1
	s_load_b128 s[8:11], s[0:1], 0x28
	s_load_b64 s[16:17], s[0:1], 0x18
	s_cmp_lg_u32 s4, 0
	v_cvt_f32_u32_e32 v2, s14
	s_cselect_b32 s20, -1, 0
	s_add_i32 s21, s4, -8
	s_add_i32 s22, s7, -1
	s_mul_i32 s25, s18, s19
	v_rcp_iflag_f32_e32 v2, v2
	v_cmp_eq_u32_e64 s0, 31, v0
	v_lshlrev_b32_e32 v67, 4, v0
	v_mbcnt_lo_u32_b32 v3, -1, 0
	s_mul_i32 s25, s25, 3
	v_add_nc_u32_e32 v68, s6, v66
	s_waitcnt lgkmcnt(0)
	s_cmp_lg_u64 s[8:9], 0
	s_cselect_b32 s23, -1, 0
	s_abs_i32 s1, s15
	s_add_i32 s24, s7, -3
	v_cvt_f32_u32_e32 v1, s1
	s_sub_i32 s3, 0, s1
	s_sub_i32 s18, 0, s14
	;; [unrolled: 1-line block ×3, first 2 shown]
	s_mov_b32 s15, 0
	v_rcp_iflag_f32_e32 v1, v1
	s_waitcnt_depctr 0xfff
	v_mul_f32_e32 v1, 0x4f7ffffe, v1
	s_delay_alu instid0(VALU_DEP_1) | instskip(NEXT) | instid1(VALU_DEP_1)
	v_cvt_u32_f32_e32 v1, v1
	v_readfirstlane_b32 s2, v1
	v_mul_f32_e32 v1, 0x4f7ffffe, v2
	s_delay_alu instid0(VALU_DEP_2) | instskip(NEXT) | instid1(VALU_DEP_1)
	s_mul_i32 s3, s3, s2
	v_cvt_u32_f32_e32 v0, v1
	s_mul_hi_u32 s3, s2, s3
	v_xor_b32_e32 v1, 16, v3
	s_add_i32 s2, s2, s3
	s_cmp_lt_u32 s1, 2
	v_mul_lo_u32 v2, s18, v0
	s_cselect_b32 s3, s19, 1
	v_cmp_gt_i32_e32 vcc_lo, 32, v1
	s_sub_i32 s19, s3, s1
	s_cmp_ge_u32 s3, s1
	s_cselect_b32 s27, s19, s3
	s_lshr_b32 s2, s2, 31
	s_delay_alu instid0(VALU_DEP_2)
	v_mul_hi_u32 v2, v0, v2
	s_mul_i32 s2, s2, s1
	v_cndmask_b32_e32 v1, v3, v1, vcc_lo
	s_sub_i32 s2, 2, s2
	v_mov_b32_e32 v53, 0
	s_sub_i32 s3, s2, s1
	s_cmp_ge_u32 s2, s1
	v_lshlrev_b32_e32 v69, 2, v1
	v_add_nc_u32_e32 v70, v0, v2
	s_cselect_b32 s2, s3, s2
	s_mul_i32 s27, s27, s14
	s_sub_i32 s3, s2, s1
	s_cmp_ge_u32 s2, s1
	s_cselect_b32 s28, s3, s2
	s_lshl_b32 s26, s6, 1
	s_mul_i32 s28, s28, s14
	v_add_nc_u32_e32 v71, s26, v66
	s_lshl_b32 s6, s6, 2
	s_branch .LBB225_19
.LBB225_17:                             ;   in Loop: Header=BB225_19 Depth=1
	s_or_b32 exec_lo, exec_lo, s30
	v_mov_b32_e32 v51, s24
.LBB225_18:                             ;   in Loop: Header=BB225_19 Depth=1
	s_or_b32 exec_lo, exec_lo, s29
	s_delay_alu instid0(VALU_DEP_1) | instskip(SKIP_1) | instid1(SALU_CYCLE_1)
	v_cmp_le_u32_e32 vcc_lo, s7, v51
	s_or_b32 s15, vcc_lo, s15
	s_and_not1_b32 exec_lo, exec_lo, s15
	s_cbranch_execz .LBB225_112
.LBB225_19:                             ; =>This Loop Header: Depth=1
                                        ;     Child Loop BB225_24 Depth 2
                                        ;     Child Loop BB225_110 Depth 2
	v_dual_mov_b32 v72, v53 :: v_dual_add_nc_u32 v55, 1, v51
	v_dual_mov_b32 v73, v53 :: v_dual_add_nc_u32 v54, 2, v51
	v_mov_b32_e32 v74, v53
	v_mov_b32_e32 v78, v53
	;; [unrolled: 1-line block ×7, first 2 shown]
	s_and_not1_b32 vcc_lo, exec_lo, s20
	s_cbranch_vccnz .LBB225_50
; %bb.20:                               ;   in Loop: Header=BB225_19 Depth=1
	v_min_u32_e32 v0, s22, v51
	s_waitcnt lgkmcnt(0)
	v_min_u32_e32 v1, s22, v55
	v_min_u32_e32 v2, s22, v54
	v_dual_mov_b32 v3, v53 :: v_dual_mov_b32 v80, 0
	v_mul_lo_u32 v52, v0, s5
	s_delay_alu instid0(VALU_DEP_4) | instskip(NEXT) | instid1(VALU_DEP_4)
	v_mul_lo_u32 v0, v1, s5
	v_mul_lo_u32 v2, v2, s5
	v_dual_mov_b32 v1, v53 :: v_dual_mov_b32 v76, 0
	v_dual_mov_b32 v77, 0 :: v_dual_mov_b32 v78, 0
	;; [unrolled: 1-line block ×3, first 2 shown]
	v_lshlrev_b64 v[56:57], 1, v[52:53]
	s_delay_alu instid0(VALU_DEP_4)
	v_lshlrev_b64 v[58:59], 1, v[0:1]
	v_lshlrev_b64 v[60:61], 1, v[2:3]
	v_dual_mov_b32 v81, 0 :: v_dual_mov_b32 v72, 0
	v_mov_b32_e32 v79, 0
	v_mov_b32_e32 v73, 0
	s_mov_b32 s1, 0
	s_branch .LBB225_24
.LBB225_21:                             ;   in Loop: Header=BB225_24 Depth=2
	s_or_b32 exec_lo, exec_lo, s18
.LBB225_22:                             ;   in Loop: Header=BB225_24 Depth=2
	s_delay_alu instid0(SALU_CYCLE_1)
	s_or_b32 exec_lo, exec_lo, s3
.LBB225_23:                             ;   in Loop: Header=BB225_24 Depth=2
	s_delay_alu instid0(SALU_CYCLE_1)
	s_or_b32 exec_lo, exec_lo, s2
	s_waitcnt vmcnt(0) lgkmcnt(0)
	v_and_b32_e32 v83, 0xffff0000, v42
	v_and_b32_e32 v84, 0xffff0000, v38
	;; [unrolled: 1-line block ×3, first 2 shown]
	v_lshlrev_b32_e32 v42, 16, v42
	v_and_b32_e32 v87, 0xffff0000, v39
	s_delay_alu instid0(VALU_DEP_4)
	v_dual_mul_f32 v85, v83, v84 :: v_dual_lshlrev_b32 v38, 16, v38
	v_and_b32_e32 v62, 0xffff0000, v36
	v_lshlrev_b32_e32 v36, 16, v36
	v_and_b32_e32 v86, 0xffff0000, v28
	v_and_b32_e32 v90, 0xffff0000, v30
	v_dual_fmac_f32 v85, v42, v38 :: v_dual_lshlrev_b32 v40, 16, v40
	v_dual_mul_f32 v65, v52, v62 :: v_dual_and_b32 v64, 0xffff0000, v37
	v_lshlrev_b32_e32 v28, 16, v28
	v_lshlrev_b32_e32 v37, 16, v37
	s_delay_alu instid0(VALU_DEP_3)
	v_dual_fmac_f32 v65, v40, v36 :: v_dual_and_b32 v92, 0xffff0000, v31
	v_lshlrev_b32_e32 v30, 16, v30
	s_addk_i32 s1, 0x200
	v_and_b32_e32 v94, 0xffff0000, v22
	s_cmp_ge_u32 s1, s4
	v_add_f32_e32 v65, v77, v65
	v_and_b32_e32 v63, 0xffff0000, v41
	v_lshlrev_b32_e32 v41, 16, v41
	v_lshlrev_b32_e32 v22, 16, v22
	s_delay_alu instid0(VALU_DEP_3) | instskip(NEXT) | instid1(VALU_DEP_1)
	v_dual_mul_f32 v82, v63, v64 :: v_dual_add_nc_u32 v75, 0x400, v75
	v_dual_fmac_f32 v82, v41, v37 :: v_dual_mul_f32 v91, v83, v90
	s_delay_alu instid0(VALU_DEP_1) | instskip(SKIP_1) | instid1(VALU_DEP_3)
	v_add_f32_e32 v65, v65, v82
	v_mul_f32_e32 v82, v52, v86
	v_fmac_f32_e32 v91, v42, v30
	s_delay_alu instid0(VALU_DEP_2) | instskip(NEXT) | instid1(VALU_DEP_1)
	v_dual_add_f32 v65, v65, v85 :: v_dual_fmac_f32 v82, v40, v28
	v_dual_add_f32 v81, v81, v82 :: v_dual_and_b32 v82, 0xffff0000, v24
	v_and_b32_e32 v85, 0xffff0000, v29
	v_lshlrev_b32_e32 v24, 16, v24
	s_delay_alu instid0(VALU_DEP_3) | instskip(NEXT) | instid1(VALU_DEP_3)
	v_dual_mul_f32 v52, v52, v82 :: v_dual_and_b32 v77, 0xffff0000, v43
	v_mul_f32_e32 v88, v63, v85
	s_delay_alu instid0(VALU_DEP_2) | instskip(NEXT) | instid1(VALU_DEP_1)
	v_dual_fmac_f32 v52, v40, v24 :: v_dual_lshlrev_b32 v29, 16, v29
	v_dual_mul_f32 v89, v77, v87 :: v_dual_add_f32 v52, v79, v52
	s_delay_alu instid0(VALU_DEP_2) | instskip(NEXT) | instid1(VALU_DEP_1)
	v_dual_fmac_f32 v88, v41, v29 :: v_dual_lshlrev_b32 v43, 16, v43
	v_dual_add_f32 v81, v81, v88 :: v_dual_and_b32 v88, 0xffff0000, v25
	v_lshlrev_b32_e32 v39, 16, v39
	v_lshlrev_b32_e32 v25, 16, v25
	s_delay_alu instid0(VALU_DEP_3) | instskip(NEXT) | instid1(VALU_DEP_3)
	v_dual_add_f32 v79, v81, v91 :: v_dual_mul_f32 v40, v63, v88
	v_fmac_f32_e32 v89, v43, v39
	v_and_b32_e32 v63, 0xffff0000, v26
	v_lshlrev_b32_e32 v31, 16, v31
	v_lshlrev_b32_e32 v26, 16, v26
	s_delay_alu instid0(VALU_DEP_3) | instskip(NEXT) | instid1(VALU_DEP_1)
	v_dual_fmac_f32 v40, v41, v25 :: v_dual_mul_f32 v41, v83, v63
	v_add_f32_e32 v40, v52, v40
	s_delay_alu instid0(VALU_DEP_2) | instskip(SKIP_3) | instid1(VALU_DEP_3)
	v_dual_fmac_f32 v41, v42, v26 :: v_dual_and_b32 v52, 0xffff0000, v44
	v_mul_f32_e32 v93, v77, v92
	v_dual_add_f32 v42, v65, v89 :: v_dual_and_b32 v65, 0xffff0000, v20
	v_lshlrev_b32_e32 v20, 16, v20
	v_dual_add_f32 v40, v40, v41 :: v_dual_fmac_f32 v93, v43, v31
	s_delay_alu instid0(VALU_DEP_3) | instskip(SKIP_1) | instid1(VALU_DEP_3)
	v_dual_mul_f32 v44, v52, v65 :: v_dual_lshlrev_b32 v41, 16, v44
	v_and_b32_e32 v83, 0xffff0000, v27
	v_add_f32_e32 v79, v79, v93
	v_and_b32_e32 v93, 0xffff0000, v46
	s_delay_alu instid0(VALU_DEP_4) | instskip(SKIP_1) | instid1(VALU_DEP_2)
	v_dual_fmac_f32 v44, v41, v20 :: v_dual_and_b32 v89, 0xffff0000, v21
	v_and_b32_e32 v81, 0xffff0000, v45
	v_dual_mul_f32 v77, v77, v83 :: v_dual_add_f32 v42, v42, v44
	v_lshlrev_b32_e32 v44, 16, v46
	v_dual_mul_f32 v46, v93, v94 :: v_dual_lshlrev_b32 v27, 16, v27
	s_delay_alu instid0(VALU_DEP_4) | instskip(SKIP_1) | instid1(VALU_DEP_3)
	v_mul_f32_e32 v91, v81, v89
	v_lshlrev_b32_e32 v45, 16, v45
	v_dual_fmac_f32 v46, v44, v22 :: v_dual_and_b32 v95, 0xffff0000, v12
	s_delay_alu instid0(VALU_DEP_4) | instskip(SKIP_3) | instid1(VALU_DEP_4)
	v_fmac_f32_e32 v77, v43, v27
	v_and_b32_e32 v43, 0xffff0000, v47
	v_lshlrev_b32_e32 v21, 16, v21
	v_lshlrev_b32_e32 v12, 16, v12
	v_add_f32_e32 v40, v40, v77
	s_delay_alu instid0(VALU_DEP_3) | instskip(NEXT) | instid1(VALU_DEP_1)
	v_fmac_f32_e32 v91, v45, v21
	v_add_f32_e32 v42, v42, v91
	v_and_b32_e32 v91, 0xffff0000, v23
	s_delay_alu instid0(VALU_DEP_2) | instskip(SKIP_1) | instid1(VALU_DEP_3)
	v_dual_add_f32 v42, v42, v46 :: v_dual_lshlrev_b32 v23, 16, v23
	v_and_b32_e32 v46, 0xffff0000, v13
	v_dual_mul_f32 v96, v43, v91 :: v_dual_lshlrev_b32 v13, 16, v13
	s_delay_alu instid0(VALU_DEP_2) | instskip(NEXT) | instid1(VALU_DEP_1)
	v_dual_mul_f32 v98, v81, v46 :: v_dual_lshlrev_b32 v47, 16, v47
	v_dual_mul_f32 v97, v52, v95 :: v_dual_fmac_f32 v98, v45, v13
	s_delay_alu instid0(VALU_DEP_2) | instskip(NEXT) | instid1(VALU_DEP_1)
	v_fmac_f32_e32 v96, v47, v23
	v_dual_add_f32 v77, v42, v96 :: v_dual_and_b32 v42, 0xffff0000, v14
	s_delay_alu instid0(VALU_DEP_3) | instskip(SKIP_1) | instid1(VALU_DEP_2)
	v_dual_fmac_f32 v97, v41, v12 :: v_dual_lshlrev_b32 v14, 16, v14
	v_and_b32_e32 v96, 0xffff0000, v4
	v_dual_add_f32 v79, v79, v97 :: v_dual_lshlrev_b32 v4, 16, v4
	s_delay_alu instid0(VALU_DEP_2) | instskip(NEXT) | instid1(VALU_DEP_2)
	v_dual_mul_f32 v97, v93, v42 :: v_dual_mul_f32 v52, v52, v96
	v_dual_add_f32 v79, v79, v98 :: v_dual_and_b32 v98, 0xffff0000, v5
	s_delay_alu instid0(VALU_DEP_2) | instskip(SKIP_2) | instid1(VALU_DEP_3)
	v_dual_fmac_f32 v97, v44, v14 :: v_dual_fmac_f32 v52, v41, v4
	v_lshlrev_b32_e32 v5, 16, v5
	v_and_b32_e32 v99, 0xffff0000, v15
	v_dual_mul_f32 v41, v81, v98 :: v_dual_add_f32 v40, v40, v52
	s_delay_alu instid0(VALU_DEP_2) | instskip(NEXT) | instid1(VALU_DEP_2)
	v_dual_mul_f32 v81, v43, v99 :: v_dual_and_b32 v100, 0xffff0000, v6
	v_dual_fmac_f32 v41, v45, v5 :: v_dual_lshlrev_b32 v6, 16, v6
	v_lshlrev_b32_e32 v15, 16, v15
	s_delay_alu instid0(VALU_DEP_3) | instskip(NEXT) | instid1(VALU_DEP_3)
	v_mul_f32_e32 v45, v93, v100
	v_dual_add_f32 v40, v40, v41 :: v_dual_and_b32 v93, 0xffff0000, v16
	v_lshlrev_b32_e32 v16, 16, v16
	v_and_b32_e32 v41, 0xffff0000, v7
	v_dual_add_f32 v52, v79, v97 :: v_dual_lshlrev_b32 v7, 16, v7
	v_fmac_f32_e32 v81, v47, v15
	v_and_b32_e32 v97, 0xffff0000, v17
	s_delay_alu instid0(VALU_DEP_4) | instskip(SKIP_1) | instid1(VALU_DEP_2)
	v_mul_f32_e32 v43, v43, v41
	v_lshlrev_b32_e32 v17, 16, v17
	v_fmac_f32_e32 v43, v47, v7
	v_and_b32_e32 v47, 0xffff0000, v18
	v_lshlrev_b32_e32 v18, 16, v18
	v_fmac_f32_e32 v45, v44, v6
	v_mul_f32_e32 v44, v93, v62
	s_delay_alu instid0(VALU_DEP_2) | instskip(NEXT) | instid1(VALU_DEP_2)
	v_add_f32_e32 v40, v40, v45
	v_fmac_f32_e32 v44, v16, v36
	v_mul_f32_e32 v45, v97, v64
	s_delay_alu instid0(VALU_DEP_3) | instskip(NEXT) | instid1(VALU_DEP_2)
	v_add_f32_e32 v79, v40, v43
	v_dual_add_f32 v44, v76, v44 :: v_dual_fmac_f32 v45, v17, v37
	s_delay_alu instid0(VALU_DEP_1) | instskip(SKIP_1) | instid1(VALU_DEP_1)
	v_add_f32_e32 v44, v44, v45
	v_dual_mul_f32 v40, v93, v86 :: v_dual_and_b32 v45, 0xffff0000, v19
	v_dual_fmac_f32 v40, v16, v28 :: v_dual_lshlrev_b32 v19, 16, v19
	s_delay_alu instid0(VALU_DEP_2) | instskip(SKIP_1) | instid1(VALU_DEP_3)
	v_dual_mul_f32 v76, v45, v87 :: v_dual_add_f32 v81, v52, v81
	v_mul_f32_e32 v52, v97, v85
	v_add_f32_e32 v40, v80, v40
	s_delay_alu instid0(VALU_DEP_2) | instskip(SKIP_2) | instid1(VALU_DEP_3)
	v_fmac_f32_e32 v52, v17, v29
	v_mul_f32_e32 v80, v47, v90
	v_mul_f32_e32 v43, v47, v84
	v_add_f32_e32 v40, v40, v52
	s_delay_alu instid0(VALU_DEP_3) | instskip(NEXT) | instid1(VALU_DEP_1)
	v_fmac_f32_e32 v80, v18, v30
	v_dual_fmac_f32 v43, v18, v38 :: v_dual_add_f32 v40, v40, v80
	s_delay_alu instid0(VALU_DEP_1) | instskip(NEXT) | instid1(VALU_DEP_1)
	v_dual_add_f32 v43, v44, v43 :: v_dual_mul_f32 v44, v93, v82
	v_fmac_f32_e32 v44, v16, v24
	v_mul_f32_e32 v16, v97, v88
	v_fmac_f32_e32 v76, v19, v39
	v_mul_f32_e32 v52, v45, v92
	s_delay_alu instid0(VALU_DEP_2) | instskip(SKIP_1) | instid1(VALU_DEP_3)
	v_dual_fmac_f32 v16, v17, v25 :: v_dual_add_f32 v43, v43, v76
	v_and_b32_e32 v76, 0xffff0000, v32
	v_fmac_f32_e32 v52, v19, v31
	v_dual_mul_f32 v17, v47, v63 :: v_dual_lshlrev_b32 v32, 16, v32
	s_delay_alu instid0(VALU_DEP_3) | instskip(NEXT) | instid1(VALU_DEP_2)
	v_mul_f32_e32 v47, v76, v65
	v_dual_fmac_f32 v17, v18, v26 :: v_dual_lshlrev_b32 v18, 16, v33
	s_delay_alu instid0(VALU_DEP_2) | instskip(SKIP_2) | instid1(VALU_DEP_1)
	v_fmac_f32_e32 v47, v32, v20
	v_add_f32_e32 v40, v40, v52
	v_and_b32_e32 v52, 0xffff0000, v33
	v_dual_add_f32 v44, v78, v44 :: v_dual_mul_f32 v33, v52, v89
	s_delay_alu instid0(VALU_DEP_1) | instskip(NEXT) | instid1(VALU_DEP_2)
	v_add_f32_e32 v16, v44, v16
	v_dual_mul_f32 v44, v45, v83 :: v_dual_fmac_f32 v33, v18, v21
	s_delay_alu instid0(VALU_DEP_2) | instskip(NEXT) | instid1(VALU_DEP_2)
	v_dual_add_f32 v16, v16, v17 :: v_dual_add_f32 v17, v43, v47
	v_fmac_f32_e32 v44, v19, v27
	v_mul_f32_e32 v19, v76, v95
	v_and_b32_e32 v43, 0xffff0000, v34
	s_delay_alu instid0(VALU_DEP_4) | instskip(SKIP_1) | instid1(VALU_DEP_4)
	v_dual_add_f32 v17, v17, v33 :: v_dual_lshlrev_b32 v34, 16, v34
	v_and_b32_e32 v33, 0xffff0000, v35
	v_fmac_f32_e32 v19, v32, v12
	s_delay_alu instid0(VALU_DEP_4) | instskip(SKIP_2) | instid1(VALU_DEP_4)
	v_dual_mul_f32 v45, v43, v94 :: v_dual_add_f32 v16, v16, v44
	v_and_b32_e32 v44, 0xffff0000, v1
	v_lshlrev_b32_e32 v1, 16, v1
	v_dual_add_f32 v19, v40, v19 :: v_dual_mul_f32 v40, v43, v42
	v_dual_mul_f32 v47, v52, v46 :: v_dual_mul_f32 v78, v33, v91
	s_delay_alu instid0(VALU_DEP_2) | instskip(SKIP_1) | instid1(VALU_DEP_2)
	v_dual_fmac_f32 v40, v34, v14 :: v_dual_lshlrev_b32 v35, 16, v35
	v_fmac_f32_e32 v45, v34, v22
	v_dual_fmac_f32 v47, v18, v13 :: v_dual_fmac_f32 v78, v35, v23
	s_delay_alu instid0(VALU_DEP_2) | instskip(SKIP_1) | instid1(VALU_DEP_1)
	v_add_f32_e32 v17, v17, v45
	v_mul_f32_e32 v45, v76, v96
	v_fmac_f32_e32 v45, v32, v4
	v_mul_f32_e32 v32, v52, v98
	s_delay_alu instid0(VALU_DEP_4) | instskip(NEXT) | instid1(VALU_DEP_3)
	v_dual_add_f32 v76, v17, v78 :: v_dual_add_f32 v19, v19, v47
	v_add_f32_e32 v16, v16, v45
	s_delay_alu instid0(VALU_DEP_3) | instskip(SKIP_1) | instid1(VALU_DEP_4)
	v_fmac_f32_e32 v32, v18, v5
	v_dual_mul_f32 v18, v43, v100 :: v_dual_mul_f32 v43, v33, v99
	v_add_f32_e32 v17, v19, v40
	v_and_b32_e32 v19, 0xffff0000, v0
	v_lshlrev_b32_e32 v0, 16, v0
	s_delay_alu instid0(VALU_DEP_4) | instskip(SKIP_1) | instid1(VALU_DEP_4)
	v_dual_fmac_f32 v18, v34, v6 :: v_dual_fmac_f32 v43, v35, v15
	v_add_f32_e32 v16, v16, v32
	v_dual_mul_f32 v40, v19, v62 :: v_dual_mul_f32 v33, v33, v41
	s_delay_alu instid0(VALU_DEP_3) | instskip(NEXT) | instid1(VALU_DEP_2)
	v_add_f32_e32 v80, v17, v43
	v_fmac_f32_e32 v40, v0, v36
	v_mul_f32_e32 v36, v19, v86
	v_mul_f32_e32 v19, v19, v82
	v_and_b32_e32 v34, 0xffff0000, v2
	v_lshlrev_b32_e32 v2, 16, v2
	v_dual_mul_f32 v32, v44, v64 :: v_dual_fmac_f32 v33, v35, v7
	s_delay_alu instid0(VALU_DEP_4) | instskip(SKIP_2) | instid1(VALU_DEP_4)
	v_fmac_f32_e32 v19, v0, v24
	v_add_f32_e32 v16, v16, v18
	v_add_f32_e32 v18, v74, v40
	v_dual_fmac_f32 v32, v1, v37 :: v_dual_mul_f32 v37, v34, v84
	s_delay_alu instid0(VALU_DEP_4)
	v_add_f32_e32 v19, v72, v19
	v_fmac_f32_e32 v36, v0, v28
	v_mul_f32_e32 v28, v44, v85
	v_mul_f32_e32 v0, v44, v88
	v_and_b32_e32 v24, 0xffff0000, v8
	v_add_f32_e32 v78, v16, v33
	s_delay_alu instid0(VALU_DEP_4) | instskip(SKIP_4) | instid1(VALU_DEP_3)
	v_dual_fmac_f32 v28, v1, v29 :: v_dual_mul_f32 v29, v34, v90
	v_add_f32_e32 v18, v18, v32
	v_and_b32_e32 v32, 0xffff0000, v3
	v_dual_fmac_f32 v0, v1, v25 :: v_dual_lshlrev_b32 v3, 16, v3
	v_dual_mul_f32 v8, v24, v65 :: v_dual_lshlrev_b32 v1, 16, v8
	v_mul_f32_e32 v25, v32, v92
	v_dual_add_f32 v36, v73, v36 :: v_dual_fmac_f32 v29, v2, v30
	s_delay_alu instid0(VALU_DEP_3) | instskip(NEXT) | instid1(VALU_DEP_2)
	v_dual_fmac_f32 v37, v2, v38 :: v_dual_fmac_f32 v8, v1, v20
	v_dual_fmac_f32 v25, v3, v31 :: v_dual_add_f32 v28, v36, v28
	v_mul_f32_e32 v20, v32, v83
	s_delay_alu instid0(VALU_DEP_2) | instskip(SKIP_3) | instid1(VALU_DEP_3)
	v_add_f32_e32 v28, v28, v29
	v_dual_mul_f32 v38, v32, v87 :: v_dual_and_b32 v29, 0xffff0000, v9
	v_add_f32_e32 v18, v18, v37
	v_dual_mul_f32 v30, v34, v63 :: v_dual_lshlrev_b32 v9, 16, v9
	v_dual_add_f32 v0, v19, v0 :: v_dual_mul_f32 v19, v29, v89
	s_delay_alu instid0(VALU_DEP_4) | instskip(NEXT) | instid1(VALU_DEP_3)
	v_fmac_f32_e32 v38, v3, v39
	v_fmac_f32_e32 v30, v2, v26
	v_and_b32_e32 v2, 0xffff0000, v10
	s_delay_alu instid0(VALU_DEP_4) | instskip(NEXT) | instid1(VALU_DEP_4)
	v_dual_fmac_f32 v19, v9, v21 :: v_dual_lshlrev_b32 v10, 16, v10
	v_add_f32_e32 v18, v18, v38
	v_fmac_f32_e32 v20, v3, v27
	s_delay_alu instid0(VALU_DEP_2) | instskip(NEXT) | instid1(VALU_DEP_1)
	v_add_f32_e32 v8, v18, v8
	v_dual_mul_f32 v18, v2, v94 :: v_dual_add_f32 v3, v8, v19
	s_delay_alu instid0(VALU_DEP_1) | instskip(NEXT) | instid1(VALU_DEP_1)
	v_fmac_f32_e32 v18, v10, v22
	v_dual_add_f32 v3, v3, v18 :: v_dual_and_b32 v18, 0xffff0000, v11
	v_dual_add_f32 v8, v28, v25 :: v_dual_lshlrev_b32 v11, 16, v11
	s_delay_alu instid0(VALU_DEP_2) | instskip(SKIP_1) | instid1(VALU_DEP_2)
	v_mul_f32_e32 v21, v18, v91
	v_mul_f32_e32 v19, v24, v95
	v_dual_fmac_f32 v21, v11, v23 :: v_dual_add_f32 v0, v0, v30
	s_delay_alu instid0(VALU_DEP_2) | instskip(SKIP_1) | instid1(VALU_DEP_3)
	v_fmac_f32_e32 v19, v1, v12
	v_mul_f32_e32 v12, v29, v46
	v_add_f32_e32 v74, v3, v21
	s_delay_alu instid0(VALU_DEP_4) | instskip(SKIP_1) | instid1(VALU_DEP_4)
	v_add_f32_e32 v0, v0, v20
	v_mul_f32_e32 v20, v24, v96
	v_fmac_f32_e32 v12, v9, v13
	s_delay_alu instid0(VALU_DEP_2) | instskip(SKIP_1) | instid1(VALU_DEP_1)
	v_fmac_f32_e32 v20, v1, v4
	v_dual_mul_f32 v1, v29, v98 :: v_dual_add_f32 v4, v8, v19
	v_dual_add_f32 v0, v0, v20 :: v_dual_fmac_f32 v1, v9, v5
	s_delay_alu instid0(VALU_DEP_2) | instskip(NEXT) | instid1(VALU_DEP_1)
	v_dual_mul_f32 v5, v18, v99 :: v_dual_add_f32 v4, v4, v12
	v_dual_add_f32 v0, v0, v1 :: v_dual_fmac_f32 v5, v11, v15
	v_mul_f32_e32 v8, v2, v42
	v_mul_f32_e32 v2, v2, v100
	;; [unrolled: 1-line block ×3, first 2 shown]
	s_delay_alu instid0(VALU_DEP_1) | instskip(NEXT) | instid1(VALU_DEP_1)
	v_dual_fmac_f32 v8, v10, v14 :: v_dual_fmac_f32 v1, v11, v7
	v_add_f32_e32 v4, v4, v8
	s_delay_alu instid0(VALU_DEP_1) | instskip(NEXT) | instid1(VALU_DEP_1)
	v_dual_add_f32 v73, v4, v5 :: v_dual_fmac_f32 v2, v10, v6
	v_add_f32_e32 v0, v0, v2
	s_delay_alu instid0(VALU_DEP_1)
	v_add_f32_e32 v72, v0, v1
	s_cbranch_scc1 .LBB225_50
.LBB225_24:                             ;   Parent Loop BB225_19 Depth=1
                                        ; =>  This Inner Loop Header: Depth=2
	v_add_nc_u32_e32 v63, s1, v66
	v_dual_mov_b32 v35, 0 :: v_dual_mov_b32 v34, 0
	v_dual_mov_b32 v33, 0 :: v_dual_mov_b32 v32, 0
	s_delay_alu instid0(VALU_DEP_3) | instskip(SKIP_3) | instid1(VALU_DEP_4)
	v_min_u32_e32 v52, s21, v63
	v_dual_mov_b32 v47, 0 :: v_dual_add_nc_u32 v62, 0x100, v63
	v_dual_mov_b32 v46, 0 :: v_dual_mov_b32 v45, 0
	v_mov_b32_e32 v44, 0
	v_lshlrev_b64 v[0:1], 1, v[52:53]
	s_delay_alu instid0(VALU_DEP_4) | instskip(SKIP_3) | instid1(VALU_DEP_4)
	v_min_u32_e32 v52, s21, v62
	v_dual_mov_b32 v19, 0 :: v_dual_mov_b32 v18, 0
	s_waitcnt vmcnt(3)
	v_dual_mov_b32 v17, 0 :: v_dual_mov_b32 v16, 0
	v_add_co_u32 v6, vcc_lo, s16, v0
	v_add_co_ci_u32_e32 v7, vcc_lo, s17, v1, vcc_lo
	v_lshlrev_b64 v[0:1], 1, v[52:53]
	s_delay_alu instid0(VALU_DEP_3) | instskip(NEXT) | instid1(VALU_DEP_3)
	v_add_co_u32 v2, vcc_lo, v6, v56
	v_add_co_ci_u32_e32 v3, vcc_lo, v7, v57, vcc_lo
	v_add_co_u32 v4, vcc_lo, v6, v58
	v_add_co_ci_u32_e32 v5, vcc_lo, v7, v59, vcc_lo
	;; [unrolled: 2-line block ×4, first 2 shown]
	s_delay_alu instid0(VALU_DEP_4) | instskip(NEXT) | instid1(VALU_DEP_4)
	v_add_co_u32 v6, vcc_lo, v10, v56
	v_add_co_ci_u32_e32 v7, vcc_lo, v11, v57, vcc_lo
	s_waitcnt vmcnt(0)
	v_add_co_u32 v8, vcc_lo, v10, v58
	v_add_co_ci_u32_e32 v9, vcc_lo, v11, v59, vcc_lo
	v_add_co_u32 v10, vcc_lo, v10, v60
	v_add_co_ci_u32_e32 v11, vcc_lo, v11, v61, vcc_lo
	s_clause 0x5
	global_load_b128 v[36:39], v[2:3], off slc dlc
	global_load_b128 v[28:31], v[4:5], off slc dlc
	;; [unrolled: 1-line block ×6, first 2 shown]
	v_dual_mov_b32 v11, 0 :: v_dual_mov_b32 v10, 0
	v_cmp_gt_u32_e32 vcc_lo, s4, v63
	v_dual_mov_b32 v9, 0 :: v_dual_mov_b32 v8, 0
	v_dual_mov_b32 v3, 0 :: v_dual_mov_b32 v2, 0
	;; [unrolled: 1-line block ×5, first 2 shown]
	s_and_saveexec_b32 s2, vcc_lo
	s_cbranch_execz .LBB225_23
; %bb.25:                               ;   in Loop: Header=BB225_24 Depth=2
	s_mov_b32 s3, exec_lo
                                        ; implicit-def: $vgpr43
	v_cmpx_lt_u32_e32 0x7fff, v63
	s_xor_b32 s3, exec_lo, s3
	s_cbranch_execz .LBB225_27
; %bb.26:                               ;   in Loop: Header=BB225_24 Depth=2
	v_mov_b32_e32 v64, v53
	s_delay_alu instid0(VALU_DEP_1) | instskip(NEXT) | instid1(VALU_DEP_1)
	v_lshlrev_b64 v[0:1], 1, v[63:64]
	v_add_co_u32 v0, vcc_lo, s12, v0
	s_delay_alu instid0(VALU_DEP_2)
	v_add_co_ci_u32_e32 v1, vcc_lo, s13, v1, vcc_lo
	global_load_b128 v[40:43], v[0:1], off
.LBB225_27:                             ;   in Loop: Header=BB225_24 Depth=2
	s_and_not1_saveexec_b32 s3, s3
	s_cbranch_execz .LBB225_29
; %bb.28:                               ;   in Loop: Header=BB225_24 Depth=2
	s_waitcnt vmcnt(0)
	ds_load_b128 v[40:43], v75
.LBB225_29:                             ;   in Loop: Header=BB225_24 Depth=2
	s_or_b32 exec_lo, exec_lo, s3
	v_add_nc_u32_e32 v52, s1, v68
	s_mov_b32 s3, exec_lo
                                        ; implicit-def: $vgpr19
	s_delay_alu instid0(VALU_DEP_1)
	v_cmpx_lt_u32_e32 0x7fff, v52
	s_xor_b32 s3, exec_lo, s3
	s_cbranch_execz .LBB225_31
; %bb.30:                               ;   in Loop: Header=BB225_24 Depth=2
	v_lshlrev_b64 v[0:1], 1, v[52:53]
	s_delay_alu instid0(VALU_DEP_1) | instskip(NEXT) | instid1(VALU_DEP_2)
	v_add_co_u32 v0, vcc_lo, s12, v0
	v_add_co_ci_u32_e32 v1, vcc_lo, s13, v1, vcc_lo
	global_load_b128 v[16:19], v[0:1], off
.LBB225_31:                             ;   in Loop: Header=BB225_24 Depth=2
	s_and_not1_saveexec_b32 s3, s3
	s_cbranch_execz .LBB225_33
; %bb.32:                               ;   in Loop: Header=BB225_24 Depth=2
	v_add_nc_u32_e32 v0, s26, v75
	s_waitcnt vmcnt(0)
	ds_load_b128 v[16:19], v0
.LBB225_33:                             ;   in Loop: Header=BB225_24 Depth=2
	s_or_b32 exec_lo, exec_lo, s3
	v_add_nc_u32_e32 v64, s1, v71
	s_mov_b32 s3, exec_lo
                                        ; implicit-def: $vgpr3
	s_delay_alu instid0(VALU_DEP_1)
	v_cmpx_lt_u32_e32 0x7fff, v64
	s_xor_b32 s3, exec_lo, s3
	s_cbranch_execz .LBB225_35
; %bb.34:                               ;   in Loop: Header=BB225_24 Depth=2
	v_mov_b32_e32 v65, v53
	s_delay_alu instid0(VALU_DEP_1) | instskip(NEXT) | instid1(VALU_DEP_1)
	v_lshlrev_b64 v[0:1], 1, v[64:65]
	v_add_co_u32 v0, vcc_lo, s12, v0
	s_delay_alu instid0(VALU_DEP_2)
	v_add_co_ci_u32_e32 v1, vcc_lo, s13, v1, vcc_lo
	global_load_b128 v[0:3], v[0:1], off
.LBB225_35:                             ;   in Loop: Header=BB225_24 Depth=2
	s_and_not1_saveexec_b32 s3, s3
	s_cbranch_execz .LBB225_37
; %bb.36:                               ;   in Loop: Header=BB225_24 Depth=2
	s_waitcnt vmcnt(0)
	v_add_nc_u32_e32 v2, s6, v75
	ds_load_2addr_b32 v[0:1], v2 offset1:1
	ds_load_2addr_b32 v[2:3], v2 offset0:2 offset1:3
.LBB225_37:                             ;   in Loop: Header=BB225_24 Depth=2
	s_or_b32 exec_lo, exec_lo, s3
	v_dual_mov_b32 v11, 0 :: v_dual_mov_b32 v10, 0
	v_dual_mov_b32 v9, 0 :: v_dual_mov_b32 v8, 0
	;; [unrolled: 1-line block ×6, first 2 shown]
	s_mov_b32 s3, exec_lo
	v_cmpx_gt_u32_e64 s4, v62
	s_cbranch_execz .LBB225_22
; %bb.38:                               ;   in Loop: Header=BB225_24 Depth=2
	s_mov_b32 s18, exec_lo
                                        ; implicit-def: $vgpr47
	v_cmpx_lt_u32_e32 0x7fff, v62
	s_xor_b32 s18, exec_lo, s18
	s_cbranch_execz .LBB225_40
; %bb.39:                               ;   in Loop: Header=BB225_24 Depth=2
	v_mov_b32_e32 v63, v53
	s_delay_alu instid0(VALU_DEP_1) | instskip(NEXT) | instid1(VALU_DEP_1)
	v_lshlrev_b64 v[8:9], 1, v[62:63]
	v_add_co_u32 v8, vcc_lo, s12, v8
	s_delay_alu instid0(VALU_DEP_2)
	v_add_co_ci_u32_e32 v9, vcc_lo, s13, v9, vcc_lo
	global_load_b128 v[44:47], v[8:9], off
.LBB225_40:                             ;   in Loop: Header=BB225_24 Depth=2
	s_and_not1_saveexec_b32 s18, s18
	s_cbranch_execz .LBB225_42
; %bb.41:                               ;   in Loop: Header=BB225_24 Depth=2
	s_waitcnt vmcnt(0)
	ds_load_b128 v[44:47], v75 offset:512
.LBB225_42:                             ;   in Loop: Header=BB225_24 Depth=2
	s_or_b32 exec_lo, exec_lo, s18
	v_add_nc_u32_e32 v52, 0x100, v52
	s_mov_b32 s18, exec_lo
                                        ; implicit-def: $vgpr35
	s_delay_alu instid0(VALU_DEP_1)
	v_cmpx_lt_u32_e32 0x7fff, v52
	s_xor_b32 s18, exec_lo, s18
	s_cbranch_execz .LBB225_44
; %bb.43:                               ;   in Loop: Header=BB225_24 Depth=2
	v_lshlrev_b64 v[8:9], 1, v[52:53]
	s_delay_alu instid0(VALU_DEP_1) | instskip(NEXT) | instid1(VALU_DEP_2)
	v_add_co_u32 v8, vcc_lo, s12, v8
	v_add_co_ci_u32_e32 v9, vcc_lo, s13, v9, vcc_lo
	global_load_b128 v[32:35], v[8:9], off
.LBB225_44:                             ;   in Loop: Header=BB225_24 Depth=2
	s_and_not1_saveexec_b32 s18, s18
	s_cbranch_execz .LBB225_46
; %bb.45:                               ;   in Loop: Header=BB225_24 Depth=2
	v_add_nc_u32_e32 v8, s26, v75
	s_waitcnt vmcnt(0)
	ds_load_b128 v[32:35], v8 offset:512
.LBB225_46:                             ;   in Loop: Header=BB225_24 Depth=2
	s_or_b32 exec_lo, exec_lo, s18
	v_add_nc_u32_e32 v52, 0x100, v64
	s_mov_b32 s18, exec_lo
                                        ; implicit-def: $vgpr11
	s_delay_alu instid0(VALU_DEP_1)
	v_cmpx_lt_u32_e32 0x7fff, v52
	s_xor_b32 s18, exec_lo, s18
	s_cbranch_execz .LBB225_48
; %bb.47:                               ;   in Loop: Header=BB225_24 Depth=2
	v_lshlrev_b64 v[8:9], 1, v[52:53]
	s_delay_alu instid0(VALU_DEP_1) | instskip(NEXT) | instid1(VALU_DEP_2)
	v_add_co_u32 v8, vcc_lo, s12, v8
	v_add_co_ci_u32_e32 v9, vcc_lo, s13, v9, vcc_lo
	global_load_b128 v[8:11], v[8:9], off
.LBB225_48:                             ;   in Loop: Header=BB225_24 Depth=2
	s_and_not1_saveexec_b32 s18, s18
	s_cbranch_execz .LBB225_21
; %bb.49:                               ;   in Loop: Header=BB225_24 Depth=2
	s_waitcnt vmcnt(0)
	v_add_nc_u32_e32 v10, s6, v75
	ds_load_2addr_b32 v[8:9], v10 offset0:128 offset1:129
	ds_load_2addr_b32 v[10:11], v10 offset0:130 offset1:131
	s_branch .LBB225_21
.LBB225_50:                             ;   in Loop: Header=BB225_19 Depth=1
	s_delay_alu instid0(VALU_DEP_1)
	v_cvt_i32_f32_e32 v0, v77
	s_waitcnt lgkmcnt(0)
	v_cvt_i32_f32_e32 v1, v81
	v_cvt_i32_f32_e32 v2, v79
	;; [unrolled: 1-line block ×3, first 2 shown]
	s_waitcnt vmcnt(0)
	v_cvt_i32_f32_e32 v8, v80
	v_cvt_f32_i32_dpp v0, v0 row_shr:8 row_mask:0xf bank_mask:0xf bound_ctrl:1
	v_cvt_f32_i32_dpp v1, v1 row_shr:8 row_mask:0xf bank_mask:0xf bound_ctrl:1
	;; [unrolled: 1-line block ×4, first 2 shown]
	v_cvt_i32_f32_e32 v9, v78
	v_add_f32_e32 v0, v77, v0
	s_delay_alu instid0(VALU_DEP_4) | instskip(NEXT) | instid1(VALU_DEP_4)
	v_dual_add_f32 v1, v81, v1 :: v_dual_add_f32 v2, v79, v2
	v_add_f32_e32 v3, v76, v3
	v_cvt_i32_f32_e32 v12, v73
	s_delay_alu instid0(VALU_DEP_4) | instskip(NEXT) | instid1(VALU_DEP_4)
	v_cvt_i32_f32_e32 v4, v0
	v_cvt_i32_f32_e32 v5, v1
	;; [unrolled: 1-line block ×4, first 2 shown]
	v_cvt_f32_i32_dpp v9, v9 row_shr:8 row_mask:0xf bank_mask:0xf bound_ctrl:1
	v_cvt_f32_i32_dpp v4, v4 row_shr:4 row_mask:0xf bank_mask:0xf bound_ctrl:1
	;; [unrolled: 1-line block ×5, first 2 shown]
	v_cvt_i32_f32_e32 v14, v72
	s_delay_alu instid0(VALU_DEP_4) | instskip(NEXT) | instid1(VALU_DEP_3)
	v_dual_add_f32 v0, v0, v4 :: v_dual_add_f32 v1, v1, v5
	v_dual_add_f32 v2, v2, v6 :: v_dual_add_f32 v3, v3, v7
	v_cvt_i32_f32_e32 v4, v74
	s_delay_alu instid0(VALU_DEP_3) | instskip(NEXT) | instid1(VALU_DEP_4)
	v_cvt_i32_f32_e32 v5, v0
	v_cvt_i32_f32_e32 v6, v1
	s_delay_alu instid0(VALU_DEP_4)
	v_cvt_i32_f32_e32 v7, v2
	v_cvt_i32_f32_e32 v10, v3
	v_cvt_f32_i32_dpp v4, v4 row_shr:8 row_mask:0xf bank_mask:0xf bound_ctrl:1
	v_cvt_f32_i32_dpp v5, v5 row_shr:2 row_mask:0xf bank_mask:0xf bound_ctrl:1
	;; [unrolled: 1-line block ×5, first 2 shown]
	v_add_f32_e32 v4, v74, v4
	s_delay_alu instid0(VALU_DEP_4) | instskip(NEXT) | instid1(VALU_DEP_3)
	v_dual_add_f32 v0, v0, v5 :: v_dual_add_f32 v1, v1, v6
	v_dual_add_f32 v2, v2, v7 :: v_dual_add_f32 v3, v3, v10
	v_cvt_f32_i32_dpp v5, v8 row_shr:8 row_mask:0xf bank_mask:0xf bound_ctrl:1
	s_delay_alu instid0(VALU_DEP_3) | instskip(NEXT) | instid1(VALU_DEP_4)
	v_cvt_i32_f32_e32 v6, v0
	v_cvt_i32_f32_e32 v7, v1
	s_delay_alu instid0(VALU_DEP_4) | instskip(SKIP_1) | instid1(VALU_DEP_4)
	v_cvt_i32_f32_e32 v8, v2
	v_cvt_i32_f32_e32 v10, v3
	v_cvt_f32_i32_dpp v6, v6 row_shr:1 row_mask:0xf bank_mask:0xf bound_ctrl:1
	s_delay_alu instid0(VALU_DEP_4) | instskip(NEXT) | instid1(VALU_DEP_4)
	v_cvt_f32_i32_dpp v7, v7 row_shr:1 row_mask:0xf bank_mask:0xf bound_ctrl:1
	v_cvt_f32_i32_dpp v8, v8 row_shr:1 row_mask:0xf bank_mask:0xf bound_ctrl:1
	s_delay_alu instid0(VALU_DEP_4) | instskip(NEXT) | instid1(VALU_DEP_3)
	v_cvt_f32_i32_dpp v10, v10 row_shr:1 row_mask:0xf bank_mask:0xf bound_ctrl:1
	v_dual_add_f32 v21, v0, v6 :: v_dual_add_f32 v18, v1, v7
	s_delay_alu instid0(VALU_DEP_3) | instskip(NEXT) | instid1(VALU_DEP_3)
	v_dual_add_f32 v15, v2, v8 :: v_dual_add_f32 v2, v80, v5
	v_add_f32_e32 v11, v3, v10
	v_cvt_f32_i32_dpp v0, v12 row_shr:8 row_mask:0xf bank_mask:0xf bound_ctrl:1
	v_add_f32_e32 v3, v78, v9
	v_cvt_f32_i32_dpp v1, v14 row_shr:8 row_mask:0xf bank_mask:0xf bound_ctrl:1
	v_cvt_i32_f32_e32 v5, v2
	v_cvt_i32_f32_e32 v7, v4
	v_add_f32_e32 v0, v73, v0
	v_cvt_i32_f32_e32 v6, v3
	ds_bpermute_b32 v22, v69, v21
	v_cvt_f32_i32_dpp v5, v5 row_shr:4 row_mask:0xf bank_mask:0xf bound_ctrl:1
	v_cvt_f32_i32_dpp v7, v7 row_shr:4 row_mask:0xf bank_mask:0xf bound_ctrl:1
	v_cvt_i32_f32_e32 v8, v0
	v_cvt_f32_i32_dpp v6, v6 row_shr:4 row_mask:0xf bank_mask:0xf bound_ctrl:1
	ds_bpermute_b32 v19, v69, v18
	v_add_f32_e32 v2, v2, v5
	ds_bpermute_b32 v16, v69, v15
	v_cvt_f32_i32_dpp v8, v8 row_shr:4 row_mask:0xf bank_mask:0xf bound_ctrl:1
	v_add_f32_e32 v3, v3, v6
	ds_bpermute_b32 v13, v69, v11
	v_cvt_i32_f32_e32 v5, v2
	v_cvt_i32_f32_e32 v6, v3
	s_delay_alu instid0(VALU_DEP_2) | instskip(NEXT) | instid1(VALU_DEP_2)
	v_cvt_f32_i32_dpp v5, v5 row_shr:2 row_mask:0xf bank_mask:0xf bound_ctrl:1
	v_cvt_f32_i32_dpp v6, v6 row_shr:2 row_mask:0xf bank_mask:0xf bound_ctrl:1
	v_add_f32_e32 v0, v0, v8
	s_delay_alu instid0(VALU_DEP_2) | instskip(NEXT) | instid1(VALU_DEP_2)
	v_dual_add_f32 v2, v2, v5 :: v_dual_add_f32 v3, v3, v6
	v_cvt_i32_f32_e32 v8, v0
	s_delay_alu instid0(VALU_DEP_2) | instskip(NEXT) | instid1(VALU_DEP_3)
	v_cvt_i32_f32_e32 v5, v2
	v_cvt_i32_f32_e32 v6, v3
	s_delay_alu instid0(VALU_DEP_3) | instskip(NEXT) | instid1(VALU_DEP_3)
	v_cvt_f32_i32_dpp v8, v8 row_shr:2 row_mask:0xf bank_mask:0xf bound_ctrl:1
	v_cvt_f32_i32_dpp v5, v5 row_shr:1 row_mask:0xf bank_mask:0xf bound_ctrl:1
	s_delay_alu instid0(VALU_DEP_3) | instskip(SKIP_1) | instid1(VALU_DEP_4)
	v_cvt_f32_i32_dpp v6, v6 row_shr:1 row_mask:0xf bank_mask:0xf bound_ctrl:1
	v_add_f32_e32 v1, v72, v1
	v_add_f32_e32 v0, v0, v8
	s_delay_alu instid0(VALU_DEP_3) | instskip(NEXT) | instid1(VALU_DEP_3)
	v_add_f32_e32 v6, v3, v6
	v_cvt_i32_f32_e32 v9, v1
	s_delay_alu instid0(VALU_DEP_1) | instskip(NEXT) | instid1(VALU_DEP_1)
	v_cvt_f32_i32_dpp v9, v9 row_shr:4 row_mask:0xf bank_mask:0xf bound_ctrl:1
	v_dual_add_f32 v4, v4, v7 :: v_dual_add_f32 v1, v1, v9
	s_delay_alu instid0(VALU_DEP_1) | instskip(NEXT) | instid1(VALU_DEP_2)
	v_cvt_i32_f32_e32 v7, v4
	v_cvt_i32_f32_e32 v9, v1
	s_delay_alu instid0(VALU_DEP_2) | instskip(NEXT) | instid1(VALU_DEP_2)
	v_cvt_f32_i32_dpp v7, v7 row_shr:2 row_mask:0xf bank_mask:0xf bound_ctrl:1
	v_cvt_f32_i32_dpp v9, v9 row_shr:2 row_mask:0xf bank_mask:0xf bound_ctrl:1
	s_delay_alu instid0(VALU_DEP_1) | instskip(NEXT) | instid1(VALU_DEP_1)
	v_dual_add_f32 v4, v4, v7 :: v_dual_add_f32 v1, v1, v9
	v_cvt_i32_f32_e32 v7, v4
	s_delay_alu instid0(VALU_DEP_2) | instskip(NEXT) | instid1(VALU_DEP_2)
	v_cvt_i32_f32_e32 v9, v1
	v_cvt_f32_i32_dpp v7, v7 row_shr:1 row_mask:0xf bank_mask:0xf bound_ctrl:1
	s_delay_alu instid0(VALU_DEP_2) | instskip(SKIP_2) | instid1(VALU_DEP_4)
	v_cvt_f32_i32_dpp v10, v9 row_shr:1 row_mask:0xf bank_mask:0xf bound_ctrl:1
	v_add_f32_e32 v9, v2, v5
	v_cvt_i32_f32_e32 v8, v0
	v_add_f32_e32 v4, v4, v7
	ds_bpermute_b32 v7, v69, v6
	v_cvt_f32_i32_dpp v8, v8 row_shr:1 row_mask:0xf bank_mask:0xf bound_ctrl:1
	ds_bpermute_b32 v5, v69, v4
	v_add_f32_e32 v2, v0, v8
	v_add_f32_e32 v0, v1, v10
	ds_bpermute_b32 v10, v69, v9
	ds_bpermute_b32 v3, v69, v2
	;; [unrolled: 1-line block ×3, first 2 shown]
	s_and_saveexec_b32 s18, s0
	s_cbranch_execz .LBB225_107
; %bb.51:                               ;   in Loop: Header=BB225_19 Depth=1
	v_dual_mov_b32 v26, 0 :: v_dual_mov_b32 v25, 0
	v_dual_mov_b32 v24, 0 :: v_dual_mov_b32 v23, 0
	v_dual_mov_b32 v20, 0 :: v_dual_mov_b32 v17, 0
	v_mov_b32_e32 v14, 0
	v_mov_b32_e32 v12, 0
	;; [unrolled: 1-line block ×3, first 2 shown]
	s_and_not1_b32 vcc_lo, exec_lo, s23
	s_cbranch_vccnz .LBB225_53
; %bb.52:                               ;   in Loop: Header=BB225_19 Depth=1
	v_mul_hi_u32 v8, v51, v70
	v_mul_hi_u32 v12, v55, v70
	;; [unrolled: 1-line block ×3, first 2 shown]
	v_mov_b32_e32 v28, v53
	v_mov_b32_e32 v30, v53
	v_mov_b32_e32 v38, v53
	v_mul_lo_u32 v8, v8, s14
	v_mul_lo_u32 v12, v12, s14
	v_mul_lo_u32 v14, v14, s14
	s_delay_alu instid0(VALU_DEP_3) | instskip(NEXT) | instid1(VALU_DEP_3)
	v_sub_nc_u32_e32 v8, v51, v8
	v_sub_nc_u32_e32 v12, v55, v12
	s_delay_alu instid0(VALU_DEP_3) | instskip(NEXT) | instid1(VALU_DEP_3)
	v_sub_nc_u32_e32 v14, v54, v14
	v_subrev_nc_u32_e32 v17, s14, v8
	v_cmp_le_u32_e32 vcc_lo, s14, v8
	s_delay_alu instid0(VALU_DEP_4) | instskip(NEXT) | instid1(VALU_DEP_4)
	v_subrev_nc_u32_e32 v20, s14, v12
	v_subrev_nc_u32_e32 v23, s14, v14
	s_delay_alu instid0(VALU_DEP_4) | instskip(SKIP_1) | instid1(VALU_DEP_2)
	v_cndmask_b32_e32 v8, v8, v17, vcc_lo
	v_cmp_le_u32_e32 vcc_lo, s14, v12
	v_subrev_nc_u32_e32 v17, s14, v8
	v_cndmask_b32_e32 v12, v12, v20, vcc_lo
	v_cmp_le_u32_e32 vcc_lo, s14, v14
	s_delay_alu instid0(VALU_DEP_2) | instskip(SKIP_2) | instid1(VALU_DEP_2)
	v_subrev_nc_u32_e32 v20, s14, v12
	v_cndmask_b32_e32 v14, v14, v23, vcc_lo
	v_cmp_le_u32_e32 vcc_lo, s14, v8
	v_subrev_nc_u32_e32 v25, s14, v14
	v_cndmask_b32_e32 v52, v8, v17, vcc_lo
	v_cmp_le_u32_e32 vcc_lo, s14, v12
	v_mov_b32_e32 v24, v53
	s_delay_alu instid0(VALU_DEP_3) | instskip(SKIP_4) | instid1(VALU_DEP_4)
	v_lshlrev_b64 v[31:32], 1, v[52:53]
	v_cndmask_b32_e32 v23, v12, v20, vcc_lo
	v_cmp_le_u32_e32 vcc_lo, s14, v14
	v_dual_mov_b32 v26, v53 :: v_dual_add_nc_u32 v27, s27, v52
	v_add_nc_u32_e32 v52, s28, v52
	v_add_nc_u32_e32 v29, s27, v23
	v_cndmask_b32_e32 v25, v14, v25, vcc_lo
	v_lshlrev_b64 v[33:34], 1, v[23:24]
	v_add_co_u32 v31, vcc_lo, s8, v31
	v_add_co_ci_u32_e32 v32, vcc_lo, s9, v32, vcc_lo
	s_delay_alu instid0(VALU_DEP_4) | instskip(SKIP_3) | instid1(VALU_DEP_4)
	v_lshlrev_b64 v[35:36], 1, v[25:26]
	v_lshlrev_b64 v[26:27], 1, v[27:28]
	v_add_co_u32 v33, vcc_lo, s8, v33
	v_add_co_ci_u32_e32 v34, vcc_lo, s9, v34, vcc_lo
	v_add_co_u32 v35, vcc_lo, s8, v35
	v_add_nc_u32_e32 v37, s27, v25
	v_add_co_ci_u32_e32 v36, vcc_lo, s9, v36, vcc_lo
	v_lshlrev_b64 v[28:29], 1, v[29:30]
	v_add_co_u32 v39, vcc_lo, s8, v26
	v_add_co_ci_u32_e32 v40, vcc_lo, s9, v27, vcc_lo
	v_lshlrev_b64 v[26:27], 1, v[37:38]
	v_lshlrev_b64 v[37:38], 1, v[52:53]
	v_add_nc_u32_e32 v52, s28, v23
	v_add_co_u32 v28, vcc_lo, s8, v28
	v_add_co_ci_u32_e32 v29, vcc_lo, s9, v29, vcc_lo
	s_delay_alu instid0(VALU_DEP_3) | instskip(SKIP_4) | instid1(VALU_DEP_4)
	v_lshlrev_b64 v[23:24], 1, v[52:53]
	v_add_nc_u32_e32 v52, s28, v25
	v_add_co_u32 v41, vcc_lo, s8, v26
	v_add_co_ci_u32_e32 v42, vcc_lo, s9, v27, vcc_lo
	v_add_co_u32 v37, vcc_lo, s8, v37
	v_lshlrev_b64 v[25:26], 1, v[52:53]
	v_add_co_ci_u32_e32 v38, vcc_lo, s9, v38, vcc_lo
	v_add_co_u32 v43, vcc_lo, s8, v23
	v_add_co_ci_u32_e32 v44, vcc_lo, s9, v24, vcc_lo
	s_delay_alu instid0(VALU_DEP_4)
	v_add_co_u32 v45, vcc_lo, s8, v25
	v_add_co_ci_u32_e32 v46, vcc_lo, s9, v26, vcc_lo
	s_clause 0x8
	global_load_u16 v26, v[31:32], off
	global_load_u16 v25, v[33:34], off
	global_load_u16 v24, v[35:36], off
	global_load_u16 v23, v[39:40], off
	global_load_u16 v20, v[28:29], off
	global_load_u16 v17, v[41:42], off
	global_load_u16 v14, v[37:38], off
	global_load_u16 v12, v[43:44], off
	global_load_u16 v8, v[45:46], off
.LBB225_53:                             ;   in Loop: Header=BB225_19 Depth=1
	v_cmp_ne_u32_e32 vcc_lo, 0, v48
	s_and_saveexec_b32 s2, vcc_lo
	s_cbranch_execnz .LBB225_62
; %bb.54:                               ;   in Loop: Header=BB225_19 Depth=1
	s_or_b32 exec_lo, exec_lo, s2
	v_cmp_ne_u32_e64 s1, 0, v49
	s_delay_alu instid0(VALU_DEP_1)
	s_and_saveexec_b32 s3, s1
	s_cbranch_execnz .LBB225_67
.LBB225_55:                             ;   in Loop: Header=BB225_19 Depth=1
	s_or_b32 exec_lo, exec_lo, s3
	v_cmp_ne_u32_e64 s2, 0, v50
	s_delay_alu instid0(VALU_DEP_1)
	s_and_saveexec_b32 s19, s2
	s_cbranch_execnz .LBB225_72
.LBB225_56:                             ;   in Loop: Header=BB225_19 Depth=1
	s_or_b32 exec_lo, exec_lo, s19
	v_add_nc_u32_e32 v52, s7, v51
	s_and_saveexec_b32 s19, vcc_lo
	s_cbranch_execnz .LBB225_77
.LBB225_57:                             ;   in Loop: Header=BB225_19 Depth=1
	s_or_b32 exec_lo, exec_lo, s19
	s_and_saveexec_b32 s19, s1
	s_cbranch_execnz .LBB225_82
.LBB225_58:                             ;   in Loop: Header=BB225_19 Depth=1
	s_or_b32 exec_lo, exec_lo, s19
	s_and_saveexec_b32 s19, s2
	s_cbranch_execnz .LBB225_87
.LBB225_59:                             ;   in Loop: Header=BB225_19 Depth=1
	s_or_b32 exec_lo, exec_lo, s19
	v_add_nc_u32_e32 v52, s7, v52
	s_and_saveexec_b32 s3, vcc_lo
	s_cbranch_execnz .LBB225_92
.LBB225_60:                             ;   in Loop: Header=BB225_19 Depth=1
	s_or_b32 exec_lo, exec_lo, s3
	s_and_saveexec_b32 s3, s1
	s_cbranch_execnz .LBB225_97
.LBB225_61:                             ;   in Loop: Header=BB225_19 Depth=1
	s_or_b32 exec_lo, exec_lo, s3
	s_delay_alu instid0(SALU_CYCLE_1)
	s_and_b32 exec_lo, exec_lo, s2
	s_cbranch_execnz .LBB225_102
	s_branch .LBB225_107
.LBB225_62:                             ;   in Loop: Header=BB225_19 Depth=1
	s_waitcnt lgkmcnt(8)
	v_add_f32_e32 v21, v21, v22
	s_waitcnt vmcnt(8)
	v_lshlrev_b32_e32 v22, 16, v26
	s_delay_alu instid0(VALU_DEP_1) | instskip(NEXT) | instid1(VALU_DEP_1)
	v_add_f32_e32 v22, v21, v22
	v_and_b32_e32 v21, 0x7f800000, v22
	s_delay_alu instid0(VALU_DEP_1) | instskip(NEXT) | instid1(VALU_DEP_1)
	v_cmp_ne_u32_e64 s1, 0x7f800000, v21
                                        ; implicit-def: $vgpr21
	s_and_saveexec_b32 s3, s1
	s_delay_alu instid0(SALU_CYCLE_1)
	s_xor_b32 s1, exec_lo, s3
; %bb.63:                               ;   in Loop: Header=BB225_19 Depth=1
	v_bfe_u32 v21, v22, 16, 1
	s_delay_alu instid0(VALU_DEP_1)
	v_add3_u32 v21, v22, v21, 0x7fff
                                        ; implicit-def: $vgpr22
; %bb.64:                               ;   in Loop: Header=BB225_19 Depth=1
	s_and_not1_saveexec_b32 s3, s1
; %bb.65:                               ;   in Loop: Header=BB225_19 Depth=1
	v_and_b32_e32 v21, 0xffff, v22
	v_or_b32_e32 v26, 0x10000, v22
	s_delay_alu instid0(VALU_DEP_2) | instskip(NEXT) | instid1(VALU_DEP_1)
	v_cmp_eq_u32_e64 s1, 0, v21
	v_cndmask_b32_e64 v21, v26, v22, s1
; %bb.66:                               ;   in Loop: Header=BB225_19 Depth=1
	s_or_b32 exec_lo, exec_lo, s3
	v_mov_b32_e32 v52, v53
	s_delay_alu instid0(VALU_DEP_1) | instskip(NEXT) | instid1(VALU_DEP_1)
	v_lshlrev_b64 v[26:27], 1, v[51:52]
	v_add_co_u32 v26, s1, s10, v26
	s_delay_alu instid0(VALU_DEP_1) | instskip(SKIP_3) | instid1(VALU_DEP_1)
	v_add_co_ci_u32_e64 v27, s1, s11, v27, s1
	global_store_d16_hi_b16 v[26:27], v21, off
	s_or_b32 exec_lo, exec_lo, s2
	v_cmp_ne_u32_e64 s1, 0, v49
	s_and_saveexec_b32 s3, s1
	s_cbranch_execz .LBB225_55
.LBB225_67:                             ;   in Loop: Header=BB225_19 Depth=1
	s_waitcnt vmcnt(7) lgkmcnt(7)
	v_dual_add_f32 v18, v18, v19 :: v_dual_lshlrev_b32 v19, 16, v25
	s_delay_alu instid0(VALU_DEP_1) | instskip(NEXT) | instid1(VALU_DEP_1)
	v_add_f32_e32 v19, v18, v19
	v_and_b32_e32 v18, 0x7f800000, v19
	s_delay_alu instid0(VALU_DEP_1) | instskip(NEXT) | instid1(VALU_DEP_1)
	v_cmp_ne_u32_e64 s2, 0x7f800000, v18
                                        ; implicit-def: $vgpr18
	s_and_saveexec_b32 s19, s2
	s_delay_alu instid0(SALU_CYCLE_1)
	s_xor_b32 s2, exec_lo, s19
; %bb.68:                               ;   in Loop: Header=BB225_19 Depth=1
	v_bfe_u32 v18, v19, 16, 1
	s_delay_alu instid0(VALU_DEP_1)
	v_add3_u32 v18, v19, v18, 0x7fff
                                        ; implicit-def: $vgpr19
; %bb.69:                               ;   in Loop: Header=BB225_19 Depth=1
	s_and_not1_saveexec_b32 s19, s2
; %bb.70:                               ;   in Loop: Header=BB225_19 Depth=1
	v_and_b32_e32 v18, 0xffff, v19
	v_or_b32_e32 v21, 0x10000, v19
	s_delay_alu instid0(VALU_DEP_2) | instskip(NEXT) | instid1(VALU_DEP_1)
	v_cmp_eq_u32_e64 s2, 0, v18
	v_cndmask_b32_e64 v18, v21, v19, s2
; %bb.71:                               ;   in Loop: Header=BB225_19 Depth=1
	s_or_b32 exec_lo, exec_lo, s19
	v_mov_b32_e32 v56, v53
	s_delay_alu instid0(VALU_DEP_1) | instskip(NEXT) | instid1(VALU_DEP_1)
	v_lshlrev_b64 v[21:22], 1, v[55:56]
	v_add_co_u32 v21, s2, s10, v21
	s_delay_alu instid0(VALU_DEP_1) | instskip(SKIP_3) | instid1(VALU_DEP_1)
	v_add_co_ci_u32_e64 v22, s2, s11, v22, s2
	global_store_d16_hi_b16 v[21:22], v18, off
	s_or_b32 exec_lo, exec_lo, s3
	v_cmp_ne_u32_e64 s2, 0, v50
	s_and_saveexec_b32 s19, s2
	s_cbranch_execz .LBB225_56
.LBB225_72:                             ;   in Loop: Header=BB225_19 Depth=1
	s_waitcnt lgkmcnt(6)
	v_add_f32_e32 v15, v15, v16
	s_waitcnt vmcnt(6)
	v_lshlrev_b32_e32 v16, 16, v24
	s_delay_alu instid0(VALU_DEP_1) | instskip(NEXT) | instid1(VALU_DEP_1)
	v_add_f32_e32 v16, v15, v16
	v_and_b32_e32 v15, 0x7f800000, v16
	s_delay_alu instid0(VALU_DEP_1) | instskip(NEXT) | instid1(VALU_DEP_1)
	v_cmp_ne_u32_e64 s3, 0x7f800000, v15
                                        ; implicit-def: $vgpr15
	s_and_saveexec_b32 s29, s3
	s_delay_alu instid0(SALU_CYCLE_1)
	s_xor_b32 s3, exec_lo, s29
; %bb.73:                               ;   in Loop: Header=BB225_19 Depth=1
	v_bfe_u32 v15, v16, 16, 1
	s_delay_alu instid0(VALU_DEP_1)
	v_add3_u32 v15, v16, v15, 0x7fff
                                        ; implicit-def: $vgpr16
; %bb.74:                               ;   in Loop: Header=BB225_19 Depth=1
	s_and_not1_saveexec_b32 s29, s3
; %bb.75:                               ;   in Loop: Header=BB225_19 Depth=1
	v_and_b32_e32 v15, 0xffff, v16
	v_or_b32_e32 v18, 0x10000, v16
	s_delay_alu instid0(VALU_DEP_2) | instskip(NEXT) | instid1(VALU_DEP_1)
	v_cmp_eq_u32_e64 s3, 0, v15
	v_cndmask_b32_e64 v15, v18, v16, s3
; %bb.76:                               ;   in Loop: Header=BB225_19 Depth=1
	s_or_b32 exec_lo, exec_lo, s29
	v_mov_b32_e32 v55, v53
	s_delay_alu instid0(VALU_DEP_1) | instskip(NEXT) | instid1(VALU_DEP_1)
	v_lshlrev_b64 v[18:19], 1, v[54:55]
	v_add_co_u32 v18, s3, s10, v18
	s_delay_alu instid0(VALU_DEP_1)
	v_add_co_ci_u32_e64 v19, s3, s11, v19, s3
	global_store_d16_hi_b16 v[18:19], v15, off
	s_or_b32 exec_lo, exec_lo, s19
	v_add_nc_u32_e32 v52, s7, v51
	s_and_saveexec_b32 s19, vcc_lo
	s_cbranch_execz .LBB225_57
.LBB225_77:                             ;   in Loop: Header=BB225_19 Depth=1
	s_waitcnt lgkmcnt(5)
	v_add_f32_e32 v11, v11, v13
	s_waitcnt vmcnt(5)
	v_lshlrev_b32_e32 v13, 16, v23
	s_delay_alu instid0(VALU_DEP_1) | instskip(NEXT) | instid1(VALU_DEP_1)
	v_add_f32_e32 v13, v11, v13
	v_and_b32_e32 v11, 0x7f800000, v13
	s_delay_alu instid0(VALU_DEP_1) | instskip(NEXT) | instid1(VALU_DEP_1)
	v_cmp_ne_u32_e64 s3, 0x7f800000, v11
                                        ; implicit-def: $vgpr11
	s_and_saveexec_b32 s29, s3
	s_delay_alu instid0(SALU_CYCLE_1)
	s_xor_b32 s3, exec_lo, s29
; %bb.78:                               ;   in Loop: Header=BB225_19 Depth=1
	v_bfe_u32 v11, v13, 16, 1
	s_delay_alu instid0(VALU_DEP_1)
	v_add3_u32 v11, v13, v11, 0x7fff
                                        ; implicit-def: $vgpr13
; %bb.79:                               ;   in Loop: Header=BB225_19 Depth=1
	s_and_not1_saveexec_b32 s29, s3
; %bb.80:                               ;   in Loop: Header=BB225_19 Depth=1
	v_and_b32_e32 v11, 0xffff, v13
	v_or_b32_e32 v15, 0x10000, v13
	s_delay_alu instid0(VALU_DEP_2) | instskip(NEXT) | instid1(VALU_DEP_1)
	v_cmp_eq_u32_e64 s3, 0, v11
	v_cndmask_b32_e64 v11, v15, v13, s3
; %bb.81:                               ;   in Loop: Header=BB225_19 Depth=1
	s_or_b32 exec_lo, exec_lo, s29
	v_lshlrev_b64 v[15:16], 1, v[52:53]
	s_delay_alu instid0(VALU_DEP_1) | instskip(NEXT) | instid1(VALU_DEP_1)
	v_add_co_u32 v15, s3, s10, v15
	v_add_co_ci_u32_e64 v16, s3, s11, v16, s3
	global_store_d16_hi_b16 v[15:16], v11, off
	s_or_b32 exec_lo, exec_lo, s19
	s_and_saveexec_b32 s19, s1
	s_cbranch_execz .LBB225_58
.LBB225_82:                             ;   in Loop: Header=BB225_19 Depth=1
	s_waitcnt vmcnt(4) lgkmcnt(2)
	v_dual_add_f32 v9, v9, v10 :: v_dual_lshlrev_b32 v10, 16, v20
	s_delay_alu instid0(VALU_DEP_1) | instskip(NEXT) | instid1(VALU_DEP_1)
	v_add_f32_e32 v10, v9, v10
	v_and_b32_e32 v9, 0x7f800000, v10
	s_delay_alu instid0(VALU_DEP_1) | instskip(NEXT) | instid1(VALU_DEP_1)
	v_cmp_ne_u32_e64 s3, 0x7f800000, v9
                                        ; implicit-def: $vgpr9
	s_and_saveexec_b32 s29, s3
	s_delay_alu instid0(SALU_CYCLE_1)
	s_xor_b32 s3, exec_lo, s29
; %bb.83:                               ;   in Loop: Header=BB225_19 Depth=1
	v_bfe_u32 v9, v10, 16, 1
	s_delay_alu instid0(VALU_DEP_1)
	v_add3_u32 v9, v10, v9, 0x7fff
                                        ; implicit-def: $vgpr10
; %bb.84:                               ;   in Loop: Header=BB225_19 Depth=1
	s_and_not1_saveexec_b32 s29, s3
; %bb.85:                               ;   in Loop: Header=BB225_19 Depth=1
	v_and_b32_e32 v9, 0xffff, v10
	v_or_b32_e32 v11, 0x10000, v10
	s_delay_alu instid0(VALU_DEP_2) | instskip(NEXT) | instid1(VALU_DEP_1)
	v_cmp_eq_u32_e64 s3, 0, v9
	v_cndmask_b32_e64 v9, v11, v10, s3
; %bb.86:                               ;   in Loop: Header=BB225_19 Depth=1
	s_or_b32 exec_lo, exec_lo, s29
	v_dual_mov_b32 v11, v53 :: v_dual_add_nc_u32 v10, 1, v52
	s_delay_alu instid0(VALU_DEP_1) | instskip(NEXT) | instid1(VALU_DEP_1)
	v_lshlrev_b64 v[10:11], 1, v[10:11]
	v_add_co_u32 v10, s3, s10, v10
	s_delay_alu instid0(VALU_DEP_1)
	v_add_co_ci_u32_e64 v11, s3, s11, v11, s3
	global_store_d16_hi_b16 v[10:11], v9, off
	s_or_b32 exec_lo, exec_lo, s19
	s_and_saveexec_b32 s19, s2
	s_cbranch_execz .LBB225_59
.LBB225_87:                             ;   in Loop: Header=BB225_19 Depth=1
	s_waitcnt vmcnt(3) lgkmcnt(4)
	v_dual_add_f32 v6, v6, v7 :: v_dual_lshlrev_b32 v7, 16, v17
	s_delay_alu instid0(VALU_DEP_1) | instskip(NEXT) | instid1(VALU_DEP_1)
	v_add_f32_e32 v7, v6, v7
	v_and_b32_e32 v6, 0x7f800000, v7
	s_delay_alu instid0(VALU_DEP_1) | instskip(NEXT) | instid1(VALU_DEP_1)
	v_cmp_ne_u32_e64 s3, 0x7f800000, v6
                                        ; implicit-def: $vgpr6
	s_and_saveexec_b32 s29, s3
	s_delay_alu instid0(SALU_CYCLE_1)
	s_xor_b32 s3, exec_lo, s29
; %bb.88:                               ;   in Loop: Header=BB225_19 Depth=1
	v_bfe_u32 v6, v7, 16, 1
	s_delay_alu instid0(VALU_DEP_1)
	v_add3_u32 v6, v7, v6, 0x7fff
                                        ; implicit-def: $vgpr7
; %bb.89:                               ;   in Loop: Header=BB225_19 Depth=1
	s_and_not1_saveexec_b32 s29, s3
; %bb.90:                               ;   in Loop: Header=BB225_19 Depth=1
	v_and_b32_e32 v6, 0xffff, v7
	v_or_b32_e32 v9, 0x10000, v7
	s_delay_alu instid0(VALU_DEP_2) | instskip(NEXT) | instid1(VALU_DEP_1)
	v_cmp_eq_u32_e64 s3, 0, v6
	v_cndmask_b32_e64 v6, v9, v7, s3
; %bb.91:                               ;   in Loop: Header=BB225_19 Depth=1
	s_or_b32 exec_lo, exec_lo, s29
	s_waitcnt lgkmcnt(2)
	v_dual_mov_b32 v10, v53 :: v_dual_add_nc_u32 v9, 2, v52
	s_delay_alu instid0(VALU_DEP_1) | instskip(NEXT) | instid1(VALU_DEP_1)
	v_lshlrev_b64 v[9:10], 1, v[9:10]
	v_add_co_u32 v9, s3, s10, v9
	s_delay_alu instid0(VALU_DEP_1)
	v_add_co_ci_u32_e64 v10, s3, s11, v10, s3
	global_store_d16_hi_b16 v[9:10], v6, off
	s_or_b32 exec_lo, exec_lo, s19
	v_add_nc_u32_e32 v52, s7, v52
	s_and_saveexec_b32 s3, vcc_lo
	s_cbranch_execz .LBB225_60
.LBB225_92:                             ;   in Loop: Header=BB225_19 Depth=1
	s_waitcnt vmcnt(2) lgkmcnt(3)
	v_dual_add_f32 v4, v4, v5 :: v_dual_lshlrev_b32 v5, 16, v14
	s_delay_alu instid0(VALU_DEP_1) | instskip(NEXT) | instid1(VALU_DEP_1)
	v_add_f32_e32 v5, v4, v5
	v_and_b32_e32 v4, 0x7f800000, v5
	s_delay_alu instid0(VALU_DEP_1) | instskip(SKIP_1) | instid1(SALU_CYCLE_1)
	v_cmp_ne_u32_e32 vcc_lo, 0x7f800000, v4
                                        ; implicit-def: $vgpr4
	s_and_saveexec_b32 s19, vcc_lo
	s_xor_b32 s19, exec_lo, s19
; %bb.93:                               ;   in Loop: Header=BB225_19 Depth=1
	v_bfe_u32 v4, v5, 16, 1
	s_delay_alu instid0(VALU_DEP_1)
	v_add3_u32 v4, v5, v4, 0x7fff
                                        ; implicit-def: $vgpr5
; %bb.94:                               ;   in Loop: Header=BB225_19 Depth=1
	s_and_not1_saveexec_b32 s19, s19
; %bb.95:                               ;   in Loop: Header=BB225_19 Depth=1
	v_and_b32_e32 v4, 0xffff, v5
	v_or_b32_e32 v6, 0x10000, v5
	s_delay_alu instid0(VALU_DEP_2) | instskip(NEXT) | instid1(VALU_DEP_2)
	v_cmp_eq_u32_e32 vcc_lo, 0, v4
	v_cndmask_b32_e32 v4, v6, v5, vcc_lo
; %bb.96:                               ;   in Loop: Header=BB225_19 Depth=1
	s_or_b32 exec_lo, exec_lo, s19
	v_lshlrev_b64 v[5:6], 1, v[52:53]
	s_delay_alu instid0(VALU_DEP_1) | instskip(NEXT) | instid1(VALU_DEP_2)
	v_add_co_u32 v5, vcc_lo, s10, v5
	v_add_co_ci_u32_e32 v6, vcc_lo, s11, v6, vcc_lo
	global_store_d16_hi_b16 v[5:6], v4, off
	s_or_b32 exec_lo, exec_lo, s3
	s_and_saveexec_b32 s3, s1
	s_cbranch_execz .LBB225_61
.LBB225_97:                             ;   in Loop: Header=BB225_19 Depth=1
	s_waitcnt vmcnt(1) lgkmcnt(1)
	v_dual_add_f32 v2, v2, v3 :: v_dual_lshlrev_b32 v3, 16, v12
	s_delay_alu instid0(VALU_DEP_1) | instskip(NEXT) | instid1(VALU_DEP_1)
	v_add_f32_e32 v3, v2, v3
	v_and_b32_e32 v2, 0x7f800000, v3
	s_delay_alu instid0(VALU_DEP_1) | instskip(SKIP_1) | instid1(SALU_CYCLE_1)
	v_cmp_ne_u32_e32 vcc_lo, 0x7f800000, v2
                                        ; implicit-def: $vgpr2
	s_and_saveexec_b32 s1, vcc_lo
	s_xor_b32 s1, exec_lo, s1
; %bb.98:                               ;   in Loop: Header=BB225_19 Depth=1
	v_bfe_u32 v2, v3, 16, 1
	s_delay_alu instid0(VALU_DEP_1)
	v_add3_u32 v2, v3, v2, 0x7fff
                                        ; implicit-def: $vgpr3
; %bb.99:                               ;   in Loop: Header=BB225_19 Depth=1
	s_and_not1_saveexec_b32 s1, s1
; %bb.100:                              ;   in Loop: Header=BB225_19 Depth=1
	v_and_b32_e32 v2, 0xffff, v3
	v_or_b32_e32 v4, 0x10000, v3
	s_delay_alu instid0(VALU_DEP_2) | instskip(NEXT) | instid1(VALU_DEP_2)
	v_cmp_eq_u32_e32 vcc_lo, 0, v2
	v_cndmask_b32_e32 v2, v4, v3, vcc_lo
; %bb.101:                              ;   in Loop: Header=BB225_19 Depth=1
	s_or_b32 exec_lo, exec_lo, s1
	v_dual_mov_b32 v4, v53 :: v_dual_add_nc_u32 v3, 1, v52
	s_delay_alu instid0(VALU_DEP_1) | instskip(NEXT) | instid1(VALU_DEP_1)
	v_lshlrev_b64 v[3:4], 1, v[3:4]
	v_add_co_u32 v3, vcc_lo, s10, v3
	s_delay_alu instid0(VALU_DEP_2) | instskip(SKIP_2) | instid1(SALU_CYCLE_1)
	v_add_co_ci_u32_e32 v4, vcc_lo, s11, v4, vcc_lo
	global_store_d16_hi_b16 v[3:4], v2, off
	s_or_b32 exec_lo, exec_lo, s3
	s_and_b32 exec_lo, exec_lo, s2
	s_cbranch_execz .LBB225_107
.LBB225_102:                            ;   in Loop: Header=BB225_19 Depth=1
	s_waitcnt vmcnt(0) lgkmcnt(0)
	v_dual_add_f32 v0, v0, v1 :: v_dual_lshlrev_b32 v1, 16, v8
	s_delay_alu instid0(VALU_DEP_1) | instskip(NEXT) | instid1(VALU_DEP_1)
	v_add_f32_e32 v1, v0, v1
	v_and_b32_e32 v0, 0x7f800000, v1
	s_delay_alu instid0(VALU_DEP_1) | instskip(SKIP_1) | instid1(SALU_CYCLE_1)
	v_cmp_ne_u32_e32 vcc_lo, 0x7f800000, v0
                                        ; implicit-def: $vgpr0
	s_and_saveexec_b32 s1, vcc_lo
	s_xor_b32 s1, exec_lo, s1
; %bb.103:                              ;   in Loop: Header=BB225_19 Depth=1
	v_bfe_u32 v0, v1, 16, 1
	s_delay_alu instid0(VALU_DEP_1)
	v_add3_u32 v0, v1, v0, 0x7fff
                                        ; implicit-def: $vgpr1
; %bb.104:                              ;   in Loop: Header=BB225_19 Depth=1
	s_and_not1_saveexec_b32 s1, s1
; %bb.105:                              ;   in Loop: Header=BB225_19 Depth=1
	v_and_b32_e32 v0, 0xffff, v1
	v_or_b32_e32 v2, 0x10000, v1
	s_delay_alu instid0(VALU_DEP_2) | instskip(NEXT) | instid1(VALU_DEP_2)
	v_cmp_eq_u32_e32 vcc_lo, 0, v0
	v_cndmask_b32_e32 v0, v2, v1, vcc_lo
; %bb.106:                              ;   in Loop: Header=BB225_19 Depth=1
	s_or_b32 exec_lo, exec_lo, s1
	v_add_nc_u32_e32 v52, 2, v52
	s_delay_alu instid0(VALU_DEP_1) | instskip(NEXT) | instid1(VALU_DEP_1)
	v_lshlrev_b64 v[1:2], 1, v[52:53]
	v_add_co_u32 v1, vcc_lo, s10, v1
	s_delay_alu instid0(VALU_DEP_2)
	v_add_co_ci_u32_e32 v2, vcc_lo, s11, v2, vcc_lo
	global_store_d16_hi_b16 v[1:2], v0, off
.LBB225_107:                            ;   in Loop: Header=BB225_19 Depth=1
	s_or_b32 exec_lo, exec_lo, s18
	v_add_nc_u32_e32 v51, s25, v51
	s_delay_alu instid0(VALU_DEP_1) | instskip(SKIP_1) | instid1(VALU_DEP_2)
	v_add_nc_u32_e32 v0, 3, v51
	v_cmp_gt_u32_e32 vcc_lo, s7, v51
	v_cmp_le_u32_e64 s1, s7, v0
	s_delay_alu instid0(VALU_DEP_1) | instskip(NEXT) | instid1(SALU_CYCLE_1)
	s_and_b32 s1, vcc_lo, s1
	s_and_saveexec_b32 s29, s1
	s_cbranch_execz .LBB225_18
; %bb.108:                              ;   in Loop: Header=BB225_19 Depth=1
	s_mov_b32 s30, exec_lo
	v_cmpx_ne_u32_e64 s24, v51
	s_cbranch_execz .LBB225_17
; %bb.109:                              ;   in Loop: Header=BB225_19 Depth=1
	v_subrev_nc_u32_e32 v0, s24, v51
	s_mov_b32 s31, 0
	s_mov_b64 s[18:19], 0
	s_delay_alu instid0(VALU_DEP_1)
	v_cmp_lt_u32_e32 vcc_lo, 1, v0
	v_cndmask_b32_e32 v0, 1, v0, vcc_lo
	.p2align	6
.LBB225_110:                            ;   Parent Loop BB225_19 Depth=1
                                        ; =>  This Inner Loop Header: Depth=2
	s_cmp_lg_u32 s18, 2
	s_cselect_b32 vcc_lo, -1, 0
	s_cmp_lg_u32 s18, 1
	v_cndmask_b32_e32 v50, 0, v50, vcc_lo
	s_cselect_b32 s1, -1, 0
	s_cmp_lg_u32 s18, 0
	v_cndmask_b32_e64 v49, 0, v49, s1
	s_cselect_b32 s2, -1, 0
	s_add_u32 s18, s18, 1
	v_cndmask_b32_e64 v48, 0, v48, s2
	v_cmp_eq_u32_e64 s3, s18, v0
	s_addc_u32 s19, s19, 0
	s_delay_alu instid0(VALU_DEP_1) | instskip(NEXT) | instid1(SALU_CYCLE_1)
	s_or_b32 s31, s3, s31
	s_and_not1_b32 exec_lo, exec_lo, s31
	s_cbranch_execnz .LBB225_110
; %bb.111:                              ;   in Loop: Header=BB225_19 Depth=1
	s_or_b32 exec_lo, exec_lo, s31
	s_branch .LBB225_17
.LBB225_112:
	s_nop 0
	s_sendmsg sendmsg(MSG_DEALLOC_VGPRS)
	s_endpgm
	.section	.rodata,"a",@progbits
	.p2align	6, 0x0
	.amdhsa_kernel _Z12wvSplitK_hf_I14__hip_bfloat16Li32ELi3ELi16ELi8ELi2ELi3EEviiiiiiPKT_S3_S3_PS1_ii
		.amdhsa_group_segment_fixed_size 65536
		.amdhsa_private_segment_fixed_size 0
		.amdhsa_kernarg_size 64
		.amdhsa_user_sgpr_count 15
		.amdhsa_user_sgpr_dispatch_ptr 0
		.amdhsa_user_sgpr_queue_ptr 0
		.amdhsa_user_sgpr_kernarg_segment_ptr 1
		.amdhsa_user_sgpr_dispatch_id 0
		.amdhsa_user_sgpr_private_segment_size 0
		.amdhsa_wavefront_size32 1
		.amdhsa_uses_dynamic_stack 0
		.amdhsa_enable_private_segment 0
		.amdhsa_system_sgpr_workgroup_id_x 1
		.amdhsa_system_sgpr_workgroup_id_y 0
		.amdhsa_system_sgpr_workgroup_id_z 0
		.amdhsa_system_sgpr_workgroup_info 0
		.amdhsa_system_vgpr_workitem_id 1
		.amdhsa_next_free_vgpr 101
		.amdhsa_next_free_sgpr 32
		.amdhsa_reserve_vcc 1
		.amdhsa_float_round_mode_32 0
		.amdhsa_float_round_mode_16_64 0
		.amdhsa_float_denorm_mode_32 3
		.amdhsa_float_denorm_mode_16_64 3
		.amdhsa_dx10_clamp 1
		.amdhsa_ieee_mode 1
		.amdhsa_fp16_overflow 0
		.amdhsa_workgroup_processor_mode 1
		.amdhsa_memory_ordered 1
		.amdhsa_forward_progress 0
		.amdhsa_shared_vgpr_count 0
		.amdhsa_exception_fp_ieee_invalid_op 0
		.amdhsa_exception_fp_denorm_src 0
		.amdhsa_exception_fp_ieee_div_zero 0
		.amdhsa_exception_fp_ieee_overflow 0
		.amdhsa_exception_fp_ieee_underflow 0
		.amdhsa_exception_fp_ieee_inexact 0
		.amdhsa_exception_int_div_zero 0
	.end_amdhsa_kernel
	.section	.text._Z12wvSplitK_hf_I14__hip_bfloat16Li32ELi3ELi16ELi8ELi2ELi3EEviiiiiiPKT_S3_S3_PS1_ii,"axG",@progbits,_Z12wvSplitK_hf_I14__hip_bfloat16Li32ELi3ELi16ELi8ELi2ELi3EEviiiiiiPKT_S3_S3_PS1_ii,comdat
.Lfunc_end225:
	.size	_Z12wvSplitK_hf_I14__hip_bfloat16Li32ELi3ELi16ELi8ELi2ELi3EEviiiiiiPKT_S3_S3_PS1_ii, .Lfunc_end225-_Z12wvSplitK_hf_I14__hip_bfloat16Li32ELi3ELi16ELi8ELi2ELi3EEviiiiiiPKT_S3_S3_PS1_ii
                                        ; -- End function
	.section	.AMDGPU.csdata,"",@progbits
; Kernel info:
; codeLenInByte = 7240
; NumSgprs: 34
; NumVgprs: 101
; ScratchSize: 0
; MemoryBound: 0
; FloatMode: 240
; IeeeMode: 1
; LDSByteSize: 65536 bytes/workgroup (compile time only)
; SGPRBlocks: 4
; VGPRBlocks: 12
; NumSGPRsForWavesPerEU: 34
; NumVGPRsForWavesPerEU: 101
; Occupancy: 8
; WaveLimiterHint : 0
; COMPUTE_PGM_RSRC2:SCRATCH_EN: 0
; COMPUTE_PGM_RSRC2:USER_SGPR: 15
; COMPUTE_PGM_RSRC2:TRAP_HANDLER: 0
; COMPUTE_PGM_RSRC2:TGID_X_EN: 1
; COMPUTE_PGM_RSRC2:TGID_Y_EN: 0
; COMPUTE_PGM_RSRC2:TGID_Z_EN: 0
; COMPUTE_PGM_RSRC2:TIDIG_COMP_CNT: 1
	.section	.text._Z16wvSplitK_hf_big_I14__hip_bfloat16Li32ELi3ELi16ELi8ELi2ELi3EEviiiiiiPKT_S3_S3_PS1_ii,"axG",@progbits,_Z16wvSplitK_hf_big_I14__hip_bfloat16Li32ELi3ELi16ELi8ELi2ELi3EEviiiiiiPKT_S3_S3_PS1_ii,comdat
	.protected	_Z16wvSplitK_hf_big_I14__hip_bfloat16Li32ELi3ELi16ELi8ELi2ELi3EEviiiiiiPKT_S3_S3_PS1_ii ; -- Begin function _Z16wvSplitK_hf_big_I14__hip_bfloat16Li32ELi3ELi16ELi8ELi2ELi3EEviiiiiiPKT_S3_S3_PS1_ii
	.globl	_Z16wvSplitK_hf_big_I14__hip_bfloat16Li32ELi3ELi16ELi8ELi2ELi3EEviiiiiiPKT_S3_S3_PS1_ii
	.p2align	8
	.type	_Z16wvSplitK_hf_big_I14__hip_bfloat16Li32ELi3ELi16ELi8ELi2ELi3EEviiiiiiPKT_S3_S3_PS1_ii,@function
_Z16wvSplitK_hf_big_I14__hip_bfloat16Li32ELi3ELi16ELi8ELi2ELi3EEviiiiiiPKT_S3_S3_PS1_ii: ; @_Z16wvSplitK_hf_big_I14__hip_bfloat16Li32ELi3ELi16ELi8ELi2ELi3EEviiiiiiPKT_S3_S3_PS1_ii
; %bb.0:
	s_load_b64 s[20:21], s[0:1], 0x38
	v_bfe_u32 v1, v0, 10, 10
	s_mov_b32 s2, exec_lo
	s_waitcnt lgkmcnt(0)
	s_delay_alu instid0(VALU_DEP_1)
	v_cmpx_gt_u32_e64 s20, v1
	s_cbranch_execz .LBB226_94
; %bb.1:
	s_load_b128 s[16:19], s[0:1], 0x0
	v_mad_u64_u32 v[2:3], null, s15, s20, v[1:2]
	s_mov_b32 s4, 1
	s_delay_alu instid0(SALU_CYCLE_1) | instskip(SKIP_1) | instid1(SALU_CYCLE_1)
	s_mov_b32 s5, s4
	s_mov_b32 s6, s4
	v_mov_b32_e32 v50, s6
	s_delay_alu instid0(VALU_DEP_2) | instskip(SKIP_1) | instid1(VALU_DEP_2)
	v_lshl_add_u32 v51, v2, 1, v2
	v_dual_mov_b32 v48, s4 :: v_dual_mov_b32 v49, s5
	v_add_nc_u32_e32 v2, 3, v51
	s_waitcnt lgkmcnt(0)
	v_cmp_gt_u32_e32 vcc_lo, s19, v51
	s_delay_alu instid0(VALU_DEP_2) | instskip(NEXT) | instid1(VALU_DEP_1)
	v_cmp_le_u32_e64 s2, s19, v2
	s_and_b32 s2, vcc_lo, s2
	s_delay_alu instid0(SALU_CYCLE_1)
	s_and_saveexec_b32 s7, s2
	s_cbranch_execz .LBB226_7
; %bb.2:
	v_dual_mov_b32 v50, s6 :: v_dual_mov_b32 v49, s5
	v_mov_b32_e32 v48, s4
	s_add_i32 s8, s19, -3
	s_mov_b32 s9, exec_lo
	v_cmpx_ne_u32_e64 s8, v51
	s_cbranch_execz .LBB226_6
; %bb.3:
	v_subrev_nc_u32_e32 v2, s8, v51
	s_mov_b32 s10, 0
	s_mov_b64 s[2:3], 0
	s_mov_b32 s5, s4
	s_mov_b32 s6, s4
	v_cmp_lt_u32_e32 vcc_lo, 1, v2
	v_cndmask_b32_e32 v2, 1, v2, vcc_lo
.LBB226_4:                              ; =>This Inner Loop Header: Depth=1
	s_cmp_lg_u32 s2, 2
	s_cselect_b32 s6, s6, 0
	s_cmp_lg_u32 s2, 1
	s_cselect_b32 s5, s5, 0
	;; [unrolled: 2-line block ×3, first 2 shown]
	s_add_u32 s2, s2, 1
	v_dual_mov_b32 v50, s6 :: v_dual_mov_b32 v49, s5
	v_cmp_eq_u32_e32 vcc_lo, s2, v2
	v_mov_b32_e32 v48, s4
	s_addc_u32 s3, s3, 0
	s_or_b32 s10, vcc_lo, s10
	s_delay_alu instid0(SALU_CYCLE_1)
	s_and_not1_b32 exec_lo, exec_lo, s10
	s_cbranch_execnz .LBB226_4
; %bb.5:
	s_or_b32 exec_lo, exec_lo, s10
	v_mov_b32_e32 v51, s8
.LBB226_6:
	s_or_b32 exec_lo, exec_lo, s9
.LBB226_7:
	s_delay_alu instid0(SALU_CYCLE_1)
	s_or_b32 exec_lo, exec_lo, s7
	s_mul_i32 s2, s20, 3
	s_abs_i32 s6, s19
	s_abs_i32 s3, s2
	s_mov_b32 s23, 0
	v_cvt_f32_u32_e32 v2, s3
	s_sub_i32 s5, 0, s3
	s_delay_alu instid0(VALU_DEP_1) | instskip(SKIP_2) | instid1(VALU_DEP_1)
	v_rcp_iflag_f32_e32 v2, v2
	s_waitcnt_depctr 0xfff
	v_mul_f32_e32 v2, 0x4f7ffffe, v2
	v_cvt_u32_f32_e32 v2, v2
	s_delay_alu instid0(VALU_DEP_1) | instskip(NEXT) | instid1(VALU_DEP_1)
	v_readfirstlane_b32 s4, v2
	s_mul_i32 s5, s5, s4
	s_delay_alu instid0(SALU_CYCLE_1) | instskip(NEXT) | instid1(SALU_CYCLE_1)
	s_mul_hi_u32 s5, s4, s5
	s_add_i32 s4, s4, s5
	s_ashr_i32 s5, s19, 31
	s_mul_hi_u32 s4, s6, s4
	s_delay_alu instid0(SALU_CYCLE_1) | instskip(NEXT) | instid1(SALU_CYCLE_1)
	s_mul_i32 s4, s4, s3
	s_sub_i32 s4, s6, s4
	s_delay_alu instid0(SALU_CYCLE_1) | instskip(SKIP_2) | instid1(SALU_CYCLE_1)
	s_sub_i32 s6, s4, s3
	s_cmp_ge_u32 s4, s3
	s_cselect_b32 s4, s6, s4
	s_sub_i32 s6, s4, s3
	s_cmp_ge_u32 s4, s3
	s_cselect_b32 s3, s6, s4
	s_add_i32 s4, s2, s19
	s_xor_b32 s3, s3, s5
	s_delay_alu instid0(SALU_CYCLE_1) | instskip(NEXT) | instid1(SALU_CYCLE_1)
	s_sub_i32 s3, s3, s5
	s_sub_i32 s4, s4, s3
	s_cmp_eq_u32 s3, 0
	s_cselect_b32 s22, s19, s4
	s_delay_alu instid0(SALU_CYCLE_1)
	v_cmp_gt_u32_e32 vcc_lo, s22, v51
	s_and_b32 exec_lo, exec_lo, vcc_lo
	s_cbranch_execz .LBB226_94
; %bb.8:
	s_load_b256 s[4:11], s[0:1], 0x10
	s_min_u32 s24, s18, 0x2a00
	s_cmp_lg_u32 s16, 0
	s_load_b64 s[12:13], s[0:1], 0x30
	s_cselect_b32 s25, -1, 0
	s_cmp_lg_u32 s18, 0
	v_and_b32_e32 v0, 0x3ff, v0
	s_cselect_b32 s26, -1, 0
	s_lshl_b32 s27, s20, 8
	s_add_i32 s28, s16, -8
	s_add_i32 s29, s19, -1
	v_lshlrev_b32_e32 v62, 3, v0
	v_cmp_eq_u32_e64 s0, 31, v0
	v_lshlrev_b32_e32 v0, 4, v0
	v_mbcnt_lo_u32_b32 v61, -1, 0
	s_delay_alu instid0(VALU_DEP_4) | instskip(NEXT) | instid1(VALU_DEP_3)
	v_lshl_add_u32 v63, v1, 8, v62
	v_lshl_add_u32 v64, v1, 9, v0
	s_waitcnt lgkmcnt(0)
	s_cmp_lg_u64 s[10:11], 0
	v_cvt_f32_u32_e32 v3, s4
	s_cselect_b32 s30, -1, 0
	s_abs_i32 s3, s5
	s_mul_i32 s5, s2, s21
	v_cvt_f32_u32_e32 v2, s3
	v_rcp_iflag_f32_e32 v3, v3
	s_sub_i32 s2, 0, s3
	s_add_i32 s21, s19, -3
	s_sub_i32 s14, 0, s4
	v_rcp_iflag_f32_e32 v2, v2
	s_sub_i32 s15, 1, s3
	v_lshl_add_u32 v65, s18, 1, v63
	v_add_nc_u32_e32 v66, s18, v63
	s_waitcnt_depctr 0xfff
	v_mul_f32_e32 v2, 0x4f7ffffe, v2
	s_delay_alu instid0(VALU_DEP_1) | instskip(NEXT) | instid1(VALU_DEP_1)
	v_cvt_u32_f32_e32 v2, v2
	v_readfirstlane_b32 s1, v2
	v_mul_f32_e32 v2, 0x4f7ffffe, v3
	s_delay_alu instid0(VALU_DEP_2) | instskip(NEXT) | instid1(VALU_DEP_1)
	s_mul_i32 s2, s2, s1
	v_cvt_u32_f32_e32 v2, v2
	s_mul_hi_u32 s2, s1, s2
	s_delay_alu instid0(SALU_CYCLE_1) | instskip(SKIP_1) | instid1(VALU_DEP_1)
	s_add_i32 s1, s1, s2
	s_cmp_lt_u32 s3, 2
	v_mul_lo_u32 v3, s14, v2
	s_cselect_b32 s2, s15, 1
	s_delay_alu instid0(SALU_CYCLE_1) | instskip(SKIP_3) | instid1(VALU_DEP_1)
	s_sub_i32 s14, s2, s3
	s_cmp_ge_u32 s2, s3
	s_cselect_b32 s31, s14, s2
	s_lshr_b32 s1, s1, 31
	v_mul_hi_u32 v3, v2, v3
	s_mul_i32 s1, s1, s3
	v_mov_b32_e32 v54, 0
	s_sub_i32 s1, 2, s1
	s_mul_i32 s31, s31, s4
	s_sub_i32 s2, s1, s3
	s_cmp_ge_u32 s1, s3
	s_delay_alu instid0(VALU_DEP_2) | instskip(SKIP_1) | instid1(SALU_CYCLE_1)
	v_add_nc_u32_e32 v67, v2, v3
	s_cselect_b32 s1, s2, s1
	s_sub_i32 s2, s1, s3
	s_cmp_ge_u32 s1, s3
	s_cselect_b32 s36, s2, s1
	s_add_u32 s33, s12, 2
	s_addc_u32 s34, s13, 0
	s_lshl_b32 s35, s24, 2
	s_lshl_b32 s20, s20, 9
	s_mul_i32 s36, s36, s4
	s_lshl_b32 s37, s24, 1
	s_branch .LBB226_12
.LBB226_9:                              ;   in Loop: Header=BB226_12 Depth=1
	s_or_b32 exec_lo, exec_lo, s40
	v_mov_b32_e32 v51, s21
.LBB226_10:                             ;   in Loop: Header=BB226_12 Depth=1
	s_or_b32 exec_lo, exec_lo, s39
.LBB226_11:                             ;   in Loop: Header=BB226_12 Depth=1
	s_delay_alu instid0(SALU_CYCLE_1) | instskip(NEXT) | instid1(VALU_DEP_1)
	s_or_b32 exec_lo, exec_lo, s38
	v_cmp_le_u32_e32 vcc_lo, s22, v51
	s_or_b32 s23, vcc_lo, s23
	s_delay_alu instid0(SALU_CYCLE_1)
	s_and_not1_b32 exec_lo, exec_lo, s23
	s_cbranch_execz .LBB226_94
.LBB226_12:                             ; =>This Loop Header: Depth=1
                                        ;     Child Loop BB226_17 Depth 2
                                        ;       Child Loop BB226_22 Depth 3
                                        ;     Child Loop BB226_92 Depth 2
	v_mov_b32_e32 v52, v54
	v_mov_b32_e32 v68, v54
	;; [unrolled: 1-line block ×9, first 2 shown]
	s_and_not1_b32 vcc_lo, exec_lo, s25
	s_mov_b32 s3, 0
	s_cbranch_vccnz .LBB226_29
; %bb.13:                               ;   in Loop: Header=BB226_12 Depth=1
	v_add_nc_u32_e32 v0, 1, v51
	s_waitcnt lgkmcnt(0)
	v_dual_mov_b32 v74, 0 :: v_dual_add_nc_u32 v1, 2, v51
	v_min_u32_e32 v2, s29, v51
	v_dual_mov_b32 v3, v54 :: v_dual_mov_b32 v72, 0
	s_delay_alu instid0(VALU_DEP_3)
	v_min_u32_e32 v4, s29, v1
	v_mov_b32_e32 v1, v54
	v_min_u32_e32 v0, s29, v0
	v_mul_lo_u32 v53, v2, s17
	v_cmp_gt_u32_e64 s1, s19, v51
	v_mul_lo_u32 v2, v4, s17
	v_dual_mov_b32 v75, 0 :: v_dual_mov_b32 v70, 0
	v_mul_lo_u32 v0, v0, s17
	v_dual_mov_b32 v73, 0 :: v_dual_mov_b32 v68, 0
	v_lshlrev_b64 v[55:56], 1, v[53:54]
	v_dual_mov_b32 v71, 0 :: v_dual_mov_b32 v52, 0
	v_lshlrev_b64 v[59:60], 1, v[2:3]
	v_mov_b32_e32 v69, 0
	v_lshlrev_b64 v[57:58], 1, v[0:1]
	s_mov_b32 s14, 0
	s_branch .LBB226_17
.LBB226_14:                             ;   in Loop: Header=BB226_17 Depth=2
	s_or_b32 exec_lo, exec_lo, s38
.LBB226_15:                             ;   in Loop: Header=BB226_17 Depth=2
	s_delay_alu instid0(SALU_CYCLE_1)
	s_or_b32 exec_lo, exec_lo, s15
	s_waitcnt lgkmcnt(2)
	v_and_b32_e32 v77, 0xffff0000, v45
	s_waitcnt vmcnt(4)
	v_and_b32_e32 v86, 0xffff0000, v37
	v_lshlrev_b32_e32 v45, 16, v45
	v_and_b32_e32 v82, 0xffff0000, v42
	v_lshlrev_b32_e32 v37, 16, v37
	s_waitcnt vmcnt(3)
	v_dual_mul_f32 v88, v77, v86 :: v_dual_and_b32 v89, 0xffff0000, v29
	v_and_b32_e32 v81, 0xffff0000, v46
	v_and_b32_e32 v76, 0xffff0000, v40
	v_lshlrev_b32_e32 v46, 16, v46
	s_delay_alu instid0(VALU_DEP_4) | instskip(NEXT) | instid1(VALU_DEP_4)
	v_fmac_f32_e32 v88, v45, v37
	v_dual_mul_f32 v83, v81, v82 :: v_dual_and_b32 v78, 0xffff0000, v41
	v_and_b32_e32 v53, 0xffff0000, v44
	v_lshlrev_b32_e32 v44, 16, v44
	s_delay_alu instid0(VALU_DEP_3) | instskip(NEXT) | instid1(VALU_DEP_3)
	v_mul_f32_e32 v80, v77, v78
	v_dual_mul_f32 v79, v53, v76 :: v_dual_lshlrev_b32 v42, 16, v42
	s_delay_alu instid0(VALU_DEP_1) | instskip(NEXT) | instid1(VALU_DEP_1)
	v_dual_fmac_f32 v83, v46, v42 :: v_dual_lshlrev_b32 v40, 16, v40
	v_fmac_f32_e32 v79, v44, v40
	s_delay_alu instid0(VALU_DEP_1) | instskip(SKIP_1) | instid1(VALU_DEP_1)
	v_add_f32_e32 v75, v75, v79
	v_and_b32_e32 v79, 0xffff0000, v36
	v_dual_mul_f32 v85, v53, v79 :: v_dual_lshlrev_b32 v36, 16, v36
	s_delay_alu instid0(VALU_DEP_1) | instskip(NEXT) | instid1(VALU_DEP_1)
	v_dual_fmac_f32 v85, v44, v36 :: v_dual_and_b32 v84, 0xffff0000, v43
	v_add_f32_e32 v73, v73, v85
	s_delay_alu instid0(VALU_DEP_1) | instskip(SKIP_2) | instid1(VALU_DEP_1)
	v_dual_add_f32 v73, v73, v88 :: v_dual_and_b32 v88, 0xffff0000, v39
	v_lshlrev_b32_e32 v39, 16, v39
	v_lshlrev_b32_e32 v41, 16, v41
	v_fmac_f32_e32 v80, v45, v41
	s_delay_alu instid0(VALU_DEP_1) | instskip(NEXT) | instid1(VALU_DEP_1)
	v_add_f32_e32 v75, v75, v80
	v_add_f32_e32 v75, v75, v83
	v_and_b32_e32 v83, 0xffff0000, v38
	s_delay_alu instid0(VALU_DEP_1) | instskip(NEXT) | instid1(VALU_DEP_1)
	v_dual_mul_f32 v85, v81, v83 :: v_dual_lshlrev_b32 v38, 16, v38
	v_dual_fmac_f32 v85, v46, v38 :: v_dual_and_b32 v80, 0xffff0000, v47
	s_delay_alu instid0(VALU_DEP_1)
	v_mul_f32_e32 v87, v80, v84
	v_dual_mul_f32 v90, v80, v88 :: v_dual_lshlrev_b32 v47, 16, v47
	v_lshlrev_b32_e32 v29, 16, v29
	v_lshlrev_b32_e32 v43, 16, v43
	v_add_f32_e32 v73, v73, v85
	s_waitcnt lgkmcnt(1)
	v_and_b32_e32 v85, 0xffff0000, v33
	s_delay_alu instid0(VALU_DEP_3) | instskip(NEXT) | instid1(VALU_DEP_1)
	v_fmac_f32_e32 v87, v47, v43
	v_add_f32_e32 v75, v75, v87
	v_and_b32_e32 v87, 0xffff0000, v28
	s_delay_alu instid0(VALU_DEP_1) | instskip(NEXT) | instid1(VALU_DEP_1)
	v_dual_mul_f32 v53, v53, v87 :: v_dual_lshlrev_b32 v28, 16, v28
	v_dual_fmac_f32 v53, v44, v28 :: v_dual_mul_f32 v44, v77, v89
	v_fmac_f32_e32 v90, v47, v39
	s_delay_alu instid0(VALU_DEP_2) | instskip(NEXT) | instid1(VALU_DEP_2)
	v_fmac_f32_e32 v44, v45, v29
	v_add_f32_e32 v73, v73, v90
	v_and_b32_e32 v90, 0xffff0000, v34
	v_dual_add_f32 v53, v74, v53 :: v_dual_lshlrev_b32 v34, 16, v34
	v_and_b32_e32 v74, 0xffff0000, v32
	v_lshlrev_b32_e32 v32, 16, v32
	s_delay_alu instid0(VALU_DEP_3) | instskip(SKIP_3) | instid1(VALU_DEP_3)
	v_dual_add_f32 v44, v53, v44 :: v_dual_lshlrev_b32 v33, 16, v33
	v_and_b32_e32 v53, 0xffff0000, v31
	v_and_b32_e32 v77, 0xffff0000, v30
	v_lshlrev_b32_e32 v30, 16, v30
	v_dual_mul_f32 v80, v80, v53 :: v_dual_lshlrev_b32 v31, 16, v31
	s_delay_alu instid0(VALU_DEP_1) | instskip(NEXT) | instid1(VALU_DEP_1)
	v_dual_mul_f32 v45, v81, v77 :: v_dual_fmac_f32 v80, v47, v31
	v_fmac_f32_e32 v45, v46, v30
	s_delay_alu instid0(VALU_DEP_1) | instskip(NEXT) | instid1(VALU_DEP_1)
	v_dual_mul_f32 v81, v74, v76 :: v_dual_add_f32 v44, v44, v45
	v_dual_mul_f32 v45, v74, v79 :: v_dual_add_f32 v44, v44, v80
	s_delay_alu instid0(VALU_DEP_2) | instskip(SKIP_1) | instid1(VALU_DEP_2)
	v_dual_fmac_f32 v81, v32, v40 :: v_dual_mul_f32 v46, v85, v78
	v_mul_f32_e32 v74, v74, v87
	v_add_f32_e32 v72, v72, v81
	s_delay_alu instid0(VALU_DEP_2) | instskip(NEXT) | instid1(VALU_DEP_4)
	v_fmac_f32_e32 v74, v32, v28
	v_dual_fmac_f32 v46, v33, v41 :: v_dual_and_b32 v47, 0xffff0000, v35
	v_mul_f32_e32 v81, v90, v82
	s_delay_alu instid0(VALU_DEP_3) | instskip(NEXT) | instid1(VALU_DEP_3)
	v_add_f32_e32 v70, v70, v74
	v_add_f32_e32 v46, v72, v46
	v_dual_fmac_f32 v45, v32, v36 :: v_dual_mul_f32 v72, v85, v86
	s_delay_alu instid0(VALU_DEP_1) | instskip(NEXT) | instid1(VALU_DEP_2)
	v_add_f32_e32 v45, v71, v45
	v_dual_fmac_f32 v72, v33, v37 :: v_dual_mul_f32 v71, v90, v83
	s_delay_alu instid0(VALU_DEP_1) | instskip(NEXT) | instid1(VALU_DEP_2)
	v_add_f32_e32 v45, v45, v72
	v_dual_mul_f32 v72, v47, v88 :: v_dual_fmac_f32 v71, v34, v38
	s_delay_alu instid0(VALU_DEP_1) | instskip(SKIP_4) | instid1(VALU_DEP_3)
	v_add_f32_e32 v45, v45, v71
	s_waitcnt lgkmcnt(0)
	v_and_b32_e32 v71, 0xffff0000, v24
	v_lshlrev_b32_e32 v35, 16, v35
	v_lshlrev_b32_e32 v24, 16, v24
	v_dual_mul_f32 v74, v71, v76 :: v_dual_fmac_f32 v81, v34, v42
	s_delay_alu instid0(VALU_DEP_3) | instskip(NEXT) | instid1(VALU_DEP_2)
	v_fmac_f32_e32 v72, v35, v39
	v_fmac_f32_e32 v74, v24, v40
	s_delay_alu instid0(VALU_DEP_3) | instskip(NEXT) | instid1(VALU_DEP_1)
	v_dual_add_f32 v46, v46, v81 :: v_dual_mul_f32 v81, v47, v84
	v_fmac_f32_e32 v81, v35, v43
	s_delay_alu instid0(VALU_DEP_1) | instskip(SKIP_1) | instid1(VALU_DEP_1)
	v_add_f32_e32 v32, v46, v81
	v_mul_f32_e32 v46, v85, v89
	v_fmac_f32_e32 v46, v33, v29
	s_delay_alu instid0(VALU_DEP_1) | instskip(SKIP_1) | instid1(VALU_DEP_1)
	v_add_f32_e32 v46, v70, v46
	v_and_b32_e32 v70, 0xffff0000, v25
	v_dual_mul_f32 v40, v70, v78 :: v_dual_lshlrev_b32 v25, 16, v25
	s_delay_alu instid0(VALU_DEP_1) | instskip(SKIP_1) | instid1(VALU_DEP_1)
	v_fmac_f32_e32 v40, v25, v41
	v_mul_f32_e32 v33, v90, v77
	v_dual_fmac_f32 v33, v34, v30 :: v_dual_mul_f32 v34, v47, v53
	v_mul_f32_e32 v47, v71, v79
	s_delay_alu instid0(VALU_DEP_1) | instskip(NEXT) | instid1(VALU_DEP_3)
	v_dual_fmac_f32 v34, v35, v31 :: v_dual_fmac_f32 v47, v24, v36
	v_dual_add_f32 v33, v46, v33 :: v_dual_and_b32 v36, 0xffff0000, v27
	v_and_b32_e32 v46, 0xffff0000, v26
	v_add_f32_e32 v35, v69, v74
	v_lshlrev_b32_e32 v26, 16, v26
	s_delay_alu instid0(VALU_DEP_3) | instskip(NEXT) | instid1(VALU_DEP_1)
	v_mul_f32_e32 v41, v46, v82
	v_dual_fmac_f32 v41, v26, v42 :: v_dual_add_f32 v42, v68, v47
	s_delay_alu instid0(VALU_DEP_4) | instskip(SKIP_1) | instid1(VALU_DEP_1)
	v_dual_add_f32 v33, v33, v34 :: v_dual_add_f32 v34, v35, v40
	v_dual_mul_f32 v35, v70, v86 :: v_dual_mul_f32 v40, v71, v87
	v_dual_fmac_f32 v35, v25, v37 :: v_dual_fmac_f32 v40, v24, v28
	v_dual_mul_f32 v24, v70, v89 :: v_dual_add_f32 v45, v45, v72
	s_delay_alu instid0(VALU_DEP_2) | instskip(NEXT) | instid1(VALU_DEP_2)
	v_dual_add_f32 v28, v42, v35 :: v_dual_add_f32 v35, v52, v40
	v_fmac_f32_e32 v24, v25, v29
	s_waitcnt vmcnt(1)
	v_and_b32_e32 v52, 0xffff0000, v15
	s_delay_alu instid0(VALU_DEP_2) | instskip(SKIP_1) | instid1(VALU_DEP_2)
	v_dual_add_f32 v24, v35, v24 :: v_dual_mul_f32 v37, v46, v83
	v_add_f32_e32 v34, v34, v41
	v_fmac_f32_e32 v37, v26, v38
	s_delay_alu instid0(VALU_DEP_1) | instskip(SKIP_1) | instid1(VALU_DEP_1)
	v_add_f32_e32 v25, v28, v37
	v_dual_mul_f32 v28, v46, v77 :: v_dual_lshlrev_b32 v27, 16, v27
	v_fmac_f32_e32 v28, v26, v30
	v_and_b32_e32 v30, 0xffff0000, v17
	s_delay_alu instid0(VALU_DEP_2)
	v_add_f32_e32 v24, v24, v28
	v_and_b32_e32 v28, 0xffff0000, v21
	v_and_b32_e32 v35, 0xffff0000, v20
	v_lshlrev_b32_e32 v21, 16, v21
	v_lshlrev_b32_e32 v17, 16, v17
	;; [unrolled: 1-line block ×3, first 2 shown]
	v_dual_mul_f32 v38, v28, v30 :: v_dual_and_b32 v37, 0xffff0000, v16
	v_lshlrev_b32_e32 v16, 16, v16
	s_delay_alu instid0(VALU_DEP_2) | instskip(NEXT) | instid1(VALU_DEP_3)
	v_dual_fmac_f32 v38, v21, v17 :: v_dual_mul_f32 v47, v36, v84
	v_mul_f32_e32 v26, v35, v37
	s_delay_alu instid0(VALU_DEP_1) | instskip(SKIP_2) | instid1(VALU_DEP_3)
	v_dual_fmac_f32 v47, v27, v43 :: v_dual_fmac_f32 v26, v20, v16
	v_mul_f32_e32 v29, v36, v88
	v_mul_f32_e32 v36, v36, v53
	v_add_f32_e32 v34, v34, v47
	s_delay_alu instid0(VALU_DEP_4) | instskip(NEXT) | instid1(VALU_DEP_4)
	v_add_f32_e32 v26, v75, v26
	v_fmac_f32_e32 v29, v27, v39
	s_delay_alu instid0(VALU_DEP_4) | instskip(SKIP_1) | instid1(VALU_DEP_3)
	v_dual_fmac_f32 v36, v27, v31 :: v_dual_and_b32 v27, 0xffff0000, v22
	v_lshlrev_b32_e32 v22, 16, v22
	v_dual_add_f32 v26, v26, v38 :: v_dual_add_f32 v25, v25, v29
	v_and_b32_e32 v41, 0xffff0000, v13
	v_and_b32_e32 v38, 0xffff0000, v19
	;; [unrolled: 1-line block ×3, first 2 shown]
	v_dual_add_f32 v24, v24, v36 :: v_dual_and_b32 v31, 0xffff0000, v18
	v_and_b32_e32 v36, 0xffff0000, v23
	s_delay_alu instid0(VALU_DEP_3) | instskip(NEXT) | instid1(VALU_DEP_3)
	v_mul_f32_e32 v40, v35, v29
	v_dual_mul_f32 v39, v27, v31 :: v_dual_lshlrev_b32 v18, 16, v18
	s_delay_alu instid0(VALU_DEP_3) | instskip(NEXT) | instid1(VALU_DEP_2)
	v_mul_f32_e32 v53, v36, v52
	v_fmac_f32_e32 v39, v22, v18
	s_delay_alu instid0(VALU_DEP_1) | instskip(SKIP_1) | instid1(VALU_DEP_1)
	v_dual_add_f32 v26, v26, v39 :: v_dual_mul_f32 v39, v28, v41
	v_dual_mul_f32 v42, v36, v38 :: v_dual_lshlrev_b32 v13, 16, v13
	v_dual_fmac_f32 v39, v21, v13 :: v_dual_lshlrev_b32 v12, 16, v12
	s_delay_alu instid0(VALU_DEP_1) | instskip(NEXT) | instid1(VALU_DEP_1)
	v_dual_fmac_f32 v40, v20, v12 :: v_dual_lshlrev_b32 v23, 16, v23
	v_dual_add_f32 v40, v73, v40 :: v_dual_lshlrev_b32 v19, 16, v19
	s_delay_alu instid0(VALU_DEP_1) | instskip(SKIP_1) | instid1(VALU_DEP_2)
	v_fmac_f32_e32 v42, v23, v19
	s_waitcnt vmcnt(0)
	v_dual_add_f32 v39, v40, v39 :: v_dual_and_b32 v40, 0xffff0000, v5
	v_and_b32_e32 v43, 0xffff0000, v14
	v_and_b32_e32 v46, 0xffff0000, v4
	v_dual_add_f32 v75, v26, v42 :: v_dual_lshlrev_b32 v4, 16, v4
	s_delay_alu instid0(VALU_DEP_2) | instskip(NEXT) | instid1(VALU_DEP_1)
	v_dual_mul_f32 v35, v35, v46 :: v_dual_and_b32 v26, 0xffff0000, v9
	v_dual_fmac_f32 v35, v20, v4 :: v_dual_lshlrev_b32 v14, 16, v14
	v_dual_mul_f32 v20, v28, v40 :: v_dual_mul_f32 v47, v27, v43
	v_and_b32_e32 v28, 0xffff0000, v6
	s_delay_alu instid0(VALU_DEP_3) | instskip(SKIP_1) | instid1(VALU_DEP_4)
	v_dual_add_f32 v35, v44, v35 :: v_dual_lshlrev_b32 v6, 16, v6
	v_lshlrev_b32_e32 v5, 16, v5
	v_fmac_f32_e32 v47, v22, v14
	v_dual_mul_f32 v44, v26, v41 :: v_dual_lshlrev_b32 v15, 16, v15
	s_delay_alu instid0(VALU_DEP_3) | instskip(NEXT) | instid1(VALU_DEP_3)
	v_dual_fmac_f32 v20, v21, v5 :: v_dual_mul_f32 v21, v27, v28
	v_add_f32_e32 v27, v39, v47
	s_delay_alu instid0(VALU_DEP_2) | instskip(SKIP_2) | instid1(VALU_DEP_3)
	v_dual_add_f32 v20, v35, v20 :: v_dual_fmac_f32 v21, v22, v6
	v_and_b32_e32 v39, 0xffff0000, v8
	v_lshlrev_b32_e32 v8, 16, v8
	v_add_f32_e32 v20, v20, v21
	s_delay_alu instid0(VALU_DEP_3) | instskip(SKIP_3) | instid1(VALU_DEP_3)
	v_mul_f32_e32 v22, v39, v37
	v_fmac_f32_e32 v53, v23, v15
	v_mul_f32_e32 v21, v26, v30
	v_mul_f32_e32 v26, v26, v40
	v_dual_fmac_f32 v22, v8, v16 :: v_dual_add_f32 v73, v27, v53
	v_and_b32_e32 v27, 0xffff0000, v7
	s_delay_alu instid0(VALU_DEP_2) | instskip(SKIP_2) | instid1(VALU_DEP_4)
	v_dual_add_f32 v22, v32, v22 :: v_dual_lshlrev_b32 v7, 16, v7
	v_and_b32_e32 v32, 0xffff0000, v10
	v_lshlrev_b32_e32 v9, 16, v9
	v_dual_mul_f32 v35, v36, v27 :: v_dual_lshlrev_b32 v10, 16, v10
	v_mul_f32_e32 v36, v39, v29
	s_delay_alu instid0(VALU_DEP_3) | instskip(NEXT) | instid1(VALU_DEP_3)
	v_dual_mul_f32 v42, v32, v31 :: v_dual_fmac_f32 v21, v9, v17
	v_dual_fmac_f32 v44, v9, v13 :: v_dual_fmac_f32 v35, v23, v7
	s_delay_alu instid0(VALU_DEP_3) | instskip(NEXT) | instid1(VALU_DEP_3)
	v_fmac_f32_e32 v36, v8, v12
	v_fmac_f32_e32 v42, v10, v18
	s_delay_alu instid0(VALU_DEP_4) | instskip(NEXT) | instid1(VALU_DEP_3)
	v_dual_add_f32 v21, v22, v21 :: v_dual_and_b32 v22, 0xffff0000, v11
	v_dual_add_f32 v36, v45, v36 :: v_dual_lshlrev_b32 v11, 16, v11
	v_mul_f32_e32 v45, v32, v43
	s_delay_alu instid0(VALU_DEP_3) | instskip(NEXT) | instid1(VALU_DEP_4)
	v_dual_add_f32 v21, v21, v42 :: v_dual_add_f32 v74, v20, v35
	v_mul_f32_e32 v47, v22, v38
	s_delay_alu instid0(VALU_DEP_4) | instskip(NEXT) | instid1(VALU_DEP_4)
	v_dual_add_f32 v23, v36, v44 :: v_dual_mul_f32 v36, v39, v46
	v_dual_fmac_f32 v45, v10, v14 :: v_dual_and_b32 v20, 0xffff0000, v0
	s_delay_alu instid0(VALU_DEP_3) | instskip(NEXT) | instid1(VALU_DEP_3)
	v_dual_fmac_f32 v47, v11, v19 :: v_dual_lshlrev_b32 v0, 16, v0
	v_fmac_f32_e32 v36, v8, v4
	v_dual_fmac_f32 v26, v9, v5 :: v_dual_and_b32 v9, 0xffff0000, v2
	s_delay_alu instid0(VALU_DEP_4) | instskip(NEXT) | instid1(VALU_DEP_4)
	v_mul_f32_e32 v8, v20, v37
	v_dual_add_f32 v72, v21, v47 :: v_dual_add_f32 v21, v23, v45
	v_mul_f32_e32 v23, v22, v52
	s_delay_alu instid0(VALU_DEP_3) | instskip(SKIP_2) | instid1(VALU_DEP_4)
	v_dual_fmac_f32 v8, v0, v16 :: v_dual_and_b32 v35, 0xffff0000, v1
	v_add_f32_e32 v33, v33, v36
	v_lshlrev_b32_e32 v1, 16, v1
	v_dual_fmac_f32 v23, v11, v15 :: v_dual_lshlrev_b32 v2, 16, v2
	s_delay_alu instid0(VALU_DEP_4)
	v_mul_f32_e32 v16, v35, v30
	v_mul_f32_e32 v30, v32, v28
	v_add_f32_e32 v8, v34, v8
	v_add_f32_e32 v26, v33, v26
	;; [unrolled: 1-line block ×3, first 2 shown]
	v_fmac_f32_e32 v16, v1, v17
	v_dual_mul_f32 v17, v9, v31 :: v_dual_fmac_f32 v30, v10, v6
	v_mul_f32_e32 v10, v22, v27
	s_delay_alu instid0(VALU_DEP_2) | instskip(NEXT) | instid1(VALU_DEP_1)
	v_dual_fmac_f32 v17, v2, v18 :: v_dual_add_f32 v8, v8, v16
	v_dual_add_f32 v8, v8, v17 :: v_dual_and_b32 v17, 0xffff0000, v3
	v_dual_mul_f32 v18, v20, v46 :: v_dual_lshlrev_b32 v3, 16, v3
	s_delay_alu instid0(VALU_DEP_1) | instskip(SKIP_1) | instid1(VALU_DEP_1)
	v_fmac_f32_e32 v18, v0, v4
	v_dual_fmac_f32 v10, v11, v7 :: v_dual_mul_f32 v11, v20, v29
	v_dual_add_f32 v16, v26, v30 :: v_dual_fmac_f32 v11, v0, v12
	v_mul_f32_e32 v0, v35, v40
	s_delay_alu instid0(VALU_DEP_1) | instskip(SKIP_1) | instid1(VALU_DEP_1)
	v_fmac_f32_e32 v0, v1, v5
	v_mul_f32_e32 v5, v17, v52
	v_dual_mul_f32 v20, v17, v38 :: v_dual_fmac_f32 v5, v3, v15
	s_delay_alu instid0(VALU_DEP_1) | instskip(SKIP_2) | instid1(VALU_DEP_1)
	v_fmac_f32_e32 v20, v3, v19
	v_add_f32_e32 v4, v25, v11
	v_dual_mul_f32 v11, v9, v43 :: v_dual_mul_f32 v12, v35, v41
	v_dual_fmac_f32 v11, v2, v14 :: v_dual_fmac_f32 v12, v1, v13
	v_mul_f32_e32 v1, v9, v28
	v_add_f32_e32 v69, v8, v20
	s_delay_alu instid0(VALU_DEP_2) | instskip(SKIP_2) | instid1(VALU_DEP_3)
	v_dual_add_f32 v4, v4, v12 :: v_dual_fmac_f32 v1, v2, v6
	v_dual_add_f32 v13, v24, v18 :: v_dual_mul_f32 v2, v17, v27
	v_add_f32_e32 v70, v16, v10
	v_add_f32_e32 v4, v4, v11
	s_delay_alu instid0(VALU_DEP_3) | instskip(NEXT) | instid1(VALU_DEP_4)
	v_add_f32_e32 v0, v13, v0
	v_fmac_f32_e32 v2, v3, v7
	s_delay_alu instid0(VALU_DEP_3) | instskip(NEXT) | instid1(VALU_DEP_3)
	v_add_f32_e32 v68, v4, v5
	v_add_f32_e32 v0, v0, v1
	s_delay_alu instid0(VALU_DEP_1)
	v_add_f32_e32 v52, v0, v2
.LBB226_16:                             ;   in Loop: Header=BB226_17 Depth=2
	s_or_b32 exec_lo, exec_lo, s2
	s_addk_i32 s14, 0x200
	s_delay_alu instid0(SALU_CYCLE_1)
	s_cmp_ge_u32 s14, s16
	s_cbranch_scc1 .LBB226_29
.LBB226_17:                             ;   Parent Loop BB226_12 Depth=1
                                        ; =>  This Loop Header: Depth=2
                                        ;       Child Loop BB226_22 Depth 3
	s_cmp_eq_u32 s14, 0
	s_cselect_b32 s15, -1, 0
	s_add_i32 s2, s3, s24
	s_delay_alu instid0(SALU_CYCLE_1) | instskip(SKIP_1) | instid1(SALU_CYCLE_1)
	s_cmp_eq_u32 s14, s2
	s_cselect_b32 s38, -1, 0
	s_or_b32 s38, s15, s38
	s_delay_alu instid0(SALU_CYCLE_1)
	s_and_not1_b32 vcc_lo, exec_lo, s38
	s_cbranch_vccz .LBB226_19
; %bb.18:                               ;   in Loop: Header=BB226_17 Depth=2
	s_and_saveexec_b32 s2, s1
	s_cbranch_execz .LBB226_16
	s_branch .LBB226_26
.LBB226_19:                             ;   in Loop: Header=BB226_17 Depth=2
	s_and_b32 s15, s15, exec_lo
	s_cselect_b32 s3, s3, s2
	s_and_not1_b32 vcc_lo, exec_lo, s26
	s_waitcnt vmcnt(0)
	s_waitcnt_vscnt null, 0x0
	s_barrier
	buffer_gl0_inv
	s_cbranch_vccnz .LBB226_25
; %bb.20:                               ;   in Loop: Header=BB226_17 Depth=2
	v_dual_mov_b32 v3, v64 :: v_dual_add_nc_u32 v0, s3, v65
	v_add_nc_u32_e32 v1, s3, v66
	v_add_nc_u32_e32 v2, s3, v63
	s_mov_b32 s15, 0
	s_mov_b32 s38, 0
                                        ; implicit-def: $sgpr39
	s_branch .LBB226_22
.LBB226_21:                             ;   in Loop: Header=BB226_22 Depth=3
	s_or_b32 exec_lo, exec_lo, s2
	s_delay_alu instid0(SALU_CYCLE_1) | instskip(NEXT) | instid1(SALU_CYCLE_1)
	s_and_b32 s2, exec_lo, s39
	s_or_b32 s15, s2, s15
	s_delay_alu instid0(SALU_CYCLE_1)
	s_and_not1_b32 exec_lo, exec_lo, s15
	s_cbranch_execz .LBB226_24
.LBB226_22:                             ;   Parent Loop BB226_12 Depth=1
                                        ;     Parent Loop BB226_17 Depth=2
                                        ; =>    This Inner Loop Header: Depth=3
	s_delay_alu instid0(VALU_DEP_1) | instskip(SKIP_2) | instid1(VALU_DEP_2)
	v_add_nc_u32_e32 v53, s38, v2
	v_add_nc_u32_e32 v4, s38, v63
	s_or_b32 s39, s39, exec_lo
	v_cmp_gt_u32_e32 vcc_lo, s18, v53
	s_delay_alu instid0(VALU_DEP_2) | instskip(NEXT) | instid1(VALU_DEP_1)
	v_cmp_gt_u32_e64 s2, s24, v4
	s_and_b32 s40, s2, vcc_lo
	s_delay_alu instid0(SALU_CYCLE_1)
	s_and_saveexec_b32 s2, s40
	s_cbranch_execz .LBB226_21
; %bb.23:                               ;   in Loop: Header=BB226_22 Depth=3
	v_lshlrev_b64 v[4:5], 1, v[53:54]
	v_add_nc_u32_e32 v53, s38, v1
	v_add_nc_u32_e32 v16, s37, v3
	;; [unrolled: 1-line block ×3, first 2 shown]
	s_delay_alu instid0(VALU_DEP_3) | instskip(SKIP_3) | instid1(VALU_DEP_3)
	v_lshlrev_b64 v[6:7], 1, v[53:54]
	v_add_nc_u32_e32 v53, s38, v0
	v_add_co_u32 v4, vcc_lo, s8, v4
	v_add_co_ci_u32_e32 v5, vcc_lo, s9, v5, vcc_lo
	v_lshlrev_b64 v[8:9], 1, v[53:54]
	v_add_co_u32 v10, vcc_lo, s8, v6
	v_add_co_ci_u32_e32 v11, vcc_lo, s9, v7, vcc_lo
	s_add_i32 s38, s38, s27
	s_delay_alu instid0(VALU_DEP_3) | instskip(NEXT) | instid1(VALU_DEP_4)
	v_add_co_u32 v12, vcc_lo, s8, v8
	v_add_co_ci_u32_e32 v13, vcc_lo, s9, v9, vcc_lo
	s_clause 0x2
	global_load_b128 v[4:7], v[4:5], off
	global_load_b128 v[8:11], v[10:11], off
	;; [unrolled: 1-line block ×3, first 2 shown]
	s_cmp_ge_u32 s38, s24
	s_cselect_b32 s40, -1, 0
	s_and_not1_b32 s39, s39, exec_lo
	s_and_b32 s40, s40, exec_lo
	s_delay_alu instid0(SALU_CYCLE_1)
	s_or_b32 s39, s39, s40
	s_waitcnt vmcnt(2)
	ds_store_b128 v3, v[4:7]
	v_add_nc_u32_e32 v3, s20, v3
	s_waitcnt vmcnt(1)
	ds_store_2addr_b64 v16, v[8:9], v[10:11] offset1:1
	s_waitcnt vmcnt(0)
	ds_store_2addr_b32 v17, v12, v13 offset1:1
	ds_store_2addr_b32 v17, v14, v15 offset0:2 offset1:3
	s_branch .LBB226_21
.LBB226_24:                             ;   in Loop: Header=BB226_17 Depth=2
	s_or_b32 exec_lo, exec_lo, s15
.LBB226_25:                             ;   in Loop: Header=BB226_17 Depth=2
	s_waitcnt lgkmcnt(0)
	s_barrier
	buffer_gl0_inv
	s_and_saveexec_b32 s2, s1
	s_cbranch_execz .LBB226_16
.LBB226_26:                             ;   in Loop: Header=BB226_17 Depth=2
	s_waitcnt vmcnt(5)
	v_dual_mov_b32 v23, 0 :: v_dual_add_nc_u32 v76, s14, v62
	s_waitcnt vmcnt(4)
	v_dual_mov_b32 v22, 0 :: v_dual_mov_b32 v21, 0
	v_mov_b32_e32 v20, 0
	s_delay_alu instid0(VALU_DEP_3) | instskip(SKIP_3) | instid1(VALU_DEP_4)
	v_min_u32_e32 v53, s28, v76
	v_add_nc_u32_e32 v77, 0x100, v76
	v_dual_mov_b32 v27, 0 :: v_dual_mov_b32 v26, 0
	v_dual_mov_b32 v25, 0 :: v_dual_mov_b32 v24, 0
	v_lshlrev_b64 v[0:1], 1, v[53:54]
	s_delay_alu instid0(VALU_DEP_4) | instskip(SKIP_2) | instid1(VALU_DEP_4)
	v_min_u32_e32 v53, s28, v77
	v_dual_mov_b32 v35, 0 :: v_dual_mov_b32 v34, 0
	v_dual_mov_b32 v33, 0 :: v_dual_mov_b32 v32, 0
	v_add_co_u32 v6, vcc_lo, s6, v0
	v_add_co_ci_u32_e32 v7, vcc_lo, s7, v1, vcc_lo
	v_lshlrev_b64 v[0:1], 1, v[53:54]
	s_delay_alu instid0(VALU_DEP_3) | instskip(NEXT) | instid1(VALU_DEP_3)
	v_add_co_u32 v2, vcc_lo, v6, v55
	v_add_co_ci_u32_e32 v3, vcc_lo, v7, v56, vcc_lo
	v_add_co_u32 v4, vcc_lo, v6, v57
	v_add_co_ci_u32_e32 v5, vcc_lo, v7, v58, vcc_lo
	;; [unrolled: 2-line block ×4, first 2 shown]
	s_delay_alu instid0(VALU_DEP_4) | instskip(NEXT) | instid1(VALU_DEP_4)
	v_add_co_u32 v6, vcc_lo, v10, v55
	v_add_co_ci_u32_e32 v7, vcc_lo, v11, v56, vcc_lo
	s_waitcnt vmcnt(0)
	v_add_co_u32 v8, vcc_lo, v10, v57
	v_add_co_ci_u32_e32 v9, vcc_lo, v11, v58, vcc_lo
	v_add_co_u32 v10, vcc_lo, v10, v59
	v_add_co_ci_u32_e32 v11, vcc_lo, v11, v60, vcc_lo
	s_clause 0x5
	global_load_b128 v[40:43], v[2:3], off slc dlc
	global_load_b128 v[36:39], v[4:5], off slc dlc
	;; [unrolled: 1-line block ×6, first 2 shown]
	v_mov_b32_e32 v3, 0
	v_cmp_gt_u32_e32 vcc_lo, s16, v76
	v_dual_mov_b32 v2, 0 :: v_dual_mov_b32 v1, 0
	v_dual_mov_b32 v0, 0 :: v_dual_mov_b32 v11, 0
	v_dual_mov_b32 v10, 0 :: v_dual_mov_b32 v9, 0
	v_dual_mov_b32 v8, 0 :: v_dual_mov_b32 v47, 0
	v_dual_mov_b32 v46, 0 :: v_dual_mov_b32 v45, 0
	v_mov_b32_e32 v44, 0
	s_and_saveexec_b32 s15, vcc_lo
	s_cbranch_execz .LBB226_15
; %bb.27:                               ;   in Loop: Header=BB226_17 Depth=2
	v_subrev_nc_u32_e32 v0, s3, v76
	v_dual_mov_b32 v22, 0 :: v_dual_mov_b32 v9, 0
	v_dual_mov_b32 v8, 0 :: v_dual_mov_b32 v11, 0
	s_delay_alu instid0(VALU_DEP_3) | instskip(SKIP_2) | instid1(VALU_DEP_3)
	v_dual_mov_b32 v21, 0 :: v_dual_lshlrev_b32 v78, 1, v0
	v_dual_mov_b32 v10, 0 :: v_dual_mov_b32 v1, 0
	v_dual_mov_b32 v0, 0 :: v_dual_mov_b32 v3, 0
	v_dual_mov_b32 v23, 0 :: v_dual_add_nc_u32 v76, s37, v78
	v_mov_b32_e32 v2, 0
	s_mov_b32 s38, exec_lo
	s_delay_alu instid0(VALU_DEP_2)
	v_dual_mov_b32 v20, 0 :: v_dual_add_nc_u32 v53, s37, v76
	ds_load_b128 v[44:47], v78
	ds_load_b128 v[32:35], v76
	;; [unrolled: 1-line block ×3, first 2 shown]
	v_cmpx_gt_u32_e64 s16, v77
	s_cbranch_execz .LBB226_14
; %bb.28:                               ;   in Loop: Header=BB226_17 Depth=2
	ds_load_b128 v[20:23], v78 offset:512
	ds_load_b128 v[8:11], v76 offset:512
	;; [unrolled: 1-line block ×3, first 2 shown]
	s_branch .LBB226_14
.LBB226_29:                             ;   in Loop: Header=BB226_12 Depth=1
	s_mov_b32 s1, exec_lo
	v_cmpx_le_u32_e64 s19, v51
	s_xor_b32 s1, exec_lo, s1
; %bb.30:                               ;   in Loop: Header=BB226_12 Depth=1
	v_add_nc_u32_e32 v51, s5, v51
                                        ; implicit-def: $vgpr52
                                        ; implicit-def: $vgpr68
                                        ; implicit-def: $vgpr69
                                        ; implicit-def: $vgpr70
                                        ; implicit-def: $vgpr71
                                        ; implicit-def: $vgpr72
                                        ; implicit-def: $vgpr74
                                        ; implicit-def: $vgpr73
                                        ; implicit-def: $vgpr75
; %bb.31:                               ;   in Loop: Header=BB226_12 Depth=1
	s_and_not1_saveexec_b32 s38, s1
	s_cbranch_execz .LBB226_11
; %bb.32:                               ;   in Loop: Header=BB226_12 Depth=1
	v_cvt_i32_f32_e32 v0, v75
	s_waitcnt lgkmcnt(0)
	v_cvt_i32_f32_e32 v1, v73
	v_cvt_i32_f32_e32 v2, v74
	;; [unrolled: 1-line block ×3, first 2 shown]
	s_waitcnt vmcnt(0)
	v_xor_b32_e32 v8, 16, v61
	v_cvt_f32_i32_dpp v0, v0 row_shr:8 row_mask:0xf bank_mask:0xf bound_ctrl:1
	v_cvt_f32_i32_dpp v1, v1 row_shr:8 row_mask:0xf bank_mask:0xf bound_ctrl:1
	;; [unrolled: 1-line block ×4, first 2 shown]
	v_cmp_gt_i32_e32 vcc_lo, 32, v8
	s_delay_alu instid0(VALU_DEP_4) | instskip(NEXT) | instid1(VALU_DEP_3)
	v_dual_add_f32 v0, v75, v0 :: v_dual_add_f32 v1, v73, v1
	v_dual_add_f32 v2, v74, v2 :: v_dual_add_f32 v3, v72, v3
	v_cvt_i32_f32_e32 v10, v70
	s_delay_alu instid0(VALU_DEP_3) | instskip(NEXT) | instid1(VALU_DEP_4)
	v_cvt_i32_f32_e32 v4, v0
	v_cvt_i32_f32_e32 v5, v1
	s_delay_alu instid0(VALU_DEP_4)
	v_cvt_i32_f32_e32 v6, v2
	v_cvt_i32_f32_e32 v7, v3
	;; [unrolled: 1-line block ×3, first 2 shown]
	v_cvt_f32_i32_dpp v4, v4 row_shr:4 row_mask:0xf bank_mask:0xf bound_ctrl:1
	v_cvt_f32_i32_dpp v5, v5 row_shr:4 row_mask:0xf bank_mask:0xf bound_ctrl:1
	;; [unrolled: 1-line block ×4, first 2 shown]
	s_delay_alu instid0(VALU_DEP_3) | instskip(NEXT) | instid1(VALU_DEP_2)
	v_dual_add_f32 v0, v0, v4 :: v_dual_add_f32 v1, v1, v5
	v_dual_add_f32 v2, v2, v6 :: v_dual_add_f32 v3, v3, v7
	v_cvt_i32_f32_e32 v4, v71
	s_delay_alu instid0(VALU_DEP_3) | instskip(NEXT) | instid1(VALU_DEP_4)
	v_cvt_i32_f32_e32 v5, v0
	v_cvt_i32_f32_e32 v6, v1
	s_delay_alu instid0(VALU_DEP_4) | instskip(SKIP_1) | instid1(VALU_DEP_4)
	v_cvt_i32_f32_e32 v7, v2
	v_cvt_i32_f32_e32 v9, v3
	v_cvt_f32_i32_dpp v5, v5 row_shr:2 row_mask:0xf bank_mask:0xf bound_ctrl:1
	s_delay_alu instid0(VALU_DEP_4) | instskip(NEXT) | instid1(VALU_DEP_4)
	v_cvt_f32_i32_dpp v6, v6 row_shr:2 row_mask:0xf bank_mask:0xf bound_ctrl:1
	v_cvt_f32_i32_dpp v7, v7 row_shr:2 row_mask:0xf bank_mask:0xf bound_ctrl:1
	s_delay_alu instid0(VALU_DEP_4) | instskip(NEXT) | instid1(VALU_DEP_3)
	v_cvt_f32_i32_dpp v9, v9 row_shr:2 row_mask:0xf bank_mask:0xf bound_ctrl:1
	v_dual_add_f32 v0, v0, v5 :: v_dual_add_f32 v1, v1, v6
	s_delay_alu instid0(VALU_DEP_2) | instskip(SKIP_1) | instid1(VALU_DEP_3)
	v_dual_add_f32 v2, v2, v7 :: v_dual_add_f32 v3, v3, v9
	v_cvt_i32_f32_e32 v5, v68
	v_cvt_i32_f32_e32 v6, v0
	s_delay_alu instid0(VALU_DEP_4) | instskip(NEXT) | instid1(VALU_DEP_4)
	v_cvt_i32_f32_e32 v7, v1
	v_cvt_i32_f32_e32 v9, v2
	;; [unrolled: 1-line block ×3, first 2 shown]
	s_delay_alu instid0(VALU_DEP_4) | instskip(NEXT) | instid1(VALU_DEP_4)
	v_cvt_f32_i32_dpp v6, v6 row_shr:1 row_mask:0xf bank_mask:0xf bound_ctrl:1
	v_cvt_f32_i32_dpp v7, v7 row_shr:1 row_mask:0xf bank_mask:0xf bound_ctrl:1
	s_delay_alu instid0(VALU_DEP_4) | instskip(NEXT) | instid1(VALU_DEP_4)
	v_cvt_f32_i32_dpp v9, v9 row_shr:1 row_mask:0xf bank_mask:0xf bound_ctrl:1
	v_cvt_f32_i32_dpp v12, v12 row_shr:1 row_mask:0xf bank_mask:0xf bound_ctrl:1
	s_delay_alu instid0(VALU_DEP_3) | instskip(SKIP_4) | instid1(VALU_DEP_4)
	v_dual_add_f32 v20, v0, v6 :: v_dual_add_f32 v17, v1, v7
	v_cvt_f32_i32_dpp v1, v4 row_shr:8 row_mask:0xf bank_mask:0xf bound_ctrl:1
	v_cndmask_b32_e32 v8, v61, v8, vcc_lo
	v_cvt_f32_i32_dpp v4, v5 row_shr:8 row_mask:0xf bank_mask:0xf bound_ctrl:1
	v_dual_add_f32 v14, v2, v9 :: v_dual_add_f32 v9, v3, v12
	v_add_f32_e32 v1, v71, v1
	v_cvt_f32_i32_dpp v2, v10 row_shr:8 row_mask:0xf bank_mask:0xf bound_ctrl:1
	v_cvt_f32_i32_dpp v3, v11 row_shr:8 row_mask:0xf bank_mask:0xf bound_ctrl:1
	v_lshlrev_b32_e32 v8, 2, v8
	v_cvt_i32_f32_e32 v0, v52
	v_cvt_i32_f32_e32 v5, v1
	s_delay_alu instid0(VALU_DEP_4)
	v_add_f32_e32 v3, v69, v3
	ds_bpermute_b32 v21, v8, v20
	v_cvt_f32_i32_dpp v0, v0 row_shr:8 row_mask:0xf bank_mask:0xf bound_ctrl:1
	v_cvt_f32_i32_dpp v5, v5 row_shr:4 row_mask:0xf bank_mask:0xf bound_ctrl:1
	v_add_f32_e32 v2, v70, v2
	v_cvt_i32_f32_e32 v7, v3
	ds_bpermute_b32 v18, v8, v17
	ds_bpermute_b32 v15, v8, v14
	v_add_f32_e32 v1, v1, v5
	v_cvt_i32_f32_e32 v6, v2
	v_cvt_f32_i32_dpp v7, v7 row_shr:4 row_mask:0xf bank_mask:0xf bound_ctrl:1
	v_add_f32_e32 v4, v68, v4
	ds_bpermute_b32 v12, v8, v9
	v_cvt_i32_f32_e32 v5, v1
	v_cvt_f32_i32_dpp v6, v6 row_shr:4 row_mask:0xf bank_mask:0xf bound_ctrl:1
	v_add_f32_e32 v3, v3, v7
	v_cvt_i32_f32_e32 v10, v4
	s_delay_alu instid0(VALU_DEP_4) | instskip(SKIP_1) | instid1(VALU_DEP_4)
	v_cvt_f32_i32_dpp v5, v5 row_shr:2 row_mask:0xf bank_mask:0xf bound_ctrl:1
	v_add_f32_e32 v0, v52, v0
	v_cvt_i32_f32_e32 v7, v3
	s_delay_alu instid0(VALU_DEP_4) | instskip(NEXT) | instid1(VALU_DEP_4)
	v_cvt_f32_i32_dpp v10, v10 row_shr:4 row_mask:0xf bank_mask:0xf bound_ctrl:1
	v_add_f32_e32 v1, v1, v5
	s_delay_alu instid0(VALU_DEP_4) | instskip(NEXT) | instid1(VALU_DEP_4)
	v_cvt_i32_f32_e32 v11, v0
	v_cvt_f32_i32_dpp v7, v7 row_shr:2 row_mask:0xf bank_mask:0xf bound_ctrl:1
	v_add_f32_e32 v2, v2, v6
	v_add_f32_e32 v4, v4, v10
	s_delay_alu instid0(VALU_DEP_4) | instskip(NEXT) | instid1(VALU_DEP_4)
	v_cvt_f32_i32_dpp v11, v11 row_shr:4 row_mask:0xf bank_mask:0xf bound_ctrl:1
	v_add_f32_e32 v3, v3, v7
	s_delay_alu instid0(VALU_DEP_4) | instskip(NEXT) | instid1(VALU_DEP_4)
	v_cvt_i32_f32_e32 v6, v2
	v_cvt_i32_f32_e32 v10, v4
	s_delay_alu instid0(VALU_DEP_4) | instskip(NEXT) | instid1(VALU_DEP_4)
	v_add_f32_e32 v0, v0, v11
	v_cvt_i32_f32_e32 v7, v3
	s_delay_alu instid0(VALU_DEP_4) | instskip(NEXT) | instid1(VALU_DEP_4)
	v_cvt_f32_i32_dpp v6, v6 row_shr:2 row_mask:0xf bank_mask:0xf bound_ctrl:1
	v_cvt_f32_i32_dpp v10, v10 row_shr:2 row_mask:0xf bank_mask:0xf bound_ctrl:1
	s_delay_alu instid0(VALU_DEP_4) | instskip(NEXT) | instid1(VALU_DEP_4)
	v_cvt_i32_f32_e32 v11, v0
	v_cvt_f32_i32_dpp v7, v7 row_shr:1 row_mask:0xf bank_mask:0xf bound_ctrl:1
	s_delay_alu instid0(VALU_DEP_4) | instskip(NEXT) | instid1(VALU_DEP_4)
	v_add_f32_e32 v2, v2, v6
	v_add_f32_e32 v5, v4, v10
	v_cvt_i32_f32_e32 v4, v1
	v_cvt_f32_i32_dpp v11, v11 row_shr:2 row_mask:0xf bank_mask:0xf bound_ctrl:1
	s_delay_alu instid0(VALU_DEP_4) | instskip(NEXT) | instid1(VALU_DEP_4)
	v_cvt_i32_f32_e32 v6, v2
	v_cvt_i32_f32_e32 v10, v5
	s_delay_alu instid0(VALU_DEP_4) | instskip(NEXT) | instid1(VALU_DEP_4)
	v_cvt_f32_i32_dpp v4, v4 row_shr:1 row_mask:0xf bank_mask:0xf bound_ctrl:1
	v_add_f32_e32 v0, v0, v11
	s_delay_alu instid0(VALU_DEP_4) | instskip(NEXT) | instid1(VALU_DEP_4)
	v_cvt_f32_i32_dpp v6, v6 row_shr:1 row_mask:0xf bank_mask:0xf bound_ctrl:1
	v_cvt_f32_i32_dpp v13, v10 row_shr:1 row_mask:0xf bank_mask:0xf bound_ctrl:1
	s_delay_alu instid0(VALU_DEP_4) | instskip(NEXT) | instid1(VALU_DEP_4)
	v_add_f32_e32 v10, v1, v4
	v_cvt_i32_f32_e32 v11, v0
	v_add_f32_e32 v4, v3, v7
	v_add_f32_e32 v6, v2, v6
	;; [unrolled: 1-line block ×3, first 2 shown]
	s_delay_alu instid0(VALU_DEP_4)
	v_cvt_f32_i32_dpp v11, v11 row_shr:1 row_mask:0xf bank_mask:0xf bound_ctrl:1
	ds_bpermute_b32 v5, v8, v4
	ds_bpermute_b32 v7, v8, v6
	;; [unrolled: 1-line block ×3, first 2 shown]
	v_add_f32_e32 v0, v0, v11
	ds_bpermute_b32 v11, v8, v10
	ds_bpermute_b32 v1, v8, v0
	s_and_saveexec_b32 s14, s0
	s_cbranch_execz .LBB226_89
; %bb.33:                               ;   in Loop: Header=BB226_12 Depth=1
	v_dual_mov_b32 v26, 0 :: v_dual_add_nc_u32 v53, 2, v51
	v_dual_mov_b32 v25, 0 :: v_dual_mov_b32 v24, 0
	v_dual_mov_b32 v23, 0 :: v_dual_mov_b32 v22, 0
	;; [unrolled: 1-line block ×4, first 2 shown]
	s_and_not1_b32 vcc_lo, exec_lo, s30
	s_cbranch_vccnz .LBB226_35
; %bb.34:                               ;   in Loop: Header=BB226_12 Depth=1
	v_dual_mov_b32 v23, v54 :: v_dual_add_nc_u32 v8, 1, v51
	v_mul_hi_u32 v13, v51, v67
	v_mul_hi_u32 v16, v53, v67
	v_mov_b32_e32 v30, v54
	s_delay_alu instid0(VALU_DEP_4) | instskip(SKIP_3) | instid1(VALU_DEP_4)
	v_mul_hi_u32 v19, v8, v67
	v_mov_b32_e32 v40, v54
	v_mul_lo_u32 v13, v13, s4
	v_mul_lo_u32 v16, v16, s4
	;; [unrolled: 1-line block ×3, first 2 shown]
	s_delay_alu instid0(VALU_DEP_3) | instskip(NEXT) | instid1(VALU_DEP_3)
	v_sub_nc_u32_e32 v13, v51, v13
	v_sub_nc_u32_e32 v16, v53, v16
	s_delay_alu instid0(VALU_DEP_3) | instskip(NEXT) | instid1(VALU_DEP_3)
	v_sub_nc_u32_e32 v8, v8, v19
	v_subrev_nc_u32_e32 v19, s4, v13
	v_cmp_le_u32_e32 vcc_lo, s4, v13
	s_delay_alu instid0(VALU_DEP_4) | instskip(NEXT) | instid1(VALU_DEP_4)
	v_subrev_nc_u32_e32 v22, s4, v16
	v_subrev_nc_u32_e32 v24, s4, v8
	s_delay_alu instid0(VALU_DEP_4) | instskip(SKIP_2) | instid1(VALU_DEP_3)
	v_cndmask_b32_e32 v13, v13, v19, vcc_lo
	v_cmp_le_u32_e32 vcc_lo, s4, v16
	v_mov_b32_e32 v25, v54
	v_subrev_nc_u32_e32 v19, s4, v13
	v_cndmask_b32_e32 v16, v16, v22, vcc_lo
	v_cmp_le_u32_e32 vcc_lo, s4, v8
	v_dual_mov_b32 v27, v54 :: v_dual_cndmask_b32 v8, v8, v24
	v_cmp_le_u32_e32 vcc_lo, s4, v13
	v_mov_b32_e32 v29, v54
	v_subrev_nc_u32_e32 v24, s4, v16
	s_delay_alu instid0(VALU_DEP_4) | instskip(SKIP_2) | instid1(VALU_DEP_2)
	v_subrev_nc_u32_e32 v28, s4, v8
	v_cndmask_b32_e32 v22, v13, v19, vcc_lo
	v_cmp_le_u32_e32 vcc_lo, s4, v16
	v_lshlrev_b64 v[31:32], 1, v[22:23]
	v_cndmask_b32_e32 v26, v16, v24, vcc_lo
	v_cmp_le_u32_e32 vcc_lo, s4, v8
	s_delay_alu instid0(VALU_DEP_2) | instskip(SKIP_3) | instid1(VALU_DEP_3)
	v_lshlrev_b64 v[33:34], 1, v[26:27]
	v_dual_cndmask_b32 v24, v8, v28 :: v_dual_add_nc_u32 v27, s31, v26
	v_add_nc_u32_e32 v28, s31, v22
	v_add_co_u32 v31, vcc_lo, s10, v31
	v_lshlrev_b64 v[35:36], 1, v[24:25]
	v_add_co_ci_u32_e32 v32, vcc_lo, s11, v32, vcc_lo
	s_delay_alu instid0(VALU_DEP_4) | instskip(SKIP_3) | instid1(VALU_DEP_3)
	v_lshlrev_b64 v[37:38], 1, v[28:29]
	v_dual_mov_b32 v28, v54 :: v_dual_add_nc_u32 v29, s31, v24
	v_add_co_u32 v33, vcc_lo, s10, v33
	v_add_co_ci_u32_e32 v34, vcc_lo, s11, v34, vcc_lo
	v_lshlrev_b64 v[29:30], 1, v[29:30]
	v_add_co_u32 v35, vcc_lo, s10, v35
	v_add_nc_u32_e32 v22, s36, v22
	v_add_co_ci_u32_e32 v36, vcc_lo, s11, v36, vcc_lo
	v_add_co_u32 v37, vcc_lo, s10, v37
	v_lshlrev_b64 v[27:28], 1, v[27:28]
	v_add_co_ci_u32_e32 v38, vcc_lo, s11, v38, vcc_lo
	v_add_co_u32 v29, vcc_lo, s10, v29
	v_lshlrev_b64 v[22:23], 1, v[22:23]
	v_add_nc_u32_e32 v24, s36, v24
	v_add_co_ci_u32_e32 v30, vcc_lo, s11, v30, vcc_lo
	v_add_co_u32 v27, vcc_lo, s10, v27
	v_add_nc_u32_e32 v39, s36, v26
	v_add_co_ci_u32_e32 v28, vcc_lo, s11, v28, vcc_lo
	v_lshlrev_b64 v[24:25], 1, v[24:25]
	v_add_co_u32 v41, vcc_lo, s10, v22
	v_add_co_ci_u32_e32 v42, vcc_lo, s11, v23, vcc_lo
	v_lshlrev_b64 v[22:23], 1, v[39:40]
	s_delay_alu instid0(VALU_DEP_4) | instskip(SKIP_1) | instid1(VALU_DEP_3)
	v_add_co_u32 v39, vcc_lo, s10, v24
	v_add_co_ci_u32_e32 v40, vcc_lo, s11, v25, vcc_lo
	v_add_co_u32 v43, vcc_lo, s10, v22
	s_delay_alu instid0(VALU_DEP_4)
	v_add_co_ci_u32_e32 v44, vcc_lo, s11, v23, vcc_lo
	s_clause 0x8
	global_load_u16 v26, v[31:32], off
	global_load_u16 v25, v[35:36], off
	;; [unrolled: 1-line block ×9, first 2 shown]
.LBB226_35:                             ;   in Loop: Header=BB226_12 Depth=1
	v_cmp_ne_u32_e32 vcc_lo, 0, v48
	s_and_saveexec_b32 s2, vcc_lo
	s_cbranch_execnz .LBB226_44
; %bb.36:                               ;   in Loop: Header=BB226_12 Depth=1
	s_or_b32 exec_lo, exec_lo, s2
	v_cmp_ne_u32_e64 s1, 0, v49
	s_delay_alu instid0(VALU_DEP_1)
	s_and_saveexec_b32 s3, s1
	s_cbranch_execnz .LBB226_49
.LBB226_37:                             ;   in Loop: Header=BB226_12 Depth=1
	s_or_b32 exec_lo, exec_lo, s3
	v_cmp_ne_u32_e64 s2, 0, v50
	s_delay_alu instid0(VALU_DEP_1)
	s_and_saveexec_b32 s15, s2
	s_cbranch_execnz .LBB226_54
.LBB226_38:                             ;   in Loop: Header=BB226_12 Depth=1
	s_or_b32 exec_lo, exec_lo, s15
	v_add_nc_u32_e32 v53, s19, v51
	s_and_saveexec_b32 s15, vcc_lo
	s_cbranch_execnz .LBB226_59
.LBB226_39:                             ;   in Loop: Header=BB226_12 Depth=1
	s_or_b32 exec_lo, exec_lo, s15
	s_and_saveexec_b32 s15, s1
	s_cbranch_execnz .LBB226_64
.LBB226_40:                             ;   in Loop: Header=BB226_12 Depth=1
	s_or_b32 exec_lo, exec_lo, s15
	s_and_saveexec_b32 s15, s2
	s_cbranch_execnz .LBB226_69
.LBB226_41:                             ;   in Loop: Header=BB226_12 Depth=1
	s_or_b32 exec_lo, exec_lo, s15
	v_add_nc_u32_e32 v53, s19, v53
	s_and_saveexec_b32 s3, vcc_lo
	s_cbranch_execnz .LBB226_74
.LBB226_42:                             ;   in Loop: Header=BB226_12 Depth=1
	s_or_b32 exec_lo, exec_lo, s3
	s_and_saveexec_b32 s3, s1
	s_cbranch_execnz .LBB226_79
.LBB226_43:                             ;   in Loop: Header=BB226_12 Depth=1
	s_or_b32 exec_lo, exec_lo, s3
	s_delay_alu instid0(SALU_CYCLE_1)
	s_and_b32 exec_lo, exec_lo, s2
	s_cbranch_execnz .LBB226_84
	s_branch .LBB226_89
.LBB226_44:                             ;   in Loop: Header=BB226_12 Depth=1
	s_waitcnt vmcnt(8) lgkmcnt(8)
	v_dual_add_f32 v20, v20, v21 :: v_dual_lshlrev_b32 v21, 16, v26
	s_delay_alu instid0(VALU_DEP_1) | instskip(NEXT) | instid1(VALU_DEP_1)
	v_add_f32_e32 v21, v20, v21
	v_and_b32_e32 v20, 0x7f800000, v21
	s_delay_alu instid0(VALU_DEP_1) | instskip(NEXT) | instid1(VALU_DEP_1)
	v_cmp_ne_u32_e64 s1, 0x7f800000, v20
                                        ; implicit-def: $vgpr20
	s_and_saveexec_b32 s3, s1
	s_delay_alu instid0(SALU_CYCLE_1)
	s_xor_b32 s1, exec_lo, s3
; %bb.45:                               ;   in Loop: Header=BB226_12 Depth=1
	v_bfe_u32 v20, v21, 16, 1
	s_delay_alu instid0(VALU_DEP_1)
	v_add3_u32 v20, v21, v20, 0x7fff
                                        ; implicit-def: $vgpr21
; %bb.46:                               ;   in Loop: Header=BB226_12 Depth=1
	s_and_not1_saveexec_b32 s3, s1
; %bb.47:                               ;   in Loop: Header=BB226_12 Depth=1
	v_and_b32_e32 v20, 0xffff, v21
	v_or_b32_e32 v26, 0x10000, v21
	s_delay_alu instid0(VALU_DEP_2) | instskip(NEXT) | instid1(VALU_DEP_1)
	v_cmp_eq_u32_e64 s1, 0, v20
	v_cndmask_b32_e64 v20, v26, v21, s1
; %bb.48:                               ;   in Loop: Header=BB226_12 Depth=1
	s_or_b32 exec_lo, exec_lo, s3
	v_mov_b32_e32 v52, v54
	s_delay_alu instid0(VALU_DEP_1) | instskip(NEXT) | instid1(VALU_DEP_1)
	v_lshlrev_b64 v[26:27], 1, v[51:52]
	v_add_co_u32 v26, s1, s12, v26
	s_delay_alu instid0(VALU_DEP_1) | instskip(SKIP_3) | instid1(VALU_DEP_1)
	v_add_co_ci_u32_e64 v27, s1, s13, v27, s1
	global_store_d16_hi_b16 v[26:27], v20, off
	s_or_b32 exec_lo, exec_lo, s2
	v_cmp_ne_u32_e64 s1, 0, v49
	s_and_saveexec_b32 s3, s1
	s_cbranch_execz .LBB226_37
.LBB226_49:                             ;   in Loop: Header=BB226_12 Depth=1
	s_waitcnt vmcnt(7) lgkmcnt(7)
	v_dual_add_f32 v17, v17, v18 :: v_dual_lshlrev_b32 v18, 16, v25
	s_delay_alu instid0(VALU_DEP_1) | instskip(NEXT) | instid1(VALU_DEP_1)
	v_add_f32_e32 v18, v17, v18
	v_and_b32_e32 v17, 0x7f800000, v18
	s_delay_alu instid0(VALU_DEP_1) | instskip(NEXT) | instid1(VALU_DEP_1)
	v_cmp_ne_u32_e64 s2, 0x7f800000, v17
                                        ; implicit-def: $vgpr17
	s_and_saveexec_b32 s15, s2
	s_delay_alu instid0(SALU_CYCLE_1)
	s_xor_b32 s2, exec_lo, s15
; %bb.50:                               ;   in Loop: Header=BB226_12 Depth=1
	v_bfe_u32 v17, v18, 16, 1
	s_delay_alu instid0(VALU_DEP_1)
	v_add3_u32 v17, v18, v17, 0x7fff
                                        ; implicit-def: $vgpr18
; %bb.51:                               ;   in Loop: Header=BB226_12 Depth=1
	s_and_not1_saveexec_b32 s15, s2
; %bb.52:                               ;   in Loop: Header=BB226_12 Depth=1
	v_and_b32_e32 v17, 0xffff, v18
	v_or_b32_e32 v20, 0x10000, v18
	s_delay_alu instid0(VALU_DEP_2) | instskip(NEXT) | instid1(VALU_DEP_1)
	v_cmp_eq_u32_e64 s2, 0, v17
	v_cndmask_b32_e64 v17, v20, v18, s2
; %bb.53:                               ;   in Loop: Header=BB226_12 Depth=1
	s_or_b32 exec_lo, exec_lo, s15
	v_mov_b32_e32 v52, v54
	s_delay_alu instid0(VALU_DEP_1) | instskip(NEXT) | instid1(VALU_DEP_1)
	v_lshlrev_b64 v[20:21], 1, v[51:52]
	v_add_co_u32 v20, s2, s33, v20
	s_delay_alu instid0(VALU_DEP_1) | instskip(SKIP_3) | instid1(VALU_DEP_1)
	v_add_co_ci_u32_e64 v21, s2, s34, v21, s2
	global_store_d16_hi_b16 v[20:21], v17, off
	s_or_b32 exec_lo, exec_lo, s3
	v_cmp_ne_u32_e64 s2, 0, v50
	s_and_saveexec_b32 s15, s2
	s_cbranch_execz .LBB226_38
.LBB226_54:                             ;   in Loop: Header=BB226_12 Depth=1
	s_waitcnt vmcnt(6) lgkmcnt(6)
	v_dual_add_f32 v14, v14, v15 :: v_dual_lshlrev_b32 v15, 16, v24
	s_delay_alu instid0(VALU_DEP_1) | instskip(NEXT) | instid1(VALU_DEP_1)
	v_add_f32_e32 v15, v14, v15
	v_and_b32_e32 v14, 0x7f800000, v15
	s_delay_alu instid0(VALU_DEP_1) | instskip(NEXT) | instid1(VALU_DEP_1)
	v_cmp_ne_u32_e64 s3, 0x7f800000, v14
                                        ; implicit-def: $vgpr14
	s_and_saveexec_b32 s39, s3
	s_delay_alu instid0(SALU_CYCLE_1)
	s_xor_b32 s3, exec_lo, s39
; %bb.55:                               ;   in Loop: Header=BB226_12 Depth=1
	v_bfe_u32 v14, v15, 16, 1
	s_delay_alu instid0(VALU_DEP_1)
	v_add3_u32 v14, v15, v14, 0x7fff
                                        ; implicit-def: $vgpr15
; %bb.56:                               ;   in Loop: Header=BB226_12 Depth=1
	s_and_not1_saveexec_b32 s39, s3
; %bb.57:                               ;   in Loop: Header=BB226_12 Depth=1
	v_and_b32_e32 v14, 0xffff, v15
	v_or_b32_e32 v17, 0x10000, v15
	s_delay_alu instid0(VALU_DEP_2) | instskip(NEXT) | instid1(VALU_DEP_1)
	v_cmp_eq_u32_e64 s3, 0, v14
	v_cndmask_b32_e64 v14, v17, v15, s3
; %bb.58:                               ;   in Loop: Header=BB226_12 Depth=1
	s_or_b32 exec_lo, exec_lo, s39
	v_lshlrev_b64 v[17:18], 1, v[53:54]
	s_delay_alu instid0(VALU_DEP_1) | instskip(NEXT) | instid1(VALU_DEP_1)
	v_add_co_u32 v17, s3, s12, v17
	v_add_co_ci_u32_e64 v18, s3, s13, v18, s3
	global_store_d16_hi_b16 v[17:18], v14, off
	s_or_b32 exec_lo, exec_lo, s15
	v_add_nc_u32_e32 v53, s19, v51
	s_and_saveexec_b32 s15, vcc_lo
	s_cbranch_execz .LBB226_39
.LBB226_59:                             ;   in Loop: Header=BB226_12 Depth=1
	s_waitcnt vmcnt(5) lgkmcnt(5)
	v_dual_add_f32 v9, v9, v12 :: v_dual_lshlrev_b32 v12, 16, v23
	s_delay_alu instid0(VALU_DEP_1) | instskip(NEXT) | instid1(VALU_DEP_1)
	v_add_f32_e32 v12, v9, v12
	v_and_b32_e32 v9, 0x7f800000, v12
	s_delay_alu instid0(VALU_DEP_1) | instskip(NEXT) | instid1(VALU_DEP_1)
	v_cmp_ne_u32_e64 s3, 0x7f800000, v9
                                        ; implicit-def: $vgpr9
	s_and_saveexec_b32 s39, s3
	s_delay_alu instid0(SALU_CYCLE_1)
	s_xor_b32 s3, exec_lo, s39
; %bb.60:                               ;   in Loop: Header=BB226_12 Depth=1
	v_bfe_u32 v9, v12, 16, 1
	s_delay_alu instid0(VALU_DEP_1)
	v_add3_u32 v9, v12, v9, 0x7fff
                                        ; implicit-def: $vgpr12
; %bb.61:                               ;   in Loop: Header=BB226_12 Depth=1
	s_and_not1_saveexec_b32 s39, s3
; %bb.62:                               ;   in Loop: Header=BB226_12 Depth=1
	v_and_b32_e32 v9, 0xffff, v12
	v_or_b32_e32 v14, 0x10000, v12
	s_delay_alu instid0(VALU_DEP_2) | instskip(NEXT) | instid1(VALU_DEP_1)
	v_cmp_eq_u32_e64 s3, 0, v9
	v_cndmask_b32_e64 v9, v14, v12, s3
; %bb.63:                               ;   in Loop: Header=BB226_12 Depth=1
	s_or_b32 exec_lo, exec_lo, s39
	v_lshlrev_b64 v[14:15], 1, v[53:54]
	s_delay_alu instid0(VALU_DEP_1) | instskip(NEXT) | instid1(VALU_DEP_1)
	v_add_co_u32 v14, s3, s12, v14
	v_add_co_ci_u32_e64 v15, s3, s13, v15, s3
	global_store_d16_hi_b16 v[14:15], v9, off
	s_or_b32 exec_lo, exec_lo, s15
	s_and_saveexec_b32 s15, s1
	s_cbranch_execz .LBB226_40
.LBB226_64:                             ;   in Loop: Header=BB226_12 Depth=1
	s_waitcnt vmcnt(4) lgkmcnt(1)
	v_dual_add_f32 v9, v10, v11 :: v_dual_lshlrev_b32 v10, 16, v22
	s_delay_alu instid0(VALU_DEP_1) | instskip(NEXT) | instid1(VALU_DEP_1)
	v_add_f32_e32 v10, v9, v10
	v_and_b32_e32 v9, 0x7f800000, v10
	s_delay_alu instid0(VALU_DEP_1) | instskip(NEXT) | instid1(VALU_DEP_1)
	v_cmp_ne_u32_e64 s3, 0x7f800000, v9
                                        ; implicit-def: $vgpr9
	s_and_saveexec_b32 s39, s3
	s_delay_alu instid0(SALU_CYCLE_1)
	s_xor_b32 s3, exec_lo, s39
; %bb.65:                               ;   in Loop: Header=BB226_12 Depth=1
	v_bfe_u32 v9, v10, 16, 1
	s_delay_alu instid0(VALU_DEP_1)
	v_add3_u32 v9, v10, v9, 0x7fff
                                        ; implicit-def: $vgpr10
; %bb.66:                               ;   in Loop: Header=BB226_12 Depth=1
	s_and_not1_saveexec_b32 s39, s3
; %bb.67:                               ;   in Loop: Header=BB226_12 Depth=1
	v_and_b32_e32 v9, 0xffff, v10
	v_or_b32_e32 v11, 0x10000, v10
	s_delay_alu instid0(VALU_DEP_2) | instskip(NEXT) | instid1(VALU_DEP_1)
	v_cmp_eq_u32_e64 s3, 0, v9
	v_cndmask_b32_e64 v9, v11, v10, s3
; %bb.68:                               ;   in Loop: Header=BB226_12 Depth=1
	s_or_b32 exec_lo, exec_lo, s39
	v_dual_mov_b32 v11, v54 :: v_dual_add_nc_u32 v10, 1, v53
	s_delay_alu instid0(VALU_DEP_1) | instskip(NEXT) | instid1(VALU_DEP_1)
	v_lshlrev_b64 v[10:11], 1, v[10:11]
	v_add_co_u32 v10, s3, s12, v10
	s_delay_alu instid0(VALU_DEP_1)
	v_add_co_ci_u32_e64 v11, s3, s13, v11, s3
	global_store_d16_hi_b16 v[10:11], v9, off
	s_or_b32 exec_lo, exec_lo, s15
	s_and_saveexec_b32 s15, s2
	s_cbranch_execz .LBB226_41
.LBB226_69:                             ;   in Loop: Header=BB226_12 Depth=1
	s_waitcnt lgkmcnt(3)
	v_add_f32_e32 v6, v6, v7
	s_waitcnt vmcnt(3)
	v_lshlrev_b32_e32 v7, 16, v19
	s_delay_alu instid0(VALU_DEP_1) | instskip(NEXT) | instid1(VALU_DEP_1)
	v_add_f32_e32 v7, v6, v7
	v_and_b32_e32 v6, 0x7f800000, v7
	s_delay_alu instid0(VALU_DEP_1) | instskip(NEXT) | instid1(VALU_DEP_1)
	v_cmp_ne_u32_e64 s3, 0x7f800000, v6
                                        ; implicit-def: $vgpr6
	s_and_saveexec_b32 s39, s3
	s_delay_alu instid0(SALU_CYCLE_1)
	s_xor_b32 s3, exec_lo, s39
; %bb.70:                               ;   in Loop: Header=BB226_12 Depth=1
	v_bfe_u32 v6, v7, 16, 1
	s_delay_alu instid0(VALU_DEP_1)
	v_add3_u32 v6, v7, v6, 0x7fff
                                        ; implicit-def: $vgpr7
; %bb.71:                               ;   in Loop: Header=BB226_12 Depth=1
	s_and_not1_saveexec_b32 s39, s3
; %bb.72:                               ;   in Loop: Header=BB226_12 Depth=1
	v_and_b32_e32 v6, 0xffff, v7
	v_or_b32_e32 v9, 0x10000, v7
	s_delay_alu instid0(VALU_DEP_2) | instskip(NEXT) | instid1(VALU_DEP_1)
	v_cmp_eq_u32_e64 s3, 0, v6
	v_cndmask_b32_e64 v6, v9, v7, s3
; %bb.73:                               ;   in Loop: Header=BB226_12 Depth=1
	s_or_b32 exec_lo, exec_lo, s39
	v_dual_mov_b32 v10, v54 :: v_dual_add_nc_u32 v9, 2, v53
	s_delay_alu instid0(VALU_DEP_1) | instskip(NEXT) | instid1(VALU_DEP_1)
	v_lshlrev_b64 v[9:10], 1, v[9:10]
	v_add_co_u32 v9, s3, s12, v9
	s_delay_alu instid0(VALU_DEP_1)
	v_add_co_ci_u32_e64 v10, s3, s13, v10, s3
	global_store_d16_hi_b16 v[9:10], v6, off
	s_or_b32 exec_lo, exec_lo, s15
	v_add_nc_u32_e32 v53, s19, v53
	s_and_saveexec_b32 s3, vcc_lo
	s_cbranch_execz .LBB226_42
.LBB226_74:                             ;   in Loop: Header=BB226_12 Depth=1
	s_waitcnt vmcnt(2) lgkmcnt(4)
	v_dual_add_f32 v4, v4, v5 :: v_dual_lshlrev_b32 v5, 16, v16
	s_delay_alu instid0(VALU_DEP_1) | instskip(NEXT) | instid1(VALU_DEP_1)
	v_add_f32_e32 v5, v4, v5
	v_and_b32_e32 v4, 0x7f800000, v5
	s_delay_alu instid0(VALU_DEP_1) | instskip(SKIP_1) | instid1(SALU_CYCLE_1)
	v_cmp_ne_u32_e32 vcc_lo, 0x7f800000, v4
                                        ; implicit-def: $vgpr4
	s_and_saveexec_b32 s15, vcc_lo
	s_xor_b32 s15, exec_lo, s15
; %bb.75:                               ;   in Loop: Header=BB226_12 Depth=1
	v_bfe_u32 v4, v5, 16, 1
	s_delay_alu instid0(VALU_DEP_1)
	v_add3_u32 v4, v5, v4, 0x7fff
                                        ; implicit-def: $vgpr5
; %bb.76:                               ;   in Loop: Header=BB226_12 Depth=1
	s_and_not1_saveexec_b32 s15, s15
; %bb.77:                               ;   in Loop: Header=BB226_12 Depth=1
	v_and_b32_e32 v4, 0xffff, v5
	v_or_b32_e32 v6, 0x10000, v5
	s_delay_alu instid0(VALU_DEP_2) | instskip(NEXT) | instid1(VALU_DEP_2)
	v_cmp_eq_u32_e32 vcc_lo, 0, v4
	v_cndmask_b32_e32 v4, v6, v5, vcc_lo
; %bb.78:                               ;   in Loop: Header=BB226_12 Depth=1
	s_or_b32 exec_lo, exec_lo, s15
	v_lshlrev_b64 v[5:6], 1, v[53:54]
	s_delay_alu instid0(VALU_DEP_1) | instskip(NEXT) | instid1(VALU_DEP_2)
	v_add_co_u32 v5, vcc_lo, s12, v5
	v_add_co_ci_u32_e32 v6, vcc_lo, s13, v6, vcc_lo
	global_store_d16_hi_b16 v[5:6], v4, off
	s_or_b32 exec_lo, exec_lo, s3
	s_and_saveexec_b32 s3, s1
	s_cbranch_execz .LBB226_43
.LBB226_79:                             ;   in Loop: Header=BB226_12 Depth=1
	s_waitcnt vmcnt(1) lgkmcnt(2)
	v_dual_add_f32 v2, v2, v3 :: v_dual_lshlrev_b32 v3, 16, v13
	s_delay_alu instid0(VALU_DEP_1) | instskip(NEXT) | instid1(VALU_DEP_1)
	v_add_f32_e32 v3, v2, v3
	v_and_b32_e32 v2, 0x7f800000, v3
	s_delay_alu instid0(VALU_DEP_1) | instskip(SKIP_1) | instid1(SALU_CYCLE_1)
	v_cmp_ne_u32_e32 vcc_lo, 0x7f800000, v2
                                        ; implicit-def: $vgpr2
	s_and_saveexec_b32 s1, vcc_lo
	s_xor_b32 s1, exec_lo, s1
; %bb.80:                               ;   in Loop: Header=BB226_12 Depth=1
	v_bfe_u32 v2, v3, 16, 1
	s_delay_alu instid0(VALU_DEP_1)
	v_add3_u32 v2, v3, v2, 0x7fff
                                        ; implicit-def: $vgpr3
; %bb.81:                               ;   in Loop: Header=BB226_12 Depth=1
	s_and_not1_saveexec_b32 s1, s1
; %bb.82:                               ;   in Loop: Header=BB226_12 Depth=1
	v_and_b32_e32 v2, 0xffff, v3
	v_or_b32_e32 v4, 0x10000, v3
	s_delay_alu instid0(VALU_DEP_2) | instskip(NEXT) | instid1(VALU_DEP_2)
	v_cmp_eq_u32_e32 vcc_lo, 0, v2
	v_cndmask_b32_e32 v2, v4, v3, vcc_lo
; %bb.83:                               ;   in Loop: Header=BB226_12 Depth=1
	s_or_b32 exec_lo, exec_lo, s1
	v_dual_mov_b32 v4, v54 :: v_dual_add_nc_u32 v3, 1, v53
	s_delay_alu instid0(VALU_DEP_1) | instskip(NEXT) | instid1(VALU_DEP_1)
	v_lshlrev_b64 v[3:4], 1, v[3:4]
	v_add_co_u32 v3, vcc_lo, s12, v3
	s_delay_alu instid0(VALU_DEP_2) | instskip(SKIP_2) | instid1(SALU_CYCLE_1)
	v_add_co_ci_u32_e32 v4, vcc_lo, s13, v4, vcc_lo
	global_store_d16_hi_b16 v[3:4], v2, off
	s_or_b32 exec_lo, exec_lo, s3
	s_and_b32 exec_lo, exec_lo, s2
	s_cbranch_execz .LBB226_89
.LBB226_84:                             ;   in Loop: Header=BB226_12 Depth=1
	s_waitcnt vmcnt(0) lgkmcnt(0)
	v_dual_add_f32 v0, v0, v1 :: v_dual_lshlrev_b32 v1, 16, v8
	s_delay_alu instid0(VALU_DEP_1) | instskip(NEXT) | instid1(VALU_DEP_1)
	v_add_f32_e32 v1, v0, v1
	v_and_b32_e32 v0, 0x7f800000, v1
	s_delay_alu instid0(VALU_DEP_1) | instskip(SKIP_1) | instid1(SALU_CYCLE_1)
	v_cmp_ne_u32_e32 vcc_lo, 0x7f800000, v0
                                        ; implicit-def: $vgpr0
	s_and_saveexec_b32 s1, vcc_lo
	s_xor_b32 s1, exec_lo, s1
; %bb.85:                               ;   in Loop: Header=BB226_12 Depth=1
	v_bfe_u32 v0, v1, 16, 1
	s_delay_alu instid0(VALU_DEP_1)
	v_add3_u32 v0, v1, v0, 0x7fff
                                        ; implicit-def: $vgpr1
; %bb.86:                               ;   in Loop: Header=BB226_12 Depth=1
	s_and_not1_saveexec_b32 s1, s1
; %bb.87:                               ;   in Loop: Header=BB226_12 Depth=1
	v_and_b32_e32 v0, 0xffff, v1
	v_or_b32_e32 v2, 0x10000, v1
	s_delay_alu instid0(VALU_DEP_2) | instskip(NEXT) | instid1(VALU_DEP_2)
	v_cmp_eq_u32_e32 vcc_lo, 0, v0
	v_cndmask_b32_e32 v0, v2, v1, vcc_lo
; %bb.88:                               ;   in Loop: Header=BB226_12 Depth=1
	s_or_b32 exec_lo, exec_lo, s1
	v_add_nc_u32_e32 v53, 2, v53
	s_delay_alu instid0(VALU_DEP_1) | instskip(NEXT) | instid1(VALU_DEP_1)
	v_lshlrev_b64 v[1:2], 1, v[53:54]
	v_add_co_u32 v1, vcc_lo, s12, v1
	s_delay_alu instid0(VALU_DEP_2)
	v_add_co_ci_u32_e32 v2, vcc_lo, s13, v2, vcc_lo
	global_store_d16_hi_b16 v[1:2], v0, off
.LBB226_89:                             ;   in Loop: Header=BB226_12 Depth=1
	s_or_b32 exec_lo, exec_lo, s14
	v_add_nc_u32_e32 v51, s5, v51
	s_delay_alu instid0(VALU_DEP_1) | instskip(SKIP_1) | instid1(VALU_DEP_2)
	v_add_nc_u32_e32 v0, 3, v51
	v_cmp_gt_u32_e32 vcc_lo, s19, v51
	v_cmp_le_u32_e64 s1, s19, v0
	s_delay_alu instid0(VALU_DEP_1) | instskip(NEXT) | instid1(SALU_CYCLE_1)
	s_and_b32 s1, vcc_lo, s1
	s_and_saveexec_b32 s39, s1
	s_cbranch_execz .LBB226_10
; %bb.90:                               ;   in Loop: Header=BB226_12 Depth=1
	s_mov_b32 s40, exec_lo
	v_cmpx_ne_u32_e64 s21, v51
	s_cbranch_execz .LBB226_9
; %bb.91:                               ;   in Loop: Header=BB226_12 Depth=1
	v_subrev_nc_u32_e32 v0, s21, v51
	s_mov_b32 s41, 0
	s_mov_b64 s[14:15], 0
	s_delay_alu instid0(VALU_DEP_1)
	v_cmp_lt_u32_e32 vcc_lo, 1, v0
	v_cndmask_b32_e32 v0, 1, v0, vcc_lo
	.p2align	6
.LBB226_92:                             ;   Parent Loop BB226_12 Depth=1
                                        ; =>  This Inner Loop Header: Depth=2
	s_cmp_lg_u32 s14, 2
	s_cselect_b32 vcc_lo, -1, 0
	s_cmp_lg_u32 s14, 1
	v_cndmask_b32_e32 v50, 0, v50, vcc_lo
	s_cselect_b32 s1, -1, 0
	s_cmp_lg_u32 s14, 0
	v_cndmask_b32_e64 v49, 0, v49, s1
	s_cselect_b32 s2, -1, 0
	s_add_u32 s14, s14, 1
	v_cndmask_b32_e64 v48, 0, v48, s2
	v_cmp_eq_u32_e64 s3, s14, v0
	s_addc_u32 s15, s15, 0
	s_delay_alu instid0(VALU_DEP_1) | instskip(NEXT) | instid1(SALU_CYCLE_1)
	s_or_b32 s41, s3, s41
	s_and_not1_b32 exec_lo, exec_lo, s41
	s_cbranch_execnz .LBB226_92
; %bb.93:                               ;   in Loop: Header=BB226_12 Depth=1
	s_or_b32 exec_lo, exec_lo, s41
	s_branch .LBB226_9
.LBB226_94:
	s_nop 0
	s_sendmsg sendmsg(MSG_DEALLOC_VGPRS)
	s_endpgm
	.section	.rodata,"a",@progbits
	.p2align	6, 0x0
	.amdhsa_kernel _Z16wvSplitK_hf_big_I14__hip_bfloat16Li32ELi3ELi16ELi8ELi2ELi3EEviiiiiiPKT_S3_S3_PS1_ii
		.amdhsa_group_segment_fixed_size 65536
		.amdhsa_private_segment_fixed_size 0
		.amdhsa_kernarg_size 64
		.amdhsa_user_sgpr_count 15
		.amdhsa_user_sgpr_dispatch_ptr 0
		.amdhsa_user_sgpr_queue_ptr 0
		.amdhsa_user_sgpr_kernarg_segment_ptr 1
		.amdhsa_user_sgpr_dispatch_id 0
		.amdhsa_user_sgpr_private_segment_size 0
		.amdhsa_wavefront_size32 1
		.amdhsa_uses_dynamic_stack 0
		.amdhsa_enable_private_segment 0
		.amdhsa_system_sgpr_workgroup_id_x 1
		.amdhsa_system_sgpr_workgroup_id_y 0
		.amdhsa_system_sgpr_workgroup_id_z 0
		.amdhsa_system_sgpr_workgroup_info 0
		.amdhsa_system_vgpr_workitem_id 1
		.amdhsa_next_free_vgpr 91
		.amdhsa_next_free_sgpr 42
		.amdhsa_reserve_vcc 1
		.amdhsa_float_round_mode_32 0
		.amdhsa_float_round_mode_16_64 0
		.amdhsa_float_denorm_mode_32 3
		.amdhsa_float_denorm_mode_16_64 3
		.amdhsa_dx10_clamp 1
		.amdhsa_ieee_mode 1
		.amdhsa_fp16_overflow 0
		.amdhsa_workgroup_processor_mode 1
		.amdhsa_memory_ordered 1
		.amdhsa_forward_progress 0
		.amdhsa_shared_vgpr_count 0
		.amdhsa_exception_fp_ieee_invalid_op 0
		.amdhsa_exception_fp_denorm_src 0
		.amdhsa_exception_fp_ieee_div_zero 0
		.amdhsa_exception_fp_ieee_overflow 0
		.amdhsa_exception_fp_ieee_underflow 0
		.amdhsa_exception_fp_ieee_inexact 0
		.amdhsa_exception_int_div_zero 0
	.end_amdhsa_kernel
	.section	.text._Z16wvSplitK_hf_big_I14__hip_bfloat16Li32ELi3ELi16ELi8ELi2ELi3EEviiiiiiPKT_S3_S3_PS1_ii,"axG",@progbits,_Z16wvSplitK_hf_big_I14__hip_bfloat16Li32ELi3ELi16ELi8ELi2ELi3EEviiiiiiPKT_S3_S3_PS1_ii,comdat
.Lfunc_end226:
	.size	_Z16wvSplitK_hf_big_I14__hip_bfloat16Li32ELi3ELi16ELi8ELi2ELi3EEviiiiiiPKT_S3_S3_PS1_ii, .Lfunc_end226-_Z16wvSplitK_hf_big_I14__hip_bfloat16Li32ELi3ELi16ELi8ELi2ELi3EEviiiiiiPKT_S3_S3_PS1_ii
                                        ; -- End function
	.section	.AMDGPU.csdata,"",@progbits
; Kernel info:
; codeLenInByte = 6888
; NumSgprs: 44
; NumVgprs: 91
; ScratchSize: 0
; MemoryBound: 0
; FloatMode: 240
; IeeeMode: 1
; LDSByteSize: 65536 bytes/workgroup (compile time only)
; SGPRBlocks: 5
; VGPRBlocks: 11
; NumSGPRsForWavesPerEU: 44
; NumVGPRsForWavesPerEU: 91
; Occupancy: 8
; WaveLimiterHint : 0
; COMPUTE_PGM_RSRC2:SCRATCH_EN: 0
; COMPUTE_PGM_RSRC2:USER_SGPR: 15
; COMPUTE_PGM_RSRC2:TRAP_HANDLER: 0
; COMPUTE_PGM_RSRC2:TGID_X_EN: 1
; COMPUTE_PGM_RSRC2:TGID_Y_EN: 0
; COMPUTE_PGM_RSRC2:TGID_Z_EN: 0
; COMPUTE_PGM_RSRC2:TIDIG_COMP_CNT: 1
	.section	.text._Z16wvSplitK_hf_sml_I14__hip_bfloat16Li32ELi4ELi16ELi8ELi1ELi3EEviiiiiiPKT_S3_S3_PS1_ii,"axG",@progbits,_Z16wvSplitK_hf_sml_I14__hip_bfloat16Li32ELi4ELi16ELi8ELi1ELi3EEviiiiiiPKT_S3_S3_PS1_ii,comdat
	.protected	_Z16wvSplitK_hf_sml_I14__hip_bfloat16Li32ELi4ELi16ELi8ELi1ELi3EEviiiiiiPKT_S3_S3_PS1_ii ; -- Begin function _Z16wvSplitK_hf_sml_I14__hip_bfloat16Li32ELi4ELi16ELi8ELi1ELi3EEviiiiiiPKT_S3_S3_PS1_ii
	.globl	_Z16wvSplitK_hf_sml_I14__hip_bfloat16Li32ELi4ELi16ELi8ELi1ELi3EEviiiiiiPKT_S3_S3_PS1_ii
	.p2align	8
	.type	_Z16wvSplitK_hf_sml_I14__hip_bfloat16Li32ELi4ELi16ELi8ELi1ELi3EEviiiiiiPKT_S3_S3_PS1_ii,@function
_Z16wvSplitK_hf_sml_I14__hip_bfloat16Li32ELi4ELi16ELi8ELi1ELi3EEviiiiiiPKT_S3_S3_PS1_ii: ; @_Z16wvSplitK_hf_sml_I14__hip_bfloat16Li32ELi4ELi16ELi8ELi1ELi3EEviiiiiiPKT_S3_S3_PS1_ii
; %bb.0:
	s_load_b128 s[4:7], s[0:1], 0x0
	v_and_b32_e32 v1, 0x3ff, v0
	v_bfe_u32 v0, v0, 10, 10
	s_mov_b32 s8, exec_lo
	s_delay_alu instid0(VALU_DEP_2) | instskip(NEXT) | instid1(VALU_DEP_1)
	v_lshlrev_b32_e32 v39, 3, v1
	v_lshl_add_u32 v3, v0, 8, v39
	s_waitcnt lgkmcnt(0)
	s_mul_i32 s2, s6, 3
	s_delay_alu instid0(SALU_CYCLE_1)
	s_min_u32 s9, s2, 0x8000
	s_delay_alu instid0(VALU_DEP_1) | instid1(SALU_CYCLE_1)
	v_cmpx_gt_u32_e64 s9, v3
	s_cbranch_execz .LBB227_9
; %bb.1:
	s_load_b64 s[2:3], s[0:1], 0x20
	v_lshlrev_b32_e32 v2, 1, v3
	v_add_nc_u32_e32 v8, 0x1000, v3
	s_mov_b32 s10, exec_lo
	s_waitcnt lgkmcnt(0)
	global_load_b128 v[4:7], v2, s[2:3]
	s_waitcnt vmcnt(0)
	ds_store_b128 v2, v[4:7]
	v_cmpx_gt_u32_e64 s9, v8
	s_xor_b32 s10, exec_lo, s10
	s_cbranch_execz .LBB227_9
; %bb.2:
	v_add_co_u32 v4, s2, s2, v2
	s_delay_alu instid0(VALU_DEP_1) | instskip(SKIP_1) | instid1(VALU_DEP_3)
	v_add_co_ci_u32_e64 v5, null, s3, 0, s2
	v_add_nc_u32_e32 v10, 0x2000, v3
	v_add_co_u32 v6, vcc_lo, 0x2000, v4
	s_delay_alu instid0(VALU_DEP_3)
	v_add_co_ci_u32_e32 v7, vcc_lo, 0, v5, vcc_lo
	s_mov_b32 s2, exec_lo
	global_load_b128 v[6:9], v[6:7], off
	s_waitcnt vmcnt(0)
	ds_store_b128 v2, v[6:9] offset:8192
	v_cmpx_gt_u32_e64 s9, v10
	s_xor_b32 s2, exec_lo, s2
	s_cbranch_execz .LBB227_9
; %bb.3:
	v_add_co_u32 v6, vcc_lo, 0x4000, v4
	v_add_co_ci_u32_e32 v7, vcc_lo, 0, v5, vcc_lo
	v_add_nc_u32_e32 v10, 0x3000, v3
	s_mov_b32 s2, exec_lo
	global_load_b128 v[6:9], v[6:7], off
	s_waitcnt vmcnt(0)
	ds_store_b128 v2, v[6:9] offset:16384
	v_cmpx_gt_u32_e64 s9, v10
	s_xor_b32 s2, exec_lo, s2
	s_cbranch_execz .LBB227_9
; %bb.4:
	v_add_co_u32 v6, vcc_lo, 0x6000, v4
	v_add_co_ci_u32_e32 v7, vcc_lo, 0, v5, vcc_lo
	v_add_nc_u32_e32 v10, 0x4000, v3
	;; [unrolled: 11-line block ×5, first 2 shown]
	s_mov_b32 s2, exec_lo
	global_load_b128 v[6:9], v[6:7], off
	s_waitcnt vmcnt(0)
	ds_store_b128 v2, v[6:9] offset:49152
	v_cmpx_gt_u32_e64 s9, v3
	s_xor_b32 s2, exec_lo, s2
	s_cbranch_execz .LBB227_9
; %bb.8:
	v_add_co_u32 v3, vcc_lo, 0xe000, v4
	v_add_co_ci_u32_e32 v4, vcc_lo, 0, v5, vcc_lo
	global_load_b128 v[3:6], v[3:4], off
	s_waitcnt vmcnt(0)
	ds_store_b128 v2, v[3:6] offset:57344
.LBB227_9:
	s_or_b32 exec_lo, exec_lo, s8
	s_load_b64 s[16:17], s[0:1], 0x38
	s_waitcnt lgkmcnt(0)
	s_barrier
	buffer_gl0_inv
	s_mov_b32 s2, exec_lo
	v_cmpx_gt_u32_e64 s16, v0
	s_cbranch_execz .LBB227_70
; %bb.10:
	s_load_b64 s[2:3], s[0:1], 0x10
	s_mul_i32 s15, s15, s16
	s_delay_alu instid0(SALU_CYCLE_1) | instskip(NEXT) | instid1(VALU_DEP_1)
	v_add_lshl_u32 v24, s15, v0, 2
	v_cmp_gt_u32_e32 vcc_lo, s7, v24
	s_and_b32 exec_lo, exec_lo, vcc_lo
	s_cbranch_execz .LBB227_70
; %bb.11:
	s_clause 0x1
	s_load_b128 s[8:11], s[0:1], 0x28
	s_load_b64 s[12:13], s[0:1], 0x18
	s_cmp_lg_u32 s4, 0
	v_mbcnt_lo_u32_b32 v3, -1, 0
	s_cselect_b32 s1, -1, 0
	s_add_i32 s14, s4, -8
	s_add_i32 s15, s7, -1
	v_cmp_eq_u32_e64 s0, 31, v1
	v_lshlrev_b32_e32 v40, 4, v1
	v_xor_b32_e32 v1, 16, v3
	s_waitcnt lgkmcnt(0)
	v_cvt_f32_u32_e32 v2, s2
	s_mul_i32 s16, s16, s17
	v_mov_b32_e32 v26, 0
	v_cmp_gt_i32_e32 vcc_lo, 32, v1
	s_delay_alu instid0(VALU_DEP_3)
	v_rcp_iflag_f32_e32 v2, v2
	v_cndmask_b32_e32 v1, v3, v1, vcc_lo
	s_cmp_lg_u64 s[8:9], 0
	s_cselect_b32 s18, -1, 0
	s_abs_i32 s19, s3
	s_lshl_b32 s16, s16, 2
	v_cvt_f32_u32_e32 v0, s19
	s_sub_i32 s20, 0, s19
	s_waitcnt_depctr 0xfff
	v_dual_mul_f32 v2, 0x4f7ffffe, v2 :: v_dual_lshlrev_b32 v41, 2, v1
	s_sub_i32 s21, 0, s2
	v_rcp_iflag_f32_e32 v0, v0
	s_sub_i32 s22, 1, s19
	s_mov_b32 s3, 0
	s_waitcnt_depctr 0xfff
	v_mul_f32_e32 v0, 0x4f7ffffe, v0
	s_delay_alu instid0(VALU_DEP_1) | instskip(NEXT) | instid1(VALU_DEP_1)
	v_cvt_u32_f32_e32 v0, v0
	v_readfirstlane_b32 s17, v0
	v_cvt_u32_f32_e32 v0, v2
	s_delay_alu instid0(VALU_DEP_2) | instskip(NEXT) | instid1(VALU_DEP_1)
	s_mul_i32 s20, s20, s17
	v_mul_lo_u32 v2, s21, v0
	s_mul_hi_u32 s20, s17, s20
	s_delay_alu instid0(SALU_CYCLE_1) | instskip(SKIP_2) | instid1(SALU_CYCLE_1)
	s_add_i32 s17, s17, s20
	s_cmp_lt_u32 s19, 2
	s_cselect_b32 s20, s22, 1
	s_sub_i32 s21, s20, s19
	s_cmp_ge_u32 s20, s19
	s_delay_alu instid0(VALU_DEP_1) | instskip(SKIP_2) | instid1(SALU_CYCLE_1)
	v_mul_hi_u32 v2, v0, v2
	s_cselect_b32 s20, s21, s20
	s_lshr_b32 s17, s17, 31
	s_mul_i32 s17, s17, s19
	s_delay_alu instid0(SALU_CYCLE_1) | instskip(NEXT) | instid1(SALU_CYCLE_1)
	s_sub_i32 s17, 2, s17
	s_sub_i32 s21, s17, s19
	s_cmp_ge_u32 s17, s19
	s_delay_alu instid0(VALU_DEP_1)
	v_add_nc_u32_e32 v42, v0, v2
	s_cselect_b32 s21, s21, s17
	s_mul_i32 s17, s20, s2
	s_sub_i32 s22, s21, s19
	s_cmp_ge_u32 s21, s19
	s_cselect_b32 s20, s22, s21
	s_lshl_b32 s19, s6, 2
	s_mul_i32 s20, s20, s2
	s_lshl_b32 s6, s6, 1
	s_branch .LBB227_14
.LBB227_12:                             ;   in Loop: Header=BB227_14 Depth=1
	s_or_b32 exec_lo, exec_lo, s22
	v_add_nc_u32_e32 v25, 3, v25
	s_delay_alu instid0(VALU_DEP_1) | instskip(NEXT) | instid1(VALU_DEP_1)
	v_lshlrev_b64 v[1:2], 1, v[25:26]
	v_add_co_u32 v1, vcc_lo, s10, v1
	s_delay_alu instid0(VALU_DEP_2)
	v_add_co_ci_u32_e32 v2, vcc_lo, s11, v2, vcc_lo
	global_store_d16_hi_b16 v[1:2], v0, off
.LBB227_13:                             ;   in Loop: Header=BB227_14 Depth=1
	s_or_b32 exec_lo, exec_lo, s21
	v_add_nc_u32_e32 v24, s16, v24
	s_delay_alu instid0(VALU_DEP_1) | instskip(SKIP_1) | instid1(SALU_CYCLE_1)
	v_cmp_le_u32_e32 vcc_lo, s7, v24
	s_or_b32 s3, vcc_lo, s3
	s_and_not1_b32 exec_lo, exec_lo, s3
	s_cbranch_execz .LBB227_70
.LBB227_14:                             ; =>This Loop Header: Depth=1
                                        ;     Child Loop BB227_17 Depth 2
	v_mov_b32_e32 v43, v26
	v_mov_b32_e32 v44, v26
	;; [unrolled: 1-line block ×12, first 2 shown]
	s_and_not1_b32 vcc_lo, exec_lo, s1
	s_cbranch_vccnz .LBB227_19
; %bb.15:                               ;   in Loop: Header=BB227_14 Depth=1
	v_or_b32_e32 v0, 1, v24
	s_waitcnt lgkmcnt(9)
	v_or_b32_e32 v1, 2, v24
	v_or_b32_e32 v2, 3, v24
	s_waitcnt lgkmcnt(0)
	v_min_u32_e32 v3, s15, v24
	v_dual_mov_b32 v5, v26 :: v_dual_mov_b32 v52, 0
	v_min_u32_e32 v0, s15, v0
	v_min_u32_e32 v1, s15, v1
	;; [unrolled: 1-line block ×3, first 2 shown]
	v_mul_lo_u32 v25, v3, s5
	v_dual_mov_b32 v3, v26 :: v_dual_mov_b32 v54, 0
	v_mul_lo_u32 v0, v0, s5
	v_mul_lo_u32 v2, v1, s5
	;; [unrolled: 1-line block ×3, first 2 shown]
	v_dual_mov_b32 v1, v26 :: v_dual_mov_b32 v50, 0
	v_lshlrev_b64 v[27:28], 1, v[25:26]
	v_dual_mov_b32 v55, v40 :: v_dual_mov_b32 v48, 0
	s_delay_alu instid0(VALU_DEP_3)
	v_lshlrev_b64 v[29:30], 1, v[0:1]
	v_lshlrev_b64 v[31:32], 1, v[2:3]
	;; [unrolled: 1-line block ×3, first 2 shown]
	v_dual_mov_b32 v53, 0 :: v_dual_mov_b32 v46, 0
	v_dual_mov_b32 v51, 0 :: v_dual_mov_b32 v44, 0
	v_mov_b32_e32 v49, 0
	v_mov_b32_e32 v47, 0
	;; [unrolled: 1-line block ×4, first 2 shown]
	s_mov_b32 s21, 0
	s_branch .LBB227_17
.LBB227_16:                             ;   in Loop: Header=BB227_17 Depth=2
	s_or_b32 exec_lo, exec_lo, s22
	s_waitcnt lgkmcnt(1)
	v_and_b32_e32 v57, 0xffff0000, v21
	v_and_b32_e32 v63, 0xffff0000, v23
	s_waitcnt vmcnt(1)
	v_and_b32_e32 v69, 0xffff0000, v9
	v_and_b32_e32 v64, 0xffff0000, v19
	;; [unrolled: 1-line block ×4, first 2 shown]
	v_lshlrev_b32_e32 v23, 16, v23
	v_lshlrev_b32_e32 v19, 16, v19
	v_mul_f32_e32 v65, v63, v64
	v_and_b32_e32 v56, 0xffff0000, v16
	v_and_b32_e32 v58, 0xffff0000, v17
	;; [unrolled: 1-line block ×3, first 2 shown]
	s_delay_alu instid0(VALU_DEP_4) | instskip(NEXT) | instid1(VALU_DEP_3)
	v_dual_fmac_f32 v65, v23, v19 :: v_dual_lshlrev_b32 v16, 16, v16
	v_dual_mul_f32 v60, v57, v58 :: v_dual_and_b32 v67, 0xffff0000, v13
	s_delay_alu instid0(VALU_DEP_3)
	v_dual_mul_f32 v59, v25, v56 :: v_dual_lshlrev_b32 v22, 16, v22
	v_lshlrev_b32_e32 v13, 16, v13
	v_lshlrev_b32_e32 v18, 16, v18
	;; [unrolled: 1-line block ×4, first 2 shown]
	v_and_b32_e32 v72, 0xffff0000, v15
	v_lshlrev_b32_e32 v15, 16, v15
	v_add_nc_u32_e32 v55, 0x200, v55
	v_fmac_f32_e32 v59, v20, v16
	s_addk_i32 s21, 0x100
	v_and_b32_e32 v71, 0xffff0000, v10
	s_cmp_ge_u32 s21, s4
	s_delay_alu instid0(VALU_DEP_2) | instskip(SKIP_1) | instid1(VALU_DEP_1)
	v_dual_add_f32 v50, v50, v59 :: v_dual_lshlrev_b32 v21, 16, v21
	v_mul_f32_e32 v59, v61, v62
	v_dual_fmac_f32 v60, v21, v17 :: v_dual_fmac_f32 v59, v22, v18
	s_delay_alu instid0(VALU_DEP_1) | instskip(NEXT) | instid1(VALU_DEP_1)
	v_add_f32_e32 v50, v50, v60
	v_dual_add_f32 v50, v50, v59 :: v_dual_lshlrev_b32 v9, 16, v9
	s_delay_alu instid0(VALU_DEP_1) | instskip(SKIP_1) | instid1(VALU_DEP_2)
	v_dual_add_f32 v50, v50, v65 :: v_dual_and_b32 v65, 0xffff0000, v8
	v_lshlrev_b32_e32 v8, 16, v8
	v_mul_f32_e32 v68, v25, v65
	s_delay_alu instid0(VALU_DEP_1) | instskip(NEXT) | instid1(VALU_DEP_1)
	v_fmac_f32_e32 v68, v20, v8
	v_add_f32_e32 v53, v53, v68
	v_mul_f32_e32 v68, v61, v71
	v_and_b32_e32 v60, 0xffff0000, v12
	v_lshlrev_b32_e32 v12, 16, v12
	s_delay_alu instid0(VALU_DEP_2) | instskip(NEXT) | instid1(VALU_DEP_1)
	v_mul_f32_e32 v66, v25, v60
	v_fmac_f32_e32 v66, v20, v12
	s_delay_alu instid0(VALU_DEP_1) | instskip(SKIP_1) | instid1(VALU_DEP_1)
	v_dual_mul_f32 v73, v63, v72 :: v_dual_add_f32 v54, v54, v66
	v_and_b32_e32 v66, 0xffff0000, v14
	v_mul_f32_e32 v70, v61, v66
	v_mul_f32_e32 v59, v57, v67
	s_delay_alu instid0(VALU_DEP_1) | instskip(NEXT) | instid1(VALU_DEP_1)
	v_fmac_f32_e32 v59, v21, v13
	v_dual_add_f32 v54, v54, v59 :: v_dual_mul_f32 v59, v57, v69
	s_delay_alu instid0(VALU_DEP_1) | instskip(NEXT) | instid1(VALU_DEP_1)
	v_fmac_f32_e32 v59, v21, v9
	v_add_f32_e32 v53, v53, v59
	s_waitcnt vmcnt(0)
	v_and_b32_e32 v59, 0xffff0000, v4
	v_lshlrev_b32_e32 v14, 16, v14
	s_delay_alu instid0(VALU_DEP_2) | instskip(NEXT) | instid1(VALU_DEP_2)
	v_dual_mul_f32 v25, v25, v59 :: v_dual_lshlrev_b32 v10, 16, v10
	v_fmac_f32_e32 v70, v22, v14
	s_delay_alu instid0(VALU_DEP_2) | instskip(NEXT) | instid1(VALU_DEP_1)
	v_dual_fmac_f32 v68, v22, v10 :: v_dual_fmac_f32 v73, v23, v15
	v_dual_add_f32 v54, v54, v70 :: v_dual_add_f32 v53, v53, v68
	v_and_b32_e32 v70, 0xffff0000, v11
	v_lshlrev_b32_e32 v4, 16, v4
	v_and_b32_e32 v68, 0xffff0000, v5
	s_delay_alu instid0(VALU_DEP_4) | instskip(NEXT) | instid1(VALU_DEP_3)
	v_dual_add_f32 v54, v54, v73 :: v_dual_lshlrev_b32 v11, 16, v11
	v_fmac_f32_e32 v25, v20, v4
	s_delay_alu instid0(VALU_DEP_1) | instskip(SKIP_3) | instid1(VALU_DEP_3)
	v_dual_mul_f32 v20, v57, v68 :: v_dual_add_f32 v25, v51, v25
	v_lshlrev_b32_e32 v5, 16, v5
	v_and_b32_e32 v75, 0xffff0000, v0
	v_dual_mul_f32 v57, v63, v70 :: v_dual_lshlrev_b32 v0, 16, v0
	v_fmac_f32_e32 v20, v21, v5
	s_delay_alu instid0(VALU_DEP_3) | instskip(NEXT) | instid1(VALU_DEP_3)
	v_dual_mul_f32 v51, v75, v56 :: v_dual_and_b32 v74, 0xffff0000, v6
	v_dual_fmac_f32 v57, v23, v11 :: v_dual_lshlrev_b32 v6, 16, v6
	s_delay_alu instid0(VALU_DEP_3) | instskip(NEXT) | instid1(VALU_DEP_3)
	v_add_f32_e32 v20, v25, v20
	v_mul_f32_e32 v21, v61, v74
	s_delay_alu instid0(VALU_DEP_4) | instskip(SKIP_1) | instid1(VALU_DEP_3)
	v_dual_fmac_f32 v51, v0, v16 :: v_dual_and_b32 v76, 0xffff0000, v2
	v_dual_mul_f32 v73, v75, v59 :: v_dual_lshlrev_b32 v2, 16, v2
	v_dual_fmac_f32 v21, v22, v6 :: v_dual_and_b32 v22, 0xffff0000, v7
	s_delay_alu instid0(VALU_DEP_3) | instskip(NEXT) | instid1(VALU_DEP_4)
	v_add_f32_e32 v51, v52, v51
	v_dual_mul_f32 v52, v76, v62 :: v_dual_and_b32 v25, 0xffff0000, v1
	v_lshlrev_b32_e32 v1, 16, v1
	s_delay_alu instid0(VALU_DEP_4) | instskip(NEXT) | instid1(VALU_DEP_3)
	v_dual_add_f32 v20, v20, v21 :: v_dual_lshlrev_b32 v7, 16, v7
	v_mul_f32_e32 v61, v25, v58
	s_delay_alu instid0(VALU_DEP_4) | instskip(SKIP_2) | instid1(VALU_DEP_4)
	v_fmac_f32_e32 v52, v2, v18
	v_mul_f32_e32 v63, v63, v22
	v_add_f32_e32 v53, v53, v57
	v_fmac_f32_e32 v61, v1, v17
	s_delay_alu instid0(VALU_DEP_1) | instskip(NEXT) | instid1(VALU_DEP_1)
	v_add_f32_e32 v21, v51, v61
	v_dual_add_f32 v21, v21, v52 :: v_dual_mul_f32 v52, v75, v65
	s_delay_alu instid0(VALU_DEP_1) | instskip(NEXT) | instid1(VALU_DEP_1)
	v_dual_fmac_f32 v63, v23, v7 :: v_dual_fmac_f32 v52, v0, v8
	v_dual_add_f32 v51, v20, v63 :: v_dual_mul_f32 v20, v75, v60
	s_delay_alu instid0(VALU_DEP_1) | instskip(NEXT) | instid1(VALU_DEP_1)
	v_dual_mul_f32 v63, v25, v69 :: v_dual_fmac_f32 v20, v0, v12
	v_add_f32_e32 v20, v48, v20
	v_mul_f32_e32 v48, v76, v66
	s_delay_alu instid0(VALU_DEP_1) | instskip(NEXT) | instid1(VALU_DEP_1)
	v_dual_fmac_f32 v48, v2, v14 :: v_dual_mul_f32 v57, v25, v67
	v_fmac_f32_e32 v57, v1, v13
	s_delay_alu instid0(VALU_DEP_1) | instskip(NEXT) | instid1(VALU_DEP_1)
	v_dual_add_f32 v20, v20, v57 :: v_dual_and_b32 v23, 0xffff0000, v3
	v_mul_f32_e32 v61, v23, v64
	s_delay_alu instid0(VALU_DEP_2) | instskip(SKIP_1) | instid1(VALU_DEP_1)
	v_dual_fmac_f32 v63, v1, v9 :: v_dual_add_f32 v20, v20, v48
	v_dual_add_f32 v49, v49, v52 :: v_dual_mul_f32 v52, v76, v71
	v_dual_fmac_f32 v52, v2, v10 :: v_dual_lshlrev_b32 v3, 16, v3
	s_delay_alu instid0(VALU_DEP_1) | instskip(SKIP_2) | instid1(VALU_DEP_1)
	v_fmac_f32_e32 v61, v3, v19
	v_fmac_f32_e32 v73, v0, v4
	v_mul_f32_e32 v0, v25, v68
	v_dual_mul_f32 v57, v23, v72 :: v_dual_fmac_f32 v0, v1, v5
	s_delay_alu instid0(VALU_DEP_1) | instskip(SKIP_1) | instid1(VALU_DEP_2)
	v_fmac_f32_e32 v57, v3, v15
	v_mul_f32_e32 v1, v76, v74
	v_add_f32_e32 v48, v20, v57
	s_delay_alu instid0(VALU_DEP_2) | instskip(SKIP_1) | instid1(VALU_DEP_1)
	v_dual_fmac_f32 v1, v2, v6 :: v_dual_and_b32 v20, 0xffff0000, v37
	v_dual_mul_f32 v2, v23, v22 :: v_dual_add_f32 v49, v49, v63
	v_dual_mul_f32 v25, v20, v56 :: v_dual_fmac_f32 v2, v3, v7
	s_delay_alu instid0(VALU_DEP_2)
	v_add_f32_e32 v49, v49, v52
	v_add_f32_e32 v52, v21, v61
	v_lshlrev_b32_e32 v21, 16, v37
	v_add_f32_e32 v37, v47, v73
	v_and_b32_e32 v47, 0xffff0000, v38
	v_mul_f32_e32 v63, v23, v70
	s_delay_alu instid0(VALU_DEP_4) | instskip(NEXT) | instid1(VALU_DEP_3)
	v_dual_fmac_f32 v25, v21, v16 :: v_dual_lshlrev_b32 v16, 16, v38
	v_mul_f32_e32 v38, v47, v58
	s_delay_alu instid0(VALU_DEP_2) | instskip(NEXT) | instid1(VALU_DEP_2)
	v_dual_add_f32 v0, v37, v0 :: v_dual_add_f32 v23, v46, v25
	v_fmac_f32_e32 v38, v16, v17
	v_mul_f32_e32 v17, v20, v60
	s_waitcnt lgkmcnt(0)
	s_delay_alu instid0(VALU_DEP_3) | instskip(NEXT) | instid1(VALU_DEP_2)
	v_dual_add_f32 v0, v0, v1 :: v_dual_and_b32 v1, 0xffff0000, v35
	v_dual_fmac_f32 v17, v21, v12 :: v_dual_mul_f32 v12, v47, v67
	v_fmac_f32_e32 v63, v3, v11
	v_add_f32_e32 v3, v23, v38
	s_delay_alu instid0(VALU_DEP_3) | instskip(SKIP_1) | instid1(VALU_DEP_4)
	v_dual_fmac_f32 v12, v16, v13 :: v_dual_lshlrev_b32 v23, 16, v35
	v_mul_f32_e32 v13, v1, v66
	v_add_f32_e32 v49, v49, v63
	s_delay_alu instid0(VALU_DEP_2) | instskip(NEXT) | instid1(VALU_DEP_1)
	v_dual_fmac_f32 v13, v23, v14 :: v_dual_mul_f32 v14, v20, v65
	v_fmac_f32_e32 v14, v21, v8
	s_delay_alu instid0(VALU_DEP_1) | instskip(SKIP_1) | instid1(VALU_DEP_1)
	v_add_f32_e32 v14, v44, v14
	v_mul_f32_e32 v25, v1, v62
	v_dual_fmac_f32 v25, v23, v18 :: v_dual_lshlrev_b32 v18, 16, v36
	v_and_b32_e32 v35, 0xffff0000, v36
	s_delay_alu instid0(VALU_DEP_1) | instskip(NEXT) | instid1(VALU_DEP_1)
	v_dual_add_f32 v17, v45, v17 :: v_dual_mul_f32 v36, v35, v64
	v_dual_add_f32 v12, v17, v12 :: v_dual_mul_f32 v17, v20, v59
	v_mul_f32_e32 v8, v47, v69
	s_delay_alu instid0(VALU_DEP_2) | instskip(SKIP_1) | instid1(VALU_DEP_3)
	v_dual_fmac_f32 v36, v18, v19 :: v_dual_fmac_f32 v17, v21, v4
	v_mul_f32_e32 v4, v47, v68
	v_dual_fmac_f32 v8, v16, v9 :: v_dual_mul_f32 v9, v1, v71
	v_mul_f32_e32 v1, v1, v74
	s_delay_alu instid0(VALU_DEP_4) | instskip(NEXT) | instid1(VALU_DEP_3)
	v_add_f32_e32 v17, v43, v17
	v_dual_fmac_f32 v4, v16, v5 :: v_dual_add_f32 v5, v14, v8
	v_mul_f32_e32 v8, v35, v70
	v_fmac_f32_e32 v9, v23, v10
	v_fmac_f32_e32 v1, v23, v6
	v_mul_f32_e32 v6, v35, v22
	v_add_f32_e32 v4, v17, v4
	s_delay_alu instid0(VALU_DEP_4) | instskip(NEXT) | instid1(VALU_DEP_3)
	v_dual_fmac_f32 v8, v18, v11 :: v_dual_add_f32 v5, v5, v9
	v_dual_add_f32 v3, v3, v25 :: v_dual_fmac_f32 v6, v18, v7
	s_delay_alu instid0(VALU_DEP_3) | instskip(NEXT) | instid1(VALU_DEP_3)
	v_add_f32_e32 v1, v4, v1
	v_dual_add_f32 v47, v0, v2 :: v_dual_add_f32 v44, v5, v8
	v_dual_add_f32 v12, v12, v13 :: v_dual_mul_f32 v13, v35, v72
	s_delay_alu instid0(VALU_DEP_3) | instskip(NEXT) | instid1(VALU_DEP_2)
	v_dual_add_f32 v46, v3, v36 :: v_dual_add_f32 v43, v1, v6
	v_fmac_f32_e32 v13, v18, v15
	s_delay_alu instid0(VALU_DEP_1)
	v_add_f32_e32 v45, v12, v13
	s_cbranch_scc1 .LBB227_19
.LBB227_17:                             ;   Parent Loop BB227_14 Depth=1
                                        ; =>  This Inner Loop Header: Depth=2
	v_dual_mov_b32 v35, 0 :: v_dual_add_nc_u32 v20, s21, v39
	v_dual_mov_b32 v36, 0 :: v_dual_mov_b32 v37, 0
	v_mov_b32_e32 v38, 0
	s_delay_alu instid0(VALU_DEP_3) | instskip(SKIP_2) | instid1(VALU_DEP_3)
	v_min_u32_e32 v25, s14, v20
	v_dual_mov_b32 v22, 0 :: v_dual_mov_b32 v21, 0
	v_mov_b32_e32 v23, 0
	v_lshlrev_b64 v[0:1], 1, v[25:26]
	s_delay_alu instid0(VALU_DEP_1) | instskip(NEXT) | instid1(VALU_DEP_2)
	v_add_co_u32 v6, vcc_lo, s12, v0
	v_add_co_ci_u32_e32 v7, vcc_lo, s13, v1, vcc_lo
	s_delay_alu instid0(VALU_DEP_2) | instskip(NEXT) | instid1(VALU_DEP_2)
	v_add_co_u32 v0, vcc_lo, v6, v27
	v_add_co_ci_u32_e32 v1, vcc_lo, v7, v28, vcc_lo
	v_add_co_u32 v2, vcc_lo, v6, v29
	v_add_co_ci_u32_e32 v3, vcc_lo, v7, v30, vcc_lo
	;; [unrolled: 2-line block ×4, first 2 shown]
	s_clause 0x3
	global_load_b128 v[16:19], v[0:1], off slc dlc
	global_load_b128 v[12:15], v[2:3], off slc dlc
	;; [unrolled: 1-line block ×4, first 2 shown]
	v_cmp_gt_u32_e32 vcc_lo, s4, v20
	v_dual_mov_b32 v3, 0 :: v_dual_mov_b32 v2, 0
	v_dual_mov_b32 v1, 0 :: v_dual_mov_b32 v0, 0
	v_mov_b32_e32 v20, 0
	s_and_saveexec_b32 s22, vcc_lo
	s_cbranch_execz .LBB227_16
; %bb.18:                               ;   in Loop: Header=BB227_17 Depth=2
	v_add_nc_u32_e32 v0, s6, v55
	v_add_nc_u32_e32 v25, s19, v55
	ds_load_b128 v[0:3], v0
	ds_load_2addr_b32 v[37:38], v25 offset1:1
	ds_load_b128 v[20:23], v55
	ds_load_2addr_b32 v[35:36], v25 offset0:2 offset1:3
	s_branch .LBB227_16
.LBB227_19:                             ;   in Loop: Header=BB227_14 Depth=1
	; sched_barrier mask(0x00000000)
	s_delay_alu instid0(VALU_DEP_1)
	v_cvt_i32_f32_e32 v0, v50
	s_waitcnt lgkmcnt(9)
	v_cvt_i32_f32_e32 v1, v54
	v_cvt_i32_f32_e32 v2, v53
	s_waitcnt lgkmcnt(0)
	v_cvt_i32_f32_e32 v3, v51
	v_cvt_i32_f32_e32 v5, v48
	v_cvt_f32_i32_dpp v0, v0 row_shr:8 row_mask:0xf bank_mask:0xf bound_ctrl:1
	v_cvt_f32_i32_dpp v1, v1 row_shr:8 row_mask:0xf bank_mask:0xf bound_ctrl:1
	;; [unrolled: 1-line block ×4, first 2 shown]
	v_cvt_i32_f32_e32 v4, v52
	v_add_f32_e32 v0, v50, v0
	s_delay_alu instid0(VALU_DEP_4) | instskip(NEXT) | instid1(VALU_DEP_4)
	v_dual_add_f32 v1, v54, v1 :: v_dual_add_f32 v2, v53, v2
	v_add_f32_e32 v3, v51, v3
	v_cvt_i32_f32_e32 v6, v49
	s_delay_alu instid0(VALU_DEP_4) | instskip(NEXT) | instid1(VALU_DEP_4)
	v_cvt_i32_f32_e32 v7, v0
	v_cvt_i32_f32_e32 v8, v1
	v_cvt_f32_i32_dpp v5, v5 row_shr:8 row_mask:0xf bank_mask:0xf bound_ctrl:1
	v_cvt_f32_i32_dpp v4, v4 row_shr:8 row_mask:0xf bank_mask:0xf bound_ctrl:1
	;; [unrolled: 1-line block ×5, first 2 shown]
	s_delay_alu instid0(VALU_DEP_3) | instskip(NEXT) | instid1(VALU_DEP_2)
	v_dual_add_f32 v5, v48, v5 :: v_dual_add_f32 v6, v49, v6
	v_dual_add_f32 v0, v0, v7 :: v_dual_add_f32 v1, v1, v8
	v_cvt_i32_f32_e32 v7, v2
	v_cvt_i32_f32_e32 v8, v3
	s_delay_alu instid0(VALU_DEP_4) | instskip(NEXT) | instid1(VALU_DEP_4)
	v_cvt_i32_f32_e32 v12, v5
	v_cvt_i32_f32_e32 v9, v0
	;; [unrolled: 1-line block ×3, first 2 shown]
	v_cvt_f32_i32_dpp v7, v7 row_shr:4 row_mask:0xf bank_mask:0xf bound_ctrl:1
	v_cvt_f32_i32_dpp v8, v8 row_shr:4 row_mask:0xf bank_mask:0xf bound_ctrl:1
	v_cvt_i32_f32_e32 v13, v6
	v_cvt_f32_i32_dpp v9, v9 row_shr:2 row_mask:0xf bank_mask:0xf bound_ctrl:1
	v_cvt_f32_i32_dpp v10, v10 row_shr:2 row_mask:0xf bank_mask:0xf bound_ctrl:1
	v_add_f32_e32 v4, v52, v4
	s_delay_alu instid0(VALU_DEP_3) | instskip(NEXT) | instid1(VALU_DEP_3)
	v_dual_add_f32 v3, v3, v8 :: v_dual_add_f32 v0, v0, v9
	v_add_f32_e32 v1, v1, v10
	v_cvt_f32_i32_dpp v9, v12 row_shr:4 row_mask:0xf bank_mask:0xf bound_ctrl:1
	v_add_f32_e32 v2, v2, v7
	v_cvt_f32_i32_dpp v10, v13 row_shr:4 row_mask:0xf bank_mask:0xf bound_ctrl:1
	v_cvt_i32_f32_e32 v7, v0
	v_cvt_i32_f32_e32 v12, v1
	v_add_f32_e32 v5, v5, v9
	v_cvt_i32_f32_e32 v11, v4
	v_cvt_i32_f32_e32 v9, v2
	v_cvt_f32_i32_dpp v7, v7 row_shr:1 row_mask:0xf bank_mask:0xf bound_ctrl:1
	v_cvt_f32_i32_dpp v8, v12 row_shr:1 row_mask:0xf bank_mask:0xf bound_ctrl:1
	s_delay_alu instid0(VALU_DEP_4) | instskip(NEXT) | instid1(VALU_DEP_4)
	v_cvt_f32_i32_dpp v11, v11 row_shr:4 row_mask:0xf bank_mask:0xf bound_ctrl:1
	v_cvt_f32_i32_dpp v9, v9 row_shr:2 row_mask:0xf bank_mask:0xf bound_ctrl:1
	s_delay_alu instid0(VALU_DEP_4) | instskip(NEXT) | instid1(VALU_DEP_4)
	v_add_f32_e32 v28, v0, v7
	v_add_f32_e32 v0, v1, v8
	v_cvt_i32_f32_e32 v8, v5
	s_delay_alu instid0(VALU_DEP_1) | instskip(SKIP_2) | instid1(VALU_DEP_3)
	v_cvt_f32_i32_dpp v8, v8 row_shr:2 row_mask:0xf bank_mask:0xf bound_ctrl:1
	v_add_f32_e32 v6, v6, v10
	v_cvt_i32_f32_e32 v10, v3
	v_add_f32_e32 v5, v5, v8
	s_delay_alu instid0(VALU_DEP_2) | instskip(SKIP_2) | instid1(VALU_DEP_3)
	v_cvt_f32_i32_dpp v10, v10 row_shr:2 row_mask:0xf bank_mask:0xf bound_ctrl:1
	v_add_f32_e32 v4, v4, v11
	v_cvt_i32_f32_e32 v11, v6
	v_add_f32_e32 v3, v3, v10
	v_cvt_i32_f32_e32 v10, v5
	s_delay_alu instid0(VALU_DEP_3) | instskip(SKIP_1) | instid1(VALU_DEP_4)
	v_cvt_f32_i32_dpp v11, v11 row_shr:2 row_mask:0xf bank_mask:0xf bound_ctrl:1
	v_cvt_i32_f32_e32 v7, v4
	v_cvt_i32_f32_e32 v8, v3
	s_delay_alu instid0(VALU_DEP_4) | instskip(NEXT) | instid1(VALU_DEP_3)
	v_cvt_f32_i32_dpp v10, v10 row_shr:1 row_mask:0xf bank_mask:0xf bound_ctrl:1
	v_cvt_f32_i32_dpp v7, v7 row_shr:2 row_mask:0xf bank_mask:0xf bound_ctrl:1
	s_delay_alu instid0(VALU_DEP_3) | instskip(NEXT) | instid1(VALU_DEP_3)
	v_cvt_f32_i32_dpp v8, v8 row_shr:1 row_mask:0xf bank_mask:0xf bound_ctrl:1
	v_add_f32_e32 v12, v5, v10
	v_cvt_i32_f32_e32 v5, v44
	s_delay_alu instid0(VALU_DEP_3) | instskip(SKIP_1) | instid1(VALU_DEP_3)
	v_add_f32_e32 v19, v3, v8
	v_cvt_i32_f32_e32 v3, v46
	v_cvt_f32_i32_dpp v5, v5 row_shr:8 row_mask:0xf bank_mask:0xf bound_ctrl:1
	v_add_f32_e32 v6, v6, v11
	ds_bpermute_b32 v29, v41, v28
	ds_bpermute_b32 v20, v41, v19
	v_cvt_f32_i32_dpp v3, v3 row_shr:8 row_mask:0xf bank_mask:0xf bound_ctrl:1
	v_add_f32_e32 v5, v44, v5
	v_cvt_i32_f32_e32 v11, v6
	s_delay_alu instid0(VALU_DEP_3) | instskip(NEXT) | instid1(VALU_DEP_3)
	v_add_f32_e32 v3, v46, v3
	v_cvt_i32_f32_e32 v14, v5
	s_delay_alu instid0(VALU_DEP_3)
	v_cvt_f32_i32_dpp v11, v11 row_shr:1 row_mask:0xf bank_mask:0xf bound_ctrl:1
	ds_bpermute_b32 v1, v41, v0
	v_cvt_i32_f32_e32 v10, v3
	v_cvt_f32_i32_dpp v14, v14 row_shr:4 row_mask:0xf bank_mask:0xf bound_ctrl:1
	v_add_f32_e32 v4, v4, v7
	v_add_f32_e32 v8, v6, v11
	v_cvt_i32_f32_e32 v6, v43
	v_cvt_f32_i32_dpp v10, v10 row_shr:4 row_mask:0xf bank_mask:0xf bound_ctrl:1
	v_dual_add_f32 v5, v5, v14 :: v_dual_add_f32 v2, v2, v9
	v_cvt_i32_f32_e32 v9, v4
	s_delay_alu instid0(VALU_DEP_4) | instskip(NEXT) | instid1(VALU_DEP_4)
	v_cvt_f32_i32_dpp v6, v6 row_shr:8 row_mask:0xf bank_mask:0xf bound_ctrl:1
	v_add_f32_e32 v3, v3, v10
	s_delay_alu instid0(VALU_DEP_4)
	v_cvt_i32_f32_e32 v14, v5
	v_cvt_i32_f32_e32 v7, v2
	v_cvt_f32_i32_dpp v9, v9 row_shr:1 row_mask:0xf bank_mask:0xf bound_ctrl:1
	v_add_f32_e32 v6, v43, v6
	v_cvt_i32_f32_e32 v10, v3
	v_cvt_f32_i32_dpp v14, v14 row_shr:2 row_mask:0xf bank_mask:0xf bound_ctrl:1
	v_cvt_f32_i32_dpp v7, v7 row_shr:1 row_mask:0xf bank_mask:0xf bound_ctrl:1
	v_add_f32_e32 v16, v4, v9
	v_cvt_i32_f32_e32 v4, v45
	v_cvt_f32_i32_dpp v10, v10 row_shr:2 row_mask:0xf bank_mask:0xf bound_ctrl:1
	s_delay_alu instid0(VALU_DEP_4) | instskip(SKIP_1) | instid1(VALU_DEP_4)
	v_dual_add_f32 v5, v5, v14 :: v_dual_add_f32 v22, v2, v7
	v_cvt_i32_f32_e32 v2, v47
	v_cvt_f32_i32_dpp v4, v4 row_shr:8 row_mask:0xf bank_mask:0xf bound_ctrl:1
	s_delay_alu instid0(VALU_DEP_4)
	v_add_f32_e32 v3, v3, v10
	v_cvt_i32_f32_e32 v15, v6
	v_cvt_i32_f32_e32 v14, v5
	v_cvt_f32_i32_dpp v2, v2 row_shr:8 row_mask:0xf bank_mask:0xf bound_ctrl:1
	v_add_f32_e32 v4, v45, v4
	v_cvt_i32_f32_e32 v10, v3
	v_cvt_f32_i32_dpp v15, v15 row_shr:4 row_mask:0xf bank_mask:0xf bound_ctrl:1
	v_cvt_f32_i32_dpp v18, v14 row_shr:1 row_mask:0xf bank_mask:0xf bound_ctrl:1
	v_add_f32_e32 v2, v47, v2
	v_cvt_i32_f32_e32 v11, v4
	v_cvt_f32_i32_dpp v10, v10 row_shr:1 row_mask:0xf bank_mask:0xf bound_ctrl:1
	v_add_f32_e32 v6, v6, v15
	ds_bpermute_b32 v23, v41, v22
	v_cvt_i32_f32_e32 v7, v2
	v_cvt_f32_i32_dpp v11, v11 row_shr:4 row_mask:0xf bank_mask:0xf bound_ctrl:1
	v_add_f32_e32 v10, v3, v10
	v_cvt_i32_f32_e32 v15, v6
	ds_bpermute_b32 v17, v41, v16
	v_cvt_f32_i32_dpp v7, v7 row_shr:4 row_mask:0xf bank_mask:0xf bound_ctrl:1
	v_add_f32_e32 v4, v4, v11
	ds_bpermute_b32 v9, v41, v8
	v_cvt_f32_i32_dpp v15, v15 row_shr:2 row_mask:0xf bank_mask:0xf bound_ctrl:1
	v_add_f32_e32 v2, v2, v7
	v_cvt_i32_f32_e32 v11, v4
	s_delay_alu instid0(VALU_DEP_2) | instskip(NEXT) | instid1(VALU_DEP_2)
	v_cvt_i32_f32_e32 v7, v2
	v_cvt_f32_i32_dpp v11, v11 row_shr:2 row_mask:0xf bank_mask:0xf bound_ctrl:1
	s_delay_alu instid0(VALU_DEP_2) | instskip(NEXT) | instid1(VALU_DEP_2)
	v_cvt_f32_i32_dpp v7, v7 row_shr:2 row_mask:0xf bank_mask:0xf bound_ctrl:1
	v_add_f32_e32 v4, v4, v11
	s_delay_alu instid0(VALU_DEP_2) | instskip(SKIP_1) | instid1(VALU_DEP_3)
	v_add_f32_e32 v2, v2, v7
	v_add_f32_e32 v7, v6, v15
	v_cvt_i32_f32_e32 v11, v4
	ds_bpermute_b32 v13, v41, v12
	v_cvt_i32_f32_e32 v6, v2
	v_cvt_i32_f32_e32 v15, v7
	v_cvt_f32_i32_dpp v11, v11 row_shr:1 row_mask:0xf bank_mask:0xf bound_ctrl:1
	s_delay_alu instid0(VALU_DEP_3) | instskip(NEXT) | instid1(VALU_DEP_3)
	v_cvt_f32_i32_dpp v6, v6 row_shr:1 row_mask:0xf bank_mask:0xf bound_ctrl:1
	v_cvt_f32_i32_dpp v15, v15 row_shr:1 row_mask:0xf bank_mask:0xf bound_ctrl:1
	s_delay_alu instid0(VALU_DEP_2) | instskip(NEXT) | instid1(VALU_DEP_4)
	v_add_f32_e32 v14, v2, v6
	v_add_f32_e32 v6, v4, v11
	;; [unrolled: 1-line block ×3, first 2 shown]
	s_delay_alu instid0(VALU_DEP_4)
	v_add_f32_e32 v2, v7, v15
	ds_bpermute_b32 v11, v41, v10
	ds_bpermute_b32 v15, v41, v14
	;; [unrolled: 1-line block ×5, first 2 shown]
	s_and_saveexec_b32 s21, s0
	s_cbranch_execz .LBB227_13
; %bb.20:                               ;   in Loop: Header=BB227_14 Depth=1
	v_dual_mov_b32 v37, 0 :: v_dual_mov_b32 v36, 0
	v_dual_mov_b32 v25, 0 :: v_dual_mov_b32 v34, 0
	;; [unrolled: 1-line block ×5, first 2 shown]
	v_mov_b32_e32 v27, 0
	v_mov_b32_e32 v21, 0
	s_and_not1_b32 vcc_lo, exec_lo, s18
	s_cbranch_vccnz .LBB227_22
; %bb.21:                               ;   in Loop: Header=BB227_14 Depth=1
	v_mul_hi_u32 v18, v24, v42
	v_or_b32_e32 v21, 1, v24
	v_or_b32_e32 v25, 2, v24
	;; [unrolled: 1-line block ×3, first 2 shown]
	v_mov_b32_e32 v50, v26
	v_mov_b32_e32 v54, v26
	v_mul_hi_u32 v30, v21, v42
	v_mul_hi_u32 v31, v25, v42
	v_mul_lo_u32 v18, v18, s2
	v_mul_hi_u32 v32, v27, v42
	v_mov_b32_e32 v52, v26
	v_mov_b32_e32 v56, v26
	v_mul_lo_u32 v30, v30, s2
	v_mul_lo_u32 v34, v31, s2
	v_sub_nc_u32_e32 v18, v24, v18
	v_mul_lo_u32 v32, v32, s2
	s_delay_alu instid0(VALU_DEP_2) | instskip(SKIP_4) | instid1(VALU_DEP_4)
	v_subrev_nc_u32_e32 v35, s2, v18
	v_sub_nc_u32_e32 v21, v21, v30
	v_cmp_le_u32_e32 vcc_lo, s2, v18
	v_sub_nc_u32_e32 v25, v25, v34
	v_sub_nc_u32_e32 v27, v27, v32
	v_subrev_nc_u32_e32 v30, s2, v21
	v_cndmask_b32_e32 v18, v18, v35, vcc_lo
	v_cmp_le_u32_e32 vcc_lo, s2, v21
	v_subrev_nc_u32_e32 v32, s2, v25
	v_subrev_nc_u32_e32 v34, s2, v27
	v_cndmask_b32_e32 v21, v21, v30, vcc_lo
	v_cmp_le_u32_e32 vcc_lo, s2, v25
	v_mov_b32_e32 v31, v26
	v_subrev_nc_u32_e32 v36, s2, v18
	s_delay_alu instid0(VALU_DEP_4) | instskip(SKIP_4) | instid1(VALU_DEP_2)
	v_subrev_nc_u32_e32 v30, s2, v21
	v_cndmask_b32_e32 v32, v25, v32, vcc_lo
	v_cmp_le_u32_e32 vcc_lo, s2, v27
	v_cndmask_b32_e32 v27, v27, v34, vcc_lo
	v_cmp_le_u32_e32 vcc_lo, s2, v18
	v_subrev_nc_u32_e32 v34, s2, v27
	v_cndmask_b32_e32 v25, v18, v36, vcc_lo
	v_cmp_le_u32_e32 vcc_lo, s2, v21
	v_mov_b32_e32 v33, v26
	v_subrev_nc_u32_e32 v18, s2, v32
	v_cndmask_b32_e32 v30, v21, v30, vcc_lo
	v_cmp_le_u32_e32 vcc_lo, s2, v32
	v_mov_b32_e32 v35, v26
	s_delay_alu instid0(VALU_DEP_3) | instskip(SKIP_3) | instid1(VALU_DEP_3)
	v_lshlrev_b64 v[43:44], 1, v[30:31]
	v_cndmask_b32_e32 v32, v32, v18, vcc_lo
	v_cmp_le_u32_e32 vcc_lo, s2, v27
	v_add_nc_u32_e32 v51, s17, v30
	v_lshlrev_b64 v[45:46], 1, v[32:33]
	v_cndmask_b32_e32 v34, v27, v34, vcc_lo
	v_lshlrev_b64 v[36:37], 1, v[25:26]
	v_add_nc_u32_e32 v49, s17, v25
	v_add_nc_u32_e32 v53, s17, v32
	v_lshlrev_b64 v[51:52], 1, v[51:52]
	v_lshlrev_b64 v[47:48], 1, v[34:35]
	v_add_nc_u32_e32 v55, s17, v34
	v_add_co_u32 v36, vcc_lo, s8, v36
	v_add_co_ci_u32_e32 v37, vcc_lo, s9, v37, vcc_lo
	v_add_co_u32 v43, vcc_lo, s8, v43
	v_add_co_ci_u32_e32 v44, vcc_lo, s9, v44, vcc_lo
	v_add_co_u32 v45, vcc_lo, s8, v45
	v_lshlrev_b64 v[49:50], 1, v[49:50]
	v_add_co_ci_u32_e32 v46, vcc_lo, s9, v46, vcc_lo
	v_add_co_u32 v47, vcc_lo, s8, v47
	v_add_co_ci_u32_e32 v48, vcc_lo, s9, v48, vcc_lo
	s_delay_alu instid0(VALU_DEP_4)
	v_add_co_u32 v49, vcc_lo, s8, v49
	v_lshlrev_b64 v[53:54], 1, v[53:54]
	v_add_nc_u32_e32 v25, s20, v25
	v_add_co_ci_u32_e32 v50, vcc_lo, s9, v50, vcc_lo
	v_add_co_u32 v51, vcc_lo, s8, v51
	v_lshlrev_b64 v[55:56], 1, v[55:56]
	v_add_co_ci_u32_e32 v52, vcc_lo, s9, v52, vcc_lo
	v_add_co_u32 v53, vcc_lo, s8, v53
	v_lshlrev_b64 v[57:58], 1, v[25:26]
	v_add_nc_u32_e32 v25, s20, v30
	v_add_co_ci_u32_e32 v54, vcc_lo, s9, v54, vcc_lo
	v_add_co_u32 v30, vcc_lo, s8, v55
	v_add_co_ci_u32_e32 v31, vcc_lo, s9, v56, vcc_lo
	s_delay_alu instid0(VALU_DEP_4) | instskip(SKIP_3) | instid1(VALU_DEP_3)
	v_lshlrev_b64 v[55:56], 1, v[25:26]
	v_add_nc_u32_e32 v25, s20, v32
	v_add_co_u32 v57, vcc_lo, s8, v57
	v_add_co_ci_u32_e32 v58, vcc_lo, s9, v58, vcc_lo
	v_lshlrev_b64 v[32:33], 1, v[25:26]
	v_add_nc_u32_e32 v25, s20, v34
	v_add_co_u32 v55, vcc_lo, s8, v55
	v_add_co_ci_u32_e32 v56, vcc_lo, s9, v56, vcc_lo
	s_delay_alu instid0(VALU_DEP_3) | instskip(SKIP_2) | instid1(VALU_DEP_3)
	v_lshlrev_b64 v[34:35], 1, v[25:26]
	v_add_co_u32 v59, vcc_lo, s8, v32
	v_add_co_ci_u32_e32 v60, vcc_lo, s9, v33, vcc_lo
	v_add_co_u32 v61, vcc_lo, s8, v34
	s_delay_alu instid0(VALU_DEP_4)
	v_add_co_ci_u32_e32 v62, vcc_lo, s9, v35, vcc_lo
	s_clause 0xb
	global_load_u16 v37, v[36:37], off
	global_load_u16 v25, v[43:44], off
	;; [unrolled: 1-line block ×12, first 2 shown]
.LBB227_22:                             ;   in Loop: Header=BB227_14 Depth=1
	s_waitcnt lgkmcnt(11)
	v_add_f32_e32 v28, v28, v29
	s_waitcnt vmcnt(11)
	v_lshlrev_b32_e32 v29, 16, v37
	s_delay_alu instid0(VALU_DEP_1) | instskip(NEXT) | instid1(VALU_DEP_1)
	v_add_f32_e32 v29, v28, v29
	v_and_b32_e32 v28, 0x7f800000, v29
	s_delay_alu instid0(VALU_DEP_1) | instskip(SKIP_1) | instid1(SALU_CYCLE_1)
	v_cmp_ne_u32_e32 vcc_lo, 0x7f800000, v28
                                        ; implicit-def: $vgpr28
	s_and_saveexec_b32 s22, vcc_lo
	s_xor_b32 s22, exec_lo, s22
; %bb.23:                               ;   in Loop: Header=BB227_14 Depth=1
	v_bfe_u32 v28, v29, 16, 1
	s_delay_alu instid0(VALU_DEP_1)
	v_add3_u32 v28, v29, v28, 0x7fff
                                        ; implicit-def: $vgpr29
; %bb.24:                               ;   in Loop: Header=BB227_14 Depth=1
	s_and_not1_saveexec_b32 s22, s22
; %bb.25:                               ;   in Loop: Header=BB227_14 Depth=1
	v_and_b32_e32 v28, 0xffff, v29
	v_or_b32_e32 v37, 0x10000, v29
	s_delay_alu instid0(VALU_DEP_2) | instskip(NEXT) | instid1(VALU_DEP_2)
	v_cmp_eq_u32_e32 vcc_lo, 0, v28
	v_cndmask_b32_e32 v28, v37, v29, vcc_lo
; %bb.26:                               ;   in Loop: Header=BB227_14 Depth=1
	s_or_b32 exec_lo, exec_lo, s22
	s_waitcnt lgkmcnt(9)
	v_add_f32_e32 v0, v0, v1
	s_waitcnt vmcnt(10)
	v_lshlrev_b32_e32 v1, 16, v25
	v_mov_b32_e32 v25, v26
	s_delay_alu instid0(VALU_DEP_2) | instskip(NEXT) | instid1(VALU_DEP_2)
	v_add_f32_e32 v29, v0, v1
	v_lshlrev_b64 v[0:1], 1, v[24:25]
	s_delay_alu instid0(VALU_DEP_2) | instskip(NEXT) | instid1(VALU_DEP_2)
	v_and_b32_e32 v25, 0x7f800000, v29
	v_add_co_u32 v0, vcc_lo, s10, v0
	s_delay_alu instid0(VALU_DEP_3) | instskip(NEXT) | instid1(VALU_DEP_3)
	v_add_co_ci_u32_e32 v1, vcc_lo, s11, v1, vcc_lo
	v_cmp_ne_u32_e32 vcc_lo, 0x7f800000, v25
                                        ; implicit-def: $vgpr25
	global_store_d16_hi_b16 v[0:1], v28, off
	s_and_saveexec_b32 s22, vcc_lo
	s_delay_alu instid0(SALU_CYCLE_1)
	s_xor_b32 s22, exec_lo, s22
; %bb.27:                               ;   in Loop: Header=BB227_14 Depth=1
	v_bfe_u32 v25, v29, 16, 1
	s_delay_alu instid0(VALU_DEP_1)
	v_add3_u32 v25, v29, v25, 0x7fff
                                        ; implicit-def: $vgpr29
; %bb.28:                               ;   in Loop: Header=BB227_14 Depth=1
	s_and_not1_saveexec_b32 s22, s22
; %bb.29:                               ;   in Loop: Header=BB227_14 Depth=1
	v_and_b32_e32 v25, 0xffff, v29
	v_or_b32_e32 v28, 0x10000, v29
	s_delay_alu instid0(VALU_DEP_2) | instskip(NEXT) | instid1(VALU_DEP_2)
	v_cmp_eq_u32_e32 vcc_lo, 0, v25
	v_cndmask_b32_e32 v25, v28, v29, vcc_lo
; %bb.30:                               ;   in Loop: Header=BB227_14 Depth=1
	s_or_b32 exec_lo, exec_lo, s22
	s_waitcnt vmcnt(9) lgkmcnt(8)
	v_dual_add_f32 v22, v22, v23 :: v_dual_lshlrev_b32 v23, 16, v36
	global_store_d16_hi_b16 v[0:1], v25, off offset:2
	v_add_f32_e32 v23, v22, v23
	s_delay_alu instid0(VALU_DEP_1) | instskip(NEXT) | instid1(VALU_DEP_1)
	v_and_b32_e32 v22, 0x7f800000, v23
	v_cmp_ne_u32_e32 vcc_lo, 0x7f800000, v22
                                        ; implicit-def: $vgpr22
	s_and_saveexec_b32 s22, vcc_lo
	s_delay_alu instid0(SALU_CYCLE_1)
	s_xor_b32 s22, exec_lo, s22
; %bb.31:                               ;   in Loop: Header=BB227_14 Depth=1
	v_bfe_u32 v22, v23, 16, 1
	s_delay_alu instid0(VALU_DEP_1)
	v_add3_u32 v22, v23, v22, 0x7fff
                                        ; implicit-def: $vgpr23
; %bb.32:                               ;   in Loop: Header=BB227_14 Depth=1
	s_and_not1_saveexec_b32 s22, s22
; %bb.33:                               ;   in Loop: Header=BB227_14 Depth=1
	v_and_b32_e32 v22, 0xffff, v23
	v_or_b32_e32 v25, 0x10000, v23
	s_delay_alu instid0(VALU_DEP_2) | instskip(NEXT) | instid1(VALU_DEP_2)
	v_cmp_eq_u32_e32 vcc_lo, 0, v22
	v_cndmask_b32_e32 v22, v25, v23, vcc_lo
; %bb.34:                               ;   in Loop: Header=BB227_14 Depth=1
	s_or_b32 exec_lo, exec_lo, s22
	s_waitcnt vmcnt(8)
	v_dual_add_f32 v19, v19, v20 :: v_dual_lshlrev_b32 v20, 16, v35
	global_store_d16_hi_b16 v[0:1], v22, off offset:4
	v_add_f32_e32 v20, v19, v20
	s_delay_alu instid0(VALU_DEP_1) | instskip(NEXT) | instid1(VALU_DEP_1)
	v_and_b32_e32 v19, 0x7f800000, v20
	v_cmp_ne_u32_e32 vcc_lo, 0x7f800000, v19
                                        ; implicit-def: $vgpr19
	s_and_saveexec_b32 s22, vcc_lo
	s_delay_alu instid0(SALU_CYCLE_1)
	s_xor_b32 s22, exec_lo, s22
; %bb.35:                               ;   in Loop: Header=BB227_14 Depth=1
	v_bfe_u32 v19, v20, 16, 1
	s_delay_alu instid0(VALU_DEP_1)
	v_add3_u32 v19, v20, v19, 0x7fff
                                        ; implicit-def: $vgpr20
; %bb.36:                               ;   in Loop: Header=BB227_14 Depth=1
	s_and_not1_saveexec_b32 s22, s22
; %bb.37:                               ;   in Loop: Header=BB227_14 Depth=1
	v_and_b32_e32 v19, 0xffff, v20
	v_or_b32_e32 v22, 0x10000, v20
	s_delay_alu instid0(VALU_DEP_2) | instskip(NEXT) | instid1(VALU_DEP_2)
	v_cmp_eq_u32_e32 vcc_lo, 0, v19
	v_cndmask_b32_e32 v19, v22, v20, vcc_lo
; %bb.38:                               ;   in Loop: Header=BB227_14 Depth=1
	s_or_b32 exec_lo, exec_lo, s22
	s_waitcnt vmcnt(7) lgkmcnt(7)
	v_dual_add_f32 v16, v16, v17 :: v_dual_lshlrev_b32 v17, 16, v34
	s_mov_b32 s22, exec_lo
	global_store_d16_hi_b16 v[0:1], v19, off offset:6
                                        ; implicit-def: $vgpr0
	v_add_f32_e32 v16, v16, v17
	s_delay_alu instid0(VALU_DEP_1) | instskip(NEXT) | instid1(VALU_DEP_1)
	v_and_b32_e32 v17, 0x7f800000, v16
	v_cmpx_ne_u32_e32 0x7f800000, v17
	s_xor_b32 s22, exec_lo, s22
; %bb.39:                               ;   in Loop: Header=BB227_14 Depth=1
	v_bfe_u32 v0, v16, 16, 1
	s_delay_alu instid0(VALU_DEP_1)
	v_add3_u32 v0, v16, v0, 0x7fff
                                        ; implicit-def: $vgpr16
; %bb.40:                               ;   in Loop: Header=BB227_14 Depth=1
	s_and_not1_saveexec_b32 s22, s22
; %bb.41:                               ;   in Loop: Header=BB227_14 Depth=1
	v_and_b32_e32 v0, 0xffff, v16
	v_or_b32_e32 v1, 0x10000, v16
	s_delay_alu instid0(VALU_DEP_2) | instskip(NEXT) | instid1(VALU_DEP_2)
	v_cmp_eq_u32_e32 vcc_lo, 0, v0
	v_cndmask_b32_e32 v0, v1, v16, vcc_lo
; %bb.42:                               ;   in Loop: Header=BB227_14 Depth=1
	s_or_b32 exec_lo, exec_lo, s22
	s_waitcnt lgkmcnt(5)
	v_add_f32_e32 v1, v12, v13
	s_waitcnt vmcnt(6)
	v_lshlrev_b32_e32 v12, 16, v33
	v_add_nc_u32_e32 v25, s7, v24
	s_mov_b32 s22, exec_lo
	s_delay_alu instid0(VALU_DEP_2) | instskip(NEXT) | instid1(VALU_DEP_2)
	v_add_f32_e32 v1, v1, v12
	v_lshlrev_b64 v[12:13], 1, v[25:26]
	s_delay_alu instid0(VALU_DEP_2) | instskip(NEXT) | instid1(VALU_DEP_2)
	v_and_b32_e32 v16, 0x7f800000, v1
	v_add_co_u32 v12, vcc_lo, s10, v12
	s_delay_alu instid0(VALU_DEP_3)
	v_add_co_ci_u32_e32 v13, vcc_lo, s11, v13, vcc_lo
	global_store_d16_hi_b16 v[12:13], v0, off
                                        ; implicit-def: $vgpr0
	v_cmpx_ne_u32_e32 0x7f800000, v16
	s_xor_b32 s22, exec_lo, s22
; %bb.43:                               ;   in Loop: Header=BB227_14 Depth=1
	v_bfe_u32 v0, v1, 16, 1
	s_delay_alu instid0(VALU_DEP_1)
	v_add3_u32 v0, v1, v0, 0x7fff
                                        ; implicit-def: $vgpr1
; %bb.44:                               ;   in Loop: Header=BB227_14 Depth=1
	s_and_not1_saveexec_b32 s22, s22
; %bb.45:                               ;   in Loop: Header=BB227_14 Depth=1
	v_and_b32_e32 v0, 0xffff, v1
	v_or_b32_e32 v12, 0x10000, v1
	s_delay_alu instid0(VALU_DEP_2) | instskip(NEXT) | instid1(VALU_DEP_2)
	v_cmp_eq_u32_e32 vcc_lo, 0, v0
	v_cndmask_b32_e32 v0, v12, v1, vcc_lo
; %bb.46:                               ;   in Loop: Header=BB227_14 Depth=1
	s_or_b32 exec_lo, exec_lo, s22
	s_waitcnt vmcnt(5)
	v_dual_add_f32 v1, v8, v9 :: v_dual_lshlrev_b32 v12, 16, v32
	v_dual_mov_b32 v9, v26 :: v_dual_add_nc_u32 v8, 1, v25
	s_mov_b32 s22, exec_lo
	s_delay_alu instid0(VALU_DEP_2) | instskip(NEXT) | instid1(VALU_DEP_2)
	v_add_f32_e32 v1, v1, v12
	v_lshlrev_b64 v[8:9], 1, v[8:9]
	s_delay_alu instid0(VALU_DEP_2) | instskip(NEXT) | instid1(VALU_DEP_2)
	v_and_b32_e32 v12, 0x7f800000, v1
	v_add_co_u32 v8, vcc_lo, s10, v8
	s_delay_alu instid0(VALU_DEP_3)
	v_add_co_ci_u32_e32 v9, vcc_lo, s11, v9, vcc_lo
	global_store_d16_hi_b16 v[8:9], v0, off
                                        ; implicit-def: $vgpr0
	v_cmpx_ne_u32_e32 0x7f800000, v12
	s_xor_b32 s22, exec_lo, s22
; %bb.47:                               ;   in Loop: Header=BB227_14 Depth=1
	v_bfe_u32 v0, v1, 16, 1
	s_delay_alu instid0(VALU_DEP_1)
	v_add3_u32 v0, v1, v0, 0x7fff
                                        ; implicit-def: $vgpr1
; %bb.48:                               ;   in Loop: Header=BB227_14 Depth=1
	s_and_not1_saveexec_b32 s22, s22
; %bb.49:                               ;   in Loop: Header=BB227_14 Depth=1
	v_and_b32_e32 v0, 0xffff, v1
	v_or_b32_e32 v8, 0x10000, v1
	s_delay_alu instid0(VALU_DEP_2) | instskip(NEXT) | instid1(VALU_DEP_2)
	v_cmp_eq_u32_e32 vcc_lo, 0, v0
	v_cndmask_b32_e32 v0, v8, v1, vcc_lo
; %bb.50:                               ;   in Loop: Header=BB227_14 Depth=1
	s_or_b32 exec_lo, exec_lo, s22
	s_waitcnt lgkmcnt(3)
	v_dual_add_f32 v1, v14, v15 :: v_dual_add_nc_u32 v8, 2, v25
	s_waitcnt vmcnt(4)
	v_dual_mov_b32 v9, v26 :: v_dual_lshlrev_b32 v12, 16, v31
	s_mov_b32 s22, exec_lo
	s_delay_alu instid0(VALU_DEP_1) | instskip(NEXT) | instid1(VALU_DEP_2)
	v_add_f32_e32 v1, v1, v12
	v_lshlrev_b64 v[8:9], 1, v[8:9]
	s_delay_alu instid0(VALU_DEP_2) | instskip(NEXT) | instid1(VALU_DEP_2)
	v_and_b32_e32 v12, 0x7f800000, v1
	v_add_co_u32 v8, vcc_lo, s10, v8
	s_delay_alu instid0(VALU_DEP_3)
	v_add_co_ci_u32_e32 v9, vcc_lo, s11, v9, vcc_lo
	global_store_d16_hi_b16 v[8:9], v0, off
                                        ; implicit-def: $vgpr0
	v_cmpx_ne_u32_e32 0x7f800000, v12
	s_xor_b32 s22, exec_lo, s22
; %bb.51:                               ;   in Loop: Header=BB227_14 Depth=1
	v_bfe_u32 v0, v1, 16, 1
	s_delay_alu instid0(VALU_DEP_1)
	v_add3_u32 v0, v1, v0, 0x7fff
                                        ; implicit-def: $vgpr1
; %bb.52:                               ;   in Loop: Header=BB227_14 Depth=1
	s_and_not1_saveexec_b32 s22, s22
; %bb.53:                               ;   in Loop: Header=BB227_14 Depth=1
	v_and_b32_e32 v0, 0xffff, v1
	v_or_b32_e32 v8, 0x10000, v1
	s_delay_alu instid0(VALU_DEP_2) | instskip(NEXT) | instid1(VALU_DEP_2)
	v_cmp_eq_u32_e32 vcc_lo, 0, v0
	v_cndmask_b32_e32 v0, v8, v1, vcc_lo
; %bb.54:                               ;   in Loop: Header=BB227_14 Depth=1
	s_or_b32 exec_lo, exec_lo, s22
	v_dual_add_f32 v1, v10, v11 :: v_dual_add_nc_u32 v8, 3, v25
	s_waitcnt vmcnt(3)
	v_dual_mov_b32 v9, v26 :: v_dual_lshlrev_b32 v10, 16, v30
	s_mov_b32 s22, exec_lo
	s_delay_alu instid0(VALU_DEP_1) | instskip(NEXT) | instid1(VALU_DEP_2)
	v_add_f32_e32 v1, v1, v10
	v_lshlrev_b64 v[8:9], 1, v[8:9]
	s_delay_alu instid0(VALU_DEP_2) | instskip(NEXT) | instid1(VALU_DEP_2)
	v_and_b32_e32 v10, 0x7f800000, v1
	v_add_co_u32 v8, vcc_lo, s10, v8
	s_delay_alu instid0(VALU_DEP_3)
	v_add_co_ci_u32_e32 v9, vcc_lo, s11, v9, vcc_lo
	global_store_d16_hi_b16 v[8:9], v0, off
                                        ; implicit-def: $vgpr8
	v_cmpx_ne_u32_e32 0x7f800000, v10
	s_xor_b32 s22, exec_lo, s22
; %bb.55:                               ;   in Loop: Header=BB227_14 Depth=1
	v_bfe_u32 v0, v1, 16, 1
	s_delay_alu instid0(VALU_DEP_1)
	v_add3_u32 v8, v1, v0, 0x7fff
                                        ; implicit-def: $vgpr1
; %bb.56:                               ;   in Loop: Header=BB227_14 Depth=1
	s_and_not1_saveexec_b32 s22, s22
; %bb.57:                               ;   in Loop: Header=BB227_14 Depth=1
	v_and_b32_e32 v0, 0xffff, v1
	v_or_b32_e32 v8, 0x10000, v1
	s_delay_alu instid0(VALU_DEP_2) | instskip(NEXT) | instid1(VALU_DEP_2)
	v_cmp_eq_u32_e32 vcc_lo, 0, v0
	v_cndmask_b32_e32 v8, v8, v1, vcc_lo
; %bb.58:                               ;   in Loop: Header=BB227_14 Depth=1
	s_or_b32 exec_lo, exec_lo, s22
	s_waitcnt lgkmcnt(2)
	v_dual_add_f32 v0, v6, v7 :: v_dual_add_nc_u32 v25, s7, v25
	s_waitcnt vmcnt(2)
	v_lshlrev_b32_e32 v1, 16, v27
	s_delay_alu instid0(VALU_DEP_1) | instskip(NEXT) | instid1(VALU_DEP_3)
	v_add_f32_e32 v6, v0, v1
	v_lshlrev_b64 v[0:1], 1, v[25:26]
	s_delay_alu instid0(VALU_DEP_2) | instskip(NEXT) | instid1(VALU_DEP_2)
	v_and_b32_e32 v7, 0x7f800000, v6
	v_add_co_u32 v0, vcc_lo, s10, v0
	s_delay_alu instid0(VALU_DEP_3) | instskip(NEXT) | instid1(VALU_DEP_3)
	v_add_co_ci_u32_e32 v1, vcc_lo, s11, v1, vcc_lo
	v_cmp_ne_u32_e32 vcc_lo, 0x7f800000, v7
                                        ; implicit-def: $vgpr7
	global_store_d16_hi_b16 v[0:1], v8, off
	s_and_saveexec_b32 s22, vcc_lo
	s_delay_alu instid0(SALU_CYCLE_1)
	s_xor_b32 s22, exec_lo, s22
; %bb.59:                               ;   in Loop: Header=BB227_14 Depth=1
	v_bfe_u32 v7, v6, 16, 1
	s_delay_alu instid0(VALU_DEP_1)
	v_add3_u32 v7, v6, v7, 0x7fff
                                        ; implicit-def: $vgpr6
; %bb.60:                               ;   in Loop: Header=BB227_14 Depth=1
	s_and_not1_saveexec_b32 s22, s22
; %bb.61:                               ;   in Loop: Header=BB227_14 Depth=1
	v_and_b32_e32 v7, 0xffff, v6
	v_or_b32_e32 v8, 0x10000, v6
	s_delay_alu instid0(VALU_DEP_2) | instskip(NEXT) | instid1(VALU_DEP_2)
	v_cmp_eq_u32_e32 vcc_lo, 0, v7
	v_cndmask_b32_e32 v7, v8, v6, vcc_lo
; %bb.62:                               ;   in Loop: Header=BB227_14 Depth=1
	s_or_b32 exec_lo, exec_lo, s22
	s_waitcnt lgkmcnt(1)
	v_add_f32_e32 v4, v4, v5
	s_waitcnt vmcnt(1)
	v_lshlrev_b32_e32 v5, 16, v21
	s_mov_b32 s22, exec_lo
	global_store_d16_hi_b16 v[0:1], v7, off offset:2
                                        ; implicit-def: $vgpr0
	v_add_f32_e32 v4, v4, v5
	s_delay_alu instid0(VALU_DEP_1) | instskip(NEXT) | instid1(VALU_DEP_1)
	v_and_b32_e32 v5, 0x7f800000, v4
	v_cmpx_ne_u32_e32 0x7f800000, v5
	s_xor_b32 s22, exec_lo, s22
; %bb.63:                               ;   in Loop: Header=BB227_14 Depth=1
	v_bfe_u32 v0, v4, 16, 1
	s_delay_alu instid0(VALU_DEP_1)
	v_add3_u32 v0, v4, v0, 0x7fff
                                        ; implicit-def: $vgpr4
; %bb.64:                               ;   in Loop: Header=BB227_14 Depth=1
	s_and_not1_saveexec_b32 s22, s22
; %bb.65:                               ;   in Loop: Header=BB227_14 Depth=1
	v_and_b32_e32 v0, 0xffff, v4
	v_or_b32_e32 v1, 0x10000, v4
	s_delay_alu instid0(VALU_DEP_2) | instskip(NEXT) | instid1(VALU_DEP_2)
	v_cmp_eq_u32_e32 vcc_lo, 0, v0
	v_cndmask_b32_e32 v0, v1, v4, vcc_lo
; %bb.66:                               ;   in Loop: Header=BB227_14 Depth=1
	s_or_b32 exec_lo, exec_lo, s22
	s_waitcnt lgkmcnt(0)
	v_dual_add_f32 v1, v2, v3 :: v_dual_add_nc_u32 v2, 2, v25
	s_waitcnt vmcnt(0)
	v_dual_mov_b32 v3, v26 :: v_dual_lshlrev_b32 v4, 16, v18
	s_mov_b32 s22, exec_lo
	s_delay_alu instid0(VALU_DEP_1) | instskip(NEXT) | instid1(VALU_DEP_2)
	v_add_f32_e32 v1, v1, v4
	v_lshlrev_b64 v[2:3], 1, v[2:3]
	s_delay_alu instid0(VALU_DEP_2) | instskip(NEXT) | instid1(VALU_DEP_2)
	v_and_b32_e32 v4, 0x7f800000, v1
	v_add_co_u32 v2, vcc_lo, s10, v2
	s_delay_alu instid0(VALU_DEP_3)
	v_add_co_ci_u32_e32 v3, vcc_lo, s11, v3, vcc_lo
	global_store_d16_hi_b16 v[2:3], v0, off
                                        ; implicit-def: $vgpr0
	v_cmpx_ne_u32_e32 0x7f800000, v4
	s_xor_b32 s22, exec_lo, s22
; %bb.67:                               ;   in Loop: Header=BB227_14 Depth=1
	v_bfe_u32 v0, v1, 16, 1
	s_delay_alu instid0(VALU_DEP_1)
	v_add3_u32 v0, v1, v0, 0x7fff
                                        ; implicit-def: $vgpr1
; %bb.68:                               ;   in Loop: Header=BB227_14 Depth=1
	s_and_not1_saveexec_b32 s22, s22
	s_cbranch_execz .LBB227_12
; %bb.69:                               ;   in Loop: Header=BB227_14 Depth=1
	v_and_b32_e32 v0, 0xffff, v1
	v_or_b32_e32 v2, 0x10000, v1
	s_delay_alu instid0(VALU_DEP_2) | instskip(NEXT) | instid1(VALU_DEP_2)
	v_cmp_eq_u32_e32 vcc_lo, 0, v0
	v_cndmask_b32_e32 v0, v2, v1, vcc_lo
	s_branch .LBB227_12
.LBB227_70:
	s_nop 0
	s_sendmsg sendmsg(MSG_DEALLOC_VGPRS)
	s_endpgm
	.section	.rodata,"a",@progbits
	.p2align	6, 0x0
	.amdhsa_kernel _Z16wvSplitK_hf_sml_I14__hip_bfloat16Li32ELi4ELi16ELi8ELi1ELi3EEviiiiiiPKT_S3_S3_PS1_ii
		.amdhsa_group_segment_fixed_size 65536
		.amdhsa_private_segment_fixed_size 0
		.amdhsa_kernarg_size 64
		.amdhsa_user_sgpr_count 15
		.amdhsa_user_sgpr_dispatch_ptr 0
		.amdhsa_user_sgpr_queue_ptr 0
		.amdhsa_user_sgpr_kernarg_segment_ptr 1
		.amdhsa_user_sgpr_dispatch_id 0
		.amdhsa_user_sgpr_private_segment_size 0
		.amdhsa_wavefront_size32 1
		.amdhsa_uses_dynamic_stack 0
		.amdhsa_enable_private_segment 0
		.amdhsa_system_sgpr_workgroup_id_x 1
		.amdhsa_system_sgpr_workgroup_id_y 0
		.amdhsa_system_sgpr_workgroup_id_z 0
		.amdhsa_system_sgpr_workgroup_info 0
		.amdhsa_system_vgpr_workitem_id 1
		.amdhsa_next_free_vgpr 77
		.amdhsa_next_free_sgpr 23
		.amdhsa_reserve_vcc 1
		.amdhsa_float_round_mode_32 0
		.amdhsa_float_round_mode_16_64 0
		.amdhsa_float_denorm_mode_32 3
		.amdhsa_float_denorm_mode_16_64 3
		.amdhsa_dx10_clamp 1
		.amdhsa_ieee_mode 1
		.amdhsa_fp16_overflow 0
		.amdhsa_workgroup_processor_mode 1
		.amdhsa_memory_ordered 1
		.amdhsa_forward_progress 0
		.amdhsa_shared_vgpr_count 0
		.amdhsa_exception_fp_ieee_invalid_op 0
		.amdhsa_exception_fp_denorm_src 0
		.amdhsa_exception_fp_ieee_div_zero 0
		.amdhsa_exception_fp_ieee_overflow 0
		.amdhsa_exception_fp_ieee_underflow 0
		.amdhsa_exception_fp_ieee_inexact 0
		.amdhsa_exception_int_div_zero 0
	.end_amdhsa_kernel
	.section	.text._Z16wvSplitK_hf_sml_I14__hip_bfloat16Li32ELi4ELi16ELi8ELi1ELi3EEviiiiiiPKT_S3_S3_PS1_ii,"axG",@progbits,_Z16wvSplitK_hf_sml_I14__hip_bfloat16Li32ELi4ELi16ELi8ELi1ELi3EEviiiiiiPKT_S3_S3_PS1_ii,comdat
.Lfunc_end227:
	.size	_Z16wvSplitK_hf_sml_I14__hip_bfloat16Li32ELi4ELi16ELi8ELi1ELi3EEviiiiiiPKT_S3_S3_PS1_ii, .Lfunc_end227-_Z16wvSplitK_hf_sml_I14__hip_bfloat16Li32ELi4ELi16ELi8ELi1ELi3EEviiiiiiPKT_S3_S3_PS1_ii
                                        ; -- End function
	.section	.AMDGPU.csdata,"",@progbits
; Kernel info:
; codeLenInByte = 5924
; NumSgprs: 25
; NumVgprs: 77
; ScratchSize: 0
; MemoryBound: 0
; FloatMode: 240
; IeeeMode: 1
; LDSByteSize: 65536 bytes/workgroup (compile time only)
; SGPRBlocks: 3
; VGPRBlocks: 9
; NumSGPRsForWavesPerEU: 25
; NumVGPRsForWavesPerEU: 77
; Occupancy: 8
; WaveLimiterHint : 0
; COMPUTE_PGM_RSRC2:SCRATCH_EN: 0
; COMPUTE_PGM_RSRC2:USER_SGPR: 15
; COMPUTE_PGM_RSRC2:TRAP_HANDLER: 0
; COMPUTE_PGM_RSRC2:TGID_X_EN: 1
; COMPUTE_PGM_RSRC2:TGID_Y_EN: 0
; COMPUTE_PGM_RSRC2:TGID_Z_EN: 0
; COMPUTE_PGM_RSRC2:TIDIG_COMP_CNT: 1
	.section	.text._Z12wvSplitK_hf_I14__hip_bfloat16Li32ELi4ELi16ELi8ELi1ELi3EEviiiiiiPKT_S3_S3_PS1_ii,"axG",@progbits,_Z12wvSplitK_hf_I14__hip_bfloat16Li32ELi4ELi16ELi8ELi1ELi3EEviiiiiiPKT_S3_S3_PS1_ii,comdat
	.protected	_Z12wvSplitK_hf_I14__hip_bfloat16Li32ELi4ELi16ELi8ELi1ELi3EEviiiiiiPKT_S3_S3_PS1_ii ; -- Begin function _Z12wvSplitK_hf_I14__hip_bfloat16Li32ELi4ELi16ELi8ELi1ELi3EEviiiiiiPKT_S3_S3_PS1_ii
	.globl	_Z12wvSplitK_hf_I14__hip_bfloat16Li32ELi4ELi16ELi8ELi1ELi3EEviiiiiiPKT_S3_S3_PS1_ii
	.p2align	8
	.type	_Z12wvSplitK_hf_I14__hip_bfloat16Li32ELi4ELi16ELi8ELi1ELi3EEviiiiiiPKT_S3_S3_PS1_ii,@function
_Z12wvSplitK_hf_I14__hip_bfloat16Li32ELi4ELi16ELi8ELi1ELi3EEviiiiiiPKT_S3_S3_PS1_ii: ; @_Z12wvSplitK_hf_I14__hip_bfloat16Li32ELi4ELi16ELi8ELi1ELi3EEviiiiiiPKT_S3_S3_PS1_ii
; %bb.0:
	s_clause 0x1
	s_load_b64 s[20:21], s[0:1], 0x38
	s_load_b128 s[8:11], s[0:1], 0x0
	v_bfe_u32 v5, v0, 10, 10
	s_clause 0x1
	s_load_b64 s[16:17], s[0:1], 0x20
	s_load_b64 s[18:19], s[0:1], 0x10
	s_mov_b32 s4, 1
	s_delay_alu instid0(SALU_CYCLE_1) | instskip(SKIP_4) | instid1(SALU_CYCLE_1)
	s_mov_b32 s5, s4
	s_mov_b32 s6, s4
	;; [unrolled: 1-line block ×3, first 2 shown]
	s_waitcnt lgkmcnt(0)
	s_mul_i32 s15, s15, s20
	v_add_lshl_u32 v33, s15, v5, 2
	s_delay_alu instid0(VALU_DEP_1) | instskip(SKIP_1) | instid1(VALU_DEP_2)
	v_add_nc_u32_e32 v1, 4, v33
	v_cmp_gt_u32_e32 vcc_lo, s11, v33
	v_cmp_le_u32_e64 s2, s11, v1
	v_dual_mov_b32 v1, s4 :: v_dual_mov_b32 v4, s7
	v_dual_mov_b32 v2, s5 :: v_dual_mov_b32 v3, s6
	s_delay_alu instid0(VALU_DEP_3) | instskip(NEXT) | instid1(SALU_CYCLE_1)
	s_and_b32 s2, vcc_lo, s2
	s_and_saveexec_b32 s12, s2
	s_cbranch_execz .LBB228_6
; %bb.1:
	v_dual_mov_b32 v1, s4 :: v_dual_mov_b32 v2, s5
	v_dual_mov_b32 v3, s6 :: v_dual_mov_b32 v4, s7
	s_add_i32 s13, s11, -4
	s_mov_b32 s14, exec_lo
	v_cmpx_ne_u32_e64 s13, v33
	s_cbranch_execz .LBB228_5
; %bb.2:
	v_subrev_nc_u32_e32 v1, s13, v33
	s_mov_b32 s15, 0
	s_mov_b64 s[2:3], 0
	s_mov_b32 s5, s4
	s_mov_b32 s6, s4
	v_cmp_lt_u32_e32 vcc_lo, 1, v1
	s_mov_b32 s7, s4
	v_cndmask_b32_e32 v6, 1, v1, vcc_lo
	.p2align	6
.LBB228_3:                              ; =>This Inner Loop Header: Depth=1
	s_cmp_lg_u32 s2, 3
	s_cselect_b32 s7, s7, 0
	s_cmp_lg_u32 s2, 2
	s_cselect_b32 s6, s6, 0
	;; [unrolled: 2-line block ×4, first 2 shown]
	s_add_u32 s2, s2, 1
	v_dual_mov_b32 v1, s4 :: v_dual_mov_b32 v2, s5
	v_cmp_eq_u32_e32 vcc_lo, s2, v6
	v_dual_mov_b32 v3, s6 :: v_dual_mov_b32 v4, s7
	s_addc_u32 s3, s3, 0
	s_or_b32 s15, vcc_lo, s15
	s_delay_alu instid0(SALU_CYCLE_1)
	s_and_not1_b32 exec_lo, exec_lo, s15
	s_cbranch_execnz .LBB228_3
; %bb.4:
	s_or_b32 exec_lo, exec_lo, s15
	v_mov_b32_e32 v33, s13
.LBB228_5:
	s_or_b32 exec_lo, exec_lo, s14
.LBB228_6:
	s_delay_alu instid0(SALU_CYCLE_1) | instskip(SKIP_2) | instid1(SALU_CYCLE_1)
	s_or_b32 exec_lo, exec_lo, s12
	v_and_b32_e32 v6, 0x3ff, v0
	s_mul_i32 s2, s10, 3
	s_min_u32 s3, s2, 0x8000
	s_mov_b32 s2, exec_lo
	s_delay_alu instid0(VALU_DEP_1) | instskip(NEXT) | instid1(VALU_DEP_1)
	v_lshlrev_b32_e32 v0, 3, v6
	v_lshl_add_u32 v8, v5, 8, v0
	s_delay_alu instid0(VALU_DEP_1)
	v_cmpx_gt_u32_e64 s3, v8
	s_cbranch_execz .LBB228_15
; %bb.7:
	v_lshlrev_b32_e32 v7, 1, v8
	v_add_nc_u32_e32 v13, 0x1000, v8
	s_mov_b32 s4, exec_lo
	global_load_b128 v[9:12], v7, s[16:17]
	s_waitcnt vmcnt(0)
	ds_store_b128 v7, v[9:12]
	v_cmpx_gt_u32_e64 s3, v13
	s_xor_b32 s4, exec_lo, s4
	s_cbranch_execz .LBB228_15
; %bb.8:
	v_add_co_u32 v9, s4, s16, v7
	s_delay_alu instid0(VALU_DEP_1) | instskip(SKIP_1) | instid1(VALU_DEP_3)
	v_add_co_ci_u32_e64 v10, null, s17, 0, s4
	v_add_nc_u32_e32 v15, 0x2000, v8
	v_add_co_u32 v11, vcc_lo, 0x2000, v9
	s_delay_alu instid0(VALU_DEP_3)
	v_add_co_ci_u32_e32 v12, vcc_lo, 0, v10, vcc_lo
	s_mov_b32 s4, exec_lo
	global_load_b128 v[11:14], v[11:12], off
	s_waitcnt vmcnt(0)
	ds_store_b128 v7, v[11:14] offset:8192
	v_cmpx_gt_u32_e64 s3, v15
	s_xor_b32 s4, exec_lo, s4
	s_cbranch_execz .LBB228_15
; %bb.9:
	v_add_co_u32 v11, vcc_lo, 0x4000, v9
	v_add_co_ci_u32_e32 v12, vcc_lo, 0, v10, vcc_lo
	v_add_nc_u32_e32 v15, 0x3000, v8
	s_mov_b32 s4, exec_lo
	global_load_b128 v[11:14], v[11:12], off
	s_waitcnt vmcnt(0)
	ds_store_b128 v7, v[11:14] offset:16384
	v_cmpx_gt_u32_e64 s3, v15
	s_xor_b32 s4, exec_lo, s4
	s_cbranch_execz .LBB228_15
; %bb.10:
	v_add_co_u32 v11, vcc_lo, 0x6000, v9
	v_add_co_ci_u32_e32 v12, vcc_lo, 0, v10, vcc_lo
	v_add_nc_u32_e32 v15, 0x4000, v8
	;; [unrolled: 11-line block ×5, first 2 shown]
	global_load_b128 v[11:14], v[11:12], off
	v_cmp_gt_u32_e32 vcc_lo, s3, v8
	s_waitcnt vmcnt(0)
	ds_store_b128 v7, v[11:14] offset:49152
	s_and_saveexec_b32 s3, vcc_lo
	s_delay_alu instid0(SALU_CYCLE_1)
	s_xor_b32 s3, exec_lo, s3
	s_cbranch_execz .LBB228_15
; %bb.14:
	v_add_co_u32 v8, vcc_lo, 0xe000, v9
	v_add_co_ci_u32_e32 v9, vcc_lo, 0, v10, vcc_lo
	global_load_b128 v[8:11], v[8:9], off
	s_waitcnt vmcnt(0)
	ds_store_b128 v7, v[8:11] offset:57344
.LBB228_15:
	s_or_b32 exec_lo, exec_lo, s2
	v_cmp_gt_u32_e32 vcc_lo, s20, v5
	v_cmp_gt_u32_e64 s2, s11, v33
	s_waitcnt lgkmcnt(0)
	s_barrier
	buffer_gl0_inv
	s_and_b32 s2, vcc_lo, s2
	s_delay_alu instid0(SALU_CYCLE_1)
	s_and_saveexec_b32 s3, s2
	s_cbranch_execz .LBB228_116
; %bb.16:
	s_clause 0x1
	s_load_b128 s[12:15], s[0:1], 0x28
	s_load_b64 s[6:7], s[0:1], 0x18
	s_cmp_lg_u32 s8, 0
	v_mbcnt_lo_u32_b32 v8, -1, 0
	s_cselect_b32 s22, -1, 0
	s_add_i32 s23, s8, -8
	s_add_i32 s24, s11, -1
	v_cvt_f32_u32_e32 v7, s18
	s_mul_i32 s2, s20, s21
	v_cmp_eq_u32_e64 s0, 31, v6
	v_lshlrev_b32_e32 v49, 4, v6
	v_add_nc_u32_e32 v50, s10, v0
	v_rcp_iflag_f32_e32 v7, v7
	s_waitcnt lgkmcnt(0)
	s_cmp_lg_u64 s[12:13], 0
	s_cselect_b32 s25, -1, 0
	s_abs_i32 s1, s19
	s_lshl_b32 s20, s2, 2
	v_cvt_f32_u32_e32 v5, s1
	s_sub_i32 s2, 0, s1
	s_add_i32 s21, s11, -4
	s_sub_i32 s4, 0, s18
	s_sub_i32 s5, 1, s1
	v_rcp_iflag_f32_e32 v5, v5
	s_mov_b32 s19, 0
	s_waitcnt_depctr 0xfff
	v_mul_f32_e32 v5, 0x4f7ffffe, v5
	s_delay_alu instid0(VALU_DEP_1) | instskip(NEXT) | instid1(VALU_DEP_1)
	v_cvt_u32_f32_e32 v5, v5
	v_readfirstlane_b32 s3, v5
	v_mul_f32_e32 v5, 0x4f7ffffe, v7
	v_xor_b32_e32 v7, 16, v8
	s_delay_alu instid0(VALU_DEP_3) | instskip(NEXT) | instid1(VALU_DEP_2)
	s_mul_i32 s2, s2, s3
	v_cvt_u32_f32_e32 v5, v5
	s_mul_hi_u32 s2, s3, s2
	s_delay_alu instid0(VALU_DEP_2)
	v_cmp_gt_i32_e32 vcc_lo, 32, v7
	s_add_i32 s3, s3, s2
	s_cmp_lt_u32 s1, 2
	v_mul_lo_u32 v9, s4, v5
	s_cselect_b32 s2, s5, 1
	v_cndmask_b32_e32 v6, v8, v7, vcc_lo
	s_sub_i32 s5, s2, s1
	s_cmp_ge_u32 s2, s1
	s_cselect_b32 s27, s5, s2
	s_lshr_b32 s2, s3, 31
	s_delay_alu instid0(VALU_DEP_2)
	v_mul_hi_u32 v7, v5, v9
	s_mul_i32 s2, s2, s1
	v_mov_b32_e32 v35, 0
	s_sub_i32 s2, 2, s2
	v_lshlrev_b32_e32 v51, 2, v6
	s_sub_i32 s3, s2, s1
	s_cmp_ge_u32 s2, s1
	s_mul_i32 s27, s27, s18
	v_add_nc_u32_e32 v52, v5, v7
	s_cselect_b32 s2, s3, s2
	s_delay_alu instid0(SALU_CYCLE_1)
	s_sub_i32 s3, s2, s1
	s_cmp_ge_u32 s2, s1
	s_cselect_b32 s28, s3, s2
	s_lshl_b32 s26, s10, 1
	s_mul_i32 s28, s28, s18
	v_add_nc_u32_e32 v53, s26, v0
	s_lshl_b32 s10, s10, 2
	s_branch .LBB228_19
.LBB228_17:                             ;   in Loop: Header=BB228_19 Depth=1
	s_or_b32 exec_lo, exec_lo, s30
	v_mov_b32_e32 v33, s21
.LBB228_18:                             ;   in Loop: Header=BB228_19 Depth=1
	s_or_b32 exec_lo, exec_lo, s29
	s_delay_alu instid0(VALU_DEP_1) | instskip(SKIP_1) | instid1(SALU_CYCLE_1)
	v_cmp_le_u32_e32 vcc_lo, s11, v33
	s_or_b32 s19, vcc_lo, s19
	s_and_not1_b32 exec_lo, exec_lo, s19
	s_cbranch_execz .LBB228_116
.LBB228_19:                             ; =>This Loop Header: Depth=1
                                        ;     Child Loop BB228_23 Depth 2
                                        ;     Child Loop BB228_114 Depth 2
	v_dual_mov_b32 v55, v35 :: v_dual_add_nc_u32 v38, 1, v33
	v_dual_mov_b32 v54, v35 :: v_dual_add_nc_u32 v37, 2, v33
	;; [unrolled: 1-line block ×3, first 2 shown]
	v_mov_b32_e32 v56, v35
	v_mov_b32_e32 v58, v35
	;; [unrolled: 1-line block ×9, first 2 shown]
	s_and_not1_b32 vcc_lo, exec_lo, s22
	s_cbranch_vccnz .LBB228_36
; %bb.20:                               ;   in Loop: Header=BB228_19 Depth=1
	v_min_u32_e32 v5, s24, v33
	s_waitcnt lgkmcnt(3)
	v_min_u32_e32 v6, s24, v38
	v_min_u32_e32 v7, s24, v37
	s_waitcnt lgkmcnt(0)
	v_min_u32_e32 v8, s24, v36
	v_dual_mov_b32 v10, v35 :: v_dual_mov_b32 v63, 0
	v_mul_lo_u32 v34, v5, s9
	v_mul_lo_u32 v5, v6, s9
	;; [unrolled: 1-line block ×4, first 2 shown]
	v_dual_mov_b32 v6, v35 :: v_dual_mov_b32 v61, 0
	v_dual_mov_b32 v8, v35 :: v_dual_mov_b32 v65, 0
	s_waitcnt vmcnt(5)
	v_lshlrev_b64 v[39:40], 1, v[34:35]
	s_delay_alu instid0(VALU_DEP_3)
	v_lshlrev_b64 v[41:42], 1, v[5:6]
	v_dual_mov_b32 v66, v49 :: v_dual_mov_b32 v59, 0
	v_lshlrev_b64 v[43:44], 1, v[7:8]
	v_lshlrev_b64 v[45:46], 1, v[9:10]
	v_dual_mov_b32 v64, 0 :: v_dual_mov_b32 v57, 0
	v_dual_mov_b32 v62, 0 :: v_dual_mov_b32 v55, 0
	v_mov_b32_e32 v60, 0
	v_mov_b32_e32 v58, 0
	;; [unrolled: 1-line block ×4, first 2 shown]
	s_mov_b32 s1, 0
	s_branch .LBB228_23
.LBB228_21:                             ;   in Loop: Header=BB228_23 Depth=2
	s_or_b32 exec_lo, exec_lo, s3
.LBB228_22:                             ;   in Loop: Header=BB228_23 Depth=2
	s_delay_alu instid0(SALU_CYCLE_1)
	s_or_b32 exec_lo, exec_lo, s2
	s_waitcnt vmcnt(0) lgkmcnt(0)
	v_and_b32_e32 v70, 0xffff0000, v31
	v_and_b32_e32 v72, 0xffff0000, v32
	v_and_b32_e32 v76, 0xffff0000, v22
	v_lshlrev_b32_e32 v22, 16, v22
	v_and_b32_e32 v73, 0xffff0000, v28
	v_and_b32_e32 v71, 0xffff0000, v27
	v_lshlrev_b32_e32 v32, 16, v32
	v_lshlrev_b32_e32 v28, 16, v28
	v_and_b32_e32 v48, 0xffff0000, v30
	v_mul_f32_e32 v74, v72, v73
	v_and_b32_e32 v47, 0xffff0000, v25
	v_lshlrev_b32_e32 v31, 16, v31
	v_lshlrev_b32_e32 v27, 16, v27
	v_and_b32_e32 v81, 0xffff0000, v24
	v_dual_fmac_f32 v74, v32, v28 :: v_dual_lshlrev_b32 v25, 16, v25
	v_and_b32_e32 v67, 0xffff0000, v26
	v_and_b32_e32 v34, 0xffff0000, v29
	v_add_nc_u32_e32 v66, 0x200, v66
	s_addk_i32 s1, 0x100
	v_and_b32_e32 v80, 0xffff0000, v15
	v_mul_f32_e32 v69, v48, v67
	v_dual_mul_f32 v68, v34, v47 :: v_dual_lshlrev_b32 v29, 16, v29
	v_lshlrev_b32_e32 v26, 16, v26
	v_and_b32_e32 v78, 0xffff0000, v14
	v_lshlrev_b32_e32 v14, 16, v14
	s_cmp_ge_u32 s1, s8
	v_fmac_f32_e32 v68, v29, v25
	s_delay_alu instid0(VALU_DEP_1) | instskip(NEXT) | instid1(VALU_DEP_1)
	v_dual_add_f32 v61, v61, v68 :: v_dual_lshlrev_b32 v30, 16, v30
	v_fmac_f32_e32 v69, v30, v26
	s_delay_alu instid0(VALU_DEP_1) | instskip(SKIP_1) | instid1(VALU_DEP_2)
	v_dual_mul_f32 v68, v70, v71 :: v_dual_add_f32 v61, v61, v69
	v_and_b32_e32 v69, 0xffff0000, v21
	v_dual_fmac_f32 v68, v31, v27 :: v_dual_lshlrev_b32 v21, 16, v21
	s_delay_alu instid0(VALU_DEP_2) | instskip(SKIP_1) | instid1(VALU_DEP_3)
	v_mul_f32_e32 v75, v34, v69
	v_and_b32_e32 v85, 0xffff0000, v19
	v_add_f32_e32 v61, v61, v68
	s_delay_alu instid0(VALU_DEP_3) | instskip(NEXT) | instid1(VALU_DEP_2)
	v_dual_mul_f32 v68, v48, v76 :: v_dual_fmac_f32 v75, v29, v21
	v_dual_mul_f32 v82, v72, v81 :: v_dual_add_f32 v61, v61, v74
	s_delay_alu instid0(VALU_DEP_2) | instskip(SKIP_2) | instid1(VALU_DEP_2)
	v_add_f32_e32 v65, v65, v75
	v_and_b32_e32 v75, 0xffff0000, v23
	v_lshlrev_b32_e32 v23, 16, v23
	v_mul_f32_e32 v79, v70, v75
	v_fmac_f32_e32 v68, v30, v22
	s_delay_alu instid0(VALU_DEP_2) | instskip(NEXT) | instid1(VALU_DEP_2)
	v_dual_fmac_f32 v79, v31, v23 :: v_dual_and_b32 v74, 0xffff0000, v13
	v_dual_add_f32 v65, v65, v68 :: v_dual_mul_f32 v68, v48, v78
	s_delay_alu instid0(VALU_DEP_2) | instskip(NEXT) | instid1(VALU_DEP_2)
	v_mul_f32_e32 v77, v34, v74
	v_dual_fmac_f32 v68, v30, v14 :: v_dual_lshlrev_b32 v13, 16, v13
	s_delay_alu instid0(VALU_DEP_1) | instskip(NEXT) | instid1(VALU_DEP_1)
	v_fmac_f32_e32 v77, v29, v13
	v_dual_add_f32 v64, v64, v77 :: v_dual_mul_f32 v77, v70, v80
	s_delay_alu instid0(VALU_DEP_1)
	v_add_f32_e32 v64, v64, v68
	v_and_b32_e32 v68, 0xffff0000, v9
	v_lshlrev_b32_e32 v24, 16, v24
	v_lshlrev_b32_e32 v15, 16, v15
	v_add_f32_e32 v65, v65, v79
	v_and_b32_e32 v79, 0xffff0000, v16
	s_delay_alu instid0(VALU_DEP_4) | instskip(NEXT) | instid1(VALU_DEP_4)
	v_dual_fmac_f32 v82, v32, v24 :: v_dual_lshlrev_b32 v9, 16, v9
	v_dual_fmac_f32 v77, v31, v15 :: v_dual_mul_f32 v34, v34, v68
	s_delay_alu instid0(VALU_DEP_1) | instskip(NEXT) | instid1(VALU_DEP_2)
	v_dual_add_f32 v65, v65, v82 :: v_dual_add_f32 v64, v64, v77
	v_dual_fmac_f32 v34, v29, v9 :: v_dual_and_b32 v77, 0xffff0000, v10
	s_delay_alu instid0(VALU_DEP_1) | instskip(NEXT) | instid1(VALU_DEP_2)
	v_dual_mul_f32 v29, v48, v77 :: v_dual_lshlrev_b32 v16, 16, v16
	v_add_f32_e32 v34, v62, v34
	v_lshlrev_b32_e32 v10, 16, v10
	v_and_b32_e32 v84, 0xffff0000, v17
	v_mul_f32_e32 v48, v72, v79
	v_lshlrev_b32_e32 v19, 16, v19
	s_delay_alu instid0(VALU_DEP_4) | instskip(NEXT) | instid1(VALU_DEP_4)
	v_fmac_f32_e32 v29, v30, v10
	v_dual_mul_f32 v62, v84, v47 :: v_dual_lshlrev_b32 v17, 16, v17
	s_delay_alu instid0(VALU_DEP_4) | instskip(NEXT) | instid1(VALU_DEP_3)
	v_dual_fmac_f32 v48, v32, v16 :: v_dual_and_b32 v83, 0xffff0000, v11
	v_dual_add_f32 v29, v34, v29 :: v_dual_and_b32 v34, 0xffff0000, v18
	s_delay_alu instid0(VALU_DEP_3) | instskip(NEXT) | instid1(VALU_DEP_3)
	v_dual_fmac_f32 v62, v17, v25 :: v_dual_lshlrev_b32 v11, 16, v11
	v_mul_f32_e32 v30, v70, v83
	s_delay_alu instid0(VALU_DEP_2) | instskip(NEXT) | instid1(VALU_DEP_2)
	v_dual_add_f32 v62, v63, v62 :: v_dual_mul_f32 v63, v85, v71
	v_dual_fmac_f32 v30, v31, v11 :: v_dual_and_b32 v31, 0xffff0000, v12
	v_lshlrev_b32_e32 v18, 16, v18
	v_mul_f32_e32 v70, v34, v67
	s_delay_alu instid0(VALU_DEP_3) | instskip(NEXT) | instid1(VALU_DEP_4)
	v_dual_add_f32 v29, v29, v30 :: v_dual_lshlrev_b32 v12, 16, v12
	v_mul_f32_e32 v72, v72, v31
	s_delay_alu instid0(VALU_DEP_3) | instskip(NEXT) | instid1(VALU_DEP_2)
	v_dual_fmac_f32 v63, v19, v27 :: v_dual_fmac_f32 v70, v18, v26
	v_fmac_f32_e32 v72, v32, v12
	s_delay_alu instid0(VALU_DEP_2) | instskip(NEXT) | instid1(VALU_DEP_2)
	v_add_f32_e32 v30, v62, v70
	v_dual_add_f32 v62, v29, v72 :: v_dual_mul_f32 v29, v84, v69
	s_delay_alu instid0(VALU_DEP_1) | instskip(NEXT) | instid1(VALU_DEP_1)
	v_dual_mul_f32 v72, v34, v78 :: v_dual_fmac_f32 v29, v17, v21
	v_dual_add_f32 v29, v59, v29 :: v_dual_and_b32 v32, 0xffff0000, v20
	v_dual_mul_f32 v59, v85, v75 :: v_dual_lshlrev_b32 v20, 16, v20
	s_delay_alu instid0(VALU_DEP_1) | instskip(NEXT) | instid1(VALU_DEP_1)
	v_dual_mul_f32 v82, v32, v81 :: v_dual_fmac_f32 v59, v19, v23
	v_fmac_f32_e32 v82, v20, v24
	v_add_f32_e32 v30, v30, v63
	v_mul_f32_e32 v63, v34, v76
	s_delay_alu instid0(VALU_DEP_1) | instskip(NEXT) | instid1(VALU_DEP_1)
	v_dual_add_f32 v64, v64, v48 :: v_dual_fmac_f32 v63, v18, v22
	v_dual_add_f32 v29, v29, v63 :: v_dual_mul_f32 v48, v84, v74
	s_delay_alu instid0(VALU_DEP_1) | instskip(NEXT) | instid1(VALU_DEP_2)
	v_dual_mul_f32 v70, v32, v73 :: v_dual_add_f32 v29, v29, v59
	v_fmac_f32_e32 v48, v17, v13
	s_delay_alu instid0(VALU_DEP_2) | instskip(SKIP_2) | instid1(VALU_DEP_2)
	v_dual_fmac_f32 v70, v20, v28 :: v_dual_add_f32 v59, v29, v82
	v_dual_fmac_f32 v72, v18, v14 :: v_dual_and_b32 v29, 0xffff0000, v5
	v_lshlrev_b32_e32 v5, 16, v5
	v_dual_add_f32 v63, v30, v70 :: v_dual_mul_f32 v30, v29, v47
	v_and_b32_e32 v47, 0xffff0000, v6
	v_lshlrev_b32_e32 v6, 16, v6
	v_mul_f32_e32 v84, v84, v68
	v_add_f32_e32 v48, v60, v48
	s_delay_alu instid0(VALU_DEP_4) | instskip(NEXT) | instid1(VALU_DEP_3)
	v_dual_fmac_f32 v30, v5, v25 :: v_dual_mul_f32 v25, v47, v67
	v_fmac_f32_e32 v84, v17, v9
	v_dual_mul_f32 v17, v34, v77 :: v_dual_mul_f32 v60, v85, v80
	s_delay_alu instid0(VALU_DEP_3) | instskip(NEXT) | instid1(VALU_DEP_4)
	v_dual_fmac_f32 v25, v6, v26 :: v_dual_mul_f32 v26, v29, v69
	v_add_f32_e32 v30, v57, v30
	s_delay_alu instid0(VALU_DEP_3) | instskip(NEXT) | instid1(VALU_DEP_3)
	v_dual_fmac_f32 v17, v18, v10 :: v_dual_fmac_f32 v60, v19, v15
	v_dual_fmac_f32 v26, v5, v21 :: v_dual_mul_f32 v21, v47, v76
	s_delay_alu instid0(VALU_DEP_1) | instskip(SKIP_1) | instid1(VALU_DEP_1)
	v_add_f32_e32 v26, v56, v26
	v_mul_f32_e32 v18, v85, v83
	v_fmac_f32_e32 v18, v19, v11
	v_dual_mul_f32 v19, v32, v31 :: v_dual_add_f32 v34, v58, v84
	v_add_f32_e32 v48, v48, v72
	v_mul_f32_e32 v72, v32, v79
	s_delay_alu instid0(VALU_DEP_3) | instskip(NEXT) | instid1(VALU_DEP_4)
	v_fmac_f32_e32 v19, v20, v12
	v_add_f32_e32 v17, v34, v17
	s_delay_alu instid0(VALU_DEP_1) | instskip(SKIP_3) | instid1(VALU_DEP_4)
	v_dual_add_f32 v17, v17, v18 :: v_dual_and_b32 v18, 0xffff0000, v7
	v_dual_add_f32 v48, v48, v60 :: v_dual_lshlrev_b32 v7, 16, v7
	v_fmac_f32_e32 v72, v20, v16
	v_add_f32_e32 v20, v30, v25
	v_mul_f32_e32 v25, v18, v71
	v_add_f32_e32 v58, v17, v19
	s_delay_alu instid0(VALU_DEP_2) | instskip(NEXT) | instid1(VALU_DEP_1)
	v_fmac_f32_e32 v25, v7, v27
	v_dual_add_f32 v20, v20, v25 :: v_dual_mul_f32 v25, v29, v68
	v_fmac_f32_e32 v21, v6, v22
	v_mul_f32_e32 v22, v18, v75
	s_delay_alu instid0(VALU_DEP_3) | instskip(SKIP_1) | instid1(VALU_DEP_3)
	v_dual_fmac_f32 v25, v5, v9 :: v_dual_and_b32 v30, 0xffff0000, v8
	v_add_f32_e32 v60, v48, v72
	v_dual_fmac_f32 v22, v7, v23 :: v_dual_mul_f32 v23, v29, v74
	s_delay_alu instid0(VALU_DEP_3) | instskip(NEXT) | instid1(VALU_DEP_2)
	v_mul_f32_e32 v27, v30, v73
	v_fmac_f32_e32 v23, v5, v13
	v_mul_f32_e32 v13, v47, v78
	v_dual_mul_f32 v5, v47, v77 :: v_dual_lshlrev_b32 v8, 16, v8
	s_delay_alu instid0(VALU_DEP_3) | instskip(NEXT) | instid1(VALU_DEP_3)
	v_add_f32_e32 v9, v55, v23
	v_fmac_f32_e32 v13, v6, v14
	s_delay_alu instid0(VALU_DEP_3)
	v_fmac_f32_e32 v5, v6, v10
	v_add_f32_e32 v23, v54, v25
	v_mul_f32_e32 v14, v18, v80
	v_mul_f32_e32 v10, v30, v79
	v_add_f32_e32 v21, v26, v21
	v_dual_mul_f32 v6, v18, v83 :: v_dual_add_f32 v9, v9, v13
	s_delay_alu instid0(VALU_DEP_3) | instskip(SKIP_1) | instid1(VALU_DEP_3)
	v_dual_add_f32 v5, v23, v5 :: v_dual_fmac_f32 v10, v8, v16
	v_fmac_f32_e32 v14, v7, v15
	v_fmac_f32_e32 v6, v7, v11
	v_mul_f32_e32 v7, v30, v31
	v_fmac_f32_e32 v27, v8, v28
	s_delay_alu instid0(VALU_DEP_4) | instskip(SKIP_3) | instid1(VALU_DEP_3)
	v_add_f32_e32 v9, v9, v14
	v_dual_add_f32 v21, v21, v22 :: v_dual_mul_f32 v22, v30, v81
	v_add_f32_e32 v5, v5, v6
	v_fmac_f32_e32 v7, v8, v12
	v_dual_add_f32 v55, v9, v10 :: v_dual_fmac_f32 v22, v8, v24
	v_add_f32_e32 v57, v20, v27
	s_delay_alu instid0(VALU_DEP_3) | instskip(NEXT) | instid1(VALU_DEP_3)
	v_add_f32_e32 v54, v5, v7
	v_add_f32_e32 v56, v21, v22
	s_cbranch_scc1 .LBB228_36
.LBB228_23:                             ;   Parent Loop BB228_19 Depth=1
                                        ; =>  This Inner Loop Header: Depth=2
	v_add_nc_u32_e32 v47, s1, v0
	v_dual_mov_b32 v19, 0 :: v_dual_mov_b32 v18, 0
	s_waitcnt vmcnt(0)
	v_dual_mov_b32 v17, 0 :: v_dual_mov_b32 v32, 0
	s_delay_alu instid0(VALU_DEP_3) | instskip(SKIP_3) | instid1(VALU_DEP_3)
	v_min_u32_e32 v34, s23, v47
	v_dual_mov_b32 v31, 0 :: v_dual_mov_b32 v30, 0
	v_mov_b32_e32 v29, 0
	s_mov_b32 s2, exec_lo
	v_lshlrev_b64 v[5:6], 1, v[34:35]
	v_mov_b32_e32 v20, 0
	s_delay_alu instid0(VALU_DEP_2) | instskip(NEXT) | instid1(VALU_DEP_3)
	v_add_co_u32 v11, vcc_lo, s6, v5
	v_add_co_ci_u32_e32 v12, vcc_lo, s7, v6, vcc_lo
	s_delay_alu instid0(VALU_DEP_2) | instskip(NEXT) | instid1(VALU_DEP_2)
	v_add_co_u32 v5, vcc_lo, v11, v39
	v_add_co_ci_u32_e32 v6, vcc_lo, v12, v40, vcc_lo
	v_add_co_u32 v7, vcc_lo, v11, v41
	v_add_co_ci_u32_e32 v8, vcc_lo, v12, v42, vcc_lo
	;; [unrolled: 2-line block ×4, first 2 shown]
	s_clause 0x3
	global_load_b128 v[25:28], v[5:6], off slc dlc
	global_load_b128 v[21:24], v[7:8], off slc dlc
	;; [unrolled: 1-line block ×4, first 2 shown]
	v_dual_mov_b32 v8, 0 :: v_dual_mov_b32 v7, 0
	v_dual_mov_b32 v6, 0 :: v_dual_mov_b32 v5, 0
	v_cmpx_gt_u32_e64 s8, v47
	s_cbranch_execz .LBB228_22
; %bb.24:                               ;   in Loop: Header=BB228_23 Depth=2
	s_mov_b32 s3, exec_lo
                                        ; implicit-def: $vgpr32
	v_cmpx_lt_u32_e32 0x7fff, v47
	s_xor_b32 s3, exec_lo, s3
	s_cbranch_execz .LBB228_26
; %bb.25:                               ;   in Loop: Header=BB228_23 Depth=2
	v_mov_b32_e32 v48, v35
	s_delay_alu instid0(VALU_DEP_1) | instskip(NEXT) | instid1(VALU_DEP_1)
	v_lshlrev_b64 v[5:6], 1, v[47:48]
	v_add_co_u32 v5, vcc_lo, s16, v5
	s_delay_alu instid0(VALU_DEP_2)
	v_add_co_ci_u32_e32 v6, vcc_lo, s17, v6, vcc_lo
	global_load_b128 v[29:32], v[5:6], off
.LBB228_26:                             ;   in Loop: Header=BB228_23 Depth=2
	s_and_not1_saveexec_b32 s3, s3
	s_cbranch_execz .LBB228_28
; %bb.27:                               ;   in Loop: Header=BB228_23 Depth=2
	s_waitcnt vmcnt(0)
	ds_load_b128 v[29:32], v66
.LBB228_28:                             ;   in Loop: Header=BB228_23 Depth=2
	s_or_b32 exec_lo, exec_lo, s3
	v_add_nc_u32_e32 v34, s1, v50
	s_mov_b32 s3, exec_lo
                                        ; implicit-def: $vgpr20
	s_delay_alu instid0(VALU_DEP_1)
	v_cmpx_lt_u32_e32 0x7fff, v34
	s_xor_b32 s3, exec_lo, s3
	s_cbranch_execz .LBB228_30
; %bb.29:                               ;   in Loop: Header=BB228_23 Depth=2
	v_lshlrev_b64 v[5:6], 1, v[34:35]
	s_delay_alu instid0(VALU_DEP_1) | instskip(NEXT) | instid1(VALU_DEP_2)
	v_add_co_u32 v5, vcc_lo, s16, v5
	v_add_co_ci_u32_e32 v6, vcc_lo, s17, v6, vcc_lo
	global_load_b128 v[17:20], v[5:6], off
.LBB228_30:                             ;   in Loop: Header=BB228_23 Depth=2
	s_and_not1_saveexec_b32 s3, s3
	s_cbranch_execz .LBB228_32
; %bb.31:                               ;   in Loop: Header=BB228_23 Depth=2
	v_add_nc_u32_e32 v5, s26, v66
	s_waitcnt vmcnt(0)
	ds_load_b128 v[17:20], v5
.LBB228_32:                             ;   in Loop: Header=BB228_23 Depth=2
	s_or_b32 exec_lo, exec_lo, s3
	v_add_nc_u32_e32 v34, s1, v53
	s_mov_b32 s3, exec_lo
                                        ; implicit-def: $vgpr8
	s_delay_alu instid0(VALU_DEP_1)
	v_cmpx_lt_u32_e32 0x7fff, v34
	s_xor_b32 s3, exec_lo, s3
	s_cbranch_execz .LBB228_34
; %bb.33:                               ;   in Loop: Header=BB228_23 Depth=2
	v_lshlrev_b64 v[5:6], 1, v[34:35]
	s_delay_alu instid0(VALU_DEP_1) | instskip(NEXT) | instid1(VALU_DEP_2)
	v_add_co_u32 v5, vcc_lo, s16, v5
	v_add_co_ci_u32_e32 v6, vcc_lo, s17, v6, vcc_lo
	global_load_b128 v[5:8], v[5:6], off
.LBB228_34:                             ;   in Loop: Header=BB228_23 Depth=2
	s_and_not1_saveexec_b32 s3, s3
	s_cbranch_execz .LBB228_21
; %bb.35:                               ;   in Loop: Header=BB228_23 Depth=2
	s_waitcnt vmcnt(0)
	v_add_nc_u32_e32 v7, s10, v66
	ds_load_2addr_b32 v[5:6], v7 offset1:1
	ds_load_2addr_b32 v[7:8], v7 offset0:2 offset1:3
	s_branch .LBB228_21
.LBB228_36:                             ;   in Loop: Header=BB228_19 Depth=1
	s_waitcnt lgkmcnt(3)
	v_cvt_i32_f32_e32 v6, v65
	v_cvt_i32_f32_e32 v5, v61
	v_cvt_i32_f32_e32 v7, v64
	s_waitcnt lgkmcnt(0)
	v_cvt_i32_f32_e32 v8, v62
	v_cvt_i32_f32_e32 v10, v59
	v_cvt_f32_i32_dpp v6, v6 row_shr:8 row_mask:0xf bank_mask:0xf bound_ctrl:1
	v_cvt_f32_i32_dpp v5, v5 row_shr:8 row_mask:0xf bank_mask:0xf bound_ctrl:1
	v_cvt_f32_i32_dpp v7, v7 row_shr:8 row_mask:0xf bank_mask:0xf bound_ctrl:1
	v_cvt_f32_i32_dpp v8, v8 row_shr:8 row_mask:0xf bank_mask:0xf bound_ctrl:1
	v_cvt_i32_f32_e32 v11, v60
	v_add_f32_e32 v6, v65, v6
	v_add_f32_e32 v5, v61, v5
	s_delay_alu instid0(VALU_DEP_4) | instskip(SKIP_1) | instid1(VALU_DEP_4)
	v_dual_add_f32 v7, v64, v7 :: v_dual_add_f32 v8, v62, v8
	v_cvt_f32_i32_dpp v10, v10 row_shr:8 row_mask:0xf bank_mask:0xf bound_ctrl:1
	v_cvt_i32_f32_e32 v13, v6
	s_delay_alu instid0(VALU_DEP_4) | instskip(SKIP_2) | instid1(VALU_DEP_4)
	v_cvt_i32_f32_e32 v12, v5
	v_cvt_f32_i32_dpp v11, v11 row_shr:8 row_mask:0xf bank_mask:0xf bound_ctrl:1
	v_cvt_i32_f32_e32 v9, v63
	v_cvt_f32_i32_dpp v13, v13 row_shr:4 row_mask:0xf bank_mask:0xf bound_ctrl:1
	s_delay_alu instid0(VALU_DEP_4) | instskip(SKIP_1) | instid1(VALU_DEP_4)
	v_cvt_f32_i32_dpp v12, v12 row_shr:4 row_mask:0xf bank_mask:0xf bound_ctrl:1
	v_add_f32_e32 v10, v59, v10
	v_cvt_f32_i32_dpp v9, v9 row_shr:8 row_mask:0xf bank_mask:0xf bound_ctrl:1
	s_delay_alu instid0(VALU_DEP_4) | instskip(NEXT) | instid1(VALU_DEP_4)
	v_dual_add_f32 v11, v60, v11 :: v_dual_add_f32 v6, v6, v13
	v_add_f32_e32 v5, v5, v12
	v_cvt_i32_f32_e32 v12, v7
	v_cvt_i32_f32_e32 v13, v8
	s_waitcnt vmcnt(0)
	v_cvt_i32_f32_e32 v17, v10
	v_cvt_i32_f32_e32 v15, v6
	v_cvt_i32_f32_e32 v14, v5
	v_cvt_i32_f32_e32 v18, v11
	v_cvt_f32_i32_dpp v12, v12 row_shr:4 row_mask:0xf bank_mask:0xf bound_ctrl:1
	v_cvt_f32_i32_dpp v13, v13 row_shr:4 row_mask:0xf bank_mask:0xf bound_ctrl:1
	;; [unrolled: 1-line block ×3, first 2 shown]
	v_add_f32_e32 v9, v63, v9
	v_cvt_f32_i32_dpp v14, v14 row_shr:2 row_mask:0xf bank_mask:0xf bound_ctrl:1
	s_delay_alu instid0(VALU_DEP_4) | instskip(NEXT) | instid1(VALU_DEP_4)
	v_add_f32_e32 v8, v8, v13
	v_add_f32_e32 v6, v6, v15
	s_delay_alu instid0(VALU_DEP_4) | instskip(NEXT) | instid1(VALU_DEP_4)
	v_cvt_i32_f32_e32 v16, v9
	v_add_f32_e32 v5, v5, v14
	v_cvt_f32_i32_dpp v14, v17 row_shr:4 row_mask:0xf bank_mask:0xf bound_ctrl:1
	v_cvt_f32_i32_dpp v15, v18 row_shr:4 row_mask:0xf bank_mask:0xf bound_ctrl:1
	v_cvt_i32_f32_e32 v17, v6
	v_add_f32_e32 v7, v7, v12
	v_cvt_i32_f32_e32 v12, v5
	v_add_f32_e32 v10, v10, v14
	v_cvt_f32_i32_dpp v16, v16 row_shr:4 row_mask:0xf bank_mask:0xf bound_ctrl:1
	v_cvt_f32_i32_dpp v13, v17 row_shr:1 row_mask:0xf bank_mask:0xf bound_ctrl:1
	v_cvt_i32_f32_e32 v14, v7
	v_cvt_f32_i32_dpp v12, v12 row_shr:1 row_mask:0xf bank_mask:0xf bound_ctrl:1
	v_add_f32_e32 v11, v11, v15
	v_cvt_i32_f32_e32 v15, v8
	v_add_f32_e32 v29, v6, v13
	v_cvt_i32_f32_e32 v6, v10
	v_cvt_f32_i32_dpp v13, v14 row_shr:2 row_mask:0xf bank_mask:0xf bound_ctrl:1
	v_add_f32_e32 v32, v5, v12
	v_cvt_f32_i32_dpp v14, v15 row_shr:2 row_mask:0xf bank_mask:0xf bound_ctrl:1
	v_add_f32_e32 v9, v9, v16
	v_cvt_f32_i32_dpp v6, v6 row_shr:2 row_mask:0xf bank_mask:0xf bound_ctrl:1
	v_cvt_i32_f32_e32 v12, v11
	s_delay_alu instid0(VALU_DEP_4) | instskip(NEXT) | instid1(VALU_DEP_4)
	v_dual_add_f32 v7, v7, v13 :: v_dual_add_f32 v8, v8, v14
	v_cvt_i32_f32_e32 v5, v9
	s_delay_alu instid0(VALU_DEP_4) | instskip(NEXT) | instid1(VALU_DEP_4)
	v_add_f32_e32 v6, v10, v6
	v_cvt_f32_i32_dpp v12, v12 row_shr:2 row_mask:0xf bank_mask:0xf bound_ctrl:1
	s_delay_alu instid0(VALU_DEP_4) | instskip(SKIP_4) | instid1(VALU_DEP_3)
	v_cvt_i32_f32_e32 v10, v7
	ds_bpermute_b32 v39, v51, v32
	v_cvt_f32_i32_dpp v5, v5 row_shr:2 row_mask:0xf bank_mask:0xf bound_ctrl:1
	v_cvt_i32_f32_e32 v13, v6
	v_cvt_f32_i32_dpp v10, v10 row_shr:1 row_mask:0xf bank_mask:0xf bound_ctrl:1
	v_add_f32_e32 v5, v9, v5
	s_delay_alu instid0(VALU_DEP_3) | instskip(SKIP_2) | instid1(VALU_DEP_3)
	v_cvt_f32_i32_dpp v13, v13 row_shr:1 row_mask:0xf bank_mask:0xf bound_ctrl:1
	v_add_f32_e32 v9, v11, v12
	v_cvt_i32_f32_e32 v11, v8
	v_add_f32_e32 v18, v6, v13
	v_cvt_i32_f32_e32 v6, v57
	s_delay_alu instid0(VALU_DEP_3)
	v_cvt_f32_i32_dpp v11, v11 row_shr:1 row_mask:0xf bank_mask:0xf bound_ctrl:1
	v_cvt_i32_f32_e32 v14, v9
	ds_bpermute_b32 v19, v51, v18
	v_cvt_f32_i32_dpp v6, v6 row_shr:8 row_mask:0xf bank_mask:0xf bound_ctrl:1
	v_add_f32_e32 v24, v8, v11
	v_cvt_i32_f32_e32 v8, v55
	v_cvt_f32_i32_dpp v14, v14 row_shr:1 row_mask:0xf bank_mask:0xf bound_ctrl:1
	ds_bpermute_b32 v30, v51, v29
	v_add_f32_e32 v6, v57, v6
	ds_bpermute_b32 v25, v51, v24
	v_cvt_f32_i32_dpp v8, v8 row_shr:8 row_mask:0xf bank_mask:0xf bound_ctrl:1
	v_cvt_i32_f32_e32 v11, v6
	s_delay_alu instid0(VALU_DEP_2) | instskip(SKIP_1) | instid1(VALU_DEP_3)
	v_add_f32_e32 v8, v55, v8
	v_cvt_i32_f32_e32 v12, v5
	v_cvt_f32_i32_dpp v11, v11 row_shr:4 row_mask:0xf bank_mask:0xf bound_ctrl:1
	v_add_f32_e32 v27, v7, v10
	s_delay_alu instid0(VALU_DEP_4) | instskip(NEXT) | instid1(VALU_DEP_4)
	v_cvt_i32_f32_e32 v15, v8
	v_cvt_f32_i32_dpp v12, v12 row_shr:1 row_mask:0xf bank_mask:0xf bound_ctrl:1
	v_cvt_i32_f32_e32 v7, v56
	v_add_f32_e32 v6, v6, v11
	ds_bpermute_b32 v28, v51, v27
	v_cvt_f32_i32_dpp v15, v15 row_shr:4 row_mask:0xf bank_mask:0xf bound_ctrl:1
	v_add_f32_e32 v21, v5, v12
	v_cvt_i32_f32_e32 v5, v58
	v_cvt_f32_i32_dpp v7, v7 row_shr:8 row_mask:0xf bank_mask:0xf bound_ctrl:1
	v_cvt_i32_f32_e32 v11, v6
	v_add_f32_e32 v8, v8, v15
	ds_bpermute_b32 v22, v51, v21
	v_cvt_f32_i32_dpp v5, v5 row_shr:8 row_mask:0xf bank_mask:0xf bound_ctrl:1
	v_cvt_f32_i32_dpp v11, v11 row_shr:2 row_mask:0xf bank_mask:0xf bound_ctrl:1
	v_add_f32_e32 v13, v9, v14
	v_cvt_i32_f32_e32 v9, v54
	s_delay_alu instid0(VALU_DEP_4)
	v_add_f32_e32 v5, v58, v5
	v_cvt_i32_f32_e32 v15, v8
	v_add_f32_e32 v6, v6, v11
	ds_bpermute_b32 v14, v51, v13
	v_cvt_f32_i32_dpp v9, v9 row_shr:8 row_mask:0xf bank_mask:0xf bound_ctrl:1
	v_cvt_i32_f32_e32 v10, v5
	v_cvt_f32_i32_dpp v15, v15 row_shr:2 row_mask:0xf bank_mask:0xf bound_ctrl:1
	v_cvt_i32_f32_e32 v11, v6
	s_delay_alu instid0(VALU_DEP_4) | instskip(NEXT) | instid1(VALU_DEP_4)
	v_add_f32_e32 v9, v54, v9
	v_cvt_f32_i32_dpp v10, v10 row_shr:4 row_mask:0xf bank_mask:0xf bound_ctrl:1
	s_delay_alu instid0(VALU_DEP_4) | instskip(NEXT) | instid1(VALU_DEP_4)
	v_add_f32_e32 v8, v8, v15
	v_cvt_f32_i32_dpp v11, v11 row_shr:1 row_mask:0xf bank_mask:0xf bound_ctrl:1
	s_delay_alu instid0(VALU_DEP_4) | instskip(NEXT) | instid1(VALU_DEP_4)
	v_cvt_i32_f32_e32 v16, v9
	v_add_f32_e32 v5, v5, v10
	s_delay_alu instid0(VALU_DEP_4) | instskip(NEXT) | instid1(VALU_DEP_4)
	v_cvt_i32_f32_e32 v15, v8
	v_add_f32_e32 v11, v6, v11
	s_delay_alu instid0(VALU_DEP_4) | instskip(NEXT) | instid1(VALU_DEP_4)
	v_cvt_f32_i32_dpp v16, v16 row_shr:4 row_mask:0xf bank_mask:0xf bound_ctrl:1
	v_cvt_i32_f32_e32 v10, v5
	s_delay_alu instid0(VALU_DEP_4) | instskip(NEXT) | instid1(VALU_DEP_3)
	v_cvt_f32_i32_dpp v17, v15 row_shr:1 row_mask:0xf bank_mask:0xf bound_ctrl:1
	v_add_f32_e32 v9, v9, v16
	s_delay_alu instid0(VALU_DEP_3) | instskip(NEXT) | instid1(VALU_DEP_2)
	v_cvt_f32_i32_dpp v10, v10 row_shr:2 row_mask:0xf bank_mask:0xf bound_ctrl:1
	v_cvt_i32_f32_e32 v16, v9
	s_delay_alu instid0(VALU_DEP_2) | instskip(NEXT) | instid1(VALU_DEP_2)
	v_add_f32_e32 v5, v5, v10
	v_cvt_f32_i32_dpp v16, v16 row_shr:2 row_mask:0xf bank_mask:0xf bound_ctrl:1
	s_delay_alu instid0(VALU_DEP_1) | instskip(NEXT) | instid1(VALU_DEP_1)
	v_dual_add_f32 v7, v56, v7 :: v_dual_add_f32 v10, v9, v16
	v_cvt_i32_f32_e32 v12, v7
	s_delay_alu instid0(VALU_DEP_4) | instskip(NEXT) | instid1(VALU_DEP_3)
	v_cvt_i32_f32_e32 v9, v5
	v_cvt_i32_f32_e32 v16, v10
	s_delay_alu instid0(VALU_DEP_3) | instskip(NEXT) | instid1(VALU_DEP_3)
	v_cvt_f32_i32_dpp v12, v12 row_shr:4 row_mask:0xf bank_mask:0xf bound_ctrl:1
	v_cvt_f32_i32_dpp v9, v9 row_shr:1 row_mask:0xf bank_mask:0xf bound_ctrl:1
	s_delay_alu instid0(VALU_DEP_3) | instskip(NEXT) | instid1(VALU_DEP_3)
	v_cvt_f32_i32_dpp v16, v16 row_shr:1 row_mask:0xf bank_mask:0xf bound_ctrl:1
	v_add_f32_e32 v7, v7, v12
	s_delay_alu instid0(VALU_DEP_3) | instskip(NEXT) | instid1(VALU_DEP_3)
	v_add_f32_e32 v15, v5, v9
	v_add_f32_e32 v5, v10, v16
	s_delay_alu instid0(VALU_DEP_3) | instskip(SKIP_3) | instid1(VALU_DEP_1)
	v_cvt_i32_f32_e32 v12, v7
	ds_bpermute_b32 v16, v51, v15
	ds_bpermute_b32 v6, v51, v5
	v_cvt_f32_i32_dpp v12, v12 row_shr:2 row_mask:0xf bank_mask:0xf bound_ctrl:1
	v_add_f32_e32 v7, v7, v12
	s_delay_alu instid0(VALU_DEP_1) | instskip(NEXT) | instid1(VALU_DEP_1)
	v_cvt_i32_f32_e32 v12, v7
	v_cvt_f32_i32_dpp v12, v12 row_shr:1 row_mask:0xf bank_mask:0xf bound_ctrl:1
	s_delay_alu instid0(VALU_DEP_1)
	v_add_f32_e32 v9, v7, v12
	v_add_f32_e32 v7, v8, v17
	ds_bpermute_b32 v12, v51, v11
	ds_bpermute_b32 v10, v51, v9
	;; [unrolled: 1-line block ×3, first 2 shown]
	s_and_saveexec_b32 s5, s0
	s_cbranch_execz .LBB228_111
; %bb.37:                               ;   in Loop: Header=BB228_19 Depth=1
	v_dual_mov_b32 v34, 0 :: v_dual_mov_b32 v45, 0
	v_dual_mov_b32 v44, 0 :: v_dual_mov_b32 v43, 0
	;; [unrolled: 1-line block ×6, first 2 shown]
	s_and_not1_b32 vcc_lo, exec_lo, s25
	s_cbranch_vccnz .LBB228_39
; %bb.38:                               ;   in Loop: Header=BB228_19 Depth=1
	v_mul_hi_u32 v17, v33, v52
	v_mul_hi_u32 v20, v38, v52
	;; [unrolled: 1-line block ×4, first 2 shown]
	v_mov_b32_e32 v61, v35
	v_mov_b32_e32 v63, v35
	;; [unrolled: 1-line block ×4, first 2 shown]
	v_mul_lo_u32 v17, v17, s18
	v_mul_lo_u32 v20, v20, s18
	;; [unrolled: 1-line block ×4, first 2 shown]
	s_delay_alu instid0(VALU_DEP_4) | instskip(NEXT) | instid1(VALU_DEP_4)
	v_sub_nc_u32_e32 v17, v33, v17
	v_sub_nc_u32_e32 v20, v38, v20
	s_delay_alu instid0(VALU_DEP_4) | instskip(NEXT) | instid1(VALU_DEP_4)
	v_sub_nc_u32_e32 v23, v37, v23
	v_sub_nc_u32_e32 v26, v36, v26
	s_delay_alu instid0(VALU_DEP_4)
	v_subrev_nc_u32_e32 v31, s18, v17
	v_cmp_le_u32_e32 vcc_lo, s18, v17
	v_subrev_nc_u32_e32 v34, s18, v20
	v_subrev_nc_u32_e32 v40, s18, v23
	;; [unrolled: 1-line block ×3, first 2 shown]
	v_cndmask_b32_e32 v17, v17, v31, vcc_lo
	v_cmp_le_u32_e32 vcc_lo, s18, v20
	v_mov_b32_e32 v41, v35
	s_delay_alu instid0(VALU_DEP_3)
	v_subrev_nc_u32_e32 v31, s18, v17
	v_cndmask_b32_e32 v20, v20, v34, vcc_lo
	v_cmp_le_u32_e32 vcc_lo, s18, v23
	v_cndmask_b32_e32 v23, v23, v40, vcc_lo
	v_cmp_le_u32_e32 vcc_lo, s18, v26
	v_mov_b32_e32 v43, v35
	v_subrev_nc_u32_e32 v40, s18, v20
	v_cndmask_b32_e32 v26, v26, v42, vcc_lo
	v_cmp_le_u32_e32 vcc_lo, s18, v17
	s_delay_alu instid0(VALU_DEP_2) | instskip(SKIP_3) | instid1(VALU_DEP_3)
	v_subrev_nc_u32_e32 v44, s18, v26
	v_cndmask_b32_e32 v34, v17, v31, vcc_lo
	v_cmp_le_u32_e32 vcc_lo, s18, v20
	v_subrev_nc_u32_e32 v42, s18, v23
	v_lshlrev_b64 v[46:47], 1, v[34:35]
	v_cndmask_b32_e32 v40, v20, v40, vcc_lo
	v_cmp_le_u32_e32 vcc_lo, s18, v23
	v_add_nc_u32_e32 v60, s27, v34
	v_add_nc_u32_e32 v34, s28, v34
	s_delay_alu instid0(VALU_DEP_4) | instskip(SKIP_4) | instid1(VALU_DEP_4)
	v_lshlrev_b64 v[54:55], 1, v[40:41]
	v_cndmask_b32_e32 v42, v23, v42, vcc_lo
	v_cmp_le_u32_e32 vcc_lo, s18, v26
	v_dual_mov_b32 v45, v35 :: v_dual_add_nc_u32 v62, s27, v40
	v_lshlrev_b64 v[60:61], 1, v[60:61]
	v_lshlrev_b64 v[56:57], 1, v[42:43]
	v_cndmask_b32_e32 v44, v26, v44, vcc_lo
	v_add_co_u32 v46, vcc_lo, s12, v46
	v_add_co_ci_u32_e32 v47, vcc_lo, s13, v47, vcc_lo
	v_add_co_u32 v54, vcc_lo, s12, v54
	s_delay_alu instid0(VALU_DEP_4)
	v_lshlrev_b64 v[58:59], 1, v[44:45]
	v_add_co_ci_u32_e32 v55, vcc_lo, s13, v55, vcc_lo
	v_add_co_u32 v56, vcc_lo, s12, v56
	v_add_nc_u32_e32 v64, s27, v42
	v_add_co_ci_u32_e32 v57, vcc_lo, s13, v57, vcc_lo
	v_add_co_u32 v58, vcc_lo, s12, v58
	v_lshlrev_b64 v[62:63], 1, v[62:63]
	v_add_nc_u32_e32 v66, s27, v44
	v_add_co_ci_u32_e32 v59, vcc_lo, s13, v59, vcc_lo
	v_add_co_u32 v60, vcc_lo, s12, v60
	v_lshlrev_b64 v[64:65], 1, v[64:65]
	v_add_co_ci_u32_e32 v61, vcc_lo, s13, v61, vcc_lo
	v_lshlrev_b64 v[68:69], 1, v[34:35]
	v_add_nc_u32_e32 v34, s28, v40
	v_add_co_u32 v62, vcc_lo, s12, v62
	v_lshlrev_b64 v[66:67], 1, v[66:67]
	v_add_co_ci_u32_e32 v63, vcc_lo, s13, v63, vcc_lo
	v_add_co_u32 v64, vcc_lo, s12, v64
	v_lshlrev_b64 v[40:41], 1, v[34:35]
	v_add_nc_u32_e32 v34, s28, v42
	v_add_co_ci_u32_e32 v65, vcc_lo, s13, v65, vcc_lo
	v_add_co_u32 v66, vcc_lo, s12, v66
	v_add_co_ci_u32_e32 v67, vcc_lo, s13, v67, vcc_lo
	v_add_co_u32 v68, vcc_lo, s12, v68
	v_lshlrev_b64 v[42:43], 1, v[34:35]
	v_add_nc_u32_e32 v34, s28, v44
	v_add_co_ci_u32_e32 v69, vcc_lo, s13, v69, vcc_lo
	v_add_co_u32 v70, vcc_lo, s12, v40
	v_add_co_ci_u32_e32 v71, vcc_lo, s13, v41, vcc_lo
	s_delay_alu instid0(VALU_DEP_4) | instskip(SKIP_2) | instid1(VALU_DEP_3)
	v_lshlrev_b64 v[40:41], 1, v[34:35]
	v_add_co_u32 v72, vcc_lo, s12, v42
	v_add_co_ci_u32_e32 v73, vcc_lo, s13, v43, vcc_lo
	v_add_co_u32 v74, vcc_lo, s12, v40
	s_delay_alu instid0(VALU_DEP_4)
	v_add_co_ci_u32_e32 v75, vcc_lo, s13, v41, vcc_lo
	s_clause 0xb
	global_load_u16 v34, v[46:47], off
	global_load_u16 v45, v[54:55], off
	;; [unrolled: 1-line block ×12, first 2 shown]
.LBB228_39:                             ;   in Loop: Header=BB228_19 Depth=1
	v_cmp_ne_u32_e32 vcc_lo, 0, v1
	s_and_saveexec_b32 s2, vcc_lo
	s_cbranch_execnz .LBB228_51
; %bb.40:                               ;   in Loop: Header=BB228_19 Depth=1
	s_or_b32 exec_lo, exec_lo, s2
	v_cmp_ne_u32_e64 s1, 0, v2
	s_delay_alu instid0(VALU_DEP_1)
	s_and_saveexec_b32 s3, s1
	s_cbranch_execnz .LBB228_56
.LBB228_41:                             ;   in Loop: Header=BB228_19 Depth=1
	s_or_b32 exec_lo, exec_lo, s3
	v_cmp_ne_u32_e64 s2, 0, v3
	s_delay_alu instid0(VALU_DEP_1)
	s_and_saveexec_b32 s4, s2
	s_cbranch_execnz .LBB228_61
.LBB228_42:                             ;   in Loop: Header=BB228_19 Depth=1
	s_or_b32 exec_lo, exec_lo, s4
	v_cmp_ne_u32_e64 s3, 0, v4
	s_delay_alu instid0(VALU_DEP_1)
	s_and_saveexec_b32 s29, s3
	s_cbranch_execnz .LBB228_66
.LBB228_43:                             ;   in Loop: Header=BB228_19 Depth=1
	s_or_b32 exec_lo, exec_lo, s29
	s_waitcnt vmcnt(11)
	v_add_nc_u32_e32 v34, s11, v33
	s_and_saveexec_b32 s29, vcc_lo
	s_cbranch_execnz .LBB228_71
.LBB228_44:                             ;   in Loop: Header=BB228_19 Depth=1
	s_or_b32 exec_lo, exec_lo, s29
	s_and_saveexec_b32 s29, s1
	s_cbranch_execnz .LBB228_76
.LBB228_45:                             ;   in Loop: Header=BB228_19 Depth=1
	s_or_b32 exec_lo, exec_lo, s29
	s_and_saveexec_b32 s29, s2
	s_cbranch_execnz .LBB228_81
.LBB228_46:                             ;   in Loop: Header=BB228_19 Depth=1
	s_or_b32 exec_lo, exec_lo, s29
	s_and_saveexec_b32 s29, s3
	s_cbranch_execnz .LBB228_86
.LBB228_47:                             ;   in Loop: Header=BB228_19 Depth=1
	s_or_b32 exec_lo, exec_lo, s29
	v_add_nc_u32_e32 v34, s11, v34
	s_and_saveexec_b32 s4, vcc_lo
	s_cbranch_execnz .LBB228_91
.LBB228_48:                             ;   in Loop: Header=BB228_19 Depth=1
	s_or_b32 exec_lo, exec_lo, s4
	s_and_saveexec_b32 s4, s1
	s_cbranch_execnz .LBB228_96
.LBB228_49:                             ;   in Loop: Header=BB228_19 Depth=1
	s_or_b32 exec_lo, exec_lo, s4
	s_and_saveexec_b32 s1, s2
	s_cbranch_execnz .LBB228_101
.LBB228_50:                             ;   in Loop: Header=BB228_19 Depth=1
	s_or_b32 exec_lo, exec_lo, s1
	s_delay_alu instid0(SALU_CYCLE_1)
	s_and_b32 exec_lo, exec_lo, s3
	s_cbranch_execnz .LBB228_106
	s_branch .LBB228_111
.LBB228_51:                             ;   in Loop: Header=BB228_19 Depth=1
	s_waitcnt lgkmcnt(11)
	v_add_f32_e32 v32, v32, v39
	s_waitcnt vmcnt(11)
	v_lshlrev_b32_e32 v34, 16, v34
	s_delay_alu instid0(VALU_DEP_1) | instskip(NEXT) | instid1(VALU_DEP_1)
	v_add_f32_e32 v34, v32, v34
	v_and_b32_e32 v32, 0x7f800000, v34
	s_delay_alu instid0(VALU_DEP_1) | instskip(NEXT) | instid1(VALU_DEP_1)
	v_cmp_ne_u32_e64 s1, 0x7f800000, v32
                                        ; implicit-def: $vgpr32
	s_and_saveexec_b32 s3, s1
	s_delay_alu instid0(SALU_CYCLE_1)
	s_xor_b32 s1, exec_lo, s3
; %bb.52:                               ;   in Loop: Header=BB228_19 Depth=1
	v_bfe_u32 v32, v34, 16, 1
	s_delay_alu instid0(VALU_DEP_1)
	v_add3_u32 v32, v34, v32, 0x7fff
                                        ; implicit-def: $vgpr34
; %bb.53:                               ;   in Loop: Header=BB228_19 Depth=1
	s_and_not1_saveexec_b32 s3, s1
; %bb.54:                               ;   in Loop: Header=BB228_19 Depth=1
	v_and_b32_e32 v32, 0xffff, v34
	v_or_b32_e32 v39, 0x10000, v34
	s_delay_alu instid0(VALU_DEP_2) | instskip(NEXT) | instid1(VALU_DEP_1)
	v_cmp_eq_u32_e64 s1, 0, v32
	v_cndmask_b32_e64 v32, v39, v34, s1
; %bb.55:                               ;   in Loop: Header=BB228_19 Depth=1
	s_or_b32 exec_lo, exec_lo, s3
	v_mov_b32_e32 v34, v35
	s_delay_alu instid0(VALU_DEP_1) | instskip(NEXT) | instid1(VALU_DEP_1)
	v_lshlrev_b64 v[46:47], 1, v[33:34]
	v_add_co_u32 v46, s1, s14, v46
	s_delay_alu instid0(VALU_DEP_1) | instskip(SKIP_3) | instid1(VALU_DEP_1)
	v_add_co_ci_u32_e64 v47, s1, s15, v47, s1
	global_store_d16_hi_b16 v[46:47], v32, off
	s_or_b32 exec_lo, exec_lo, s2
	v_cmp_ne_u32_e64 s1, 0, v2
	s_and_saveexec_b32 s3, s1
	s_cbranch_execz .LBB228_41
.LBB228_56:                             ;   in Loop: Header=BB228_19 Depth=1
	s_waitcnt vmcnt(10) lgkmcnt(9)
	v_dual_add_f32 v29, v29, v30 :: v_dual_lshlrev_b32 v30, 16, v45
	s_delay_alu instid0(VALU_DEP_1) | instskip(NEXT) | instid1(VALU_DEP_1)
	v_add_f32_e32 v30, v29, v30
	v_and_b32_e32 v29, 0x7f800000, v30
	s_delay_alu instid0(VALU_DEP_1) | instskip(NEXT) | instid1(VALU_DEP_1)
	v_cmp_ne_u32_e64 s2, 0x7f800000, v29
                                        ; implicit-def: $vgpr29
	s_and_saveexec_b32 s4, s2
	s_delay_alu instid0(SALU_CYCLE_1)
	s_xor_b32 s2, exec_lo, s4
; %bb.57:                               ;   in Loop: Header=BB228_19 Depth=1
	v_bfe_u32 v29, v30, 16, 1
	s_delay_alu instid0(VALU_DEP_1)
	v_add3_u32 v29, v30, v29, 0x7fff
                                        ; implicit-def: $vgpr30
; %bb.58:                               ;   in Loop: Header=BB228_19 Depth=1
	s_and_not1_saveexec_b32 s4, s2
; %bb.59:                               ;   in Loop: Header=BB228_19 Depth=1
	v_and_b32_e32 v29, 0xffff, v30
	v_or_b32_e32 v32, 0x10000, v30
	s_delay_alu instid0(VALU_DEP_2) | instskip(NEXT) | instid1(VALU_DEP_1)
	v_cmp_eq_u32_e64 s2, 0, v29
	v_cndmask_b32_e64 v29, v32, v30, s2
; %bb.60:                               ;   in Loop: Header=BB228_19 Depth=1
	s_or_b32 exec_lo, exec_lo, s4
	v_mov_b32_e32 v39, v35
	s_delay_alu instid0(VALU_DEP_1) | instskip(NEXT) | instid1(VALU_DEP_1)
	v_lshlrev_b64 v[38:39], 1, v[38:39]
	v_add_co_u32 v38, s2, s14, v38
	s_delay_alu instid0(VALU_DEP_1) | instskip(SKIP_3) | instid1(VALU_DEP_1)
	v_add_co_ci_u32_e64 v39, s2, s15, v39, s2
	global_store_d16_hi_b16 v[38:39], v29, off
	s_or_b32 exec_lo, exec_lo, s3
	v_cmp_ne_u32_e64 s2, 0, v3
	s_and_saveexec_b32 s4, s2
	s_cbranch_execz .LBB228_42
.LBB228_61:                             ;   in Loop: Header=BB228_19 Depth=1
	s_waitcnt lgkmcnt(7)
	v_add_f32_e32 v27, v27, v28
	s_waitcnt vmcnt(9)
	v_lshlrev_b32_e32 v28, 16, v44
	s_delay_alu instid0(VALU_DEP_1) | instskip(NEXT) | instid1(VALU_DEP_1)
	v_add_f32_e32 v28, v27, v28
	v_and_b32_e32 v27, 0x7f800000, v28
	s_delay_alu instid0(VALU_DEP_1) | instskip(NEXT) | instid1(VALU_DEP_1)
	v_cmp_ne_u32_e64 s3, 0x7f800000, v27
                                        ; implicit-def: $vgpr27
	s_and_saveexec_b32 s29, s3
	s_delay_alu instid0(SALU_CYCLE_1)
	s_xor_b32 s3, exec_lo, s29
; %bb.62:                               ;   in Loop: Header=BB228_19 Depth=1
	v_bfe_u32 v27, v28, 16, 1
	s_delay_alu instid0(VALU_DEP_1)
	v_add3_u32 v27, v28, v27, 0x7fff
                                        ; implicit-def: $vgpr28
; %bb.63:                               ;   in Loop: Header=BB228_19 Depth=1
	s_and_not1_saveexec_b32 s29, s3
; %bb.64:                               ;   in Loop: Header=BB228_19 Depth=1
	v_and_b32_e32 v27, 0xffff, v28
	v_or_b32_e32 v29, 0x10000, v28
	s_delay_alu instid0(VALU_DEP_2) | instskip(NEXT) | instid1(VALU_DEP_1)
	v_cmp_eq_u32_e64 s3, 0, v27
	v_cndmask_b32_e64 v27, v29, v28, s3
; %bb.65:                               ;   in Loop: Header=BB228_19 Depth=1
	s_or_b32 exec_lo, exec_lo, s29
	v_mov_b32_e32 v38, v35
	s_delay_alu instid0(VALU_DEP_1) | instskip(NEXT) | instid1(VALU_DEP_1)
	v_lshlrev_b64 v[28:29], 1, v[37:38]
	v_add_co_u32 v28, s3, s14, v28
	s_delay_alu instid0(VALU_DEP_1) | instskip(SKIP_3) | instid1(VALU_DEP_1)
	v_add_co_ci_u32_e64 v29, s3, s15, v29, s3
	global_store_d16_hi_b16 v[28:29], v27, off
	s_or_b32 exec_lo, exec_lo, s4
	v_cmp_ne_u32_e64 s3, 0, v4
	s_and_saveexec_b32 s29, s3
	s_cbranch_execz .LBB228_43
.LBB228_66:                             ;   in Loop: Header=BB228_19 Depth=1
	s_waitcnt vmcnt(8) lgkmcnt(8)
	v_dual_add_f32 v24, v24, v25 :: v_dual_lshlrev_b32 v25, 16, v43
	s_delay_alu instid0(VALU_DEP_1) | instskip(NEXT) | instid1(VALU_DEP_1)
	v_add_f32_e32 v25, v24, v25
	v_and_b32_e32 v24, 0x7f800000, v25
	s_delay_alu instid0(VALU_DEP_1) | instskip(NEXT) | instid1(VALU_DEP_1)
	v_cmp_ne_u32_e64 s4, 0x7f800000, v24
                                        ; implicit-def: $vgpr24
	s_and_saveexec_b32 s30, s4
	s_delay_alu instid0(SALU_CYCLE_1)
	s_xor_b32 s4, exec_lo, s30
; %bb.67:                               ;   in Loop: Header=BB228_19 Depth=1
	v_bfe_u32 v24, v25, 16, 1
	s_delay_alu instid0(VALU_DEP_1)
	v_add3_u32 v24, v25, v24, 0x7fff
                                        ; implicit-def: $vgpr25
; %bb.68:                               ;   in Loop: Header=BB228_19 Depth=1
	s_and_not1_saveexec_b32 s30, s4
; %bb.69:                               ;   in Loop: Header=BB228_19 Depth=1
	v_and_b32_e32 v24, 0xffff, v25
	v_or_b32_e32 v27, 0x10000, v25
	s_delay_alu instid0(VALU_DEP_2) | instskip(NEXT) | instid1(VALU_DEP_1)
	v_cmp_eq_u32_e64 s4, 0, v24
	v_cndmask_b32_e64 v24, v27, v25, s4
; %bb.70:                               ;   in Loop: Header=BB228_19 Depth=1
	s_or_b32 exec_lo, exec_lo, s30
	v_mov_b32_e32 v37, v35
	s_waitcnt lgkmcnt(7)
	s_delay_alu instid0(VALU_DEP_1) | instskip(NEXT) | instid1(VALU_DEP_1)
	v_lshlrev_b64 v[27:28], 1, v[36:37]
	v_add_co_u32 v27, s4, s14, v27
	s_delay_alu instid0(VALU_DEP_1)
	v_add_co_ci_u32_e64 v28, s4, s15, v28, s4
	global_store_d16_hi_b16 v[27:28], v24, off
	s_or_b32 exec_lo, exec_lo, s29
	v_add_nc_u32_e32 v34, s11, v33
	s_and_saveexec_b32 s29, vcc_lo
	s_cbranch_execz .LBB228_44
.LBB228_71:                             ;   in Loop: Header=BB228_19 Depth=1
	s_waitcnt lgkmcnt(6)
	v_add_f32_e32 v21, v21, v22
	s_waitcnt vmcnt(7)
	v_lshlrev_b32_e32 v22, 16, v42
	s_delay_alu instid0(VALU_DEP_1) | instskip(NEXT) | instid1(VALU_DEP_1)
	v_add_f32_e32 v22, v21, v22
	v_and_b32_e32 v21, 0x7f800000, v22
	s_delay_alu instid0(VALU_DEP_1) | instskip(NEXT) | instid1(VALU_DEP_1)
	v_cmp_ne_u32_e64 s4, 0x7f800000, v21
                                        ; implicit-def: $vgpr21
	s_and_saveexec_b32 s30, s4
	s_delay_alu instid0(SALU_CYCLE_1)
	s_xor_b32 s4, exec_lo, s30
; %bb.72:                               ;   in Loop: Header=BB228_19 Depth=1
	v_bfe_u32 v21, v22, 16, 1
	s_delay_alu instid0(VALU_DEP_1)
	v_add3_u32 v21, v22, v21, 0x7fff
                                        ; implicit-def: $vgpr22
; %bb.73:                               ;   in Loop: Header=BB228_19 Depth=1
	s_and_not1_saveexec_b32 s30, s4
; %bb.74:                               ;   in Loop: Header=BB228_19 Depth=1
	v_and_b32_e32 v21, 0xffff, v22
	v_or_b32_e32 v24, 0x10000, v22
	s_delay_alu instid0(VALU_DEP_2) | instskip(NEXT) | instid1(VALU_DEP_1)
	v_cmp_eq_u32_e64 s4, 0, v21
	v_cndmask_b32_e64 v21, v24, v22, s4
; %bb.75:                               ;   in Loop: Header=BB228_19 Depth=1
	s_or_b32 exec_lo, exec_lo, s30
	v_lshlrev_b64 v[24:25], 1, v[34:35]
	s_delay_alu instid0(VALU_DEP_1) | instskip(NEXT) | instid1(VALU_DEP_1)
	v_add_co_u32 v24, s4, s14, v24
	v_add_co_ci_u32_e64 v25, s4, s15, v25, s4
	global_store_d16_hi_b16 v[24:25], v21, off
	s_or_b32 exec_lo, exec_lo, s29
	s_and_saveexec_b32 s29, s1
	s_cbranch_execz .LBB228_45
.LBB228_76:                             ;   in Loop: Header=BB228_19 Depth=1
	s_waitcnt vmcnt(6) lgkmcnt(10)
	v_dual_add_f32 v18, v18, v19 :: v_dual_lshlrev_b32 v19, 16, v41
	s_delay_alu instid0(VALU_DEP_1) | instskip(NEXT) | instid1(VALU_DEP_1)
	v_add_f32_e32 v19, v18, v19
	v_and_b32_e32 v18, 0x7f800000, v19
	s_delay_alu instid0(VALU_DEP_1) | instskip(NEXT) | instid1(VALU_DEP_1)
	v_cmp_ne_u32_e64 s4, 0x7f800000, v18
                                        ; implicit-def: $vgpr18
	s_and_saveexec_b32 s30, s4
	s_delay_alu instid0(SALU_CYCLE_1)
	s_xor_b32 s4, exec_lo, s30
; %bb.77:                               ;   in Loop: Header=BB228_19 Depth=1
	v_bfe_u32 v18, v19, 16, 1
	s_delay_alu instid0(VALU_DEP_1)
	v_add3_u32 v18, v19, v18, 0x7fff
                                        ; implicit-def: $vgpr19
; %bb.78:                               ;   in Loop: Header=BB228_19 Depth=1
	s_and_not1_saveexec_b32 s30, s4
; %bb.79:                               ;   in Loop: Header=BB228_19 Depth=1
	v_and_b32_e32 v18, 0xffff, v19
	v_or_b32_e32 v21, 0x10000, v19
	s_delay_alu instid0(VALU_DEP_2) | instskip(NEXT) | instid1(VALU_DEP_1)
	v_cmp_eq_u32_e64 s4, 0, v18
	v_cndmask_b32_e64 v18, v21, v19, s4
; %bb.80:                               ;   in Loop: Header=BB228_19 Depth=1
	s_or_b32 exec_lo, exec_lo, s30
	s_waitcnt lgkmcnt(6)
	v_dual_mov_b32 v22, v35 :: v_dual_add_nc_u32 v21, 1, v34
	s_delay_alu instid0(VALU_DEP_1) | instskip(NEXT) | instid1(VALU_DEP_1)
	v_lshlrev_b64 v[21:22], 1, v[21:22]
	v_add_co_u32 v21, s4, s14, v21
	s_delay_alu instid0(VALU_DEP_1)
	v_add_co_ci_u32_e64 v22, s4, s15, v22, s4
	global_store_d16_hi_b16 v[21:22], v18, off
	s_or_b32 exec_lo, exec_lo, s29
	s_and_saveexec_b32 s29, s2
	s_cbranch_execz .LBB228_46
.LBB228_81:                             ;   in Loop: Header=BB228_19 Depth=1
	s_waitcnt vmcnt(5) lgkmcnt(5)
	v_dual_add_f32 v13, v13, v14 :: v_dual_lshlrev_b32 v14, 16, v40
	s_delay_alu instid0(VALU_DEP_1) | instskip(NEXT) | instid1(VALU_DEP_1)
	v_add_f32_e32 v14, v13, v14
	v_and_b32_e32 v13, 0x7f800000, v14
	s_delay_alu instid0(VALU_DEP_1) | instskip(NEXT) | instid1(VALU_DEP_1)
	v_cmp_ne_u32_e64 s4, 0x7f800000, v13
                                        ; implicit-def: $vgpr13
	s_and_saveexec_b32 s30, s4
	s_delay_alu instid0(SALU_CYCLE_1)
	s_xor_b32 s4, exec_lo, s30
; %bb.82:                               ;   in Loop: Header=BB228_19 Depth=1
	v_bfe_u32 v13, v14, 16, 1
	s_delay_alu instid0(VALU_DEP_1)
	v_add3_u32 v13, v14, v13, 0x7fff
                                        ; implicit-def: $vgpr14
; %bb.83:                               ;   in Loop: Header=BB228_19 Depth=1
	s_and_not1_saveexec_b32 s30, s4
; %bb.84:                               ;   in Loop: Header=BB228_19 Depth=1
	v_and_b32_e32 v13, 0xffff, v14
	v_or_b32_e32 v18, 0x10000, v14
	s_delay_alu instid0(VALU_DEP_2) | instskip(NEXT) | instid1(VALU_DEP_1)
	v_cmp_eq_u32_e64 s4, 0, v13
	v_cndmask_b32_e64 v13, v18, v14, s4
; %bb.85:                               ;   in Loop: Header=BB228_19 Depth=1
	s_or_b32 exec_lo, exec_lo, s30
	v_dual_mov_b32 v19, v35 :: v_dual_add_nc_u32 v18, 2, v34
	s_delay_alu instid0(VALU_DEP_1) | instskip(NEXT) | instid1(VALU_DEP_1)
	v_lshlrev_b64 v[18:19], 1, v[18:19]
	v_add_co_u32 v18, s4, s14, v18
	s_delay_alu instid0(VALU_DEP_1)
	v_add_co_ci_u32_e64 v19, s4, s15, v19, s4
	global_store_d16_hi_b16 v[18:19], v13, off
	s_or_b32 exec_lo, exec_lo, s29
	s_and_saveexec_b32 s29, s3
	s_cbranch_execz .LBB228_47
.LBB228_86:                             ;   in Loop: Header=BB228_19 Depth=1
	s_waitcnt vmcnt(4) lgkmcnt(4)
	v_dual_add_f32 v13, v15, v16 :: v_dual_lshlrev_b32 v14, 16, v31
	s_delay_alu instid0(VALU_DEP_1) | instskip(NEXT) | instid1(VALU_DEP_1)
	v_add_f32_e32 v14, v13, v14
	v_and_b32_e32 v13, 0x7f800000, v14
	s_delay_alu instid0(VALU_DEP_1) | instskip(NEXT) | instid1(VALU_DEP_1)
	v_cmp_ne_u32_e64 s4, 0x7f800000, v13
                                        ; implicit-def: $vgpr13
	s_and_saveexec_b32 s30, s4
	s_delay_alu instid0(SALU_CYCLE_1)
	s_xor_b32 s4, exec_lo, s30
; %bb.87:                               ;   in Loop: Header=BB228_19 Depth=1
	v_bfe_u32 v13, v14, 16, 1
	s_delay_alu instid0(VALU_DEP_1)
	v_add3_u32 v13, v14, v13, 0x7fff
                                        ; implicit-def: $vgpr14
; %bb.88:                               ;   in Loop: Header=BB228_19 Depth=1
	s_and_not1_saveexec_b32 s30, s4
; %bb.89:                               ;   in Loop: Header=BB228_19 Depth=1
	v_and_b32_e32 v13, 0xffff, v14
	v_or_b32_e32 v15, 0x10000, v14
	s_delay_alu instid0(VALU_DEP_2) | instskip(NEXT) | instid1(VALU_DEP_1)
	v_cmp_eq_u32_e64 s4, 0, v13
	v_cndmask_b32_e64 v13, v15, v14, s4
; %bb.90:                               ;   in Loop: Header=BB228_19 Depth=1
	s_or_b32 exec_lo, exec_lo, s30
	v_dual_mov_b32 v15, v35 :: v_dual_add_nc_u32 v14, 3, v34
	s_delay_alu instid0(VALU_DEP_1) | instskip(NEXT) | instid1(VALU_DEP_1)
	v_lshlrev_b64 v[14:15], 1, v[14:15]
	v_add_co_u32 v14, s4, s14, v14
	s_delay_alu instid0(VALU_DEP_1)
	v_add_co_ci_u32_e64 v15, s4, s15, v15, s4
	global_store_d16_hi_b16 v[14:15], v13, off
	s_or_b32 exec_lo, exec_lo, s29
	v_add_nc_u32_e32 v34, s11, v34
	s_and_saveexec_b32 s4, vcc_lo
	s_cbranch_execz .LBB228_48
.LBB228_91:                             ;   in Loop: Header=BB228_19 Depth=1
	s_waitcnt vmcnt(3) lgkmcnt(2)
	v_dual_add_f32 v11, v11, v12 :: v_dual_lshlrev_b32 v12, 16, v26
	s_delay_alu instid0(VALU_DEP_1) | instskip(NEXT) | instid1(VALU_DEP_1)
	v_add_f32_e32 v12, v11, v12
	v_and_b32_e32 v11, 0x7f800000, v12
	s_delay_alu instid0(VALU_DEP_1) | instskip(SKIP_1) | instid1(SALU_CYCLE_1)
	v_cmp_ne_u32_e32 vcc_lo, 0x7f800000, v11
                                        ; implicit-def: $vgpr11
	s_and_saveexec_b32 s29, vcc_lo
	s_xor_b32 s29, exec_lo, s29
; %bb.92:                               ;   in Loop: Header=BB228_19 Depth=1
	v_bfe_u32 v11, v12, 16, 1
	s_delay_alu instid0(VALU_DEP_1)
	v_add3_u32 v11, v12, v11, 0x7fff
                                        ; implicit-def: $vgpr12
; %bb.93:                               ;   in Loop: Header=BB228_19 Depth=1
	s_and_not1_saveexec_b32 s29, s29
; %bb.94:                               ;   in Loop: Header=BB228_19 Depth=1
	v_and_b32_e32 v11, 0xffff, v12
	v_or_b32_e32 v13, 0x10000, v12
	s_delay_alu instid0(VALU_DEP_2) | instskip(NEXT) | instid1(VALU_DEP_2)
	v_cmp_eq_u32_e32 vcc_lo, 0, v11
	v_cndmask_b32_e32 v11, v13, v12, vcc_lo
; %bb.95:                               ;   in Loop: Header=BB228_19 Depth=1
	s_or_b32 exec_lo, exec_lo, s29
	v_lshlrev_b64 v[12:13], 1, v[34:35]
	s_delay_alu instid0(VALU_DEP_1) | instskip(NEXT) | instid1(VALU_DEP_2)
	v_add_co_u32 v12, vcc_lo, s14, v12
	v_add_co_ci_u32_e32 v13, vcc_lo, s15, v13, vcc_lo
	global_store_d16_hi_b16 v[12:13], v11, off
	s_or_b32 exec_lo, exec_lo, s4
	s_and_saveexec_b32 s4, s1
	s_cbranch_execz .LBB228_49
.LBB228_96:                             ;   in Loop: Header=BB228_19 Depth=1
	s_waitcnt vmcnt(2) lgkmcnt(1)
	v_dual_add_f32 v9, v9, v10 :: v_dual_lshlrev_b32 v10, 16, v23
	s_delay_alu instid0(VALU_DEP_1) | instskip(NEXT) | instid1(VALU_DEP_1)
	v_add_f32_e32 v10, v9, v10
	v_and_b32_e32 v9, 0x7f800000, v10
	s_delay_alu instid0(VALU_DEP_1) | instskip(SKIP_1) | instid1(SALU_CYCLE_1)
	v_cmp_ne_u32_e32 vcc_lo, 0x7f800000, v9
                                        ; implicit-def: $vgpr9
	s_and_saveexec_b32 s1, vcc_lo
	s_xor_b32 s1, exec_lo, s1
; %bb.97:                               ;   in Loop: Header=BB228_19 Depth=1
	v_bfe_u32 v9, v10, 16, 1
	s_delay_alu instid0(VALU_DEP_1)
	v_add3_u32 v9, v10, v9, 0x7fff
                                        ; implicit-def: $vgpr10
; %bb.98:                               ;   in Loop: Header=BB228_19 Depth=1
	s_and_not1_saveexec_b32 s1, s1
; %bb.99:                               ;   in Loop: Header=BB228_19 Depth=1
	v_and_b32_e32 v9, 0xffff, v10
	v_or_b32_e32 v11, 0x10000, v10
	s_delay_alu instid0(VALU_DEP_2) | instskip(NEXT) | instid1(VALU_DEP_2)
	v_cmp_eq_u32_e32 vcc_lo, 0, v9
	v_cndmask_b32_e32 v9, v11, v10, vcc_lo
; %bb.100:                              ;   in Loop: Header=BB228_19 Depth=1
	s_or_b32 exec_lo, exec_lo, s1
	v_dual_mov_b32 v11, v35 :: v_dual_add_nc_u32 v10, 1, v34
	s_delay_alu instid0(VALU_DEP_1) | instskip(NEXT) | instid1(VALU_DEP_1)
	v_lshlrev_b64 v[10:11], 1, v[10:11]
	v_add_co_u32 v10, vcc_lo, s14, v10
	s_delay_alu instid0(VALU_DEP_2)
	v_add_co_ci_u32_e32 v11, vcc_lo, s15, v11, vcc_lo
	global_store_d16_hi_b16 v[10:11], v9, off
	s_or_b32 exec_lo, exec_lo, s4
	s_and_saveexec_b32 s1, s2
	s_cbranch_execz .LBB228_50
.LBB228_101:                            ;   in Loop: Header=BB228_19 Depth=1
	s_waitcnt lgkmcnt(0)
	v_add_f32_e32 v7, v7, v8
	s_waitcnt vmcnt(1)
	v_lshlrev_b32_e32 v8, 16, v20
	s_delay_alu instid0(VALU_DEP_1) | instskip(NEXT) | instid1(VALU_DEP_1)
	v_add_f32_e32 v8, v7, v8
	v_and_b32_e32 v7, 0x7f800000, v8
	s_delay_alu instid0(VALU_DEP_1) | instskip(SKIP_1) | instid1(SALU_CYCLE_1)
	v_cmp_ne_u32_e32 vcc_lo, 0x7f800000, v7
                                        ; implicit-def: $vgpr7
	s_and_saveexec_b32 s2, vcc_lo
	s_xor_b32 s2, exec_lo, s2
; %bb.102:                              ;   in Loop: Header=BB228_19 Depth=1
	v_bfe_u32 v7, v8, 16, 1
	s_delay_alu instid0(VALU_DEP_1)
	v_add3_u32 v7, v8, v7, 0x7fff
                                        ; implicit-def: $vgpr8
; %bb.103:                              ;   in Loop: Header=BB228_19 Depth=1
	s_and_not1_saveexec_b32 s2, s2
; %bb.104:                              ;   in Loop: Header=BB228_19 Depth=1
	v_and_b32_e32 v7, 0xffff, v8
	v_or_b32_e32 v9, 0x10000, v8
	s_delay_alu instid0(VALU_DEP_2) | instskip(NEXT) | instid1(VALU_DEP_2)
	v_cmp_eq_u32_e32 vcc_lo, 0, v7
	v_cndmask_b32_e32 v7, v9, v8, vcc_lo
; %bb.105:                              ;   in Loop: Header=BB228_19 Depth=1
	s_or_b32 exec_lo, exec_lo, s2
	v_dual_mov_b32 v9, v35 :: v_dual_add_nc_u32 v8, 2, v34
	s_delay_alu instid0(VALU_DEP_1) | instskip(NEXT) | instid1(VALU_DEP_1)
	v_lshlrev_b64 v[8:9], 1, v[8:9]
	v_add_co_u32 v8, vcc_lo, s14, v8
	s_delay_alu instid0(VALU_DEP_2) | instskip(SKIP_2) | instid1(SALU_CYCLE_1)
	v_add_co_ci_u32_e32 v9, vcc_lo, s15, v9, vcc_lo
	global_store_d16_hi_b16 v[8:9], v7, off
	s_or_b32 exec_lo, exec_lo, s1
	s_and_b32 exec_lo, exec_lo, s3
	s_cbranch_execz .LBB228_111
.LBB228_106:                            ;   in Loop: Header=BB228_19 Depth=1
	s_waitcnt vmcnt(0) lgkmcnt(3)
	v_dual_add_f32 v5, v5, v6 :: v_dual_lshlrev_b32 v6, 16, v17
	s_delay_alu instid0(VALU_DEP_1) | instskip(NEXT) | instid1(VALU_DEP_1)
	v_add_f32_e32 v6, v5, v6
	v_and_b32_e32 v5, 0x7f800000, v6
	s_delay_alu instid0(VALU_DEP_1) | instskip(SKIP_1) | instid1(SALU_CYCLE_1)
	v_cmp_ne_u32_e32 vcc_lo, 0x7f800000, v5
                                        ; implicit-def: $vgpr5
	s_and_saveexec_b32 s1, vcc_lo
	s_xor_b32 s1, exec_lo, s1
; %bb.107:                              ;   in Loop: Header=BB228_19 Depth=1
	v_bfe_u32 v5, v6, 16, 1
	s_delay_alu instid0(VALU_DEP_1)
	v_add3_u32 v5, v6, v5, 0x7fff
                                        ; implicit-def: $vgpr6
; %bb.108:                              ;   in Loop: Header=BB228_19 Depth=1
	s_and_not1_saveexec_b32 s1, s1
; %bb.109:                              ;   in Loop: Header=BB228_19 Depth=1
	v_and_b32_e32 v5, 0xffff, v6
	v_or_b32_e32 v7, 0x10000, v6
	s_delay_alu instid0(VALU_DEP_2) | instskip(NEXT) | instid1(VALU_DEP_2)
	v_cmp_eq_u32_e32 vcc_lo, 0, v5
	v_cndmask_b32_e32 v5, v7, v6, vcc_lo
; %bb.110:                              ;   in Loop: Header=BB228_19 Depth=1
	s_or_b32 exec_lo, exec_lo, s1
	v_add_nc_u32_e32 v34, 3, v34
	s_delay_alu instid0(VALU_DEP_1) | instskip(NEXT) | instid1(VALU_DEP_1)
	v_lshlrev_b64 v[6:7], 1, v[34:35]
	v_add_co_u32 v6, vcc_lo, s14, v6
	s_delay_alu instid0(VALU_DEP_2)
	v_add_co_ci_u32_e32 v7, vcc_lo, s15, v7, vcc_lo
	global_store_d16_hi_b16 v[6:7], v5, off
.LBB228_111:                            ;   in Loop: Header=BB228_19 Depth=1
	s_or_b32 exec_lo, exec_lo, s5
	v_add_nc_u32_e32 v33, s20, v33
	s_delay_alu instid0(VALU_DEP_1) | instskip(SKIP_1) | instid1(VALU_DEP_2)
	v_add_nc_u32_e32 v5, 4, v33
	v_cmp_gt_u32_e32 vcc_lo, s11, v33
	v_cmp_le_u32_e64 s1, s11, v5
	s_delay_alu instid0(VALU_DEP_1) | instskip(NEXT) | instid1(SALU_CYCLE_1)
	s_and_b32 s1, vcc_lo, s1
	s_and_saveexec_b32 s29, s1
	s_cbranch_execz .LBB228_18
; %bb.112:                              ;   in Loop: Header=BB228_19 Depth=1
	s_mov_b32 s30, exec_lo
	v_cmpx_ne_u32_e64 s21, v33
	s_cbranch_execz .LBB228_17
; %bb.113:                              ;   in Loop: Header=BB228_19 Depth=1
	v_subrev_nc_u32_e32 v5, s21, v33
	s_mov_b32 s31, 0
	s_mov_b64 s[4:5], 0
	s_delay_alu instid0(VALU_DEP_1)
	v_cmp_lt_u32_e32 vcc_lo, 1, v5
	v_cndmask_b32_e32 v5, 1, v5, vcc_lo
	.p2align	6
.LBB228_114:                            ;   Parent Loop BB228_19 Depth=1
                                        ; =>  This Inner Loop Header: Depth=2
	s_cmp_lg_u32 s4, 3
	s_cselect_b32 vcc_lo, -1, 0
	s_cmp_lg_u32 s4, 2
	v_cndmask_b32_e32 v4, 0, v4, vcc_lo
	s_cselect_b32 s1, -1, 0
	s_cmp_lg_u32 s4, 1
	v_cndmask_b32_e64 v3, 0, v3, s1
	s_cselect_b32 s2, -1, 0
	s_cmp_lg_u32 s4, 0
	v_cndmask_b32_e64 v2, 0, v2, s2
	s_cselect_b32 s3, -1, 0
	s_add_u32 s4, s4, 1
	v_cndmask_b32_e64 v1, 0, v1, s3
	v_cmp_eq_u32_e32 vcc_lo, s4, v5
	s_addc_u32 s5, s5, 0
	s_or_b32 s31, vcc_lo, s31
	s_delay_alu instid0(SALU_CYCLE_1)
	s_and_not1_b32 exec_lo, exec_lo, s31
	s_cbranch_execnz .LBB228_114
; %bb.115:                              ;   in Loop: Header=BB228_19 Depth=1
	s_or_b32 exec_lo, exec_lo, s31
	s_branch .LBB228_17
.LBB228_116:
	s_nop 0
	s_sendmsg sendmsg(MSG_DEALLOC_VGPRS)
	s_endpgm
	.section	.rodata,"a",@progbits
	.p2align	6, 0x0
	.amdhsa_kernel _Z12wvSplitK_hf_I14__hip_bfloat16Li32ELi4ELi16ELi8ELi1ELi3EEviiiiiiPKT_S3_S3_PS1_ii
		.amdhsa_group_segment_fixed_size 65536
		.amdhsa_private_segment_fixed_size 0
		.amdhsa_kernarg_size 64
		.amdhsa_user_sgpr_count 15
		.amdhsa_user_sgpr_dispatch_ptr 0
		.amdhsa_user_sgpr_queue_ptr 0
		.amdhsa_user_sgpr_kernarg_segment_ptr 1
		.amdhsa_user_sgpr_dispatch_id 0
		.amdhsa_user_sgpr_private_segment_size 0
		.amdhsa_wavefront_size32 1
		.amdhsa_uses_dynamic_stack 0
		.amdhsa_enable_private_segment 0
		.amdhsa_system_sgpr_workgroup_id_x 1
		.amdhsa_system_sgpr_workgroup_id_y 0
		.amdhsa_system_sgpr_workgroup_id_z 0
		.amdhsa_system_sgpr_workgroup_info 0
		.amdhsa_system_vgpr_workitem_id 1
		.amdhsa_next_free_vgpr 86
		.amdhsa_next_free_sgpr 32
		.amdhsa_reserve_vcc 1
		.amdhsa_float_round_mode_32 0
		.amdhsa_float_round_mode_16_64 0
		.amdhsa_float_denorm_mode_32 3
		.amdhsa_float_denorm_mode_16_64 3
		.amdhsa_dx10_clamp 1
		.amdhsa_ieee_mode 1
		.amdhsa_fp16_overflow 0
		.amdhsa_workgroup_processor_mode 1
		.amdhsa_memory_ordered 1
		.amdhsa_forward_progress 0
		.amdhsa_shared_vgpr_count 0
		.amdhsa_exception_fp_ieee_invalid_op 0
		.amdhsa_exception_fp_denorm_src 0
		.amdhsa_exception_fp_ieee_div_zero 0
		.amdhsa_exception_fp_ieee_overflow 0
		.amdhsa_exception_fp_ieee_underflow 0
		.amdhsa_exception_fp_ieee_inexact 0
		.amdhsa_exception_int_div_zero 0
	.end_amdhsa_kernel
	.section	.text._Z12wvSplitK_hf_I14__hip_bfloat16Li32ELi4ELi16ELi8ELi1ELi3EEviiiiiiPKT_S3_S3_PS1_ii,"axG",@progbits,_Z12wvSplitK_hf_I14__hip_bfloat16Li32ELi4ELi16ELi8ELi1ELi3EEviiiiiiPKT_S3_S3_PS1_ii,comdat
.Lfunc_end228:
	.size	_Z12wvSplitK_hf_I14__hip_bfloat16Li32ELi4ELi16ELi8ELi1ELi3EEviiiiiiPKT_S3_S3_PS1_ii, .Lfunc_end228-_Z12wvSplitK_hf_I14__hip_bfloat16Li32ELi4ELi16ELi8ELi1ELi3EEviiiiiiPKT_S3_S3_PS1_ii
                                        ; -- End function
	.section	.AMDGPU.csdata,"",@progbits
; Kernel info:
; codeLenInByte = 7224
; NumSgprs: 34
; NumVgprs: 86
; ScratchSize: 0
; MemoryBound: 0
; FloatMode: 240
; IeeeMode: 1
; LDSByteSize: 65536 bytes/workgroup (compile time only)
; SGPRBlocks: 4
; VGPRBlocks: 10
; NumSGPRsForWavesPerEU: 34
; NumVGPRsForWavesPerEU: 86
; Occupancy: 8
; WaveLimiterHint : 0
; COMPUTE_PGM_RSRC2:SCRATCH_EN: 0
; COMPUTE_PGM_RSRC2:USER_SGPR: 15
; COMPUTE_PGM_RSRC2:TRAP_HANDLER: 0
; COMPUTE_PGM_RSRC2:TGID_X_EN: 1
; COMPUTE_PGM_RSRC2:TGID_Y_EN: 0
; COMPUTE_PGM_RSRC2:TGID_Z_EN: 0
; COMPUTE_PGM_RSRC2:TIDIG_COMP_CNT: 1
	.section	.text._Z16wvSplitK_hf_big_I14__hip_bfloat16Li32ELi4ELi16ELi8ELi1ELi3EEviiiiiiPKT_S3_S3_PS1_ii,"axG",@progbits,_Z16wvSplitK_hf_big_I14__hip_bfloat16Li32ELi4ELi16ELi8ELi1ELi3EEviiiiiiPKT_S3_S3_PS1_ii,comdat
	.protected	_Z16wvSplitK_hf_big_I14__hip_bfloat16Li32ELi4ELi16ELi8ELi1ELi3EEviiiiiiPKT_S3_S3_PS1_ii ; -- Begin function _Z16wvSplitK_hf_big_I14__hip_bfloat16Li32ELi4ELi16ELi8ELi1ELi3EEviiiiiiPKT_S3_S3_PS1_ii
	.globl	_Z16wvSplitK_hf_big_I14__hip_bfloat16Li32ELi4ELi16ELi8ELi1ELi3EEviiiiiiPKT_S3_S3_PS1_ii
	.p2align	8
	.type	_Z16wvSplitK_hf_big_I14__hip_bfloat16Li32ELi4ELi16ELi8ELi1ELi3EEviiiiiiPKT_S3_S3_PS1_ii,@function
_Z16wvSplitK_hf_big_I14__hip_bfloat16Li32ELi4ELi16ELi8ELi1ELi3EEviiiiiiPKT_S3_S3_PS1_ii: ; @_Z16wvSplitK_hf_big_I14__hip_bfloat16Li32ELi4ELi16ELi8ELi1ELi3EEviiiiiiPKT_S3_S3_PS1_ii
; %bb.0:
	s_load_b64 s[20:21], s[0:1], 0x38
	v_bfe_u32 v5, v0, 10, 10
	s_mov_b32 s2, exec_lo
	s_waitcnt lgkmcnt(0)
	s_delay_alu instid0(VALU_DEP_1)
	v_cmpx_gt_u32_e64 s20, v5
	s_cbranch_execz .LBB229_110
; %bb.1:
	s_load_b128 s[16:19], s[0:1], 0x0
	s_mul_i32 s15, s15, s20
	s_mov_b32 s4, 1
	v_add_lshl_u32 v33, s15, v5, 2
	s_mov_b32 s5, s4
	s_mov_b32 s6, s4
	s_mov_b32 s7, s4
	s_delay_alu instid0(VALU_DEP_1) | instskip(SKIP_2) | instid1(VALU_DEP_2)
	v_add_nc_u32_e32 v1, 4, v33
	s_waitcnt lgkmcnt(0)
	v_cmp_gt_u32_e32 vcc_lo, s19, v33
	v_cmp_le_u32_e64 s2, s19, v1
	v_dual_mov_b32 v1, s4 :: v_dual_mov_b32 v4, s7
	v_dual_mov_b32 v2, s5 :: v_dual_mov_b32 v3, s6
	s_delay_alu instid0(VALU_DEP_3) | instskip(NEXT) | instid1(SALU_CYCLE_1)
	s_and_b32 s2, vcc_lo, s2
	s_and_saveexec_b32 s8, s2
	s_cbranch_execz .LBB229_7
; %bb.2:
	v_dual_mov_b32 v1, s4 :: v_dual_mov_b32 v2, s5
	v_dual_mov_b32 v3, s6 :: v_dual_mov_b32 v4, s7
	s_add_i32 s9, s19, -4
	s_mov_b32 s10, exec_lo
	v_cmpx_ne_u32_e64 s9, v33
	s_cbranch_execz .LBB229_6
; %bb.3:
	v_subrev_nc_u32_e32 v1, s9, v33
	s_mov_b32 s11, 0
	s_mov_b64 s[2:3], 0
	s_mov_b32 s5, s4
	s_mov_b32 s6, s4
	v_cmp_lt_u32_e32 vcc_lo, 1, v1
	s_mov_b32 s7, s4
	v_cndmask_b32_e32 v6, 1, v1, vcc_lo
	.p2align	6
.LBB229_4:                              ; =>This Inner Loop Header: Depth=1
	s_cmp_lg_u32 s2, 3
	s_cselect_b32 s7, s7, 0
	s_cmp_lg_u32 s2, 2
	s_cselect_b32 s6, s6, 0
	;; [unrolled: 2-line block ×4, first 2 shown]
	s_add_u32 s2, s2, 1
	v_dual_mov_b32 v1, s4 :: v_dual_mov_b32 v2, s5
	v_cmp_eq_u32_e32 vcc_lo, s2, v6
	v_dual_mov_b32 v3, s6 :: v_dual_mov_b32 v4, s7
	s_addc_u32 s3, s3, 0
	s_or_b32 s11, vcc_lo, s11
	s_delay_alu instid0(SALU_CYCLE_1)
	s_and_not1_b32 exec_lo, exec_lo, s11
	s_cbranch_execnz .LBB229_4
; %bb.5:
	s_or_b32 exec_lo, exec_lo, s11
	v_mov_b32_e32 v33, s9
.LBB229_6:
	s_or_b32 exec_lo, exec_lo, s10
.LBB229_7:
	s_delay_alu instid0(SALU_CYCLE_1)
	s_or_b32 exec_lo, exec_lo, s8
	s_lshl_b32 s2, s20, 2
	s_abs_i32 s6, s19
	s_abs_i32 s3, s2
	s_mov_b32 s23, 0
	v_cvt_f32_u32_e32 v6, s3
	s_sub_i32 s5, 0, s3
	s_delay_alu instid0(VALU_DEP_1) | instskip(SKIP_2) | instid1(VALU_DEP_1)
	v_rcp_iflag_f32_e32 v6, v6
	s_waitcnt_depctr 0xfff
	v_mul_f32_e32 v6, 0x4f7ffffe, v6
	v_cvt_u32_f32_e32 v6, v6
	s_delay_alu instid0(VALU_DEP_1) | instskip(NEXT) | instid1(VALU_DEP_1)
	v_readfirstlane_b32 s4, v6
	s_mul_i32 s5, s5, s4
	s_delay_alu instid0(SALU_CYCLE_1) | instskip(NEXT) | instid1(SALU_CYCLE_1)
	s_mul_hi_u32 s5, s4, s5
	s_add_i32 s4, s4, s5
	s_ashr_i32 s5, s19, 31
	s_mul_hi_u32 s4, s6, s4
	s_delay_alu instid0(SALU_CYCLE_1) | instskip(NEXT) | instid1(SALU_CYCLE_1)
	s_mul_i32 s4, s4, s3
	s_sub_i32 s4, s6, s4
	s_delay_alu instid0(SALU_CYCLE_1) | instskip(SKIP_2) | instid1(SALU_CYCLE_1)
	s_sub_i32 s6, s4, s3
	s_cmp_ge_u32 s4, s3
	s_cselect_b32 s4, s6, s4
	s_sub_i32 s6, s4, s3
	s_cmp_ge_u32 s4, s3
	s_cselect_b32 s3, s6, s4
	s_add_i32 s2, s2, s19
	s_xor_b32 s3, s3, s5
	s_delay_alu instid0(SALU_CYCLE_1) | instskip(NEXT) | instid1(SALU_CYCLE_1)
	s_sub_i32 s3, s3, s5
	s_sub_i32 s2, s2, s3
	s_cmp_eq_u32 s3, 0
	s_cselect_b32 s22, s19, s2
	s_delay_alu instid0(SALU_CYCLE_1)
	v_cmp_gt_u32_e32 vcc_lo, s22, v33
	s_and_b32 exec_lo, exec_lo, vcc_lo
	s_cbranch_execz .LBB229_110
; %bb.8:
	s_load_b256 s[8:15], s[0:1], 0x10
	s_min_u32 s24, s18, 0x2a00
	s_cmp_lg_u32 s16, 0
	s_mul_i32 s2, s21, s20
	s_cselect_b32 s25, -1, 0
	s_cmp_lg_u32 s18, 0
	v_and_b32_e32 v8, 0x3ff, v0
	s_cselect_b32 s21, -1, 0
	s_lshl_b32 s26, s20, 8
	s_add_i32 s27, s16, -8
	s_add_i32 s28, s19, -1
	s_lshl_b32 s29, s2, 2
	s_load_b64 s[6:7], s[0:1], 0x30
	v_cmp_eq_u32_e64 s0, 31, v8
	v_mbcnt_lo_u32_b32 v0, -1, 0
	v_lshlrev_b32_e32 v45, 3, v8
	v_lshlrev_b32_e32 v8, 4, v8
	s_waitcnt lgkmcnt(0)
	s_cmp_lg_u64 s[14:15], 0
	v_cvt_f32_u32_e32 v7, s8
	s_cselect_b32 s30, -1, 0
	s_abs_i32 s2, s9
	s_add_i32 s9, s19, -4
	v_cvt_f32_u32_e32 v6, s2
	v_rcp_iflag_f32_e32 v7, v7
	s_sub_i32 s3, 0, s2
	s_sub_i32 s4, 0, s8
	;; [unrolled: 1-line block ×3, first 2 shown]
	v_rcp_iflag_f32_e32 v6, v6
	v_lshl_add_u32 v46, v5, 8, v45
	v_mov_b32_e32 v36, 0
	v_lshl_add_u32 v47, v5, 9, v8
	s_delay_alu instid0(VALU_DEP_3) | instskip(SKIP_3) | instid1(VALU_DEP_1)
	v_add_nc_u32_e32 v49, s18, v46
	v_lshl_add_u32 v48, s18, 1, v46
	s_waitcnt_depctr 0xfff
	v_mul_f32_e32 v6, 0x4f7ffffe, v6
	v_cvt_u32_f32_e32 v6, v6
	s_delay_alu instid0(VALU_DEP_1) | instskip(SKIP_1) | instid1(VALU_DEP_2)
	v_readfirstlane_b32 s1, v6
	v_mul_f32_e32 v6, 0x4f7ffffe, v7
	s_mul_i32 s3, s3, s1
	s_delay_alu instid0(VALU_DEP_1) | instskip(SKIP_1) | instid1(SALU_CYCLE_1)
	v_cvt_u32_f32_e32 v6, v6
	s_mul_hi_u32 s3, s1, s3
	s_add_i32 s1, s1, s3
	s_cmp_lt_u32 s2, 2
	s_delay_alu instid0(VALU_DEP_1) | instskip(SKIP_1) | instid1(SALU_CYCLE_1)
	v_mul_lo_u32 v7, s4, v6
	s_cselect_b32 s3, s5, 1
	s_sub_i32 s4, s3, s2
	s_cmp_ge_u32 s3, s2
	s_cselect_b32 s31, s4, s3
	s_lshr_b32 s1, s1, 31
	s_delay_alu instid0(VALU_DEP_1) | instskip(SKIP_3) | instid1(SALU_CYCLE_1)
	v_mul_hi_u32 v7, v6, v7
	s_mul_i32 s1, s1, s2
	s_mul_i32 s31, s31, s8
	s_sub_i32 s1, 2, s1
	s_sub_i32 s3, s1, s2
	s_cmp_ge_u32 s1, s2
	s_cselect_b32 s1, s3, s1
	s_delay_alu instid0(VALU_DEP_1)
	v_add_nc_u32_e32 v50, v6, v7
	s_sub_i32 s3, s1, s2
	s_cmp_ge_u32 s1, s2
	s_cselect_b32 s36, s3, s1
	s_add_u32 s33, s6, 2
	s_addc_u32 s34, s7, 0
	s_lshl_b32 s35, s24, 2
	s_lshl_b32 s20, s20, 9
	s_mul_i32 s36, s36, s8
	s_lshl_b32 s37, s24, 1
	s_branch .LBB229_12
.LBB229_9:                              ;   in Loop: Header=BB229_12 Depth=1
	s_or_b32 exec_lo, exec_lo, s40
	v_mov_b32_e32 v33, s9
.LBB229_10:                             ;   in Loop: Header=BB229_12 Depth=1
	s_or_b32 exec_lo, exec_lo, s39
.LBB229_11:                             ;   in Loop: Header=BB229_12 Depth=1
	s_delay_alu instid0(SALU_CYCLE_1) | instskip(NEXT) | instid1(VALU_DEP_1)
	s_or_b32 exec_lo, exec_lo, s38
	v_cmp_le_u32_e32 vcc_lo, s22, v33
	s_or_b32 s23, vcc_lo, s23
	s_delay_alu instid0(SALU_CYCLE_1)
	s_and_not1_b32 exec_lo, exec_lo, s23
	s_cbranch_execz .LBB229_110
.LBB229_12:                             ; =>This Loop Header: Depth=1
                                        ;     Child Loop BB229_16 Depth 2
                                        ;       Child Loop BB229_21 Depth 3
                                        ;     Child Loop BB229_108 Depth 2
	s_waitcnt vmcnt(11)
	v_mov_b32_e32 v34, v36
	v_mov_b32_e32 v51, v36
	;; [unrolled: 1-line block ×12, first 2 shown]
	s_and_not1_b32 vcc_lo, exec_lo, s25
	s_mov_b32 s3, 0
	s_cbranch_vccnz .LBB229_27
; %bb.13:                               ;   in Loop: Header=BB229_12 Depth=1
	v_dual_mov_b32 v61, 0 :: v_dual_add_nc_u32 v6, 2, v33
	v_add_nc_u32_e32 v5, 1, v33
	v_add_nc_u32_e32 v7, 3, v33
	s_waitcnt lgkmcnt(2)
	v_min_u32_e32 v8, s28, v33
	v_min_u32_e32 v6, s28, v6
	v_dual_mov_b32 v10, v36 :: v_dual_mov_b32 v57, 0
	v_cmp_gt_u32_e64 s1, s19, v33
	s_delay_alu instid0(VALU_DEP_4)
	v_mul_lo_u32 v35, v8, s17
	v_mov_b32_e32 v8, v36
	v_min_u32_e32 v9, s28, v7
	v_mul_lo_u32 v7, v6, s17
	v_mov_b32_e32 v6, v36
	v_min_u32_e32 v5, s28, v5
	v_dual_mov_b32 v58, 0 :: v_dual_mov_b32 v59, 0
	v_mul_lo_u32 v9, v9, s17
	v_lshlrev_b64 v[37:38], 1, v[35:36]
	s_delay_alu instid0(VALU_DEP_4)
	v_mul_lo_u32 v5, v5, s17
	s_waitcnt vmcnt(7)
	v_lshlrev_b64 v[41:42], 1, v[7:8]
	v_dual_mov_b32 v60, 0 :: v_dual_mov_b32 v55, 0
	v_dual_mov_b32 v56, 0 :: v_dual_mov_b32 v53, 0
	v_lshlrev_b64 v[43:44], 1, v[9:10]
	v_dual_mov_b32 v54, 0 :: v_dual_mov_b32 v51, 0
	s_waitcnt vmcnt(5)
	v_lshlrev_b64 v[39:40], 1, v[5:6]
	v_mov_b32_e32 v52, 0
	v_mov_b32_e32 v34, 0
	s_mov_b32 s4, 0
	s_branch .LBB229_16
.LBB229_14:                             ;   in Loop: Header=BB229_16 Depth=2
	s_or_b32 exec_lo, exec_lo, s5
	s_waitcnt lgkmcnt(2)
	v_and_b32_e32 v63, 0xffff0000, v30
	s_waitcnt vmcnt(3)
	v_and_b32_e32 v64, 0xffff0000, v26
	v_and_b32_e32 v35, 0xffff0000, v29
	v_and_b32_e32 v69, 0xffff0000, v32
	v_and_b32_e32 v68, 0xffff0000, v27
	s_delay_alu instid0(VALU_DEP_4)
	v_dual_mul_f32 v66, v63, v64 :: v_dual_lshlrev_b32 v27, 16, v27
	v_and_b32_e32 v67, 0xffff0000, v31
	v_and_b32_e32 v62, 0xffff0000, v25
	v_lshlrev_b32_e32 v31, 16, v31
	v_and_b32_e32 v70, 0xffff0000, v28
	v_lshlrev_b32_e32 v30, 16, v30
	s_waitcnt vmcnt(2)
	v_and_b32_e32 v73, 0xffff0000, v22
	v_dual_mul_f32 v65, v35, v62 :: v_dual_lshlrev_b32 v32, 16, v32
	v_mul_f32_e32 v71, v69, v70
	v_lshlrev_b32_e32 v22, 16, v22
	v_lshlrev_b32_e32 v28, 16, v28
	;; [unrolled: 1-line block ×3, first 2 shown]
	s_waitcnt vmcnt(1)
	v_and_b32_e32 v77, 0xffff0000, v19
	s_waitcnt lgkmcnt(1)
	v_dual_fmac_f32 v71, v32, v28 :: v_dual_and_b32 v82, 0xffff0000, v11
	v_dual_fmac_f32 v66, v30, v26 :: v_dual_lshlrev_b32 v29, 16, v29
	v_lshlrev_b32_e32 v25, 16, v25
	s_delay_alu instid0(VALU_DEP_1) | instskip(NEXT) | instid1(VALU_DEP_1)
	v_fmac_f32_e32 v65, v29, v25
	v_add_f32_e32 v58, v58, v65
	s_delay_alu instid0(VALU_DEP_1) | instskip(SKIP_1) | instid1(VALU_DEP_1)
	v_add_f32_e32 v58, v58, v66
	v_and_b32_e32 v66, 0xffff0000, v21
	v_dual_mul_f32 v72, v35, v66 :: v_dual_lshlrev_b32 v21, 16, v21
	v_mul_f32_e32 v65, v67, v68
	v_and_b32_e32 v75, 0xffff0000, v18
	v_lshlrev_b32_e32 v18, 16, v18
	s_delay_alu instid0(VALU_DEP_3) | instskip(NEXT) | instid1(VALU_DEP_1)
	v_dual_fmac_f32 v72, v29, v21 :: v_dual_fmac_f32 v65, v31, v27
	v_dual_add_f32 v61, v61, v72 :: v_dual_add_f32 v58, v58, v65
	v_and_b32_e32 v72, 0xffff0000, v23
	v_lshlrev_b32_e32 v23, 16, v23
	s_delay_alu instid0(VALU_DEP_3) | instskip(NEXT) | instid1(VALU_DEP_3)
	v_add_f32_e32 v58, v58, v71
	v_dual_mul_f32 v76, v67, v72 :: v_dual_and_b32 v71, 0xffff0000, v17
	v_mul_f32_e32 v65, v63, v73
	s_delay_alu instid0(VALU_DEP_2) | instskip(NEXT) | instid1(VALU_DEP_2)
	v_dual_fmac_f32 v76, v31, v23 :: v_dual_lshlrev_b32 v17, 16, v17
	v_dual_mul_f32 v74, v35, v71 :: v_dual_fmac_f32 v65, v30, v22
	s_delay_alu instid0(VALU_DEP_1) | instskip(NEXT) | instid1(VALU_DEP_1)
	v_fmac_f32_e32 v74, v29, v17
	v_dual_add_f32 v61, v61, v65 :: v_dual_add_f32 v60, v60, v74
	v_mul_f32_e32 v74, v67, v77
	v_mul_f32_e32 v65, v63, v75
	s_delay_alu instid0(VALU_DEP_3) | instskip(NEXT) | instid1(VALU_DEP_2)
	v_add_f32_e32 v61, v61, v76
	v_fmac_f32_e32 v65, v30, v18
	s_delay_alu instid0(VALU_DEP_1) | instskip(SKIP_1) | instid1(VALU_DEP_1)
	v_dual_add_f32 v60, v60, v65 :: v_dual_lshlrev_b32 v19, 16, v19
	s_waitcnt vmcnt(0)
	v_dual_fmac_f32 v74, v31, v19 :: v_dual_and_b32 v65, 0xffff0000, v13
	s_delay_alu instid0(VALU_DEP_1) | instskip(SKIP_1) | instid1(VALU_DEP_3)
	v_dual_mul_f32 v35, v35, v65 :: v_dual_and_b32 v78, 0xffff0000, v24
	v_lshlrev_b32_e32 v24, 16, v24
	v_add_f32_e32 v60, v60, v74
	s_delay_alu instid0(VALU_DEP_3)
	v_mul_f32_e32 v79, v69, v78
	v_and_b32_e32 v74, 0xffff0000, v14
	v_lshlrev_b32_e32 v14, 16, v14
	v_and_b32_e32 v80, 0xffff0000, v15
	v_lshlrev_b32_e32 v13, 16, v13
	v_fmac_f32_e32 v79, v32, v24
	v_and_b32_e32 v76, 0xffff0000, v20
	v_lshlrev_b32_e32 v20, 16, v20
	v_lshlrev_b32_e32 v15, 16, v15
	v_fmac_f32_e32 v35, v29, v13
	v_mul_f32_e32 v29, v63, v74
	v_add_f32_e32 v61, v61, v79
	s_delay_alu instid0(VALU_DEP_3) | instskip(NEXT) | instid1(VALU_DEP_3)
	v_add_f32_e32 v35, v57, v35
	v_dual_fmac_f32 v29, v30, v14 :: v_dual_mul_f32 v30, v67, v80
	v_mul_f32_e32 v63, v69, v76
	v_lshlrev_b32_e32 v11, 16, v11
	s_delay_alu instid0(VALU_DEP_3) | instskip(SKIP_4) | instid1(VALU_DEP_4)
	v_add_f32_e32 v29, v35, v29
	v_and_b32_e32 v35, 0xffff0000, v10
	v_lshlrev_b32_e32 v10, 16, v10
	v_dual_fmac_f32 v30, v31, v15 :: v_dual_fmac_f32 v63, v32, v20
	v_and_b32_e32 v31, 0xffff0000, v16
	v_mul_f32_e32 v67, v35, v64
	s_delay_alu instid0(VALU_DEP_3) | instskip(NEXT) | instid1(VALU_DEP_2)
	v_dual_add_f32 v29, v29, v30 :: v_dual_lshlrev_b32 v16, 16, v16
	v_dual_add_f32 v60, v60, v63 :: v_dual_fmac_f32 v67, v10, v26
	v_and_b32_e32 v81, 0xffff0000, v9
	v_lshlrev_b32_e32 v9, 16, v9
	s_delay_alu instid0(VALU_DEP_2) | instskip(NEXT) | instid1(VALU_DEP_1)
	v_mul_f32_e32 v57, v81, v62
	v_fmac_f32_e32 v57, v9, v25
	s_delay_alu instid0(VALU_DEP_1) | instskip(NEXT) | instid1(VALU_DEP_1)
	v_add_f32_e32 v57, v59, v57
	v_dual_mul_f32 v59, v82, v68 :: v_dual_add_f32 v30, v57, v67
	s_delay_alu instid0(VALU_DEP_1) | instskip(NEXT) | instid1(VALU_DEP_1)
	v_fmac_f32_e32 v59, v11, v27
	v_dual_mul_f32 v79, v81, v65 :: v_dual_add_f32 v30, v30, v59
	v_mul_f32_e32 v59, v81, v71
	v_mul_f32_e32 v63, v35, v73
	s_delay_alu instid0(VALU_DEP_3) | instskip(NEXT) | instid1(VALU_DEP_3)
	v_fmac_f32_e32 v79, v9, v13
	v_fmac_f32_e32 v59, v9, v17
	s_delay_alu instid0(VALU_DEP_1) | instskip(SKIP_1) | instid1(VALU_DEP_1)
	v_dual_fmac_f32 v63, v10, v22 :: v_dual_add_f32 v56, v56, v59
	v_mul_f32_e32 v69, v69, v31
	v_fmac_f32_e32 v69, v32, v16
	v_and_b32_e32 v32, 0xffff0000, v12
	s_delay_alu instid0(VALU_DEP_2) | instskip(SKIP_2) | instid1(VALU_DEP_2)
	v_dual_add_f32 v57, v29, v69 :: v_dual_lshlrev_b32 v12, 16, v12
	v_mul_f32_e32 v29, v81, v66
	v_mul_f32_e32 v69, v35, v75
	v_fmac_f32_e32 v29, v9, v21
	v_mul_f32_e32 v9, v35, v74
	s_delay_alu instid0(VALU_DEP_3)
	v_fmac_f32_e32 v69, v10, v18
	s_waitcnt lgkmcnt(0)
	v_dual_add_f32 v35, v54, v79 :: v_dual_and_b32 v54, 0xffff0000, v6
	v_add_f32_e32 v29, v55, v29
	v_fmac_f32_e32 v9, v10, v14
	v_mul_f32_e32 v10, v82, v80
	v_dual_add_f32 v56, v56, v69 :: v_dual_mul_f32 v55, v82, v72
	s_delay_alu instid0(VALU_DEP_3) | instskip(NEXT) | instid1(VALU_DEP_3)
	v_dual_add_f32 v9, v35, v9 :: v_dual_lshlrev_b32 v6, 16, v6
	v_fmac_f32_e32 v10, v11, v15
	s_delay_alu instid0(VALU_DEP_1) | instskip(SKIP_4) | instid1(VALU_DEP_3)
	v_dual_add_f32 v9, v9, v10 :: v_dual_and_b32 v10, 0xffff0000, v7
	v_lshlrev_b32_e32 v7, 16, v7
	v_mul_f32_e32 v59, v82, v77
	v_fmac_f32_e32 v55, v11, v23
	v_add_f32_e32 v29, v29, v63
	v_fmac_f32_e32 v59, v11, v19
	v_mul_f32_e32 v11, v32, v31
	s_delay_alu instid0(VALU_DEP_3) | instskip(NEXT) | instid1(VALU_DEP_3)
	v_add_f32_e32 v29, v29, v55
	v_add_f32_e32 v56, v56, v59
	s_delay_alu instid0(VALU_DEP_3) | instskip(SKIP_1) | instid1(VALU_DEP_1)
	v_fmac_f32_e32 v11, v12, v16
	v_mul_f32_e32 v63, v32, v78
	v_fmac_f32_e32 v63, v12, v24
	s_delay_alu instid0(VALU_DEP_1) | instskip(SKIP_3) | instid1(VALU_DEP_1)
	v_add_f32_e32 v55, v29, v63
	v_and_b32_e32 v29, 0xffff0000, v5
	v_lshlrev_b32_e32 v5, 16, v5
	v_mul_f32_e32 v67, v32, v70
	v_fmac_f32_e32 v67, v12, v28
	s_delay_alu instid0(VALU_DEP_1) | instskip(NEXT) | instid1(VALU_DEP_1)
	v_dual_add_f32 v59, v30, v67 :: v_dual_mul_f32 v30, v29, v62
	v_dual_fmac_f32 v30, v5, v25 :: v_dual_mul_f32 v25, v54, v64
	s_delay_alu instid0(VALU_DEP_1) | instskip(NEXT) | instid1(VALU_DEP_2)
	v_add_f32_e32 v30, v53, v30
	v_fmac_f32_e32 v25, v6, v26
	v_mul_f32_e32 v26, v29, v66
	s_delay_alu instid0(VALU_DEP_1) | instskip(NEXT) | instid1(VALU_DEP_1)
	v_fmac_f32_e32 v26, v5, v21
	v_dual_mul_f32 v21, v54, v73 :: v_dual_add_f32 v26, v52, v26
	s_delay_alu instid0(VALU_DEP_1) | instskip(SKIP_1) | instid1(VALU_DEP_1)
	v_fmac_f32_e32 v21, v6, v22
	v_mul_f32_e32 v22, v10, v72
	v_dual_add_f32 v21, v26, v21 :: v_dual_fmac_f32 v22, v7, v23
	v_mul_f32_e32 v23, v29, v71
	s_delay_alu instid0(VALU_DEP_2) | instskip(SKIP_1) | instid1(VALU_DEP_3)
	v_add_f32_e32 v21, v21, v22
	v_mul_f32_e32 v69, v32, v76
	v_fmac_f32_e32 v23, v5, v17
	v_mul_f32_e32 v17, v54, v75
	s_delay_alu instid0(VALU_DEP_3) | instskip(SKIP_1) | instid1(VALU_DEP_3)
	v_dual_fmac_f32 v69, v12, v20 :: v_dual_add_f32 v12, v30, v25
	v_mul_f32_e32 v25, v10, v68
	v_dual_fmac_f32 v17, v6, v18 :: v_dual_and_b32 v30, 0xffff0000, v8
	v_mul_f32_e32 v18, v10, v77
	s_delay_alu instid0(VALU_DEP_3) | instskip(NEXT) | instid1(VALU_DEP_3)
	v_dual_fmac_f32 v25, v7, v27 :: v_dual_lshlrev_b32 v8, 16, v8
	v_mul_f32_e32 v27, v30, v70
	v_mul_f32_e32 v22, v30, v78
	s_delay_alu instid0(VALU_DEP_4) | instskip(SKIP_4) | instid1(VALU_DEP_2)
	v_fmac_f32_e32 v18, v7, v19
	v_add_f32_e32 v56, v56, v69
	v_add_f32_e32 v12, v12, v25
	v_mul_f32_e32 v25, v29, v65
	v_fmac_f32_e32 v27, v8, v28
	v_dual_fmac_f32 v22, v8, v24 :: v_dual_fmac_f32 v25, v5, v13
	v_mul_f32_e32 v5, v54, v74
	s_delay_alu instid0(VALU_DEP_2) | instskip(NEXT) | instid1(VALU_DEP_3)
	v_dual_add_f32 v52, v21, v22 :: v_dual_add_f32 v13, v51, v23
	v_dual_add_f32 v54, v9, v11 :: v_dual_add_f32 v23, v34, v25
	s_delay_alu instid0(VALU_DEP_3) | instskip(SKIP_1) | instid1(VALU_DEP_4)
	v_fmac_f32_e32 v5, v6, v14
	v_mul_f32_e32 v6, v10, v80
	v_dual_add_f32 v10, v13, v17 :: v_dual_mul_f32 v13, v30, v76
	v_add_f32_e32 v53, v12, v27
	s_delay_alu instid0(VALU_DEP_4) | instskip(NEXT) | instid1(VALU_DEP_4)
	v_add_f32_e32 v5, v23, v5
	v_fmac_f32_e32 v6, v7, v15
	v_mul_f32_e32 v7, v30, v31
	v_dual_add_f32 v10, v10, v18 :: v_dual_fmac_f32 v13, v8, v20
	s_delay_alu instid0(VALU_DEP_3) | instskip(NEXT) | instid1(VALU_DEP_3)
	v_add_f32_e32 v5, v5, v6
	v_fmac_f32_e32 v7, v8, v16
	s_delay_alu instid0(VALU_DEP_1)
	v_dual_add_f32 v51, v10, v13 :: v_dual_add_f32 v34, v5, v7
.LBB229_15:                             ;   in Loop: Header=BB229_16 Depth=2
	s_or_b32 exec_lo, exec_lo, s2
	s_addk_i32 s4, 0x100
	s_delay_alu instid0(SALU_CYCLE_1)
	s_cmp_ge_u32 s4, s16
	s_cbranch_scc1 .LBB229_27
.LBB229_16:                             ;   Parent Loop BB229_12 Depth=1
                                        ; =>  This Loop Header: Depth=2
                                        ;       Child Loop BB229_21 Depth 3
	s_cmp_eq_u32 s4, 0
	s_cselect_b32 s5, -1, 0
	s_add_i32 s2, s3, s24
	s_delay_alu instid0(SALU_CYCLE_1) | instskip(SKIP_1) | instid1(SALU_CYCLE_1)
	s_cmp_eq_u32 s4, s2
	s_cselect_b32 s38, -1, 0
	s_or_b32 s38, s5, s38
	s_delay_alu instid0(SALU_CYCLE_1)
	s_and_not1_b32 vcc_lo, exec_lo, s38
	s_cbranch_vccz .LBB229_18
; %bb.17:                               ;   in Loop: Header=BB229_16 Depth=2
	s_and_saveexec_b32 s2, s1
	s_cbranch_execz .LBB229_15
	s_branch .LBB229_25
.LBB229_18:                             ;   in Loop: Header=BB229_16 Depth=2
	s_and_b32 s5, s5, exec_lo
	s_cselect_b32 s3, s3, s2
	s_and_not1_b32 vcc_lo, exec_lo, s21
	s_waitcnt vmcnt(0) lgkmcnt(0)
	s_waitcnt_vscnt null, 0x0
	s_barrier
	buffer_gl0_inv
	s_cbranch_vccnz .LBB229_24
; %bb.19:                               ;   in Loop: Header=BB229_16 Depth=2
	v_dual_mov_b32 v8, v47 :: v_dual_add_nc_u32 v5, s3, v48
	v_add_nc_u32_e32 v6, s3, v49
	v_add_nc_u32_e32 v7, s3, v46
	s_mov_b32 s5, 0
	s_mov_b32 s38, 0
                                        ; implicit-def: $sgpr39
	s_branch .LBB229_21
.LBB229_20:                             ;   in Loop: Header=BB229_21 Depth=3
	s_or_b32 exec_lo, exec_lo, s2
	s_delay_alu instid0(SALU_CYCLE_1) | instskip(NEXT) | instid1(SALU_CYCLE_1)
	s_and_b32 s2, exec_lo, s39
	s_or_b32 s5, s2, s5
	s_delay_alu instid0(SALU_CYCLE_1)
	s_and_not1_b32 exec_lo, exec_lo, s5
	s_cbranch_execz .LBB229_23
.LBB229_21:                             ;   Parent Loop BB229_12 Depth=1
                                        ;     Parent Loop BB229_16 Depth=2
                                        ; =>    This Inner Loop Header: Depth=3
	s_delay_alu instid0(VALU_DEP_1) | instskip(SKIP_2) | instid1(VALU_DEP_2)
	v_add_nc_u32_e32 v35, s38, v7
	v_add_nc_u32_e32 v9, s38, v46
	s_or_b32 s39, s39, exec_lo
	v_cmp_gt_u32_e32 vcc_lo, s18, v35
	s_delay_alu instid0(VALU_DEP_2) | instskip(NEXT) | instid1(VALU_DEP_1)
	v_cmp_gt_u32_e64 s2, s24, v9
	s_and_b32 s40, s2, vcc_lo
	s_delay_alu instid0(SALU_CYCLE_1)
	s_and_saveexec_b32 s2, s40
	s_cbranch_execz .LBB229_20
; %bb.22:                               ;   in Loop: Header=BB229_21 Depth=3
	v_lshlrev_b64 v[9:10], 1, v[35:36]
	v_add_nc_u32_e32 v35, s38, v6
	v_add_nc_u32_e32 v21, s37, v8
	;; [unrolled: 1-line block ×3, first 2 shown]
	s_delay_alu instid0(VALU_DEP_3) | instskip(SKIP_3) | instid1(VALU_DEP_3)
	v_lshlrev_b64 v[11:12], 1, v[35:36]
	v_add_nc_u32_e32 v35, s38, v5
	v_add_co_u32 v9, vcc_lo, s12, v9
	v_add_co_ci_u32_e32 v10, vcc_lo, s13, v10, vcc_lo
	v_lshlrev_b64 v[13:14], 1, v[35:36]
	v_add_co_u32 v15, vcc_lo, s12, v11
	v_add_co_ci_u32_e32 v16, vcc_lo, s13, v12, vcc_lo
	s_add_i32 s38, s38, s26
	s_delay_alu instid0(VALU_DEP_3) | instskip(NEXT) | instid1(VALU_DEP_4)
	v_add_co_u32 v17, vcc_lo, s12, v13
	v_add_co_ci_u32_e32 v18, vcc_lo, s13, v14, vcc_lo
	s_clause 0x2
	global_load_b128 v[9:12], v[9:10], off
	global_load_b128 v[13:16], v[15:16], off
	;; [unrolled: 1-line block ×3, first 2 shown]
	s_cmp_ge_u32 s38, s24
	s_cselect_b32 s40, -1, 0
	s_and_not1_b32 s39, s39, exec_lo
	s_and_b32 s40, s40, exec_lo
	s_delay_alu instid0(SALU_CYCLE_1)
	s_or_b32 s39, s39, s40
	s_waitcnt vmcnt(2)
	ds_store_b128 v8, v[9:12]
	v_add_nc_u32_e32 v8, s20, v8
	s_waitcnt vmcnt(1)
	ds_store_2addr_b64 v21, v[13:14], v[15:16] offset1:1
	s_waitcnt vmcnt(0)
	ds_store_2addr_b32 v22, v17, v18 offset1:1
	ds_store_2addr_b32 v22, v19, v20 offset0:2 offset1:3
	s_branch .LBB229_20
.LBB229_23:                             ;   in Loop: Header=BB229_16 Depth=2
	s_or_b32 exec_lo, exec_lo, s5
.LBB229_24:                             ;   in Loop: Header=BB229_16 Depth=2
	s_waitcnt lgkmcnt(0)
	s_barrier
	buffer_gl0_inv
	s_and_saveexec_b32 s2, s1
	s_cbranch_execz .LBB229_15
.LBB229_25:                             ;   in Loop: Header=BB229_16 Depth=2
	v_add_nc_u32_e32 v62, s4, v45
	s_waitcnt vmcnt(4)
	v_dual_mov_b32 v32, 0 :: v_dual_mov_b32 v29, 0
	v_mov_b32_e32 v30, 0
	s_mov_b32 s5, exec_lo
	v_min_u32_e32 v35, s27, v62
	v_mov_b32_e32 v31, 0
	s_delay_alu instid0(VALU_DEP_2) | instskip(NEXT) | instid1(VALU_DEP_1)
	v_lshlrev_b64 v[5:6], 1, v[35:36]
	v_add_co_u32 v11, vcc_lo, s10, v5
	s_waitcnt lgkmcnt(0)
	s_delay_alu instid0(VALU_DEP_2) | instskip(NEXT) | instid1(VALU_DEP_2)
	v_add_co_ci_u32_e32 v12, vcc_lo, s11, v6, vcc_lo
	v_add_co_u32 v5, vcc_lo, v11, v37
	s_delay_alu instid0(VALU_DEP_2)
	v_add_co_ci_u32_e32 v6, vcc_lo, v12, v38, vcc_lo
	v_add_co_u32 v7, vcc_lo, v11, v39
	v_add_co_ci_u32_e32 v8, vcc_lo, v12, v40, vcc_lo
	v_add_co_u32 v9, vcc_lo, v11, v41
	;; [unrolled: 2-line block ×3, first 2 shown]
	v_add_co_ci_u32_e32 v12, vcc_lo, v12, v44, vcc_lo
	s_clause 0x3
	global_load_b128 v[25:28], v[5:6], off slc dlc
	global_load_b128 v[21:24], v[7:8], off slc dlc
	;; [unrolled: 1-line block ×4, first 2 shown]
	v_dual_mov_b32 v8, 0 :: v_dual_mov_b32 v5, 0
	v_dual_mov_b32 v7, 0 :: v_dual_mov_b32 v6, 0
	;; [unrolled: 1-line block ×4, first 2 shown]
	v_cmpx_gt_u32_e64 s16, v62
	s_cbranch_execz .LBB229_14
; %bb.26:                               ;   in Loop: Header=BB229_16 Depth=2
	v_subrev_nc_u32_e32 v5, s3, v62
	s_delay_alu instid0(VALU_DEP_1) | instskip(NEXT) | instid1(VALU_DEP_1)
	v_lshlrev_b32_e32 v5, 1, v5
	v_add_nc_u32_e32 v6, s37, v5
	s_delay_alu instid0(VALU_DEP_1)
	v_add_nc_u32_e32 v7, s37, v6
	ds_load_b128 v[29:32], v5
	ds_load_b128 v[9:12], v6
	ds_load_b128 v[5:8], v7
	s_branch .LBB229_14
.LBB229_27:                             ;   in Loop: Header=BB229_12 Depth=1
	s_mov_b32 s1, exec_lo
	v_cmpx_le_u32_e64 s19, v33
	s_xor_b32 s1, exec_lo, s1
; %bb.28:                               ;   in Loop: Header=BB229_12 Depth=1
	v_add_nc_u32_e32 v33, s29, v33
                                        ; implicit-def: $vgpr34
                                        ; implicit-def: $vgpr51
                                        ; implicit-def: $vgpr52
                                        ; implicit-def: $vgpr53
                                        ; implicit-def: $vgpr54
                                        ; implicit-def: $vgpr56
                                        ; implicit-def: $vgpr55
                                        ; implicit-def: $vgpr59
                                        ; implicit-def: $vgpr57
                                        ; implicit-def: $vgpr60
                                        ; implicit-def: $vgpr61
                                        ; implicit-def: $vgpr58
; %bb.29:                               ;   in Loop: Header=BB229_12 Depth=1
	s_and_not1_saveexec_b32 s38, s1
	s_cbranch_execz .LBB229_11
; %bb.30:                               ;   in Loop: Header=BB229_12 Depth=1
	v_cvt_i32_f32_e32 v5, v58
	v_cvt_i32_f32_e32 v6, v61
	v_xor_b32_e32 v7, 16, v0
	s_waitcnt lgkmcnt(2)
	v_cvt_i32_f32_e32 v8, v60
	v_cvt_i32_f32_e32 v9, v57
	v_cvt_f32_i32_dpp v5, v5 row_shr:8 row_mask:0xf bank_mask:0xf bound_ctrl:1
	v_cvt_f32_i32_dpp v6, v6 row_shr:8 row_mask:0xf bank_mask:0xf bound_ctrl:1
	v_cmp_gt_i32_e32 vcc_lo, 32, v7
	s_waitcnt lgkmcnt(0)
	v_cvt_i32_f32_e32 v12, v56
	v_cvt_f32_i32_dpp v8, v8 row_shr:8 row_mask:0xf bank_mask:0xf bound_ctrl:1
	v_dual_add_f32 v5, v58, v5 :: v_dual_add_f32 v6, v61, v6
	v_cvt_f32_i32_dpp v9, v9 row_shr:8 row_mask:0xf bank_mask:0xf bound_ctrl:1
	s_delay_alu instid0(VALU_DEP_4) | instskip(SKIP_1) | instid1(VALU_DEP_4)
	v_cvt_f32_i32_dpp v12, v12 row_shr:8 row_mask:0xf bank_mask:0xf bound_ctrl:1
	v_cvt_i32_f32_e32 v10, v59
	v_cvt_i32_f32_e32 v13, v5
	;; [unrolled: 1-line block ×4, first 2 shown]
	v_add_f32_e32 v12, v56, v12
	v_cvt_f32_i32_dpp v10, v10 row_shr:8 row_mask:0xf bank_mask:0xf bound_ctrl:1
	v_cvt_f32_i32_dpp v13, v13 row_shr:4 row_mask:0xf bank_mask:0xf bound_ctrl:1
	v_cvt_f32_i32_dpp v14, v14 row_shr:4 row_mask:0xf bank_mask:0xf bound_ctrl:1
	v_cndmask_b32_e32 v7, v0, v7, vcc_lo
	v_cvt_f32_i32_dpp v11, v11 row_shr:8 row_mask:0xf bank_mask:0xf bound_ctrl:1
	s_delay_alu instid0(VALU_DEP_3) | instskip(SKIP_1) | instid1(VALU_DEP_3)
	v_dual_add_f32 v5, v5, v13 :: v_dual_add_f32 v6, v6, v14
	s_waitcnt vmcnt(0)
	v_lshlrev_b32_e32 v21, 2, v7
	s_delay_alu instid0(VALU_DEP_2) | instskip(NEXT) | instid1(VALU_DEP_1)
	v_cvt_i32_f32_e32 v13, v6
	v_cvt_f32_i32_dpp v13, v13 row_shr:2 row_mask:0xf bank_mask:0xf bound_ctrl:1
	v_dual_add_f32 v7, v60, v8 :: v_dual_add_f32 v8, v57, v9
	s_delay_alu instid0(VALU_DEP_2) | instskip(NEXT) | instid1(VALU_DEP_2)
	v_add_f32_e32 v6, v6, v13
	v_cvt_i32_f32_e32 v14, v7
	s_delay_alu instid0(VALU_DEP_3) | instskip(NEXT) | instid1(VALU_DEP_3)
	v_cvt_i32_f32_e32 v15, v8
	v_cvt_i32_f32_e32 v18, v6
	s_delay_alu instid0(VALU_DEP_3) | instskip(NEXT) | instid1(VALU_DEP_3)
	v_cvt_f32_i32_dpp v13, v14 row_shr:4 row_mask:0xf bank_mask:0xf bound_ctrl:1
	v_cvt_f32_i32_dpp v14, v15 row_shr:4 row_mask:0xf bank_mask:0xf bound_ctrl:1
	v_add_f32_e32 v11, v55, v11
	s_delay_alu instid0(VALU_DEP_4) | instskip(NEXT) | instid1(VALU_DEP_3)
	v_cvt_f32_i32_dpp v18, v18 row_shr:1 row_mask:0xf bank_mask:0xf bound_ctrl:1
	v_dual_add_f32 v7, v7, v13 :: v_dual_add_f32 v8, v8, v14
	v_add_f32_e32 v9, v59, v10
	v_cvt_i32_f32_e32 v10, v5
	v_cvt_i32_f32_e32 v17, v11
	v_add_f32_e32 v30, v6, v18
	s_delay_alu instid0(VALU_DEP_3) | instskip(NEXT) | instid1(VALU_DEP_3)
	v_cvt_f32_i32_dpp v10, v10 row_shr:2 row_mask:0xf bank_mask:0xf bound_ctrl:1
	v_cvt_f32_i32_dpp v17, v17 row_shr:4 row_mask:0xf bank_mask:0xf bound_ctrl:1
	ds_bpermute_b32 v31, v21, v30
	v_add_f32_e32 v5, v5, v10
	v_cvt_i32_f32_e32 v10, v12
	s_delay_alu instid0(VALU_DEP_2) | instskip(NEXT) | instid1(VALU_DEP_2)
	v_cvt_i32_f32_e32 v15, v5
	v_cvt_f32_i32_dpp v10, v10 row_shr:4 row_mask:0xf bank_mask:0xf bound_ctrl:1
	s_delay_alu instid0(VALU_DEP_2) | instskip(NEXT) | instid1(VALU_DEP_2)
	v_cvt_f32_i32_dpp v15, v15 row_shr:1 row_mask:0xf bank_mask:0xf bound_ctrl:1
	v_add_f32_e32 v6, v12, v10
	v_cvt_i32_f32_e32 v10, v7
	s_delay_alu instid0(VALU_DEP_3) | instskip(SKIP_4) | instid1(VALU_DEP_3)
	v_add_f32_e32 v37, v5, v15
	v_add_f32_e32 v5, v11, v17
	v_cvt_i32_f32_e32 v11, v8
	v_cvt_i32_f32_e32 v14, v6
	v_cvt_f32_i32_dpp v10, v10 row_shr:2 row_mask:0xf bank_mask:0xf bound_ctrl:1
	v_cvt_f32_i32_dpp v11, v11 row_shr:2 row_mask:0xf bank_mask:0xf bound_ctrl:1
	s_delay_alu instid0(VALU_DEP_3) | instskip(NEXT) | instid1(VALU_DEP_2)
	v_cvt_f32_i32_dpp v14, v14 row_shr:2 row_mask:0xf bank_mask:0xf bound_ctrl:1
	v_dual_add_f32 v7, v7, v10 :: v_dual_add_f32 v8, v8, v11
	v_cvt_i32_f32_e32 v16, v9
	s_delay_alu instid0(VALU_DEP_3) | instskip(NEXT) | instid1(VALU_DEP_3)
	v_add_f32_e32 v10, v6, v14
	v_cvt_i32_f32_e32 v6, v7
	ds_bpermute_b32 v38, v21, v37
	v_cvt_i32_f32_e32 v11, v8
	v_cvt_f32_i32_dpp v16, v16 row_shr:4 row_mask:0xf bank_mask:0xf bound_ctrl:1
	v_cvt_i32_f32_e32 v14, v10
	v_cvt_f32_i32_dpp v6, v6 row_shr:1 row_mask:0xf bank_mask:0xf bound_ctrl:1
	s_delay_alu instid0(VALU_DEP_4) | instskip(NEXT) | instid1(VALU_DEP_4)
	v_cvt_f32_i32_dpp v11, v11 row_shr:1 row_mask:0xf bank_mask:0xf bound_ctrl:1
	v_add_f32_e32 v9, v9, v16
	s_delay_alu instid0(VALU_DEP_4) | instskip(NEXT) | instid1(VALU_DEP_4)
	v_cvt_f32_i32_dpp v14, v14 row_shr:1 row_mask:0xf bank_mask:0xf bound_ctrl:1
	v_add_f32_e32 v27, v7, v6
	v_cvt_i32_f32_e32 v7, v53
	v_add_f32_e32 v6, v8, v11
	v_cvt_i32_f32_e32 v12, v9
	v_cvt_i32_f32_e32 v8, v52
	v_add_f32_e32 v15, v10, v14
	v_cvt_i32_f32_e32 v10, v34
	v_cvt_f32_i32_dpp v7, v7 row_shr:8 row_mask:0xf bank_mask:0xf bound_ctrl:1
	v_cvt_f32_i32_dpp v12, v12 row_shr:2 row_mask:0xf bank_mask:0xf bound_ctrl:1
	;; [unrolled: 1-line block ×3, first 2 shown]
	ds_bpermute_b32 v26, v21, v6
	v_cvt_f32_i32_dpp v10, v10 row_shr:8 row_mask:0xf bank_mask:0xf bound_ctrl:1
	v_add_f32_e32 v9, v9, v12
	v_add_f32_e32 v8, v52, v8
	s_delay_alu instid0(VALU_DEP_3) | instskip(NEXT) | instid1(VALU_DEP_3)
	v_add_f32_e32 v10, v34, v10
	v_cvt_i32_f32_e32 v12, v9
	s_delay_alu instid0(VALU_DEP_2) | instskip(NEXT) | instid1(VALU_DEP_2)
	v_cvt_i32_f32_e32 v17, v10
	v_cvt_f32_i32_dpp v12, v12 row_shr:1 row_mask:0xf bank_mask:0xf bound_ctrl:1
	s_delay_alu instid0(VALU_DEP_2) | instskip(SKIP_1) | instid1(VALU_DEP_3)
	v_cvt_f32_i32_dpp v17, v17 row_shr:4 row_mask:0xf bank_mask:0xf bound_ctrl:1
	v_add_f32_e32 v7, v53, v7
	v_add_f32_e32 v22, v9, v12
	v_cvt_i32_f32_e32 v13, v5
	v_cvt_i32_f32_e32 v9, v51
	v_add_f32_e32 v10, v10, v17
	v_cvt_i32_f32_e32 v12, v7
	ds_bpermute_b32 v24, v21, v22
	v_cvt_f32_i32_dpp v13, v13 row_shr:2 row_mask:0xf bank_mask:0xf bound_ctrl:1
	v_cvt_f32_i32_dpp v9, v9 row_shr:8 row_mask:0xf bank_mask:0xf bound_ctrl:1
	v_cvt_i32_f32_e32 v17, v10
	v_cvt_f32_i32_dpp v12, v12 row_shr:4 row_mask:0xf bank_mask:0xf bound_ctrl:1
	s_delay_alu instid0(VALU_DEP_4) | instskip(NEXT) | instid1(VALU_DEP_4)
	v_add_f32_e32 v5, v5, v13
	v_add_f32_e32 v9, v51, v9
	s_delay_alu instid0(VALU_DEP_4) | instskip(NEXT) | instid1(VALU_DEP_4)
	v_cvt_f32_i32_dpp v17, v17 row_shr:2 row_mask:0xf bank_mask:0xf bound_ctrl:1
	v_add_f32_e32 v7, v7, v12
	s_delay_alu instid0(VALU_DEP_4) | instskip(NEXT) | instid1(VALU_DEP_4)
	v_cvt_i32_f32_e32 v13, v5
	v_cvt_i32_f32_e32 v14, v9
	s_delay_alu instid0(VALU_DEP_4) | instskip(NEXT) | instid1(VALU_DEP_4)
	v_add_f32_e32 v10, v10, v17
	v_cvt_i32_f32_e32 v12, v7
	s_delay_alu instid0(VALU_DEP_4) | instskip(NEXT) | instid1(VALU_DEP_4)
	v_cvt_f32_i32_dpp v13, v13 row_shr:1 row_mask:0xf bank_mask:0xf bound_ctrl:1
	v_cvt_f32_i32_dpp v14, v14 row_shr:4 row_mask:0xf bank_mask:0xf bound_ctrl:1
	s_delay_alu instid0(VALU_DEP_4) | instskip(NEXT) | instid1(VALU_DEP_4)
	v_cvt_i32_f32_e32 v17, v10
	v_cvt_f32_i32_dpp v12, v12 row_shr:2 row_mask:0xf bank_mask:0xf bound_ctrl:1
	s_delay_alu instid0(VALU_DEP_4)
	v_add_f32_e32 v19, v5, v13
	v_cvt_i32_f32_e32 v5, v54
	v_cvt_i32_f32_e32 v13, v8
	v_add_f32_e32 v9, v9, v14
	v_add_f32_e32 v7, v7, v12
	ds_bpermute_b32 v20, v21, v19
	v_cvt_f32_i32_dpp v5, v5 row_shr:8 row_mask:0xf bank_mask:0xf bound_ctrl:1
	v_cvt_f32_i32_dpp v13, v13 row_shr:4 row_mask:0xf bank_mask:0xf bound_ctrl:1
	v_cvt_i32_f32_e32 v14, v9
	v_cvt_i32_f32_e32 v12, v7
	v_cvt_f32_i32_dpp v23, v17 row_shr:1 row_mask:0xf bank_mask:0xf bound_ctrl:1
	v_add_f32_e32 v5, v54, v5
	v_add_f32_e32 v8, v8, v13
	v_cvt_f32_i32_dpp v14, v14 row_shr:2 row_mask:0xf bank_mask:0xf bound_ctrl:1
	v_cvt_f32_i32_dpp v12, v12 row_shr:1 row_mask:0xf bank_mask:0xf bound_ctrl:1
	ds_bpermute_b32 v29, v21, v27
	v_cvt_i32_f32_e32 v11, v5
	v_cvt_i32_f32_e32 v13, v8
	v_add_f32_e32 v9, v9, v14
	s_delay_alu instid0(VALU_DEP_3) | instskip(NEXT) | instid1(VALU_DEP_3)
	v_cvt_f32_i32_dpp v11, v11 row_shr:4 row_mask:0xf bank_mask:0xf bound_ctrl:1
	v_cvt_f32_i32_dpp v13, v13 row_shr:2 row_mask:0xf bank_mask:0xf bound_ctrl:1
	s_delay_alu instid0(VALU_DEP_3) | instskip(NEXT) | instid1(VALU_DEP_2)
	v_cvt_i32_f32_e32 v14, v9
	v_dual_add_f32 v5, v5, v11 :: v_dual_add_f32 v8, v8, v13
	s_delay_alu instid0(VALU_DEP_2) | instskip(SKIP_4) | instid1(VALU_DEP_3)
	v_cvt_f32_i32_dpp v14, v14 row_shr:1 row_mask:0xf bank_mask:0xf bound_ctrl:1
	ds_bpermute_b32 v16, v21, v15
	v_cvt_i32_f32_e32 v11, v5
	v_cvt_i32_f32_e32 v13, v8
	v_add_f32_e32 v9, v9, v14
	v_cvt_f32_i32_dpp v11, v11 row_shr:2 row_mask:0xf bank_mask:0xf bound_ctrl:1
	s_delay_alu instid0(VALU_DEP_3)
	v_cvt_f32_i32_dpp v18, v13 row_shr:1 row_mask:0xf bank_mask:0xf bound_ctrl:1
	v_add_f32_e32 v13, v7, v12
	v_add_f32_e32 v7, v10, v23
	ds_bpermute_b32 v10, v21, v9
	v_add_f32_e32 v5, v5, v11
	ds_bpermute_b32 v14, v21, v13
	v_cvt_i32_f32_e32 v11, v5
	s_delay_alu instid0(VALU_DEP_1) | instskip(NEXT) | instid1(VALU_DEP_1)
	v_cvt_f32_i32_dpp v11, v11 row_shr:1 row_mask:0xf bank_mask:0xf bound_ctrl:1
	v_add_f32_e32 v17, v5, v11
	v_add_f32_e32 v11, v8, v18
	ds_bpermute_b32 v8, v21, v7
	ds_bpermute_b32 v18, v21, v17
	;; [unrolled: 1-line block ×3, first 2 shown]
	s_and_saveexec_b32 s5, s0
	s_cbranch_execz .LBB229_105
; %bb.31:                               ;   in Loop: Header=BB229_12 Depth=1
	v_dual_mov_b32 v34, 0 :: v_dual_add_nc_u32 v35, 2, v33
	v_dual_mov_b32 v44, 0 :: v_dual_add_nc_u32 v5, 3, v33
	v_dual_mov_b32 v43, 0 :: v_dual_mov_b32 v42, 0
	v_dual_mov_b32 v41, 0 :: v_dual_mov_b32 v40, 0
	;; [unrolled: 1-line block ×4, first 2 shown]
	v_mov_b32_e32 v23, 0
	v_mov_b32_e32 v21, 0
	s_and_not1_b32 vcc_lo, exec_lo, s30
	s_cbranch_vccnz .LBB229_33
; %bb.32:                               ;   in Loop: Header=BB229_12 Depth=1
	v_mul_hi_u32 v21, v33, v50
	v_dual_mov_b32 v40, v36 :: v_dual_add_nc_u32 v23, 1, v33
	v_mul_hi_u32 v25, v35, v50
	v_mul_hi_u32 v28, v5, v50
	v_mov_b32_e32 v62, v36
	s_delay_alu instid0(VALU_DEP_4)
	v_mul_hi_u32 v32, v23, v50
	v_mov_b32_e32 v66, v36
	v_mul_lo_u32 v21, v21, s8
	v_mov_b32_e32 v64, v36
	v_mov_b32_e32 v68, v36
	v_mul_lo_u32 v25, v25, s8
	v_mul_lo_u32 v28, v28, s8
	;; [unrolled: 1-line block ×3, first 2 shown]
	v_sub_nc_u32_e32 v21, v33, v21
	s_delay_alu instid0(VALU_DEP_4) | instskip(NEXT) | instid1(VALU_DEP_4)
	v_sub_nc_u32_e32 v25, v35, v25
	v_sub_nc_u32_e32 v28, v5, v28
	s_delay_alu instid0(VALU_DEP_3)
	v_subrev_nc_u32_e32 v34, s8, v21
	v_cmp_le_u32_e32 vcc_lo, s8, v21
	v_mov_b32_e32 v42, v36
	v_sub_nc_u32_e32 v23, v23, v32
	v_subrev_nc_u32_e32 v32, s8, v25
	v_subrev_nc_u32_e32 v39, s8, v28
	v_cndmask_b32_e32 v21, v21, v34, vcc_lo
	v_cmp_le_u32_e32 vcc_lo, s8, v25
	v_mov_b32_e32 v44, v36
	v_subrev_nc_u32_e32 v34, s8, v23
	v_cndmask_b32_e32 v25, v25, v32, vcc_lo
	v_cmp_le_u32_e32 vcc_lo, s8, v28
	v_subrev_nc_u32_e32 v32, s8, v21
	v_cndmask_b32_e32 v28, v28, v39, vcc_lo
	v_cmp_le_u32_e32 vcc_lo, s8, v23
	v_dual_mov_b32 v52, v36 :: v_dual_cndmask_b32 v23, v23, v34
	v_cmp_le_u32_e32 vcc_lo, s8, v21
	v_subrev_nc_u32_e32 v34, s8, v25
	v_cndmask_b32_e32 v39, v21, v32, vcc_lo
	v_cmp_le_u32_e32 vcc_lo, s8, v25
	v_subrev_nc_u32_e32 v41, s8, v28
	v_subrev_nc_u32_e32 v21, s8, v23
	s_delay_alu instid0(VALU_DEP_4) | instskip(SKIP_4) | instid1(VALU_DEP_4)
	v_lshlrev_b64 v[53:54], 1, v[39:40]
	v_cndmask_b32_e32 v43, v25, v34, vcc_lo
	v_cmp_le_u32_e32 vcc_lo, s8, v28
	v_add_nc_u32_e32 v61, s31, v39
	v_add_nc_u32_e32 v39, s36, v39
	v_lshlrev_b64 v[55:56], 1, v[43:44]
	v_cndmask_b32_e32 v51, v28, v41, vcc_lo
	v_cmp_le_u32_e32 vcc_lo, s8, v23
	v_lshlrev_b64 v[61:62], 1, v[61:62]
	v_add_nc_u32_e32 v65, s31, v43
	v_lshlrev_b64 v[39:40], 1, v[39:40]
	v_lshlrev_b64 v[57:58], 1, v[51:52]
	v_cndmask_b32_e32 v41, v23, v21, vcc_lo
	v_add_co_u32 v52, vcc_lo, s14, v53
	v_add_co_ci_u32_e32 v53, vcc_lo, s15, v54, vcc_lo
	s_delay_alu instid0(VALU_DEP_3)
	v_lshlrev_b64 v[59:60], 1, v[41:42]
	v_add_nc_u32_e32 v63, s31, v41
	v_add_nc_u32_e32 v67, s31, v51
	v_lshlrev_b64 v[65:66], 1, v[65:66]
	v_add_nc_u32_e32 v41, s36, v41
	v_add_nc_u32_e32 v43, s36, v43
	v_add_co_u32 v59, vcc_lo, s14, v59
	v_add_co_ci_u32_e32 v60, vcc_lo, s15, v60, vcc_lo
	v_add_co_u32 v54, vcc_lo, s14, v55
	v_add_co_ci_u32_e32 v55, vcc_lo, s15, v56, vcc_lo
	v_add_co_u32 v56, vcc_lo, s14, v57
	v_lshlrev_b64 v[63:64], 1, v[63:64]
	v_add_co_ci_u32_e32 v57, vcc_lo, s15, v58, vcc_lo
	v_add_co_u32 v61, vcc_lo, s14, v61
	v_add_co_ci_u32_e32 v62, vcc_lo, s15, v62, vcc_lo
	s_delay_alu instid0(VALU_DEP_4) | instskip(SKIP_4) | instid1(VALU_DEP_4)
	v_add_co_u32 v63, vcc_lo, s14, v63
	v_lshlrev_b64 v[67:68], 1, v[67:68]
	v_add_co_ci_u32_e32 v64, vcc_lo, s15, v64, vcc_lo
	v_add_co_u32 v65, vcc_lo, s14, v65
	v_add_co_ci_u32_e32 v66, vcc_lo, s15, v66, vcc_lo
	v_add_co_u32 v67, vcc_lo, s14, v67
	v_add_co_ci_u32_e32 v68, vcc_lo, s15, v68, vcc_lo
	v_lshlrev_b64 v[41:42], 1, v[41:42]
	v_add_co_u32 v69, vcc_lo, s14, v39
	v_add_co_ci_u32_e32 v70, vcc_lo, s15, v40, vcc_lo
	v_lshlrev_b64 v[39:40], 1, v[43:44]
	v_add_nc_u32_e32 v43, s36, v51
	v_add_co_u32 v71, vcc_lo, s14, v41
	v_add_co_ci_u32_e32 v72, vcc_lo, s15, v42, vcc_lo
	s_delay_alu instid0(VALU_DEP_3) | instskip(SKIP_2) | instid1(VALU_DEP_3)
	v_lshlrev_b64 v[41:42], 1, v[43:44]
	v_add_co_u32 v73, vcc_lo, s14, v39
	v_add_co_ci_u32_e32 v74, vcc_lo, s15, v40, vcc_lo
	v_add_co_u32 v75, vcc_lo, s14, v41
	s_delay_alu instid0(VALU_DEP_4)
	v_add_co_ci_u32_e32 v76, vcc_lo, s15, v42, vcc_lo
	s_clause 0xb
	global_load_u16 v34, v[52:53], off
	global_load_u16 v44, v[59:60], off
	;; [unrolled: 1-line block ×12, first 2 shown]
.LBB229_33:                             ;   in Loop: Header=BB229_12 Depth=1
	v_cmp_ne_u32_e32 vcc_lo, 0, v1
	s_and_saveexec_b32 s2, vcc_lo
	s_cbranch_execnz .LBB229_45
; %bb.34:                               ;   in Loop: Header=BB229_12 Depth=1
	s_or_b32 exec_lo, exec_lo, s2
	v_cmp_ne_u32_e64 s1, 0, v2
	s_delay_alu instid0(VALU_DEP_1)
	s_and_saveexec_b32 s3, s1
	s_cbranch_execnz .LBB229_50
.LBB229_35:                             ;   in Loop: Header=BB229_12 Depth=1
	s_or_b32 exec_lo, exec_lo, s3
	v_cmp_ne_u32_e64 s2, 0, v3
	s_delay_alu instid0(VALU_DEP_1)
	s_and_saveexec_b32 s4, s2
	s_cbranch_execnz .LBB229_55
.LBB229_36:                             ;   in Loop: Header=BB229_12 Depth=1
	s_or_b32 exec_lo, exec_lo, s4
	v_cmp_ne_u32_e64 s3, 0, v4
	s_delay_alu instid0(VALU_DEP_1)
	s_and_saveexec_b32 s39, s3
	s_cbranch_execnz .LBB229_60
.LBB229_37:                             ;   in Loop: Header=BB229_12 Depth=1
	s_or_b32 exec_lo, exec_lo, s39
	v_add_nc_u32_e32 v35, s19, v33
	s_and_saveexec_b32 s39, vcc_lo
	s_cbranch_execnz .LBB229_65
.LBB229_38:                             ;   in Loop: Header=BB229_12 Depth=1
	s_or_b32 exec_lo, exec_lo, s39
	s_and_saveexec_b32 s39, s1
	s_cbranch_execnz .LBB229_70
.LBB229_39:                             ;   in Loop: Header=BB229_12 Depth=1
	s_or_b32 exec_lo, exec_lo, s39
	s_and_saveexec_b32 s39, s2
	s_cbranch_execnz .LBB229_75
.LBB229_40:                             ;   in Loop: Header=BB229_12 Depth=1
	s_or_b32 exec_lo, exec_lo, s39
	s_and_saveexec_b32 s39, s3
	s_cbranch_execnz .LBB229_80
.LBB229_41:                             ;   in Loop: Header=BB229_12 Depth=1
	s_or_b32 exec_lo, exec_lo, s39
	v_add_nc_u32_e32 v35, s19, v35
	s_and_saveexec_b32 s4, vcc_lo
	s_cbranch_execnz .LBB229_85
.LBB229_42:                             ;   in Loop: Header=BB229_12 Depth=1
	s_or_b32 exec_lo, exec_lo, s4
	s_and_saveexec_b32 s4, s1
	s_cbranch_execnz .LBB229_90
.LBB229_43:                             ;   in Loop: Header=BB229_12 Depth=1
	s_or_b32 exec_lo, exec_lo, s4
	s_and_saveexec_b32 s1, s2
	s_cbranch_execnz .LBB229_95
.LBB229_44:                             ;   in Loop: Header=BB229_12 Depth=1
	s_or_b32 exec_lo, exec_lo, s1
	s_delay_alu instid0(SALU_CYCLE_1)
	s_and_b32 exec_lo, exec_lo, s3
	s_cbranch_execnz .LBB229_100
	s_branch .LBB229_105
.LBB229_45:                             ;   in Loop: Header=BB229_12 Depth=1
	s_waitcnt lgkmcnt(10)
	v_add_f32_e32 v37, v37, v38
	s_waitcnt vmcnt(11)
	v_lshlrev_b32_e32 v34, 16, v34
	s_delay_alu instid0(VALU_DEP_1) | instskip(NEXT) | instid1(VALU_DEP_1)
	v_add_f32_e32 v34, v37, v34
	v_and_b32_e32 v37, 0x7f800000, v34
	s_delay_alu instid0(VALU_DEP_1) | instskip(NEXT) | instid1(VALU_DEP_1)
	v_cmp_ne_u32_e64 s1, 0x7f800000, v37
                                        ; implicit-def: $vgpr37
	s_and_saveexec_b32 s3, s1
	s_delay_alu instid0(SALU_CYCLE_1)
	s_xor_b32 s1, exec_lo, s3
; %bb.46:                               ;   in Loop: Header=BB229_12 Depth=1
	v_bfe_u32 v37, v34, 16, 1
	s_delay_alu instid0(VALU_DEP_1)
	v_add3_u32 v37, v34, v37, 0x7fff
                                        ; implicit-def: $vgpr34
; %bb.47:                               ;   in Loop: Header=BB229_12 Depth=1
	s_and_not1_saveexec_b32 s3, s1
; %bb.48:                               ;   in Loop: Header=BB229_12 Depth=1
	v_and_b32_e32 v37, 0xffff, v34
	v_or_b32_e32 v38, 0x10000, v34
	s_delay_alu instid0(VALU_DEP_2) | instskip(NEXT) | instid1(VALU_DEP_1)
	v_cmp_eq_u32_e64 s1, 0, v37
	v_cndmask_b32_e64 v37, v38, v34, s1
; %bb.49:                               ;   in Loop: Header=BB229_12 Depth=1
	s_or_b32 exec_lo, exec_lo, s3
	v_mov_b32_e32 v34, v36
	s_delay_alu instid0(VALU_DEP_1) | instskip(NEXT) | instid1(VALU_DEP_1)
	v_lshlrev_b64 v[51:52], 1, v[33:34]
	v_add_co_u32 v51, s1, s6, v51
	s_delay_alu instid0(VALU_DEP_1) | instskip(SKIP_3) | instid1(VALU_DEP_1)
	v_add_co_ci_u32_e64 v52, s1, s7, v52, s1
	global_store_d16_hi_b16 v[51:52], v37, off
	s_or_b32 exec_lo, exec_lo, s2
	v_cmp_ne_u32_e64 s1, 0, v2
	s_and_saveexec_b32 s3, s1
	s_cbranch_execz .LBB229_35
.LBB229_50:                             ;   in Loop: Header=BB229_12 Depth=1
	s_waitcnt vmcnt(10) lgkmcnt(11)
	v_dual_add_f32 v30, v30, v31 :: v_dual_lshlrev_b32 v31, 16, v44
	s_delay_alu instid0(VALU_DEP_1) | instskip(NEXT) | instid1(VALU_DEP_1)
	v_add_f32_e32 v31, v30, v31
	v_and_b32_e32 v30, 0x7f800000, v31
	s_delay_alu instid0(VALU_DEP_1) | instskip(NEXT) | instid1(VALU_DEP_1)
	v_cmp_ne_u32_e64 s2, 0x7f800000, v30
                                        ; implicit-def: $vgpr30
	s_and_saveexec_b32 s4, s2
	s_delay_alu instid0(SALU_CYCLE_1)
	s_xor_b32 s2, exec_lo, s4
; %bb.51:                               ;   in Loop: Header=BB229_12 Depth=1
	v_bfe_u32 v30, v31, 16, 1
	s_delay_alu instid0(VALU_DEP_1)
	v_add3_u32 v30, v31, v30, 0x7fff
                                        ; implicit-def: $vgpr31
; %bb.52:                               ;   in Loop: Header=BB229_12 Depth=1
	s_and_not1_saveexec_b32 s4, s2
; %bb.53:                               ;   in Loop: Header=BB229_12 Depth=1
	v_and_b32_e32 v30, 0xffff, v31
	v_or_b32_e32 v34, 0x10000, v31
	s_delay_alu instid0(VALU_DEP_2) | instskip(NEXT) | instid1(VALU_DEP_1)
	v_cmp_eq_u32_e64 s2, 0, v30
	v_cndmask_b32_e64 v30, v34, v31, s2
; %bb.54:                               ;   in Loop: Header=BB229_12 Depth=1
	s_or_b32 exec_lo, exec_lo, s4
	v_mov_b32_e32 v34, v36
	s_waitcnt lgkmcnt(10)
	s_delay_alu instid0(VALU_DEP_1) | instskip(NEXT) | instid1(VALU_DEP_1)
	v_lshlrev_b64 v[37:38], 1, v[33:34]
	v_add_co_u32 v37, s2, s33, v37
	s_delay_alu instid0(VALU_DEP_1) | instskip(SKIP_3) | instid1(VALU_DEP_1)
	v_add_co_ci_u32_e64 v38, s2, s34, v38, s2
	global_store_d16_hi_b16 v[37:38], v30, off
	s_or_b32 exec_lo, exec_lo, s3
	v_cmp_ne_u32_e64 s2, 0, v3
	s_and_saveexec_b32 s4, s2
	s_cbranch_execz .LBB229_36
.LBB229_55:                             ;   in Loop: Header=BB229_12 Depth=1
	s_waitcnt lgkmcnt(6)
	v_add_f32_e32 v27, v27, v29
	s_waitcnt vmcnt(9)
	v_lshlrev_b32_e32 v29, 16, v43
	s_delay_alu instid0(VALU_DEP_1) | instskip(NEXT) | instid1(VALU_DEP_1)
	v_add_f32_e32 v29, v27, v29
	v_and_b32_e32 v27, 0x7f800000, v29
	s_delay_alu instid0(VALU_DEP_1) | instskip(NEXT) | instid1(VALU_DEP_1)
	v_cmp_ne_u32_e64 s3, 0x7f800000, v27
                                        ; implicit-def: $vgpr27
	s_and_saveexec_b32 s39, s3
	s_delay_alu instid0(SALU_CYCLE_1)
	s_xor_b32 s3, exec_lo, s39
; %bb.56:                               ;   in Loop: Header=BB229_12 Depth=1
	v_bfe_u32 v27, v29, 16, 1
	s_delay_alu instid0(VALU_DEP_1)
	v_add3_u32 v27, v29, v27, 0x7fff
                                        ; implicit-def: $vgpr29
; %bb.57:                               ;   in Loop: Header=BB229_12 Depth=1
	s_and_not1_saveexec_b32 s39, s3
; %bb.58:                               ;   in Loop: Header=BB229_12 Depth=1
	v_and_b32_e32 v27, 0xffff, v29
	v_or_b32_e32 v30, 0x10000, v29
	s_delay_alu instid0(VALU_DEP_2) | instskip(NEXT) | instid1(VALU_DEP_1)
	v_cmp_eq_u32_e64 s3, 0, v27
	v_cndmask_b32_e64 v27, v30, v29, s3
; %bb.59:                               ;   in Loop: Header=BB229_12 Depth=1
	s_or_b32 exec_lo, exec_lo, s39
	v_lshlrev_b64 v[29:30], 1, v[35:36]
	s_delay_alu instid0(VALU_DEP_1) | instskip(NEXT) | instid1(VALU_DEP_1)
	v_add_co_u32 v29, s3, s6, v29
	v_add_co_ci_u32_e64 v30, s3, s7, v30, s3
	global_store_d16_hi_b16 v[29:30], v27, off
	s_or_b32 exec_lo, exec_lo, s4
	v_cmp_ne_u32_e64 s3, 0, v4
	s_delay_alu instid0(VALU_DEP_1)
	s_and_saveexec_b32 s39, s3
	s_cbranch_execz .LBB229_37
.LBB229_60:                             ;   in Loop: Header=BB229_12 Depth=1
	s_waitcnt lgkmcnt(9)
	v_add_f32_e32 v6, v6, v26
	s_waitcnt vmcnt(8)
	v_lshlrev_b32_e32 v26, 16, v42
	s_delay_alu instid0(VALU_DEP_1) | instskip(NEXT) | instid1(VALU_DEP_1)
	v_add_f32_e32 v6, v6, v26
	v_and_b32_e32 v26, 0x7f800000, v6
	s_delay_alu instid0(VALU_DEP_1) | instskip(NEXT) | instid1(VALU_DEP_1)
	v_cmp_ne_u32_e64 s4, 0x7f800000, v26
                                        ; implicit-def: $vgpr26
	s_and_saveexec_b32 s40, s4
	s_delay_alu instid0(SALU_CYCLE_1)
	s_xor_b32 s4, exec_lo, s40
; %bb.61:                               ;   in Loop: Header=BB229_12 Depth=1
	v_bfe_u32 v26, v6, 16, 1
	s_delay_alu instid0(VALU_DEP_1)
	v_add3_u32 v26, v6, v26, 0x7fff
                                        ; implicit-def: $vgpr6
; %bb.62:                               ;   in Loop: Header=BB229_12 Depth=1
	s_and_not1_saveexec_b32 s40, s4
; %bb.63:                               ;   in Loop: Header=BB229_12 Depth=1
	v_and_b32_e32 v26, 0xffff, v6
	v_or_b32_e32 v27, 0x10000, v6
	s_delay_alu instid0(VALU_DEP_2) | instskip(NEXT) | instid1(VALU_DEP_1)
	v_cmp_eq_u32_e64 s4, 0, v26
	v_cndmask_b32_e64 v26, v27, v6, s4
; %bb.64:                               ;   in Loop: Header=BB229_12 Depth=1
	s_or_b32 exec_lo, exec_lo, s40
	v_mov_b32_e32 v6, v36
	s_delay_alu instid0(VALU_DEP_1) | instskip(NEXT) | instid1(VALU_DEP_1)
	v_lshlrev_b64 v[5:6], 1, v[5:6]
	v_add_co_u32 v5, s4, s6, v5
	s_delay_alu instid0(VALU_DEP_1)
	v_add_co_ci_u32_e64 v6, s4, s7, v6, s4
	global_store_d16_hi_b16 v[5:6], v26, off
	s_or_b32 exec_lo, exec_lo, s39
	v_add_nc_u32_e32 v35, s19, v33
	s_and_saveexec_b32 s39, vcc_lo
	s_cbranch_execz .LBB229_38
.LBB229_65:                             ;   in Loop: Header=BB229_12 Depth=1
	s_waitcnt vmcnt(7) lgkmcnt(8)
	v_dual_add_f32 v5, v22, v24 :: v_dual_lshlrev_b32 v6, 16, v41
	s_delay_alu instid0(VALU_DEP_1) | instskip(NEXT) | instid1(VALU_DEP_1)
	v_add_f32_e32 v6, v5, v6
	v_and_b32_e32 v5, 0x7f800000, v6
	s_delay_alu instid0(VALU_DEP_1) | instskip(NEXT) | instid1(VALU_DEP_1)
	v_cmp_ne_u32_e64 s4, 0x7f800000, v5
                                        ; implicit-def: $vgpr5
	s_and_saveexec_b32 s40, s4
	s_delay_alu instid0(SALU_CYCLE_1)
	s_xor_b32 s4, exec_lo, s40
; %bb.66:                               ;   in Loop: Header=BB229_12 Depth=1
	v_bfe_u32 v5, v6, 16, 1
	s_delay_alu instid0(VALU_DEP_1)
	v_add3_u32 v5, v6, v5, 0x7fff
                                        ; implicit-def: $vgpr6
; %bb.67:                               ;   in Loop: Header=BB229_12 Depth=1
	s_and_not1_saveexec_b32 s40, s4
; %bb.68:                               ;   in Loop: Header=BB229_12 Depth=1
	v_and_b32_e32 v5, 0xffff, v6
	v_or_b32_e32 v22, 0x10000, v6
	s_delay_alu instid0(VALU_DEP_2) | instskip(NEXT) | instid1(VALU_DEP_1)
	v_cmp_eq_u32_e64 s4, 0, v5
	v_cndmask_b32_e64 v5, v22, v6, s4
; %bb.69:                               ;   in Loop: Header=BB229_12 Depth=1
	s_or_b32 exec_lo, exec_lo, s40
	v_lshlrev_b64 v[26:27], 1, v[35:36]
	s_delay_alu instid0(VALU_DEP_1) | instskip(NEXT) | instid1(VALU_DEP_1)
	v_add_co_u32 v26, s4, s6, v26
	v_add_co_ci_u32_e64 v27, s4, s7, v27, s4
	global_store_d16_hi_b16 v[26:27], v5, off
	s_or_b32 exec_lo, exec_lo, s39
	s_and_saveexec_b32 s39, s1
	s_cbranch_execz .LBB229_39
.LBB229_70:                             ;   in Loop: Header=BB229_12 Depth=1
	s_waitcnt lgkmcnt(7)
	v_add_f32_e32 v5, v19, v20
	s_waitcnt vmcnt(6)
	v_lshlrev_b32_e32 v6, 16, v40
	s_delay_alu instid0(VALU_DEP_1) | instskip(NEXT) | instid1(VALU_DEP_1)
	v_add_f32_e32 v6, v5, v6
	v_and_b32_e32 v5, 0x7f800000, v6
	s_delay_alu instid0(VALU_DEP_1) | instskip(NEXT) | instid1(VALU_DEP_1)
	v_cmp_ne_u32_e64 s4, 0x7f800000, v5
                                        ; implicit-def: $vgpr5
	s_and_saveexec_b32 s40, s4
	s_delay_alu instid0(SALU_CYCLE_1)
	s_xor_b32 s4, exec_lo, s40
; %bb.71:                               ;   in Loop: Header=BB229_12 Depth=1
	v_bfe_u32 v5, v6, 16, 1
	s_delay_alu instid0(VALU_DEP_1)
	v_add3_u32 v5, v6, v5, 0x7fff
                                        ; implicit-def: $vgpr6
; %bb.72:                               ;   in Loop: Header=BB229_12 Depth=1
	s_and_not1_saveexec_b32 s40, s4
; %bb.73:                               ;   in Loop: Header=BB229_12 Depth=1
	v_and_b32_e32 v5, 0xffff, v6
	v_or_b32_e32 v19, 0x10000, v6
	s_delay_alu instid0(VALU_DEP_2) | instskip(NEXT) | instid1(VALU_DEP_1)
	v_cmp_eq_u32_e64 s4, 0, v5
	v_cndmask_b32_e64 v5, v19, v6, s4
; %bb.74:                               ;   in Loop: Header=BB229_12 Depth=1
	s_or_b32 exec_lo, exec_lo, s40
	v_dual_mov_b32 v20, v36 :: v_dual_add_nc_u32 v19, 1, v35
	s_delay_alu instid0(VALU_DEP_1) | instskip(NEXT) | instid1(VALU_DEP_1)
	v_lshlrev_b64 v[19:20], 1, v[19:20]
	v_add_co_u32 v19, s4, s6, v19
	s_delay_alu instid0(VALU_DEP_1)
	v_add_co_ci_u32_e64 v20, s4, s7, v20, s4
	global_store_d16_hi_b16 v[19:20], v5, off
	s_or_b32 exec_lo, exec_lo, s39
	s_and_saveexec_b32 s39, s2
	s_cbranch_execz .LBB229_40
.LBB229_75:                             ;   in Loop: Header=BB229_12 Depth=1
	s_waitcnt vmcnt(5) lgkmcnt(5)
	v_dual_add_f32 v5, v15, v16 :: v_dual_lshlrev_b32 v6, 16, v39
	s_delay_alu instid0(VALU_DEP_1) | instskip(NEXT) | instid1(VALU_DEP_1)
	v_add_f32_e32 v6, v5, v6
	v_and_b32_e32 v5, 0x7f800000, v6
	s_delay_alu instid0(VALU_DEP_1) | instskip(NEXT) | instid1(VALU_DEP_1)
	v_cmp_ne_u32_e64 s4, 0x7f800000, v5
                                        ; implicit-def: $vgpr5
	s_and_saveexec_b32 s40, s4
	s_delay_alu instid0(SALU_CYCLE_1)
	s_xor_b32 s4, exec_lo, s40
; %bb.76:                               ;   in Loop: Header=BB229_12 Depth=1
	v_bfe_u32 v5, v6, 16, 1
	s_delay_alu instid0(VALU_DEP_1)
	v_add3_u32 v5, v6, v5, 0x7fff
                                        ; implicit-def: $vgpr6
; %bb.77:                               ;   in Loop: Header=BB229_12 Depth=1
	s_and_not1_saveexec_b32 s40, s4
; %bb.78:                               ;   in Loop: Header=BB229_12 Depth=1
	v_and_b32_e32 v5, 0xffff, v6
	v_or_b32_e32 v15, 0x10000, v6
	s_delay_alu instid0(VALU_DEP_2) | instskip(NEXT) | instid1(VALU_DEP_1)
	v_cmp_eq_u32_e64 s4, 0, v5
	v_cndmask_b32_e64 v5, v15, v6, s4
; %bb.79:                               ;   in Loop: Header=BB229_12 Depth=1
	s_or_b32 exec_lo, exec_lo, s40
	v_dual_mov_b32 v16, v36 :: v_dual_add_nc_u32 v15, 2, v35
	s_delay_alu instid0(VALU_DEP_1) | instskip(NEXT) | instid1(VALU_DEP_1)
	v_lshlrev_b64 v[15:16], 1, v[15:16]
	v_add_co_u32 v15, s4, s6, v15
	s_delay_alu instid0(VALU_DEP_1)
	v_add_co_ci_u32_e64 v16, s4, s7, v16, s4
	global_store_d16_hi_b16 v[15:16], v5, off
	s_or_b32 exec_lo, exec_lo, s39
	s_and_saveexec_b32 s39, s3
	s_cbranch_execz .LBB229_41
.LBB229_80:                             ;   in Loop: Header=BB229_12 Depth=1
	s_waitcnt vmcnt(4) lgkmcnt(1)
	v_dual_add_f32 v5, v17, v18 :: v_dual_lshlrev_b32 v6, 16, v32
	s_delay_alu instid0(VALU_DEP_1) | instskip(NEXT) | instid1(VALU_DEP_1)
	v_add_f32_e32 v6, v5, v6
	v_and_b32_e32 v5, 0x7f800000, v6
	s_delay_alu instid0(VALU_DEP_1) | instskip(NEXT) | instid1(VALU_DEP_1)
	v_cmp_ne_u32_e64 s4, 0x7f800000, v5
                                        ; implicit-def: $vgpr5
	s_and_saveexec_b32 s40, s4
	s_delay_alu instid0(SALU_CYCLE_1)
	s_xor_b32 s4, exec_lo, s40
; %bb.81:                               ;   in Loop: Header=BB229_12 Depth=1
	v_bfe_u32 v5, v6, 16, 1
	s_delay_alu instid0(VALU_DEP_1)
	v_add3_u32 v5, v6, v5, 0x7fff
                                        ; implicit-def: $vgpr6
; %bb.82:                               ;   in Loop: Header=BB229_12 Depth=1
	s_and_not1_saveexec_b32 s40, s4
; %bb.83:                               ;   in Loop: Header=BB229_12 Depth=1
	v_and_b32_e32 v5, 0xffff, v6
	v_or_b32_e32 v15, 0x10000, v6
	s_delay_alu instid0(VALU_DEP_2) | instskip(NEXT) | instid1(VALU_DEP_1)
	v_cmp_eq_u32_e64 s4, 0, v5
	v_cndmask_b32_e64 v5, v15, v6, s4
; %bb.84:                               ;   in Loop: Header=BB229_12 Depth=1
	s_or_b32 exec_lo, exec_lo, s40
	v_dual_mov_b32 v16, v36 :: v_dual_add_nc_u32 v15, 3, v35
	s_delay_alu instid0(VALU_DEP_1) | instskip(NEXT) | instid1(VALU_DEP_1)
	v_lshlrev_b64 v[15:16], 1, v[15:16]
	v_add_co_u32 v15, s4, s6, v15
	s_delay_alu instid0(VALU_DEP_1)
	v_add_co_ci_u32_e64 v16, s4, s7, v16, s4
	global_store_d16_hi_b16 v[15:16], v5, off
	s_or_b32 exec_lo, exec_lo, s39
	v_add_nc_u32_e32 v35, s19, v35
	s_and_saveexec_b32 s4, vcc_lo
	s_cbranch_execz .LBB229_42
.LBB229_85:                             ;   in Loop: Header=BB229_12 Depth=1
	s_waitcnt vmcnt(3) lgkmcnt(3)
	v_dual_add_f32 v5, v13, v14 :: v_dual_lshlrev_b32 v6, 16, v28
	s_delay_alu instid0(VALU_DEP_1) | instskip(NEXT) | instid1(VALU_DEP_1)
	v_add_f32_e32 v6, v5, v6
	v_and_b32_e32 v5, 0x7f800000, v6
	s_delay_alu instid0(VALU_DEP_1) | instskip(SKIP_1) | instid1(SALU_CYCLE_1)
	v_cmp_ne_u32_e32 vcc_lo, 0x7f800000, v5
                                        ; implicit-def: $vgpr5
	s_and_saveexec_b32 s39, vcc_lo
	s_xor_b32 s39, exec_lo, s39
; %bb.86:                               ;   in Loop: Header=BB229_12 Depth=1
	v_bfe_u32 v5, v6, 16, 1
	s_delay_alu instid0(VALU_DEP_1)
	v_add3_u32 v5, v6, v5, 0x7fff
                                        ; implicit-def: $vgpr6
; %bb.87:                               ;   in Loop: Header=BB229_12 Depth=1
	s_and_not1_saveexec_b32 s39, s39
; %bb.88:                               ;   in Loop: Header=BB229_12 Depth=1
	v_and_b32_e32 v5, 0xffff, v6
	v_or_b32_e32 v13, 0x10000, v6
	s_delay_alu instid0(VALU_DEP_2) | instskip(NEXT) | instid1(VALU_DEP_2)
	v_cmp_eq_u32_e32 vcc_lo, 0, v5
	v_cndmask_b32_e32 v5, v13, v6, vcc_lo
; %bb.89:                               ;   in Loop: Header=BB229_12 Depth=1
	s_or_b32 exec_lo, exec_lo, s39
	v_lshlrev_b64 v[13:14], 1, v[35:36]
	s_delay_alu instid0(VALU_DEP_1) | instskip(NEXT) | instid1(VALU_DEP_2)
	v_add_co_u32 v13, vcc_lo, s6, v13
	v_add_co_ci_u32_e32 v14, vcc_lo, s7, v14, vcc_lo
	global_store_d16_hi_b16 v[13:14], v5, off
	s_or_b32 exec_lo, exec_lo, s4
	s_and_saveexec_b32 s4, s1
	s_cbranch_execz .LBB229_43
.LBB229_90:                             ;   in Loop: Header=BB229_12 Depth=1
	s_waitcnt vmcnt(2) lgkmcnt(0)
	v_dual_add_f32 v5, v11, v12 :: v_dual_lshlrev_b32 v6, 16, v25
	s_delay_alu instid0(VALU_DEP_1) | instskip(NEXT) | instid1(VALU_DEP_1)
	v_add_f32_e32 v6, v5, v6
	v_and_b32_e32 v5, 0x7f800000, v6
	s_delay_alu instid0(VALU_DEP_1) | instskip(SKIP_1) | instid1(SALU_CYCLE_1)
	v_cmp_ne_u32_e32 vcc_lo, 0x7f800000, v5
                                        ; implicit-def: $vgpr5
	s_and_saveexec_b32 s1, vcc_lo
	s_xor_b32 s1, exec_lo, s1
; %bb.91:                               ;   in Loop: Header=BB229_12 Depth=1
	v_bfe_u32 v5, v6, 16, 1
	s_delay_alu instid0(VALU_DEP_1)
	v_add3_u32 v5, v6, v5, 0x7fff
                                        ; implicit-def: $vgpr6
; %bb.92:                               ;   in Loop: Header=BB229_12 Depth=1
	s_and_not1_saveexec_b32 s1, s1
; %bb.93:                               ;   in Loop: Header=BB229_12 Depth=1
	v_and_b32_e32 v5, 0xffff, v6
	v_or_b32_e32 v11, 0x10000, v6
	s_delay_alu instid0(VALU_DEP_2) | instskip(NEXT) | instid1(VALU_DEP_2)
	v_cmp_eq_u32_e32 vcc_lo, 0, v5
	v_cndmask_b32_e32 v5, v11, v6, vcc_lo
; %bb.94:                               ;   in Loop: Header=BB229_12 Depth=1
	s_or_b32 exec_lo, exec_lo, s1
	v_dual_mov_b32 v12, v36 :: v_dual_add_nc_u32 v11, 1, v35
	s_delay_alu instid0(VALU_DEP_1) | instskip(NEXT) | instid1(VALU_DEP_1)
	v_lshlrev_b64 v[11:12], 1, v[11:12]
	v_add_co_u32 v11, vcc_lo, s6, v11
	s_delay_alu instid0(VALU_DEP_2)
	v_add_co_ci_u32_e32 v12, vcc_lo, s7, v12, vcc_lo
	global_store_d16_hi_b16 v[11:12], v5, off
	s_or_b32 exec_lo, exec_lo, s4
	s_and_saveexec_b32 s1, s2
	s_cbranch_execz .LBB229_44
.LBB229_95:                             ;   in Loop: Header=BB229_12 Depth=1
	s_waitcnt vmcnt(1) lgkmcnt(4)
	v_dual_add_f32 v5, v9, v10 :: v_dual_lshlrev_b32 v6, 16, v23
	s_delay_alu instid0(VALU_DEP_1) | instskip(NEXT) | instid1(VALU_DEP_1)
	v_add_f32_e32 v6, v5, v6
	v_and_b32_e32 v5, 0x7f800000, v6
	s_delay_alu instid0(VALU_DEP_1) | instskip(SKIP_1) | instid1(SALU_CYCLE_1)
	v_cmp_ne_u32_e32 vcc_lo, 0x7f800000, v5
                                        ; implicit-def: $vgpr5
	s_and_saveexec_b32 s2, vcc_lo
	s_xor_b32 s2, exec_lo, s2
; %bb.96:                               ;   in Loop: Header=BB229_12 Depth=1
	v_bfe_u32 v5, v6, 16, 1
	s_delay_alu instid0(VALU_DEP_1)
	v_add3_u32 v5, v6, v5, 0x7fff
                                        ; implicit-def: $vgpr6
; %bb.97:                               ;   in Loop: Header=BB229_12 Depth=1
	s_and_not1_saveexec_b32 s2, s2
; %bb.98:                               ;   in Loop: Header=BB229_12 Depth=1
	v_and_b32_e32 v5, 0xffff, v6
	v_or_b32_e32 v9, 0x10000, v6
	s_delay_alu instid0(VALU_DEP_2) | instskip(NEXT) | instid1(VALU_DEP_2)
	v_cmp_eq_u32_e32 vcc_lo, 0, v5
	v_cndmask_b32_e32 v5, v9, v6, vcc_lo
; %bb.99:                               ;   in Loop: Header=BB229_12 Depth=1
	s_or_b32 exec_lo, exec_lo, s2
	v_dual_mov_b32 v10, v36 :: v_dual_add_nc_u32 v9, 2, v35
	s_delay_alu instid0(VALU_DEP_1) | instskip(NEXT) | instid1(VALU_DEP_1)
	v_lshlrev_b64 v[9:10], 1, v[9:10]
	v_add_co_u32 v9, vcc_lo, s6, v9
	s_delay_alu instid0(VALU_DEP_2) | instskip(SKIP_2) | instid1(SALU_CYCLE_1)
	v_add_co_ci_u32_e32 v10, vcc_lo, s7, v10, vcc_lo
	global_store_d16_hi_b16 v[9:10], v5, off
	s_or_b32 exec_lo, exec_lo, s1
	s_and_b32 exec_lo, exec_lo, s3
	s_cbranch_execz .LBB229_105
.LBB229_100:                            ;   in Loop: Header=BB229_12 Depth=1
	s_waitcnt vmcnt(0) lgkmcnt(2)
	v_dual_add_f32 v5, v7, v8 :: v_dual_lshlrev_b32 v6, 16, v21
	s_delay_alu instid0(VALU_DEP_1) | instskip(NEXT) | instid1(VALU_DEP_1)
	v_add_f32_e32 v6, v5, v6
	v_and_b32_e32 v5, 0x7f800000, v6
	s_delay_alu instid0(VALU_DEP_1) | instskip(SKIP_1) | instid1(SALU_CYCLE_1)
	v_cmp_ne_u32_e32 vcc_lo, 0x7f800000, v5
                                        ; implicit-def: $vgpr5
	s_and_saveexec_b32 s1, vcc_lo
	s_xor_b32 s1, exec_lo, s1
; %bb.101:                              ;   in Loop: Header=BB229_12 Depth=1
	v_bfe_u32 v5, v6, 16, 1
	s_delay_alu instid0(VALU_DEP_1)
	v_add3_u32 v5, v6, v5, 0x7fff
                                        ; implicit-def: $vgpr6
; %bb.102:                              ;   in Loop: Header=BB229_12 Depth=1
	s_and_not1_saveexec_b32 s1, s1
; %bb.103:                              ;   in Loop: Header=BB229_12 Depth=1
	v_and_b32_e32 v5, 0xffff, v6
	v_or_b32_e32 v7, 0x10000, v6
	s_delay_alu instid0(VALU_DEP_2) | instskip(NEXT) | instid1(VALU_DEP_2)
	v_cmp_eq_u32_e32 vcc_lo, 0, v5
	v_cndmask_b32_e32 v5, v7, v6, vcc_lo
; %bb.104:                              ;   in Loop: Header=BB229_12 Depth=1
	s_or_b32 exec_lo, exec_lo, s1
	v_add_nc_u32_e32 v35, 3, v35
	s_delay_alu instid0(VALU_DEP_1) | instskip(NEXT) | instid1(VALU_DEP_1)
	v_lshlrev_b64 v[6:7], 1, v[35:36]
	v_add_co_u32 v6, vcc_lo, s6, v6
	s_delay_alu instid0(VALU_DEP_2)
	v_add_co_ci_u32_e32 v7, vcc_lo, s7, v7, vcc_lo
	global_store_d16_hi_b16 v[6:7], v5, off
.LBB229_105:                            ;   in Loop: Header=BB229_12 Depth=1
	s_or_b32 exec_lo, exec_lo, s5
	v_add_nc_u32_e32 v33, s29, v33
	s_delay_alu instid0(VALU_DEP_1) | instskip(SKIP_1) | instid1(VALU_DEP_2)
	v_add_nc_u32_e32 v5, 4, v33
	v_cmp_gt_u32_e32 vcc_lo, s19, v33
	v_cmp_le_u32_e64 s1, s19, v5
	s_delay_alu instid0(VALU_DEP_1) | instskip(NEXT) | instid1(SALU_CYCLE_1)
	s_and_b32 s1, vcc_lo, s1
	s_and_saveexec_b32 s39, s1
	s_cbranch_execz .LBB229_10
; %bb.106:                              ;   in Loop: Header=BB229_12 Depth=1
	s_mov_b32 s40, exec_lo
	v_cmpx_ne_u32_e64 s9, v33
	s_cbranch_execz .LBB229_9
; %bb.107:                              ;   in Loop: Header=BB229_12 Depth=1
	v_subrev_nc_u32_e32 v5, s9, v33
	s_mov_b32 s41, 0
	s_mov_b64 s[4:5], 0
	s_delay_alu instid0(VALU_DEP_1)
	v_cmp_lt_u32_e32 vcc_lo, 1, v5
	v_cndmask_b32_e32 v5, 1, v5, vcc_lo
	.p2align	6
.LBB229_108:                            ;   Parent Loop BB229_12 Depth=1
                                        ; =>  This Inner Loop Header: Depth=2
	s_cmp_lg_u32 s4, 3
	s_cselect_b32 vcc_lo, -1, 0
	s_cmp_lg_u32 s4, 2
	v_cndmask_b32_e32 v4, 0, v4, vcc_lo
	s_cselect_b32 s1, -1, 0
	s_cmp_lg_u32 s4, 1
	v_cndmask_b32_e64 v3, 0, v3, s1
	s_cselect_b32 s2, -1, 0
	s_cmp_lg_u32 s4, 0
	v_cndmask_b32_e64 v2, 0, v2, s2
	s_cselect_b32 s3, -1, 0
	s_add_u32 s4, s4, 1
	v_cndmask_b32_e64 v1, 0, v1, s3
	v_cmp_eq_u32_e32 vcc_lo, s4, v5
	s_addc_u32 s5, s5, 0
	s_or_b32 s41, vcc_lo, s41
	s_delay_alu instid0(SALU_CYCLE_1)
	s_and_not1_b32 exec_lo, exec_lo, s41
	s_cbranch_execnz .LBB229_108
; %bb.109:                              ;   in Loop: Header=BB229_12 Depth=1
	s_or_b32 exec_lo, exec_lo, s41
	s_branch .LBB229_9
.LBB229_110:
	s_nop 0
	s_sendmsg sendmsg(MSG_DEALLOC_VGPRS)
	s_endpgm
	.section	.rodata,"a",@progbits
	.p2align	6, 0x0
	.amdhsa_kernel _Z16wvSplitK_hf_big_I14__hip_bfloat16Li32ELi4ELi16ELi8ELi1ELi3EEviiiiiiPKT_S3_S3_PS1_ii
		.amdhsa_group_segment_fixed_size 65536
		.amdhsa_private_segment_fixed_size 0
		.amdhsa_kernarg_size 64
		.amdhsa_user_sgpr_count 15
		.amdhsa_user_sgpr_dispatch_ptr 0
		.amdhsa_user_sgpr_queue_ptr 0
		.amdhsa_user_sgpr_kernarg_segment_ptr 1
		.amdhsa_user_sgpr_dispatch_id 0
		.amdhsa_user_sgpr_private_segment_size 0
		.amdhsa_wavefront_size32 1
		.amdhsa_uses_dynamic_stack 0
		.amdhsa_enable_private_segment 0
		.amdhsa_system_sgpr_workgroup_id_x 1
		.amdhsa_system_sgpr_workgroup_id_y 0
		.amdhsa_system_sgpr_workgroup_id_z 0
		.amdhsa_system_sgpr_workgroup_info 0
		.amdhsa_system_vgpr_workitem_id 1
		.amdhsa_next_free_vgpr 83
		.amdhsa_next_free_sgpr 42
		.amdhsa_reserve_vcc 1
		.amdhsa_float_round_mode_32 0
		.amdhsa_float_round_mode_16_64 0
		.amdhsa_float_denorm_mode_32 3
		.amdhsa_float_denorm_mode_16_64 3
		.amdhsa_dx10_clamp 1
		.amdhsa_ieee_mode 1
		.amdhsa_fp16_overflow 0
		.amdhsa_workgroup_processor_mode 1
		.amdhsa_memory_ordered 1
		.amdhsa_forward_progress 0
		.amdhsa_shared_vgpr_count 0
		.amdhsa_exception_fp_ieee_invalid_op 0
		.amdhsa_exception_fp_denorm_src 0
		.amdhsa_exception_fp_ieee_div_zero 0
		.amdhsa_exception_fp_ieee_overflow 0
		.amdhsa_exception_fp_ieee_underflow 0
		.amdhsa_exception_fp_ieee_inexact 0
		.amdhsa_exception_int_div_zero 0
	.end_amdhsa_kernel
	.section	.text._Z16wvSplitK_hf_big_I14__hip_bfloat16Li32ELi4ELi16ELi8ELi1ELi3EEviiiiiiPKT_S3_S3_PS1_ii,"axG",@progbits,_Z16wvSplitK_hf_big_I14__hip_bfloat16Li32ELi4ELi16ELi8ELi1ELi3EEviiiiiiPKT_S3_S3_PS1_ii,comdat
.Lfunc_end229:
	.size	_Z16wvSplitK_hf_big_I14__hip_bfloat16Li32ELi4ELi16ELi8ELi1ELi3EEviiiiiiPKT_S3_S3_PS1_ii, .Lfunc_end229-_Z16wvSplitK_hf_big_I14__hip_bfloat16Li32ELi4ELi16ELi8ELi1ELi3EEviiiiiiPKT_S3_S3_PS1_ii
                                        ; -- End function
	.section	.AMDGPU.csdata,"",@progbits
; Kernel info:
; codeLenInByte = 7116
; NumSgprs: 44
; NumVgprs: 83
; ScratchSize: 0
; MemoryBound: 0
; FloatMode: 240
; IeeeMode: 1
; LDSByteSize: 65536 bytes/workgroup (compile time only)
; SGPRBlocks: 5
; VGPRBlocks: 10
; NumSGPRsForWavesPerEU: 44
; NumVGPRsForWavesPerEU: 83
; Occupancy: 8
; WaveLimiterHint : 0
; COMPUTE_PGM_RSRC2:SCRATCH_EN: 0
; COMPUTE_PGM_RSRC2:USER_SGPR: 15
; COMPUTE_PGM_RSRC2:TRAP_HANDLER: 0
; COMPUTE_PGM_RSRC2:TGID_X_EN: 1
; COMPUTE_PGM_RSRC2:TGID_Y_EN: 0
; COMPUTE_PGM_RSRC2:TGID_Z_EN: 0
; COMPUTE_PGM_RSRC2:TIDIG_COMP_CNT: 1
	.section	.text._Z16wvSplitK_hf_sml_I14__hip_bfloat16Li32ELi4ELi16ELi8ELi2ELi3EEviiiiiiPKT_S3_S3_PS1_ii,"axG",@progbits,_Z16wvSplitK_hf_sml_I14__hip_bfloat16Li32ELi4ELi16ELi8ELi2ELi3EEviiiiiiPKT_S3_S3_PS1_ii,comdat
	.protected	_Z16wvSplitK_hf_sml_I14__hip_bfloat16Li32ELi4ELi16ELi8ELi2ELi3EEviiiiiiPKT_S3_S3_PS1_ii ; -- Begin function _Z16wvSplitK_hf_sml_I14__hip_bfloat16Li32ELi4ELi16ELi8ELi2ELi3EEviiiiiiPKT_S3_S3_PS1_ii
	.globl	_Z16wvSplitK_hf_sml_I14__hip_bfloat16Li32ELi4ELi16ELi8ELi2ELi3EEviiiiiiPKT_S3_S3_PS1_ii
	.p2align	8
	.type	_Z16wvSplitK_hf_sml_I14__hip_bfloat16Li32ELi4ELi16ELi8ELi2ELi3EEviiiiiiPKT_S3_S3_PS1_ii,@function
_Z16wvSplitK_hf_sml_I14__hip_bfloat16Li32ELi4ELi16ELi8ELi2ELi3EEviiiiiiPKT_S3_S3_PS1_ii: ; @_Z16wvSplitK_hf_sml_I14__hip_bfloat16Li32ELi4ELi16ELi8ELi2ELi3EEviiiiiiPKT_S3_S3_PS1_ii
; %bb.0:
	s_load_b128 s[4:7], s[0:1], 0x0
	v_and_b32_e32 v1, 0x3ff, v0
	v_bfe_u32 v0, v0, 10, 10
	s_mov_b32 s8, exec_lo
	s_delay_alu instid0(VALU_DEP_2) | instskip(NEXT) | instid1(VALU_DEP_1)
	v_lshlrev_b32_e32 v67, 3, v1
	v_lshl_add_u32 v3, v0, 8, v67
	s_waitcnt lgkmcnt(0)
	s_mul_i32 s2, s6, 3
	s_delay_alu instid0(SALU_CYCLE_1)
	s_min_u32 s9, s2, 0x8000
	s_delay_alu instid0(VALU_DEP_1) | instid1(SALU_CYCLE_1)
	v_cmpx_gt_u32_e64 s9, v3
	s_cbranch_execz .LBB230_9
; %bb.1:
	s_load_b64 s[2:3], s[0:1], 0x20
	v_lshlrev_b32_e32 v2, 1, v3
	v_add_nc_u32_e32 v8, 0x1000, v3
	s_mov_b32 s10, exec_lo
	s_waitcnt lgkmcnt(0)
	global_load_b128 v[4:7], v2, s[2:3]
	s_waitcnt vmcnt(0)
	ds_store_b128 v2, v[4:7]
	v_cmpx_gt_u32_e64 s9, v8
	s_xor_b32 s10, exec_lo, s10
	s_cbranch_execz .LBB230_9
; %bb.2:
	v_add_co_u32 v4, s2, s2, v2
	s_delay_alu instid0(VALU_DEP_1) | instskip(SKIP_1) | instid1(VALU_DEP_3)
	v_add_co_ci_u32_e64 v5, null, s3, 0, s2
	v_add_nc_u32_e32 v10, 0x2000, v3
	v_add_co_u32 v6, vcc_lo, 0x2000, v4
	s_delay_alu instid0(VALU_DEP_3)
	v_add_co_ci_u32_e32 v7, vcc_lo, 0, v5, vcc_lo
	s_mov_b32 s2, exec_lo
	global_load_b128 v[6:9], v[6:7], off
	s_waitcnt vmcnt(0)
	ds_store_b128 v2, v[6:9] offset:8192
	v_cmpx_gt_u32_e64 s9, v10
	s_xor_b32 s2, exec_lo, s2
	s_cbranch_execz .LBB230_9
; %bb.3:
	v_add_co_u32 v6, vcc_lo, 0x4000, v4
	v_add_co_ci_u32_e32 v7, vcc_lo, 0, v5, vcc_lo
	v_add_nc_u32_e32 v10, 0x3000, v3
	s_mov_b32 s2, exec_lo
	global_load_b128 v[6:9], v[6:7], off
	s_waitcnt vmcnt(0)
	ds_store_b128 v2, v[6:9] offset:16384
	v_cmpx_gt_u32_e64 s9, v10
	s_xor_b32 s2, exec_lo, s2
	s_cbranch_execz .LBB230_9
; %bb.4:
	v_add_co_u32 v6, vcc_lo, 0x6000, v4
	v_add_co_ci_u32_e32 v7, vcc_lo, 0, v5, vcc_lo
	v_add_nc_u32_e32 v10, 0x4000, v3
	;; [unrolled: 11-line block ×5, first 2 shown]
	s_mov_b32 s2, exec_lo
	global_load_b128 v[6:9], v[6:7], off
	s_waitcnt vmcnt(0)
	ds_store_b128 v2, v[6:9] offset:49152
	v_cmpx_gt_u32_e64 s9, v3
	s_xor_b32 s2, exec_lo, s2
	s_cbranch_execz .LBB230_9
; %bb.8:
	v_add_co_u32 v3, vcc_lo, 0xe000, v4
	v_add_co_ci_u32_e32 v4, vcc_lo, 0, v5, vcc_lo
	global_load_b128 v[3:6], v[3:4], off
	s_waitcnt vmcnt(0)
	ds_store_b128 v2, v[3:6] offset:57344
.LBB230_9:
	s_or_b32 exec_lo, exec_lo, s8
	s_load_b64 s[16:17], s[0:1], 0x38
	s_waitcnt lgkmcnt(0)
	s_barrier
	buffer_gl0_inv
	s_mov_b32 s2, exec_lo
	v_cmpx_gt_u32_e64 s16, v0
	s_cbranch_execz .LBB230_72
; %bb.10:
	s_load_b64 s[2:3], s[0:1], 0x10
	s_mul_i32 s15, s15, s16
	s_delay_alu instid0(SALU_CYCLE_1) | instskip(NEXT) | instid1(VALU_DEP_1)
	v_add_lshl_u32 v48, s15, v0, 2
	v_cmp_gt_u32_e32 vcc_lo, s7, v48
	s_and_b32 exec_lo, exec_lo, vcc_lo
	s_cbranch_execz .LBB230_72
; %bb.11:
	s_clause 0x1
	s_load_b128 s[8:11], s[0:1], 0x28
	s_load_b64 s[12:13], s[0:1], 0x18
	s_cmp_lg_u32 s4, 0
	v_mbcnt_lo_u32_b32 v3, -1, 0
	s_cselect_b32 s1, -1, 0
	s_add_i32 s14, s4, -8
	s_add_i32 s15, s7, -1
	v_cmp_eq_u32_e64 s0, 31, v1
	v_lshlrev_b32_e32 v68, 4, v1
	v_xor_b32_e32 v1, 16, v3
	s_waitcnt lgkmcnt(0)
	v_cvt_f32_u32_e32 v2, s2
	s_mul_i32 s16, s16, s17
	v_mov_b32_e32 v50, 0
	v_cmp_gt_i32_e32 vcc_lo, 32, v1
	s_delay_alu instid0(VALU_DEP_3)
	v_rcp_iflag_f32_e32 v2, v2
	v_cndmask_b32_e32 v1, v3, v1, vcc_lo
	s_cmp_lg_u64 s[8:9], 0
	s_cselect_b32 s18, -1, 0
	s_abs_i32 s19, s3
	s_lshl_b32 s16, s16, 2
	v_cvt_f32_u32_e32 v0, s19
	s_sub_i32 s20, 0, s19
	s_waitcnt_depctr 0xfff
	v_dual_mul_f32 v2, 0x4f7ffffe, v2 :: v_dual_lshlrev_b32 v69, 2, v1
	s_sub_i32 s21, 0, s2
	v_rcp_iflag_f32_e32 v0, v0
	s_sub_i32 s22, 1, s19
	s_mov_b32 s3, 0
	s_waitcnt_depctr 0xfff
	v_mul_f32_e32 v0, 0x4f7ffffe, v0
	s_delay_alu instid0(VALU_DEP_1) | instskip(NEXT) | instid1(VALU_DEP_1)
	v_cvt_u32_f32_e32 v0, v0
	v_readfirstlane_b32 s17, v0
	v_cvt_u32_f32_e32 v0, v2
	s_delay_alu instid0(VALU_DEP_2) | instskip(NEXT) | instid1(VALU_DEP_1)
	s_mul_i32 s20, s20, s17
	v_mul_lo_u32 v2, s21, v0
	s_mul_hi_u32 s20, s17, s20
	s_delay_alu instid0(SALU_CYCLE_1) | instskip(SKIP_2) | instid1(SALU_CYCLE_1)
	s_add_i32 s17, s17, s20
	s_cmp_lt_u32 s19, 2
	s_cselect_b32 s20, s22, 1
	s_sub_i32 s21, s20, s19
	s_cmp_ge_u32 s20, s19
	s_delay_alu instid0(VALU_DEP_1) | instskip(SKIP_2) | instid1(SALU_CYCLE_1)
	v_mul_hi_u32 v2, v0, v2
	s_cselect_b32 s20, s21, s20
	s_lshr_b32 s17, s17, 31
	s_mul_i32 s17, s17, s19
	s_delay_alu instid0(SALU_CYCLE_1) | instskip(NEXT) | instid1(SALU_CYCLE_1)
	s_sub_i32 s17, 2, s17
	s_sub_i32 s21, s17, s19
	s_cmp_ge_u32 s17, s19
	s_delay_alu instid0(VALU_DEP_1)
	v_add_nc_u32_e32 v70, v0, v2
	s_cselect_b32 s21, s21, s17
	s_mul_i32 s17, s20, s2
	s_sub_i32 s22, s21, s19
	s_cmp_ge_u32 s21, s19
	s_cselect_b32 s20, s22, s21
	s_lshl_b32 s19, s6, 2
	s_mul_i32 s20, s20, s2
	s_lshl_b32 s6, s6, 1
	s_branch .LBB230_14
.LBB230_12:                             ;   in Loop: Header=BB230_14 Depth=1
	s_or_b32 exec_lo, exec_lo, s22
	v_add_nc_u32_e32 v49, 3, v49
	s_delay_alu instid0(VALU_DEP_1) | instskip(NEXT) | instid1(VALU_DEP_1)
	v_lshlrev_b64 v[1:2], 1, v[49:50]
	v_add_co_u32 v1, vcc_lo, s10, v1
	s_delay_alu instid0(VALU_DEP_2)
	v_add_co_ci_u32_e32 v2, vcc_lo, s11, v2, vcc_lo
	global_store_d16_hi_b16 v[1:2], v0, off
.LBB230_13:                             ;   in Loop: Header=BB230_14 Depth=1
	s_or_b32 exec_lo, exec_lo, s21
	v_add_nc_u32_e32 v48, s16, v48
	s_delay_alu instid0(VALU_DEP_1) | instskip(SKIP_1) | instid1(SALU_CYCLE_1)
	v_cmp_le_u32_e32 vcc_lo, s7, v48
	s_or_b32 s3, vcc_lo, s3
	s_and_not1_b32 exec_lo, exec_lo, s3
	s_cbranch_execz .LBB230_72
.LBB230_14:                             ; =>This Loop Header: Depth=1
                                        ;     Child Loop BB230_18 Depth 2
	v_mov_b32_e32 v72, v50
	v_mov_b32_e32 v73, v50
	;; [unrolled: 1-line block ×12, first 2 shown]
	s_and_not1_b32 vcc_lo, exec_lo, s1
	s_cbranch_vccnz .LBB230_21
; %bb.15:                               ;   in Loop: Header=BB230_14 Depth=1
	v_or_b32_e32 v0, 1, v48
	s_waitcnt lgkmcnt(9)
	v_or_b32_e32 v1, 2, v48
	v_or_b32_e32 v2, 3, v48
	s_waitcnt lgkmcnt(0)
	v_min_u32_e32 v3, s15, v48
	v_dual_mov_b32 v5, v50 :: v_dual_mov_b32 v80, 0
	v_min_u32_e32 v0, s15, v0
	v_min_u32_e32 v1, s15, v1
	;; [unrolled: 1-line block ×3, first 2 shown]
	v_mul_lo_u32 v49, v3, s5
	v_dual_mov_b32 v3, v50 :: v_dual_mov_b32 v82, 0
	v_mul_lo_u32 v0, v0, s5
	v_mul_lo_u32 v2, v1, s5
	;; [unrolled: 1-line block ×3, first 2 shown]
	v_dual_mov_b32 v1, v50 :: v_dual_mov_b32 v78, 0
	v_lshlrev_b64 v[51:52], 1, v[49:50]
	v_dual_mov_b32 v71, v68 :: v_dual_mov_b32 v76, 0
	s_delay_alu instid0(VALU_DEP_3)
	v_lshlrev_b64 v[53:54], 1, v[0:1]
	v_lshlrev_b64 v[55:56], 1, v[2:3]
	;; [unrolled: 1-line block ×3, first 2 shown]
	v_dual_mov_b32 v83, 0 :: v_dual_mov_b32 v74, 0
	v_dual_mov_b32 v81, 0 :: v_dual_mov_b32 v72, 0
	v_mov_b32_e32 v79, 0
	v_mov_b32_e32 v77, 0
	;; [unrolled: 1-line block ×4, first 2 shown]
	s_mov_b32 s21, 0
	s_branch .LBB230_18
.LBB230_16:                             ;   in Loop: Header=BB230_18 Depth=2
	s_or_b32 exec_lo, exec_lo, s23
.LBB230_17:                             ;   in Loop: Header=BB230_18 Depth=2
	s_delay_alu instid0(SALU_CYCLE_1)
	s_or_b32 exec_lo, exec_lo, s22
	s_waitcnt lgkmcnt(1)
	v_and_b32_e32 v89, 0xffff0000, v46
	s_waitcnt vmcnt(7)
	v_and_b32_e32 v90, 0xffff0000, v42
	v_and_b32_e32 v84, 0xffff0000, v40
	;; [unrolled: 1-line block ×3, first 2 shown]
	v_lshlrev_b32_e32 v42, 16, v42
	s_delay_alu instid0(VALU_DEP_4)
	v_dual_mul_f32 v91, v89, v90 :: v_dual_and_b32 v92, 0xffff0000, v43
	v_and_b32_e32 v86, 0xffff0000, v41
	v_and_b32_e32 v49, 0xffff0000, v44
	v_lshlrev_b32_e32 v46, 16, v46
	v_lshlrev_b32_e32 v44, 16, v44
	s_waitcnt vmcnt(6)
	v_and_b32_e32 v94, 0xffff0000, v37
	v_mul_f32_e32 v88, v85, v86
	v_lshlrev_b32_e32 v40, 16, v40
	v_mul_f32_e32 v87, v49, v84
	v_dual_fmac_f32 v91, v46, v42 :: v_dual_and_b32 v98, 0xffff0000, v39
	v_lshlrev_b32_e32 v43, 16, v43
	v_add_nc_u32_e32 v71, 0x400, v71
	s_delay_alu instid0(VALU_DEP_4) | instskip(SKIP_1) | instid1(SALU_CYCLE_1)
	v_fmac_f32_e32 v87, v44, v40
	s_addk_i32 s21, 0x200
	s_cmp_ge_u32 s21, s4
	s_delay_alu instid0(VALU_DEP_1) | instskip(SKIP_1) | instid1(VALU_DEP_1)
	v_dual_add_f32 v78, v78, v87 :: v_dual_lshlrev_b32 v45, 16, v45
	v_dual_mul_f32 v96, v85, v94 :: v_dual_lshlrev_b32 v41, 16, v41
	v_fmac_f32_e32 v88, v45, v41
	s_delay_alu instid0(VALU_DEP_1) | instskip(SKIP_2) | instid1(VALU_DEP_3)
	v_add_f32_e32 v78, v78, v88
	v_and_b32_e32 v87, 0xffff0000, v36
	v_lshlrev_b32_e32 v36, 16, v36
	v_add_f32_e32 v78, v78, v91
	s_delay_alu instid0(VALU_DEP_3) | instskip(SKIP_1) | instid1(VALU_DEP_2)
	v_mul_f32_e32 v93, v49, v87
	v_lshlrev_b32_e32 v37, 16, v37
	v_dual_fmac_f32 v93, v44, v36 :: v_dual_and_b32 v88, 0xffff0000, v47
	s_delay_alu instid0(VALU_DEP_2) | instskip(NEXT) | instid1(VALU_DEP_2)
	v_dual_fmac_f32 v96, v45, v37 :: v_dual_lshlrev_b32 v47, 16, v47
	v_dual_add_f32 v83, v83, v93 :: v_dual_mul_f32 v100, v88, v98
	s_waitcnt vmcnt(4)
	v_and_b32_e32 v102, 0xffff0000, v29
	v_lshlrev_b32_e32 v39, 16, v39
	v_and_b32_e32 v93, 0xffff0000, v32
	v_add_f32_e32 v83, v83, v96
	v_mul_f32_e32 v95, v88, v92
	s_delay_alu instid0(VALU_DEP_4) | instskip(NEXT) | instid1(VALU_DEP_2)
	v_dual_fmac_f32 v100, v47, v39 :: v_dual_lshlrev_b32 v29, 16, v29
	v_dual_fmac_f32 v95, v47, v43 :: v_dual_lshlrev_b32 v32, 16, v32
	s_delay_alu instid0(VALU_DEP_1) | instskip(NEXT) | instid1(VALU_DEP_1)
	v_dual_add_f32 v78, v78, v95 :: v_dual_mul_f32 v95, v49, v93
	v_dual_fmac_f32 v95, v44, v32 :: v_dual_and_b32 v96, 0xffff0000, v33
	v_and_b32_e32 v91, 0xffff0000, v38
	s_delay_alu instid0(VALU_DEP_2) | instskip(NEXT) | instid1(VALU_DEP_3)
	v_dual_mul_f32 v99, v85, v96 :: v_dual_lshlrev_b32 v38, 16, v38
	v_add_f32_e32 v82, v82, v95
	s_delay_alu instid0(VALU_DEP_3) | instskip(SKIP_1) | instid1(VALU_DEP_2)
	v_mul_f32_e32 v97, v89, v91
	v_lshlrev_b32_e32 v33, 16, v33
	v_fmac_f32_e32 v97, v46, v38
	s_delay_alu instid0(VALU_DEP_2) | instskip(NEXT) | instid1(VALU_DEP_2)
	v_fmac_f32_e32 v99, v45, v33
	v_add_f32_e32 v83, v83, v97
	v_and_b32_e32 v97, 0xffff0000, v28
	v_lshlrev_b32_e32 v28, 16, v28
	s_delay_alu instid0(VALU_DEP_4) | instskip(SKIP_3) | instid1(VALU_DEP_2)
	v_add_f32_e32 v82, v82, v99
	v_and_b32_e32 v99, 0xffff0000, v35
	v_and_b32_e32 v95, 0xffff0000, v34
	v_dual_mul_f32 v49, v49, v97 :: v_dual_lshlrev_b32 v34, 16, v34
	v_mul_f32_e32 v101, v89, v95
	s_delay_alu instid0(VALU_DEP_2) | instskip(NEXT) | instid1(VALU_DEP_1)
	v_fmac_f32_e32 v49, v44, v28
	v_dual_add_f32 v49, v80, v49 :: v_dual_add_f32 v80, v83, v100
	v_dual_mul_f32 v103, v88, v99 :: v_dual_mul_f32 v44, v85, v102
	v_and_b32_e32 v85, 0xffff0000, v30
	v_lshlrev_b32_e32 v30, 16, v30
	s_delay_alu instid0(VALU_DEP_3) | instskip(NEXT) | instid1(VALU_DEP_3)
	v_fmac_f32_e32 v44, v45, v29
	v_mul_f32_e32 v45, v89, v85
	v_fmac_f32_e32 v101, v46, v34
	v_and_b32_e32 v89, 0xffff0000, v25
	v_lshlrev_b32_e32 v25, 16, v25
	v_and_b32_e32 v83, 0xffff0000, v24
	v_dual_fmac_f32 v45, v46, v30 :: v_dual_and_b32 v46, 0xffff0000, v31
	v_lshlrev_b32_e32 v35, 16, v35
	v_lshlrev_b32_e32 v31, 16, v31
	v_lshlrev_b32_e32 v24, 16, v24
	s_delay_alu instid0(VALU_DEP_3) | instskip(NEXT) | instid1(VALU_DEP_1)
	v_dual_mul_f32 v88, v88, v46 :: v_dual_fmac_f32 v103, v47, v35
	v_dual_fmac_f32 v88, v47, v31 :: v_dual_and_b32 v47, 0xffff0000, v26
	v_lshlrev_b32_e32 v26, 16, v26
	v_add_f32_e32 v44, v49, v44
	v_add_f32_e32 v82, v82, v101
	s_delay_alu instid0(VALU_DEP_4) | instskip(NEXT) | instid1(VALU_DEP_3)
	v_mul_f32_e32 v100, v47, v90
	v_add_f32_e32 v44, v44, v45
	s_delay_alu instid0(VALU_DEP_3) | instskip(NEXT) | instid1(VALU_DEP_3)
	v_add_f32_e32 v82, v82, v103
	v_fmac_f32_e32 v100, v26, v42
	s_delay_alu instid0(VALU_DEP_3) | instskip(SKIP_2) | instid1(VALU_DEP_2)
	v_add_f32_e32 v44, v44, v88
	v_dual_mul_f32 v88, v89, v94 :: v_dual_mul_f32 v49, v83, v84
	v_mul_f32_e32 v101, v83, v93
	v_dual_fmac_f32 v88, v25, v37 :: v_dual_fmac_f32 v49, v24, v40
	s_delay_alu instid0(VALU_DEP_2) | instskip(NEXT) | instid1(VALU_DEP_2)
	v_fmac_f32_e32 v101, v24, v32
	v_add_f32_e32 v49, v81, v49
	v_mul_f32_e32 v81, v83, v87
	v_mul_f32_e32 v83, v83, v97
	s_delay_alu instid0(VALU_DEP_2) | instskip(NEXT) | instid1(VALU_DEP_2)
	v_fmac_f32_e32 v81, v24, v36
	v_fmac_f32_e32 v83, v24, v28
	s_delay_alu instid0(VALU_DEP_1) | instskip(SKIP_2) | instid1(VALU_DEP_3)
	v_dual_add_f32 v79, v79, v81 :: v_dual_add_f32 v76, v76, v83
	v_mul_f32_e32 v81, v47, v91
	v_and_b32_e32 v83, 0xffff0000, v65
	v_add_f32_e32 v79, v79, v88
	s_delay_alu instid0(VALU_DEP_3) | instskip(NEXT) | instid1(VALU_DEP_1)
	v_fmac_f32_e32 v81, v26, v38
	v_add_f32_e32 v79, v79, v81
	v_mul_f32_e32 v45, v89, v86
	s_delay_alu instid0(VALU_DEP_1) | instskip(NEXT) | instid1(VALU_DEP_1)
	v_fmac_f32_e32 v45, v25, v41
	v_add_f32_e32 v45, v49, v45
	v_and_b32_e32 v49, 0xffff0000, v27
	v_lshlrev_b32_e32 v27, 16, v27
	s_delay_alu instid0(VALU_DEP_3) | instskip(NEXT) | instid1(VALU_DEP_3)
	v_add_f32_e32 v45, v45, v100
	v_dual_mul_f32 v81, v49, v98 :: v_dual_mul_f32 v100, v47, v95
	s_delay_alu instid0(VALU_DEP_1) | instskip(NEXT) | instid1(VALU_DEP_2)
	v_dual_mul_f32 v88, v89, v96 :: v_dual_fmac_f32 v81, v27, v39
	v_fmac_f32_e32 v100, v26, v34
	s_delay_alu instid0(VALU_DEP_2) | instskip(NEXT) | instid1(VALU_DEP_3)
	v_fmac_f32_e32 v88, v25, v33
	v_dual_add_f32 v24, v79, v81 :: v_dual_mul_f32 v79, v89, v102
	v_mul_f32_e32 v81, v49, v99
	s_delay_alu instid0(VALU_DEP_2) | instskip(SKIP_2) | instid1(VALU_DEP_3)
	v_fmac_f32_e32 v79, v25, v29
	v_mul_f32_e32 v25, v47, v85
	v_lshlrev_b32_e32 v47, 16, v65
	v_dual_mul_f32 v65, v83, v84 :: v_dual_add_f32 v76, v76, v79
	v_and_b32_e32 v79, 0xffff0000, v66
	s_delay_alu instid0(VALU_DEP_4)
	v_fmac_f32_e32 v25, v26, v30
	v_mul_f32_e32 v26, v49, v46
	v_mul_f32_e32 v103, v49, v92
	v_dual_fmac_f32 v65, v47, v40 :: v_dual_lshlrev_b32 v40, 16, v66
	s_waitcnt lgkmcnt(0)
	v_dual_mul_f32 v49, v79, v86 :: v_dual_and_b32 v66, 0xffff0000, v63
	v_add_f32_e32 v25, v76, v25
	s_delay_alu instid0(VALU_DEP_2) | instskip(SKIP_1) | instid1(VALU_DEP_4)
	v_fmac_f32_e32 v49, v40, v41
	v_lshlrev_b32_e32 v41, 16, v63
	v_mul_f32_e32 v63, v66, v90
	s_delay_alu instid0(VALU_DEP_1) | instskip(NEXT) | instid1(VALU_DEP_1)
	v_dual_fmac_f32 v63, v41, v42 :: v_dual_mul_f32 v42, v83, v87
	v_fmac_f32_e32 v42, v47, v36
	v_fmac_f32_e32 v81, v27, v35
	;; [unrolled: 1-line block ×4, first 2 shown]
	v_add_f32_e32 v27, v75, v65
	v_mul_f32_e32 v75, v83, v93
	v_mul_f32_e32 v36, v79, v94
	v_dual_add_f32 v25, v25, v26 :: v_dual_and_b32 v26, 0xffff0000, v64
	s_delay_alu instid0(VALU_DEP_4) | instskip(NEXT) | instid1(VALU_DEP_4)
	v_add_f32_e32 v27, v27, v49
	v_fmac_f32_e32 v75, v47, v32
	v_mul_f32_e32 v32, v79, v96
	v_lshlrev_b32_e32 v49, 16, v64
	v_mul_f32_e32 v64, v26, v92
	v_add_f32_e32 v42, v74, v42
	v_fmac_f32_e32 v36, v40, v37
	v_dual_fmac_f32 v32, v40, v33 :: v_dual_mul_f32 v33, v66, v95
	s_delay_alu instid0(VALU_DEP_4) | instskip(SKIP_1) | instid1(VALU_DEP_4)
	v_fmac_f32_e32 v64, v49, v43
	v_mul_f32_e32 v37, v66, v91
	v_dual_add_f32 v43, v73, v75 :: v_dual_add_f32 v36, v42, v36
	s_delay_alu instid0(VALU_DEP_4) | instskip(NEXT) | instid1(VALU_DEP_3)
	v_dual_fmac_f32 v33, v41, v34 :: v_dual_mul_f32 v34, v26, v99
	v_fmac_f32_e32 v37, v41, v38
	v_dual_mul_f32 v38, v26, v98 :: v_dual_add_f32 v77, v77, v101
	s_delay_alu instid0(VALU_DEP_4) | instskip(NEXT) | instid1(VALU_DEP_4)
	v_add_f32_e32 v32, v43, v32
	v_fmac_f32_e32 v34, v49, v35
	v_dual_add_f32 v45, v45, v103 :: v_dual_mul_f32 v42, v83, v97
	s_delay_alu instid0(VALU_DEP_3) | instskip(SKIP_1) | instid1(VALU_DEP_3)
	v_dual_add_f32 v77, v77, v88 :: v_dual_add_f32 v32, v32, v33
	v_dual_mul_f32 v33, v79, v102 :: v_dual_add_f32 v36, v36, v37
	v_fmac_f32_e32 v42, v47, v28
	s_delay_alu instid0(VALU_DEP_3) | instskip(NEXT) | instid1(VALU_DEP_3)
	v_dual_add_f32 v77, v77, v100 :: v_dual_add_f32 v32, v32, v34
	v_fmac_f32_e32 v33, v40, v29
	s_waitcnt vmcnt(1)
	s_delay_alu instid0(VALU_DEP_3) | instskip(SKIP_2) | instid1(VALU_DEP_3)
	v_dual_add_f32 v34, v72, v42 :: v_dual_and_b32 v47, 0xffff0000, v9
	v_and_b32_e32 v42, 0xffff0000, v12
	v_dual_mul_f32 v26, v26, v46 :: v_dual_lshlrev_b32 v9, 16, v9
	v_dual_add_f32 v33, v34, v33 :: v_dual_lshlrev_b32 v12, 16, v12
	v_and_b32_e32 v34, 0xffff0000, v21
	v_and_b32_e32 v35, 0xffff0000, v20
	v_dual_mul_f32 v29, v66, v85 :: v_dual_lshlrev_b32 v20, 16, v20
	v_and_b32_e32 v75, 0xffff0000, v2
	v_lshlrev_b32_e32 v2, 16, v2
	s_delay_alu instid0(VALU_DEP_4) | instskip(SKIP_3) | instid1(VALU_DEP_4)
	v_mul_f32_e32 v46, v35, v42
	v_fmac_f32_e32 v38, v49, v39
	v_fmac_f32_e32 v29, v41, v30
	v_dual_fmac_f32 v26, v49, v31 :: v_dual_and_b32 v31, 0xffff0000, v13
	v_fmac_f32_e32 v46, v20, v12
	s_delay_alu instid0(VALU_DEP_4)
	v_add_f32_e32 v28, v36, v38
	v_and_b32_e32 v36, 0xffff0000, v16
	v_lshlrev_b32_e32 v16, 16, v16
	v_and_b32_e32 v38, 0xffff0000, v17
	v_lshlrev_b32_e32 v17, 16, v17
	v_add_f32_e32 v29, v33, v29
	v_mul_f32_e32 v37, v35, v36
	v_and_b32_e32 v33, 0xffff0000, v22
	v_dual_mul_f32 v30, v34, v38 :: v_dual_lshlrev_b32 v21, 16, v21
	s_delay_alu instid0(VALU_DEP_3) | instskip(SKIP_1) | instid1(VALU_DEP_3)
	v_dual_fmac_f32 v37, v20, v16 :: v_dual_lshlrev_b32 v22, 16, v22
	v_dual_add_f32 v26, v29, v26 :: v_dual_lshlrev_b32 v13, 16, v13
	v_fmac_f32_e32 v30, v21, v17
	s_delay_alu instid0(VALU_DEP_3) | instskip(NEXT) | instid1(VALU_DEP_1)
	v_add_f32_e32 v37, v78, v37
	v_dual_add_f32 v30, v37, v30 :: v_dual_and_b32 v37, 0xffff0000, v23
	v_lshlrev_b32_e32 v23, 16, v23
	v_and_b32_e32 v39, 0xffff0000, v18
	v_lshlrev_b32_e32 v18, 16, v18
	s_delay_alu instid0(VALU_DEP_2) | instskip(NEXT) | instid1(VALU_DEP_1)
	v_mul_f32_e32 v40, v33, v39
	v_dual_add_f32 v65, v77, v81 :: v_dual_fmac_f32 v40, v22, v18
	s_delay_alu instid0(VALU_DEP_1) | instskip(SKIP_2) | instid1(VALU_DEP_3)
	v_dual_add_f32 v30, v30, v40 :: v_dual_add_f32 v27, v27, v63
	v_and_b32_e32 v63, 0xffff0000, v10
	v_lshlrev_b32_e32 v10, 16, v10
	v_dual_mul_f32 v40, v34, v31 :: v_dual_add_f32 v27, v27, v64
	s_delay_alu instid0(VALU_DEP_3) | instskip(SKIP_1) | instid1(VALU_DEP_3)
	v_mul_f32_e32 v66, v33, v63
	v_and_b32_e32 v64, 0xffff0000, v15
	v_fmac_f32_e32 v40, v21, v13
	s_delay_alu instid0(VALU_DEP_3) | instskip(NEXT) | instid1(VALU_DEP_3)
	v_dual_fmac_f32 v66, v22, v10 :: v_dual_and_b32 v41, 0xffff0000, v19
	v_dual_mul_f32 v72, v37, v64 :: v_dual_lshlrev_b32 v19, 16, v19
	s_waitcnt vmcnt(0)
	v_and_b32_e32 v73, 0xffff0000, v6
	s_delay_alu instid0(VALU_DEP_3) | instskip(NEXT) | instid1(VALU_DEP_1)
	v_dual_mul_f32 v43, v37, v41 :: v_dual_lshlrev_b32 v6, 16, v6
	v_fmac_f32_e32 v43, v23, v19
	s_delay_alu instid0(VALU_DEP_1) | instskip(SKIP_1) | instid1(VALU_DEP_2)
	v_dual_add_f32 v78, v30, v43 :: v_dual_and_b32 v43, 0xffff0000, v14
	v_add_f32_e32 v30, v80, v46
	v_dual_mul_f32 v49, v33, v43 :: v_dual_lshlrev_b32 v14, 16, v14
	s_delay_alu instid0(VALU_DEP_2) | instskip(SKIP_1) | instid1(VALU_DEP_1)
	v_add_f32_e32 v30, v30, v40
	v_mul_f32_e32 v40, v34, v47
	v_dual_fmac_f32 v49, v22, v14 :: v_dual_fmac_f32 v40, v21, v9
	s_delay_alu instid0(VALU_DEP_1) | instskip(SKIP_4) | instid1(VALU_DEP_2)
	v_add_f32_e32 v30, v30, v49
	v_and_b32_e32 v49, 0xffff0000, v5
	v_lshlrev_b32_e32 v5, 16, v5
	v_and_b32_e32 v29, 0xffff0000, v8
	v_lshlrev_b32_e32 v8, 16, v8
	v_mul_f32_e32 v46, v35, v29
	s_delay_alu instid0(VALU_DEP_1) | instskip(NEXT) | instid1(VALU_DEP_1)
	v_fmac_f32_e32 v46, v20, v8
	v_add_f32_e32 v46, v82, v46
	s_delay_alu instid0(VALU_DEP_1) | instskip(SKIP_2) | instid1(VALU_DEP_3)
	v_add_f32_e32 v40, v46, v40
	v_and_b32_e32 v46, 0xffff0000, v4
	v_lshlrev_b32_e32 v4, 16, v4
	v_add_f32_e32 v40, v40, v66
	s_delay_alu instid0(VALU_DEP_3) | instskip(NEXT) | instid1(VALU_DEP_1)
	v_dual_mul_f32 v35, v35, v46 :: v_dual_and_b32 v66, 0xffff0000, v11
	v_dual_fmac_f32 v35, v20, v4 :: v_dual_mul_f32 v20, v34, v49
	s_delay_alu instid0(VALU_DEP_1) | instskip(SKIP_1) | instid1(VALU_DEP_3)
	v_dual_mul_f32 v34, v37, v66 :: v_dual_add_f32 v35, v44, v35
	v_and_b32_e32 v44, 0xffff0000, v0
	v_fmac_f32_e32 v20, v21, v5
	v_dual_mul_f32 v21, v33, v73 :: v_dual_lshlrev_b32 v0, 16, v0
	s_delay_alu instid0(VALU_DEP_2) | instskip(NEXT) | instid1(VALU_DEP_2)
	v_dual_add_f32 v20, v35, v20 :: v_dual_lshlrev_b32 v11, 16, v11
	v_dual_fmac_f32 v21, v22, v6 :: v_dual_and_b32 v22, 0xffff0000, v7
	s_delay_alu instid0(VALU_DEP_1) | instskip(NEXT) | instid1(VALU_DEP_2)
	v_dual_add_f32 v20, v20, v21 :: v_dual_lshlrev_b32 v7, 16, v7
	v_mul_f32_e32 v37, v37, v22
	s_delay_alu instid0(VALU_DEP_1) | instskip(NEXT) | instid1(VALU_DEP_1)
	v_fmac_f32_e32 v37, v23, v7
	v_dual_add_f32 v80, v20, v37 :: v_dual_lshlrev_b32 v15, 16, v15
	v_mul_f32_e32 v20, v44, v42
	s_delay_alu instid0(VALU_DEP_2) | instskip(NEXT) | instid1(VALU_DEP_2)
	v_fmac_f32_e32 v72, v23, v15
	v_dual_fmac_f32 v20, v0, v12 :: v_dual_and_b32 v35, 0xffff0000, v1
	s_delay_alu instid0(VALU_DEP_1) | instskip(NEXT) | instid1(VALU_DEP_3)
	v_add_f32_e32 v20, v24, v20
	v_dual_add_f32 v83, v30, v72 :: v_dual_mul_f32 v30, v44, v29
	v_fmac_f32_e32 v34, v23, v11
	s_delay_alu instid0(VALU_DEP_4) | instskip(SKIP_1) | instid1(VALU_DEP_4)
	v_mul_f32_e32 v37, v35, v47
	v_mul_f32_e32 v74, v35, v38
	v_fmac_f32_e32 v30, v0, v8
	s_delay_alu instid0(VALU_DEP_4) | instskip(SKIP_1) | instid1(VALU_DEP_3)
	v_add_f32_e32 v82, v40, v34
	v_dual_mul_f32 v40, v75, v63 :: v_dual_lshlrev_b32 v1, 16, v1
	v_add_f32_e32 v30, v65, v30
	s_delay_alu instid0(VALU_DEP_2) | instskip(SKIP_1) | instid1(VALU_DEP_2)
	v_dual_fmac_f32 v40, v2, v10 :: v_dual_fmac_f32 v37, v1, v9
	v_fmac_f32_e32 v74, v1, v17
	v_dual_add_f32 v30, v30, v37 :: v_dual_mul_f32 v33, v44, v36
	s_delay_alu instid0(VALU_DEP_1) | instskip(NEXT) | instid1(VALU_DEP_1)
	v_dual_mul_f32 v24, v75, v43 :: v_dual_fmac_f32 v33, v0, v16
	v_dual_fmac_f32 v24, v2, v14 :: v_dual_add_f32 v33, v45, v33
	v_mul_f32_e32 v45, v75, v39
	s_delay_alu instid0(VALU_DEP_2) | instskip(SKIP_1) | instid1(VALU_DEP_1)
	v_add_f32_e32 v21, v33, v74
	v_mul_f32_e32 v33, v35, v31
	v_fmac_f32_e32 v33, v1, v13
	s_delay_alu instid0(VALU_DEP_1) | instskip(NEXT) | instid1(VALU_DEP_1)
	v_add_f32_e32 v20, v20, v33
	v_add_f32_e32 v20, v20, v24
	;; [unrolled: 1-line block ×3, first 2 shown]
	v_mul_f32_e32 v30, v44, v46
	s_delay_alu instid0(VALU_DEP_1) | instskip(SKIP_2) | instid1(VALU_DEP_3)
	v_dual_fmac_f32 v45, v2, v18 :: v_dual_fmac_f32 v30, v0, v4
	v_dual_mul_f32 v0, v35, v49 :: v_dual_and_b32 v23, 0xffff0000, v3
	v_lshlrev_b32_e32 v3, 16, v3
	v_add_f32_e32 v25, v25, v30
	s_delay_alu instid0(VALU_DEP_3) | instskip(NEXT) | instid1(VALU_DEP_4)
	v_fmac_f32_e32 v0, v1, v5
	v_mul_f32_e32 v34, v23, v41
	v_mul_f32_e32 v1, v75, v73
	v_mul_f32_e32 v37, v23, v66
	v_and_b32_e32 v30, 0xffff0000, v62
	v_add_f32_e32 v0, v25, v0
	s_delay_alu instid0(VALU_DEP_4) | instskip(SKIP_3) | instid1(VALU_DEP_3)
	v_dual_fmac_f32 v34, v3, v19 :: v_dual_fmac_f32 v1, v2, v6
	v_mul_f32_e32 v33, v23, v64
	v_fmac_f32_e32 v37, v3, v11
	v_dual_mul_f32 v2, v23, v22 :: v_dual_and_b32 v25, 0xffff0000, v60
	v_dual_add_f32 v0, v0, v1 :: v_dual_fmac_f32 v33, v3, v15
	v_and_b32_e32 v1, 0xffff0000, v59
	s_delay_alu instid0(VALU_DEP_4) | instskip(NEXT) | instid1(VALU_DEP_3)
	v_add_f32_e32 v77, v24, v37
	v_add_f32_e32 v79, v20, v33
	v_and_b32_e32 v20, 0xffff0000, v61
	v_add_f32_e32 v21, v21, v45
	s_delay_alu instid0(VALU_DEP_2) | instskip(NEXT) | instid1(VALU_DEP_2)
	v_dual_mul_f32 v33, v30, v38 :: v_dual_mul_f32 v24, v20, v36
	v_add_f32_e32 v81, v21, v34
	v_lshlrev_b32_e32 v21, 16, v61
	s_delay_alu instid0(VALU_DEP_1) | instskip(SKIP_2) | instid1(VALU_DEP_3)
	v_fmac_f32_e32 v24, v21, v16
	v_lshlrev_b32_e32 v16, 16, v62
	v_fmac_f32_e32 v2, v3, v7
	v_add_f32_e32 v23, v27, v24
	s_delay_alu instid0(VALU_DEP_3) | instskip(SKIP_1) | instid1(VALU_DEP_1)
	v_fmac_f32_e32 v33, v16, v17
	v_mul_f32_e32 v17, v20, v42
	v_dual_add_f32 v76, v0, v2 :: v_dual_fmac_f32 v17, v21, v12
	s_delay_alu instid0(VALU_DEP_1) | instskip(NEXT) | instid1(VALU_DEP_1)
	v_dual_mul_f32 v12, v30, v31 :: v_dual_add_f32 v17, v28, v17
	v_dual_fmac_f32 v12, v16, v13 :: v_dual_mul_f32 v13, v1, v43
	s_delay_alu instid0(VALU_DEP_1) | instskip(NEXT) | instid1(VALU_DEP_1)
	v_dual_add_f32 v12, v17, v12 :: v_dual_mul_f32 v17, v20, v46
	v_dual_fmac_f32 v17, v21, v4 :: v_dual_mul_f32 v4, v30, v49
	s_delay_alu instid0(VALU_DEP_1) | instskip(NEXT) | instid1(VALU_DEP_2)
	v_add_f32_e32 v17, v26, v17
	v_fmac_f32_e32 v4, v16, v5
	v_add_f32_e32 v3, v23, v33
	s_delay_alu instid0(VALU_DEP_2) | instskip(NEXT) | instid1(VALU_DEP_1)
	v_dual_add_f32 v4, v17, v4 :: v_dual_lshlrev_b32 v23, 16, v59
	v_dual_fmac_f32 v13, v23, v14 :: v_dual_mul_f32 v14, v20, v29
	s_delay_alu instid0(VALU_DEP_1) | instskip(NEXT) | instid1(VALU_DEP_2)
	v_add_f32_e32 v12, v12, v13
	v_fmac_f32_e32 v14, v21, v8
	v_mul_f32_e32 v8, v30, v47
	s_delay_alu instid0(VALU_DEP_2) | instskip(SKIP_1) | instid1(VALU_DEP_3)
	v_add_f32_e32 v14, v32, v14
	v_mul_f32_e32 v24, v1, v39
	v_dual_fmac_f32 v8, v16, v9 :: v_dual_mul_f32 v9, v1, v63
	v_mul_f32_e32 v1, v1, v73
	s_delay_alu instid0(VALU_DEP_2) | instskip(NEXT) | instid1(VALU_DEP_2)
	v_dual_add_f32 v5, v14, v8 :: v_dual_mul_f32 v8, v25, v66
	v_fmac_f32_e32 v1, v23, v6
	v_mul_f32_e32 v6, v25, v22
	v_fmac_f32_e32 v24, v23, v18
	v_dual_fmac_f32 v9, v23, v10 :: v_dual_lshlrev_b32 v18, 16, v60
	s_delay_alu instid0(VALU_DEP_1) | instskip(SKIP_2) | instid1(VALU_DEP_4)
	v_dual_add_f32 v1, v4, v1 :: v_dual_fmac_f32 v8, v18, v11
	v_mul_f32_e32 v27, v25, v41
	v_mul_f32_e32 v13, v25, v64
	v_dual_add_f32 v5, v5, v9 :: v_dual_fmac_f32 v6, v18, v7
	s_delay_alu instid0(VALU_DEP_3) | instskip(NEXT) | instid1(VALU_DEP_3)
	v_fmac_f32_e32 v27, v18, v19
	v_fmac_f32_e32 v13, v18, v15
	v_add_f32_e32 v3, v3, v24
	s_delay_alu instid0(VALU_DEP_4) | instskip(SKIP_1) | instid1(VALU_DEP_3)
	v_add_f32_e32 v73, v5, v8
	v_add_f32_e32 v72, v1, v6
	v_dual_add_f32 v74, v12, v13 :: v_dual_add_f32 v75, v3, v27
	s_cbranch_scc1 .LBB230_21
.LBB230_18:                             ;   Parent Loop BB230_14 Depth=1
                                        ; =>  This Inner Loop Header: Depth=2
	v_dual_mov_b32 v59, 0 :: v_dual_add_nc_u32 v22, s21, v67
	v_mov_b32_e32 v60, 0
	v_mov_b32_e32 v62, 0
	v_dual_mov_b32 v64, 0 :: v_dual_mov_b32 v27, 0
	s_delay_alu instid0(VALU_DEP_4) | instskip(SKIP_2) | instid1(VALU_DEP_3)
	v_min_u32_e32 v49, s14, v22
	v_dual_mov_b32 v61, 0 :: v_dual_add_nc_u32 v84, 0x100, v22
	v_dual_mov_b32 v66, 0 :: v_dual_mov_b32 v25, 0
	v_lshlrev_b64 v[0:1], 1, v[49:50]
	s_delay_alu instid0(VALU_DEP_3) | instskip(SKIP_2) | instid1(VALU_DEP_4)
	v_min_u32_e32 v49, s14, v84
	v_dual_mov_b32 v26, 0 :: v_dual_mov_b32 v47, 0
	v_dual_mov_b32 v24, 0 :: v_dual_mov_b32 v45, 0
	v_add_co_u32 v8, vcc_lo, s12, v0
	v_add_co_ci_u32_e32 v9, vcc_lo, s13, v1, vcc_lo
	v_lshlrev_b64 v[0:1], 1, v[49:50]
	s_delay_alu instid0(VALU_DEP_3) | instskip(NEXT) | instid1(VALU_DEP_3)
	v_add_co_u32 v2, vcc_lo, v8, v51
	v_add_co_ci_u32_e32 v3, vcc_lo, v9, v52, vcc_lo
	v_add_co_u32 v4, vcc_lo, v8, v53
	v_add_co_ci_u32_e32 v5, vcc_lo, v9, v54, vcc_lo
	;; [unrolled: 2-line block ×5, first 2 shown]
	s_clause 0x1
	global_load_b128 v[40:43], v[2:3], off slc dlc
	global_load_b128 v[36:39], v[4:5], off slc dlc
	v_add_co_u32 v2, vcc_lo, v10, v51
	v_add_co_ci_u32_e32 v3, vcc_lo, v11, v52, vcc_lo
	v_add_co_u32 v4, vcc_lo, v10, v53
	v_add_co_ci_u32_e32 v5, vcc_lo, v11, v54, vcc_lo
	;; [unrolled: 2-line block ×4, first 2 shown]
	s_clause 0x5
	global_load_b128 v[32:35], v[6:7], off slc dlc
	global_load_b128 v[28:31], v[0:1], off slc dlc
	global_load_b128 v[16:19], v[2:3], off slc dlc
	global_load_b128 v[12:15], v[4:5], off slc dlc
	global_load_b128 v[8:11], v[8:9], off slc dlc
	global_load_b128 v[4:7], v[20:21], off slc dlc
	v_cmp_gt_u32_e32 vcc_lo, s4, v22
	v_dual_mov_b32 v3, 0 :: v_dual_mov_b32 v2, 0
	v_mov_b32_e32 v23, 0
	v_dual_mov_b32 v1, 0 :: v_dual_mov_b32 v0, 0
	v_dual_mov_b32 v21, 0 :: v_dual_mov_b32 v22, 0
	;; [unrolled: 1-line block ×4, first 2 shown]
	v_mov_b32_e32 v44, 0
	s_and_saveexec_b32 s22, vcc_lo
	s_cbranch_execz .LBB230_17
; %bb.19:                               ;   in Loop: Header=BB230_18 Depth=2
	v_dual_mov_b32 v20, 0 :: v_dual_add_nc_u32 v85, s6, v71
	v_dual_mov_b32 v22, 0 :: v_dual_add_nc_u32 v49, s19, v71
	v_dual_mov_b32 v21, 0 :: v_dual_mov_b32 v0, 0
	ds_load_b128 v[24:27], v85
	ds_load_2addr_b32 v[65:66], v49 offset1:1
	ds_load_b128 v[44:47], v71
	ds_load_2addr_b32 v[63:64], v49 offset0:2 offset1:3
	v_dual_mov_b32 v23, 0 :: v_dual_mov_b32 v2, 0
	v_dual_mov_b32 v1, 0 :: v_dual_mov_b32 v62, 0
	;; [unrolled: 1-line block ×3, first 2 shown]
	v_mov_b32_e32 v61, 0
	v_mov_b32_e32 v59, 0
	s_mov_b32 s23, exec_lo
	v_cmpx_gt_u32_e64 s4, v84
	s_cbranch_execz .LBB230_16
; %bb.20:                               ;   in Loop: Header=BB230_18 Depth=2
	ds_load_b128 v[0:3], v85 offset:512
	ds_load_2addr_b32 v[61:62], v49 offset0:128 offset1:129
	ds_load_b128 v[20:23], v71 offset:512
	ds_load_2addr_b32 v[59:60], v49 offset0:130 offset1:131
	s_branch .LBB230_16
.LBB230_21:                             ;   in Loop: Header=BB230_14 Depth=1
	; sched_barrier mask(0x00000000)
	s_delay_alu instid0(VALU_DEP_1)
	v_cvt_i32_f32_e32 v0, v78
	s_waitcnt lgkmcnt(9)
	v_cvt_i32_f32_e32 v1, v83
	v_cvt_i32_f32_e32 v2, v82
	s_waitcnt lgkmcnt(0)
	v_cvt_i32_f32_e32 v3, v80
	v_cvt_i32_f32_e32 v4, v81
	v_cvt_f32_i32_dpp v0, v0 row_shr:8 row_mask:0xf bank_mask:0xf bound_ctrl:1
	v_cvt_f32_i32_dpp v1, v1 row_shr:8 row_mask:0xf bank_mask:0xf bound_ctrl:1
	;; [unrolled: 1-line block ×4, first 2 shown]
	v_cvt_i32_f32_e32 v5, v79
	s_delay_alu instid0(VALU_DEP_4) | instskip(SKIP_1) | instid1(VALU_DEP_4)
	v_dual_add_f32 v0, v78, v0 :: v_dual_add_f32 v1, v83, v1
	v_cvt_i32_f32_e32 v6, v77
	v_dual_add_f32 v2, v82, v2 :: v_dual_add_f32 v3, v80, v3
	s_delay_alu instid0(VALU_DEP_3) | instskip(NEXT) | instid1(VALU_DEP_4)
	v_cvt_i32_f32_e32 v7, v0
	v_cvt_i32_f32_e32 v8, v1
	v_cvt_f32_i32_dpp v4, v4 row_shr:8 row_mask:0xf bank_mask:0xf bound_ctrl:1
	v_cvt_f32_i32_dpp v5, v5 row_shr:8 row_mask:0xf bank_mask:0xf bound_ctrl:1
	;; [unrolled: 1-line block ×5, first 2 shown]
	s_delay_alu instid0(VALU_DEP_4) | instskip(NEXT) | instid1(VALU_DEP_2)
	v_dual_add_f32 v4, v81, v4 :: v_dual_add_f32 v5, v79, v5
	v_dual_add_f32 v0, v0, v7 :: v_dual_add_f32 v1, v1, v8
	v_cvt_i32_f32_e32 v8, v3
	v_cvt_i32_f32_e32 v7, v2
	s_delay_alu instid0(VALU_DEP_4) | instskip(NEXT) | instid1(VALU_DEP_4)
	v_cvt_i32_f32_e32 v12, v5
	v_cvt_i32_f32_e32 v9, v0
	;; [unrolled: 1-line block ×3, first 2 shown]
	v_cvt_f32_i32_dpp v8, v8 row_shr:4 row_mask:0xf bank_mask:0xf bound_ctrl:1
	v_add_f32_e32 v6, v77, v6
	v_cvt_f32_i32_dpp v7, v7 row_shr:4 row_mask:0xf bank_mask:0xf bound_ctrl:1
	v_cvt_f32_i32_dpp v9, v9 row_shr:2 row_mask:0xf bank_mask:0xf bound_ctrl:1
	;; [unrolled: 1-line block ×3, first 2 shown]
	v_add_f32_e32 v3, v3, v8
	v_cvt_i32_f32_e32 v13, v6
	v_cvt_i32_f32_e32 v11, v4
	s_delay_alu instid0(VALU_DEP_4) | instskip(SKIP_1) | instid1(VALU_DEP_4)
	v_dual_add_f32 v0, v0, v9 :: v_dual_add_f32 v1, v1, v10
	v_cvt_f32_i32_dpp v9, v12 row_shr:4 row_mask:0xf bank_mask:0xf bound_ctrl:1
	v_cvt_f32_i32_dpp v10, v13 row_shr:4 row_mask:0xf bank_mask:0xf bound_ctrl:1
	v_add_f32_e32 v2, v2, v7
	s_delay_alu instid0(VALU_DEP_4)
	v_cvt_i32_f32_e32 v7, v0
	v_cvt_i32_f32_e32 v12, v1
	v_add_f32_e32 v5, v5, v9
	v_cvt_f32_i32_dpp v11, v11 row_shr:4 row_mask:0xf bank_mask:0xf bound_ctrl:1
	v_cvt_i32_f32_e32 v9, v2
	v_cvt_f32_i32_dpp v7, v7 row_shr:1 row_mask:0xf bank_mask:0xf bound_ctrl:1
	v_cvt_f32_i32_dpp v8, v12 row_shr:1 row_mask:0xf bank_mask:0xf bound_ctrl:1
	v_add_f32_e32 v6, v6, v10
	v_cvt_i32_f32_e32 v10, v3
	v_cvt_f32_i32_dpp v9, v9 row_shr:2 row_mask:0xf bank_mask:0xf bound_ctrl:1
	s_delay_alu instid0(VALU_DEP_4) | instskip(SKIP_1) | instid1(VALU_DEP_4)
	v_dual_add_f32 v25, v0, v7 :: v_dual_add_f32 v0, v1, v8
	v_cvt_i32_f32_e32 v8, v5
	v_cvt_f32_i32_dpp v10, v10 row_shr:2 row_mask:0xf bank_mask:0xf bound_ctrl:1
	v_add_f32_e32 v4, v4, v11
	v_cvt_i32_f32_e32 v11, v6
	ds_bpermute_b32 v26, v69, v25
	v_cvt_f32_i32_dpp v8, v8 row_shr:2 row_mask:0xf bank_mask:0xf bound_ctrl:1
	v_add_f32_e32 v3, v3, v10
	v_cvt_i32_f32_e32 v7, v4
	v_add_f32_e32 v2, v2, v9
	v_cvt_f32_i32_dpp v11, v11 row_shr:2 row_mask:0xf bank_mask:0xf bound_ctrl:1
	v_add_f32_e32 v5, v5, v8
	v_cvt_i32_f32_e32 v8, v3
	v_cvt_f32_i32_dpp v7, v7 row_shr:2 row_mask:0xf bank_mask:0xf bound_ctrl:1
	s_delay_alu instid0(VALU_DEP_3) | instskip(NEXT) | instid1(VALU_DEP_3)
	v_cvt_i32_f32_e32 v10, v5
	v_cvt_f32_i32_dpp v8, v8 row_shr:1 row_mask:0xf bank_mask:0xf bound_ctrl:1
	s_delay_alu instid0(VALU_DEP_3) | instskip(SKIP_1) | instid1(VALU_DEP_4)
	v_add_f32_e32 v4, v4, v7
	v_cvt_i32_f32_e32 v7, v2
	v_cvt_f32_i32_dpp v10, v10 row_shr:1 row_mask:0xf bank_mask:0xf bound_ctrl:1
	s_delay_alu instid0(VALU_DEP_4) | instskip(SKIP_1) | instid1(VALU_DEP_4)
	v_add_f32_e32 v19, v3, v8
	v_cvt_i32_f32_e32 v3, v75
	v_cvt_f32_i32_dpp v7, v7 row_shr:1 row_mask:0xf bank_mask:0xf bound_ctrl:1
	v_cvt_i32_f32_e32 v9, v4
	v_add_f32_e32 v12, v5, v10
	v_cvt_i32_f32_e32 v5, v73
	v_cvt_f32_i32_dpp v3, v3 row_shr:8 row_mask:0xf bank_mask:0xf bound_ctrl:1
	ds_bpermute_b32 v20, v69, v19
	v_cvt_f32_i32_dpp v9, v9 row_shr:1 row_mask:0xf bank_mask:0xf bound_ctrl:1
	v_cvt_f32_i32_dpp v5, v5 row_shr:8 row_mask:0xf bank_mask:0xf bound_ctrl:1
	v_add_f32_e32 v3, v75, v3
	v_add_f32_e32 v6, v6, v11
	ds_bpermute_b32 v1, v69, v0
	v_add_f32_e32 v5, v73, v5
	v_cvt_i32_f32_e32 v10, v3
	v_cvt_i32_f32_e32 v11, v6
	s_delay_alu instid0(VALU_DEP_3) | instskip(NEXT) | instid1(VALU_DEP_3)
	v_cvt_i32_f32_e32 v14, v5
	v_cvt_f32_i32_dpp v10, v10 row_shr:4 row_mask:0xf bank_mask:0xf bound_ctrl:1
	v_add_f32_e32 v22, v2, v7
	s_delay_alu instid0(VALU_DEP_4) | instskip(SKIP_4) | instid1(VALU_DEP_4)
	v_cvt_f32_i32_dpp v11, v11 row_shr:1 row_mask:0xf bank_mask:0xf bound_ctrl:1
	v_cvt_i32_f32_e32 v2, v76
	v_cvt_f32_i32_dpp v14, v14 row_shr:4 row_mask:0xf bank_mask:0xf bound_ctrl:1
	v_dual_add_f32 v3, v3, v10 :: v_dual_add_f32 v16, v4, v9
	v_cvt_i32_f32_e32 v4, v74
	v_cvt_f32_i32_dpp v2, v2 row_shr:8 row_mask:0xf bank_mask:0xf bound_ctrl:1
	s_delay_alu instid0(VALU_DEP_4) | instskip(NEXT) | instid1(VALU_DEP_4)
	v_add_f32_e32 v5, v5, v14
	v_cvt_i32_f32_e32 v10, v3
	ds_bpermute_b32 v23, v69, v22
	v_cvt_f32_i32_dpp v4, v4 row_shr:8 row_mask:0xf bank_mask:0xf bound_ctrl:1
	v_add_f32_e32 v2, v76, v2
	v_cvt_i32_f32_e32 v14, v5
	v_cvt_f32_i32_dpp v10, v10 row_shr:2 row_mask:0xf bank_mask:0xf bound_ctrl:1
	v_add_f32_e32 v8, v6, v11
	v_cvt_i32_f32_e32 v6, v72
	v_cvt_i32_f32_e32 v7, v2
	v_cvt_f32_i32_dpp v14, v14 row_shr:2 row_mask:0xf bank_mask:0xf bound_ctrl:1
	v_dual_add_f32 v3, v3, v10 :: v_dual_add_f32 v4, v74, v4
	s_delay_alu instid0(VALU_DEP_4) | instskip(NEXT) | instid1(VALU_DEP_4)
	v_cvt_f32_i32_dpp v6, v6 row_shr:8 row_mask:0xf bank_mask:0xf bound_ctrl:1
	v_cvt_f32_i32_dpp v7, v7 row_shr:4 row_mask:0xf bank_mask:0xf bound_ctrl:1
	s_delay_alu instid0(VALU_DEP_4) | instskip(NEXT) | instid1(VALU_DEP_4)
	v_add_f32_e32 v5, v5, v14
	v_cvt_i32_f32_e32 v10, v3
	v_cvt_i32_f32_e32 v11, v4
	v_add_f32_e32 v6, v72, v6
	v_add_f32_e32 v2, v2, v7
	v_cvt_i32_f32_e32 v14, v5
	v_cvt_f32_i32_dpp v10, v10 row_shr:1 row_mask:0xf bank_mask:0xf bound_ctrl:1
	v_cvt_f32_i32_dpp v11, v11 row_shr:4 row_mask:0xf bank_mask:0xf bound_ctrl:1
	v_cvt_i32_f32_e32 v15, v6
	v_cvt_i32_f32_e32 v7, v2
	v_cvt_f32_i32_dpp v18, v14 row_shr:1 row_mask:0xf bank_mask:0xf bound_ctrl:1
	v_add_f32_e32 v10, v3, v10
	v_add_f32_e32 v4, v4, v11
	v_cvt_f32_i32_dpp v15, v15 row_shr:4 row_mask:0xf bank_mask:0xf bound_ctrl:1
	v_cvt_f32_i32_dpp v7, v7 row_shr:2 row_mask:0xf bank_mask:0xf bound_ctrl:1
	ds_bpermute_b32 v17, v69, v16
	ds_bpermute_b32 v9, v69, v8
	v_cvt_i32_f32_e32 v11, v4
	v_add_f32_e32 v6, v6, v15
	v_add_f32_e32 v2, v2, v7
	s_delay_alu instid0(VALU_DEP_3) | instskip(NEXT) | instid1(VALU_DEP_3)
	v_cvt_f32_i32_dpp v11, v11 row_shr:2 row_mask:0xf bank_mask:0xf bound_ctrl:1
	v_cvt_i32_f32_e32 v15, v6
	s_delay_alu instid0(VALU_DEP_2) | instskip(NEXT) | instid1(VALU_DEP_2)
	v_add_f32_e32 v4, v4, v11
	v_cvt_f32_i32_dpp v15, v15 row_shr:2 row_mask:0xf bank_mask:0xf bound_ctrl:1
	s_delay_alu instid0(VALU_DEP_2) | instskip(NEXT) | instid1(VALU_DEP_2)
	v_cvt_i32_f32_e32 v11, v4
	v_add_f32_e32 v7, v6, v15
	v_cvt_i32_f32_e32 v6, v2
	ds_bpermute_b32 v13, v69, v12
	v_cvt_f32_i32_dpp v11, v11 row_shr:1 row_mask:0xf bank_mask:0xf bound_ctrl:1
	v_cvt_i32_f32_e32 v15, v7
	v_cvt_f32_i32_dpp v6, v6 row_shr:1 row_mask:0xf bank_mask:0xf bound_ctrl:1
	s_delay_alu instid0(VALU_DEP_2) | instskip(NEXT) | instid1(VALU_DEP_2)
	v_cvt_f32_i32_dpp v15, v15 row_shr:1 row_mask:0xf bank_mask:0xf bound_ctrl:1
	v_add_f32_e32 v14, v2, v6
	v_add_f32_e32 v6, v4, v11
	;; [unrolled: 1-line block ×3, first 2 shown]
	ds_bpermute_b32 v11, v69, v10
	v_add_f32_e32 v2, v7, v15
	ds_bpermute_b32 v15, v69, v14
	ds_bpermute_b32 v7, v69, v6
	;; [unrolled: 1-line block ×4, first 2 shown]
	s_and_saveexec_b32 s21, s0
	s_cbranch_execz .LBB230_13
; %bb.22:                               ;   in Loop: Header=BB230_14 Depth=1
	v_dual_mov_b32 v35, 0 :: v_dual_mov_b32 v34, 0
	v_dual_mov_b32 v33, 0 :: v_dual_mov_b32 v32, 0
	;; [unrolled: 1-line block ×6, first 2 shown]
	s_and_not1_b32 vcc_lo, exec_lo, s18
	s_cbranch_vccnz .LBB230_24
; %bb.23:                               ;   in Loop: Header=BB230_14 Depth=1
	v_mul_hi_u32 v18, v48, v70
	v_or_b32_e32 v21, 1, v48
	v_or_b32_e32 v24, 2, v48
	;; [unrolled: 1-line block ×3, first 2 shown]
	v_mov_b32_e32 v44, v50
	v_mov_b32_e32 v52, v50
	v_mul_hi_u32 v28, v21, v70
	v_mul_hi_u32 v29, v24, v70
	v_mul_lo_u32 v18, v18, s2
	v_mul_hi_u32 v30, v27, v70
	v_mov_b32_e32 v42, v50
	v_mul_lo_u32 v31, v28, s2
	v_mul_lo_u32 v29, v29, s2
	v_sub_nc_u32_e32 v18, v48, v18
	v_mul_lo_u32 v32, v30, s2
	s_delay_alu instid0(VALU_DEP_2) | instskip(SKIP_4) | instid1(VALU_DEP_4)
	v_subrev_nc_u32_e32 v33, s2, v18
	v_sub_nc_u32_e32 v21, v21, v31
	v_cmp_le_u32_e32 vcc_lo, s2, v18
	v_sub_nc_u32_e32 v24, v24, v29
	v_sub_nc_u32_e32 v27, v27, v32
	v_subrev_nc_u32_e32 v29, s2, v21
	v_cndmask_b32_e32 v18, v18, v33, vcc_lo
	v_cmp_le_u32_e32 vcc_lo, s2, v21
	v_mov_b32_e32 v28, v50
	v_subrev_nc_u32_e32 v31, s2, v24
	v_subrev_nc_u32_e32 v33, s2, v27
	;; [unrolled: 1-line block ×3, first 2 shown]
	v_cndmask_b32_e32 v21, v21, v29, vcc_lo
	v_cmp_le_u32_e32 vcc_lo, s2, v24
	v_cndmask_b32_e32 v24, v24, v31, vcc_lo
	v_cmp_le_u32_e32 vcc_lo, s2, v27
	v_dual_mov_b32 v30, v50 :: v_dual_cndmask_b32 v31, v27, v33
	v_cmp_le_u32_e32 vcc_lo, s2, v18
	v_subrev_nc_u32_e32 v27, s2, v21
	s_delay_alu instid0(VALU_DEP_3) | instskip(SKIP_3) | instid1(VALU_DEP_3)
	v_subrev_nc_u32_e32 v35, s2, v31
	v_cndmask_b32_e32 v49, v18, v34, vcc_lo
	v_cmp_le_u32_e32 vcc_lo, s2, v21
	v_subrev_nc_u32_e32 v18, s2, v24
	v_lshlrev_b64 v[33:34], 1, v[49:50]
	v_cndmask_b32_e32 v27, v21, v27, vcc_lo
	v_cmp_le_u32_e32 vcc_lo, s2, v24
	v_dual_mov_b32 v32, v50 :: v_dual_add_nc_u32 v41, s17, v49
	v_add_nc_u32_e32 v49, s20, v49
	s_delay_alu instid0(VALU_DEP_4) | instskip(SKIP_3) | instid1(VALU_DEP_3)
	v_add_nc_u32_e32 v43, s17, v27
	v_cndmask_b32_e32 v29, v24, v18, vcc_lo
	v_cmp_le_u32_e32 vcc_lo, s2, v31
	v_lshlrev_b64 v[41:42], 1, v[41:42]
	v_lshlrev_b64 v[37:38], 1, v[29:30]
	v_cndmask_b32_e32 v31, v31, v35, vcc_lo
	v_lshlrev_b64 v[35:36], 1, v[27:28]
	v_add_co_u32 v33, vcc_lo, s8, v33
	v_add_co_ci_u32_e32 v34, vcc_lo, s9, v34, vcc_lo
	s_delay_alu instid0(VALU_DEP_4) | instskip(NEXT) | instid1(VALU_DEP_4)
	v_add_nc_u32_e32 v51, s17, v31
	v_add_co_u32 v39, vcc_lo, s8, v35
	v_add_co_ci_u32_e32 v40, vcc_lo, s9, v36, vcc_lo
	v_lshlrev_b64 v[35:36], 1, v[31:32]
	v_add_co_u32 v37, vcc_lo, s8, v37
	v_add_co_ci_u32_e32 v38, vcc_lo, s9, v38, vcc_lo
	s_delay_alu instid0(VALU_DEP_3) | instskip(NEXT) | instid1(VALU_DEP_4)
	v_add_co_u32 v45, vcc_lo, s8, v35
	v_add_co_ci_u32_e32 v46, vcc_lo, s9, v36, vcc_lo
	v_lshlrev_b64 v[35:36], 1, v[43:44]
	v_add_nc_u32_e32 v43, s17, v29
	v_add_co_u32 v41, vcc_lo, s8, v41
	v_add_co_ci_u32_e32 v42, vcc_lo, s9, v42, vcc_lo
	s_delay_alu instid0(VALU_DEP_3) | instskip(SKIP_3) | instid1(VALU_DEP_4)
	v_lshlrev_b64 v[43:44], 1, v[43:44]
	v_add_co_u32 v53, vcc_lo, s8, v35
	v_add_co_ci_u32_e32 v54, vcc_lo, s9, v36, vcc_lo
	v_lshlrev_b64 v[35:36], 1, v[51:52]
	v_add_co_u32 v43, vcc_lo, s8, v43
	v_lshlrev_b64 v[51:52], 1, v[49:50]
	v_add_nc_u32_e32 v49, s20, v27
	v_add_co_ci_u32_e32 v44, vcc_lo, s9, v44, vcc_lo
	v_add_co_u32 v27, vcc_lo, s8, v35
	v_add_co_ci_u32_e32 v28, vcc_lo, s9, v36, vcc_lo
	s_delay_alu instid0(VALU_DEP_4) | instskip(SKIP_3) | instid1(VALU_DEP_3)
	v_lshlrev_b64 v[35:36], 1, v[49:50]
	v_add_nc_u32_e32 v49, s20, v29
	v_add_co_u32 v51, vcc_lo, s8, v51
	v_add_co_ci_u32_e32 v52, vcc_lo, s9, v52, vcc_lo
	v_lshlrev_b64 v[29:30], 1, v[49:50]
	v_add_nc_u32_e32 v49, s20, v31
	v_add_co_u32 v55, vcc_lo, s8, v35
	v_add_co_ci_u32_e32 v56, vcc_lo, s9, v36, vcc_lo
	s_delay_alu instid0(VALU_DEP_3) | instskip(SKIP_2) | instid1(VALU_DEP_3)
	v_lshlrev_b64 v[31:32], 1, v[49:50]
	v_add_co_u32 v57, vcc_lo, s8, v29
	v_add_co_ci_u32_e32 v58, vcc_lo, s9, v30, vcc_lo
	v_add_co_u32 v59, vcc_lo, s8, v31
	s_delay_alu instid0(VALU_DEP_4)
	v_add_co_ci_u32_e32 v60, vcc_lo, s9, v32, vcc_lo
	s_clause 0xb
	global_load_u16 v35, v[33:34], off
	global_load_u16 v34, v[39:40], off
	;; [unrolled: 1-line block ×12, first 2 shown]
.LBB230_24:                             ;   in Loop: Header=BB230_14 Depth=1
	s_waitcnt vmcnt(11) lgkmcnt(11)
	v_dual_add_f32 v25, v25, v26 :: v_dual_lshlrev_b32 v26, 16, v35
	s_delay_alu instid0(VALU_DEP_1) | instskip(NEXT) | instid1(VALU_DEP_1)
	v_add_f32_e32 v26, v25, v26
	v_and_b32_e32 v25, 0x7f800000, v26
	s_delay_alu instid0(VALU_DEP_1) | instskip(SKIP_1) | instid1(SALU_CYCLE_1)
	v_cmp_ne_u32_e32 vcc_lo, 0x7f800000, v25
                                        ; implicit-def: $vgpr25
	s_and_saveexec_b32 s22, vcc_lo
	s_xor_b32 s22, exec_lo, s22
; %bb.25:                               ;   in Loop: Header=BB230_14 Depth=1
	v_bfe_u32 v25, v26, 16, 1
	s_delay_alu instid0(VALU_DEP_1)
	v_add3_u32 v25, v26, v25, 0x7fff
                                        ; implicit-def: $vgpr26
; %bb.26:                               ;   in Loop: Header=BB230_14 Depth=1
	s_and_not1_saveexec_b32 s22, s22
; %bb.27:                               ;   in Loop: Header=BB230_14 Depth=1
	v_and_b32_e32 v25, 0xffff, v26
	v_or_b32_e32 v35, 0x10000, v26
	s_delay_alu instid0(VALU_DEP_2) | instskip(NEXT) | instid1(VALU_DEP_2)
	v_cmp_eq_u32_e32 vcc_lo, 0, v25
	v_cndmask_b32_e32 v25, v35, v26, vcc_lo
; %bb.28:                               ;   in Loop: Header=BB230_14 Depth=1
	s_or_b32 exec_lo, exec_lo, s22
	s_waitcnt vmcnt(10) lgkmcnt(9)
	v_dual_add_f32 v0, v0, v1 :: v_dual_lshlrev_b32 v1, 16, v34
	v_mov_b32_e32 v49, v50
	s_mov_b32 s22, exec_lo
	s_delay_alu instid0(VALU_DEP_2) | instskip(NEXT) | instid1(VALU_DEP_2)
	v_add_f32_e32 v26, v0, v1
	v_lshlrev_b64 v[0:1], 1, v[48:49]
	s_delay_alu instid0(VALU_DEP_2) | instskip(NEXT) | instid1(VALU_DEP_2)
	v_and_b32_e32 v34, 0x7f800000, v26
	v_add_co_u32 v0, vcc_lo, s10, v0
	s_delay_alu instid0(VALU_DEP_3)
	v_add_co_ci_u32_e32 v1, vcc_lo, s11, v1, vcc_lo
	global_store_d16_hi_b16 v[0:1], v25, off
                                        ; implicit-def: $vgpr25
	v_cmpx_ne_u32_e32 0x7f800000, v34
	s_xor_b32 s22, exec_lo, s22
; %bb.29:                               ;   in Loop: Header=BB230_14 Depth=1
	v_bfe_u32 v25, v26, 16, 1
	s_delay_alu instid0(VALU_DEP_1)
	v_add3_u32 v25, v26, v25, 0x7fff
                                        ; implicit-def: $vgpr26
; %bb.30:                               ;   in Loop: Header=BB230_14 Depth=1
	s_and_not1_saveexec_b32 s22, s22
; %bb.31:                               ;   in Loop: Header=BB230_14 Depth=1
	v_and_b32_e32 v25, 0xffff, v26
	v_or_b32_e32 v34, 0x10000, v26
	s_delay_alu instid0(VALU_DEP_2) | instskip(NEXT) | instid1(VALU_DEP_2)
	v_cmp_eq_u32_e32 vcc_lo, 0, v25
	v_cndmask_b32_e32 v25, v34, v26, vcc_lo
; %bb.32:                               ;   in Loop: Header=BB230_14 Depth=1
	s_or_b32 exec_lo, exec_lo, s22
	s_waitcnt vmcnt(9) lgkmcnt(8)
	v_dual_add_f32 v22, v22, v23 :: v_dual_lshlrev_b32 v23, 16, v33
	global_store_d16_hi_b16 v[0:1], v25, off offset:2
	v_add_f32_e32 v23, v22, v23
	s_delay_alu instid0(VALU_DEP_1) | instskip(NEXT) | instid1(VALU_DEP_1)
	v_and_b32_e32 v22, 0x7f800000, v23
	v_cmp_ne_u32_e32 vcc_lo, 0x7f800000, v22
                                        ; implicit-def: $vgpr22
	s_and_saveexec_b32 s22, vcc_lo
	s_delay_alu instid0(SALU_CYCLE_1)
	s_xor_b32 s22, exec_lo, s22
; %bb.33:                               ;   in Loop: Header=BB230_14 Depth=1
	v_bfe_u32 v22, v23, 16, 1
	s_delay_alu instid0(VALU_DEP_1)
	v_add3_u32 v22, v23, v22, 0x7fff
                                        ; implicit-def: $vgpr23
; %bb.34:                               ;   in Loop: Header=BB230_14 Depth=1
	s_and_not1_saveexec_b32 s22, s22
; %bb.35:                               ;   in Loop: Header=BB230_14 Depth=1
	v_and_b32_e32 v22, 0xffff, v23
	v_or_b32_e32 v25, 0x10000, v23
	s_delay_alu instid0(VALU_DEP_2) | instskip(NEXT) | instid1(VALU_DEP_2)
	v_cmp_eq_u32_e32 vcc_lo, 0, v22
	v_cndmask_b32_e32 v22, v25, v23, vcc_lo
; %bb.36:                               ;   in Loop: Header=BB230_14 Depth=1
	s_or_b32 exec_lo, exec_lo, s22
	v_add_f32_e32 v19, v19, v20
	s_waitcnt vmcnt(8)
	v_lshlrev_b32_e32 v20, 16, v32
	global_store_d16_hi_b16 v[0:1], v22, off offset:4
	v_add_f32_e32 v20, v19, v20
	s_delay_alu instid0(VALU_DEP_1) | instskip(NEXT) | instid1(VALU_DEP_1)
	v_and_b32_e32 v19, 0x7f800000, v20
	v_cmp_ne_u32_e32 vcc_lo, 0x7f800000, v19
                                        ; implicit-def: $vgpr19
	s_and_saveexec_b32 s22, vcc_lo
	s_delay_alu instid0(SALU_CYCLE_1)
	s_xor_b32 s22, exec_lo, s22
; %bb.37:                               ;   in Loop: Header=BB230_14 Depth=1
	v_bfe_u32 v19, v20, 16, 1
	s_delay_alu instid0(VALU_DEP_1)
	v_add3_u32 v19, v20, v19, 0x7fff
                                        ; implicit-def: $vgpr20
; %bb.38:                               ;   in Loop: Header=BB230_14 Depth=1
	s_and_not1_saveexec_b32 s22, s22
; %bb.39:                               ;   in Loop: Header=BB230_14 Depth=1
	v_and_b32_e32 v19, 0xffff, v20
	v_or_b32_e32 v22, 0x10000, v20
	s_delay_alu instid0(VALU_DEP_2) | instskip(NEXT) | instid1(VALU_DEP_2)
	v_cmp_eq_u32_e32 vcc_lo, 0, v19
	v_cndmask_b32_e32 v19, v22, v20, vcc_lo
; %bb.40:                               ;   in Loop: Header=BB230_14 Depth=1
	s_or_b32 exec_lo, exec_lo, s22
	s_waitcnt vmcnt(7) lgkmcnt(7)
	v_dual_add_f32 v16, v16, v17 :: v_dual_lshlrev_b32 v17, 16, v31
	s_mov_b32 s22, exec_lo
	global_store_d16_hi_b16 v[0:1], v19, off offset:6
                                        ; implicit-def: $vgpr0
	v_add_f32_e32 v16, v16, v17
	s_delay_alu instid0(VALU_DEP_1) | instskip(NEXT) | instid1(VALU_DEP_1)
	v_and_b32_e32 v17, 0x7f800000, v16
	v_cmpx_ne_u32_e32 0x7f800000, v17
	s_xor_b32 s22, exec_lo, s22
; %bb.41:                               ;   in Loop: Header=BB230_14 Depth=1
	v_bfe_u32 v0, v16, 16, 1
	s_delay_alu instid0(VALU_DEP_1)
	v_add3_u32 v0, v16, v0, 0x7fff
                                        ; implicit-def: $vgpr16
; %bb.42:                               ;   in Loop: Header=BB230_14 Depth=1
	s_and_not1_saveexec_b32 s22, s22
; %bb.43:                               ;   in Loop: Header=BB230_14 Depth=1
	v_and_b32_e32 v0, 0xffff, v16
	v_or_b32_e32 v1, 0x10000, v16
	s_delay_alu instid0(VALU_DEP_2) | instskip(NEXT) | instid1(VALU_DEP_2)
	v_cmp_eq_u32_e32 vcc_lo, 0, v0
	v_cndmask_b32_e32 v0, v1, v16, vcc_lo
; %bb.44:                               ;   in Loop: Header=BB230_14 Depth=1
	s_or_b32 exec_lo, exec_lo, s22
	s_waitcnt vmcnt(6) lgkmcnt(5)
	v_dual_add_f32 v1, v12, v13 :: v_dual_lshlrev_b32 v12, 16, v30
	v_add_nc_u32_e32 v49, s7, v48
	s_mov_b32 s22, exec_lo
	s_delay_alu instid0(VALU_DEP_2) | instskip(NEXT) | instid1(VALU_DEP_2)
	v_add_f32_e32 v1, v1, v12
	v_lshlrev_b64 v[12:13], 1, v[49:50]
	s_delay_alu instid0(VALU_DEP_2) | instskip(NEXT) | instid1(VALU_DEP_2)
	v_and_b32_e32 v16, 0x7f800000, v1
	v_add_co_u32 v12, vcc_lo, s10, v12
	s_delay_alu instid0(VALU_DEP_3)
	v_add_co_ci_u32_e32 v13, vcc_lo, s11, v13, vcc_lo
	global_store_d16_hi_b16 v[12:13], v0, off
                                        ; implicit-def: $vgpr0
	v_cmpx_ne_u32_e32 0x7f800000, v16
	s_xor_b32 s22, exec_lo, s22
; %bb.45:                               ;   in Loop: Header=BB230_14 Depth=1
	v_bfe_u32 v0, v1, 16, 1
	s_delay_alu instid0(VALU_DEP_1)
	v_add3_u32 v0, v1, v0, 0x7fff
                                        ; implicit-def: $vgpr1
; %bb.46:                               ;   in Loop: Header=BB230_14 Depth=1
	s_and_not1_saveexec_b32 s22, s22
; %bb.47:                               ;   in Loop: Header=BB230_14 Depth=1
	v_and_b32_e32 v0, 0xffff, v1
	v_or_b32_e32 v12, 0x10000, v1
	s_delay_alu instid0(VALU_DEP_2) | instskip(NEXT) | instid1(VALU_DEP_2)
	v_cmp_eq_u32_e32 vcc_lo, 0, v0
	v_cndmask_b32_e32 v0, v12, v1, vcc_lo
; %bb.48:                               ;   in Loop: Header=BB230_14 Depth=1
	s_or_b32 exec_lo, exec_lo, s22
	v_add_f32_e32 v1, v8, v9
	v_dual_mov_b32 v9, v50 :: v_dual_add_nc_u32 v8, 1, v49
	s_waitcnt vmcnt(5)
	v_lshlrev_b32_e32 v12, 16, v29
	s_mov_b32 s22, exec_lo
	s_delay_alu instid0(VALU_DEP_2) | instskip(NEXT) | instid1(VALU_DEP_2)
	v_lshlrev_b64 v[8:9], 1, v[8:9]
	v_add_f32_e32 v1, v1, v12
	s_delay_alu instid0(VALU_DEP_1) | instskip(NEXT) | instid1(VALU_DEP_3)
	v_and_b32_e32 v12, 0x7f800000, v1
	v_add_co_u32 v8, vcc_lo, s10, v8
	s_delay_alu instid0(VALU_DEP_4)
	v_add_co_ci_u32_e32 v9, vcc_lo, s11, v9, vcc_lo
	global_store_d16_hi_b16 v[8:9], v0, off
                                        ; implicit-def: $vgpr0
	v_cmpx_ne_u32_e32 0x7f800000, v12
	s_xor_b32 s22, exec_lo, s22
; %bb.49:                               ;   in Loop: Header=BB230_14 Depth=1
	v_bfe_u32 v0, v1, 16, 1
	s_delay_alu instid0(VALU_DEP_1)
	v_add3_u32 v0, v1, v0, 0x7fff
                                        ; implicit-def: $vgpr1
; %bb.50:                               ;   in Loop: Header=BB230_14 Depth=1
	s_and_not1_saveexec_b32 s22, s22
; %bb.51:                               ;   in Loop: Header=BB230_14 Depth=1
	v_and_b32_e32 v0, 0xffff, v1
	v_or_b32_e32 v8, 0x10000, v1
	s_delay_alu instid0(VALU_DEP_2) | instskip(NEXT) | instid1(VALU_DEP_2)
	v_cmp_eq_u32_e32 vcc_lo, 0, v0
	v_cndmask_b32_e32 v0, v8, v1, vcc_lo
; %bb.52:                               ;   in Loop: Header=BB230_14 Depth=1
	s_or_b32 exec_lo, exec_lo, s22
	s_waitcnt lgkmcnt(3)
	v_dual_add_f32 v1, v14, v15 :: v_dual_add_nc_u32 v8, 2, v49
	s_waitcnt vmcnt(4)
	v_dual_mov_b32 v9, v50 :: v_dual_lshlrev_b32 v12, 16, v28
	s_mov_b32 s22, exec_lo
	s_delay_alu instid0(VALU_DEP_1) | instskip(NEXT) | instid1(VALU_DEP_2)
	v_add_f32_e32 v1, v1, v12
	v_lshlrev_b64 v[8:9], 1, v[8:9]
	s_delay_alu instid0(VALU_DEP_2) | instskip(NEXT) | instid1(VALU_DEP_2)
	v_and_b32_e32 v12, 0x7f800000, v1
	v_add_co_u32 v8, vcc_lo, s10, v8
	s_delay_alu instid0(VALU_DEP_3)
	v_add_co_ci_u32_e32 v9, vcc_lo, s11, v9, vcc_lo
	global_store_d16_hi_b16 v[8:9], v0, off
                                        ; implicit-def: $vgpr0
	v_cmpx_ne_u32_e32 0x7f800000, v12
	s_xor_b32 s22, exec_lo, s22
; %bb.53:                               ;   in Loop: Header=BB230_14 Depth=1
	v_bfe_u32 v0, v1, 16, 1
	s_delay_alu instid0(VALU_DEP_1)
	v_add3_u32 v0, v1, v0, 0x7fff
                                        ; implicit-def: $vgpr1
; %bb.54:                               ;   in Loop: Header=BB230_14 Depth=1
	s_and_not1_saveexec_b32 s22, s22
; %bb.55:                               ;   in Loop: Header=BB230_14 Depth=1
	v_and_b32_e32 v0, 0xffff, v1
	v_or_b32_e32 v8, 0x10000, v1
	s_delay_alu instid0(VALU_DEP_2) | instskip(NEXT) | instid1(VALU_DEP_2)
	v_cmp_eq_u32_e32 vcc_lo, 0, v0
	v_cndmask_b32_e32 v0, v8, v1, vcc_lo
; %bb.56:                               ;   in Loop: Header=BB230_14 Depth=1
	s_or_b32 exec_lo, exec_lo, s22
	v_dual_add_f32 v1, v10, v11 :: v_dual_add_nc_u32 v8, 3, v49
	s_waitcnt vmcnt(3)
	v_dual_mov_b32 v9, v50 :: v_dual_lshlrev_b32 v10, 16, v27
	s_mov_b32 s22, exec_lo
	s_delay_alu instid0(VALU_DEP_1) | instskip(NEXT) | instid1(VALU_DEP_2)
	v_add_f32_e32 v1, v1, v10
	v_lshlrev_b64 v[8:9], 1, v[8:9]
	s_delay_alu instid0(VALU_DEP_2) | instskip(NEXT) | instid1(VALU_DEP_2)
	v_and_b32_e32 v10, 0x7f800000, v1
	v_add_co_u32 v8, vcc_lo, s10, v8
	s_delay_alu instid0(VALU_DEP_3)
	v_add_co_ci_u32_e32 v9, vcc_lo, s11, v9, vcc_lo
	global_store_d16_hi_b16 v[8:9], v0, off
                                        ; implicit-def: $vgpr8
	v_cmpx_ne_u32_e32 0x7f800000, v10
	s_xor_b32 s22, exec_lo, s22
; %bb.57:                               ;   in Loop: Header=BB230_14 Depth=1
	v_bfe_u32 v0, v1, 16, 1
	s_delay_alu instid0(VALU_DEP_1)
	v_add3_u32 v8, v1, v0, 0x7fff
                                        ; implicit-def: $vgpr1
; %bb.58:                               ;   in Loop: Header=BB230_14 Depth=1
	s_and_not1_saveexec_b32 s22, s22
; %bb.59:                               ;   in Loop: Header=BB230_14 Depth=1
	v_and_b32_e32 v0, 0xffff, v1
	v_or_b32_e32 v8, 0x10000, v1
	s_delay_alu instid0(VALU_DEP_2) | instskip(NEXT) | instid1(VALU_DEP_2)
	v_cmp_eq_u32_e32 vcc_lo, 0, v0
	v_cndmask_b32_e32 v8, v8, v1, vcc_lo
; %bb.60:                               ;   in Loop: Header=BB230_14 Depth=1
	s_or_b32 exec_lo, exec_lo, s22
	s_waitcnt vmcnt(2) lgkmcnt(2)
	v_dual_add_f32 v0, v6, v7 :: v_dual_lshlrev_b32 v1, 16, v24
	v_add_nc_u32_e32 v49, s7, v49
	s_delay_alu instid0(VALU_DEP_2) | instskip(NEXT) | instid1(VALU_DEP_2)
	v_add_f32_e32 v6, v0, v1
	v_lshlrev_b64 v[0:1], 1, v[49:50]
	s_delay_alu instid0(VALU_DEP_2) | instskip(NEXT) | instid1(VALU_DEP_2)
	v_and_b32_e32 v7, 0x7f800000, v6
	v_add_co_u32 v0, vcc_lo, s10, v0
	s_delay_alu instid0(VALU_DEP_3) | instskip(NEXT) | instid1(VALU_DEP_3)
	v_add_co_ci_u32_e32 v1, vcc_lo, s11, v1, vcc_lo
	v_cmp_ne_u32_e32 vcc_lo, 0x7f800000, v7
                                        ; implicit-def: $vgpr7
	global_store_d16_hi_b16 v[0:1], v8, off
	s_and_saveexec_b32 s22, vcc_lo
	s_delay_alu instid0(SALU_CYCLE_1)
	s_xor_b32 s22, exec_lo, s22
; %bb.61:                               ;   in Loop: Header=BB230_14 Depth=1
	v_bfe_u32 v7, v6, 16, 1
	s_delay_alu instid0(VALU_DEP_1)
	v_add3_u32 v7, v6, v7, 0x7fff
                                        ; implicit-def: $vgpr6
; %bb.62:                               ;   in Loop: Header=BB230_14 Depth=1
	s_and_not1_saveexec_b32 s22, s22
; %bb.63:                               ;   in Loop: Header=BB230_14 Depth=1
	v_and_b32_e32 v7, 0xffff, v6
	v_or_b32_e32 v8, 0x10000, v6
	s_delay_alu instid0(VALU_DEP_2) | instskip(NEXT) | instid1(VALU_DEP_2)
	v_cmp_eq_u32_e32 vcc_lo, 0, v7
	v_cndmask_b32_e32 v7, v8, v6, vcc_lo
; %bb.64:                               ;   in Loop: Header=BB230_14 Depth=1
	s_or_b32 exec_lo, exec_lo, s22
	s_waitcnt lgkmcnt(1)
	v_add_f32_e32 v4, v4, v5
	s_waitcnt vmcnt(1)
	v_lshlrev_b32_e32 v5, 16, v21
	s_mov_b32 s22, exec_lo
	global_store_d16_hi_b16 v[0:1], v7, off offset:2
                                        ; implicit-def: $vgpr0
	v_add_f32_e32 v4, v4, v5
	s_delay_alu instid0(VALU_DEP_1) | instskip(NEXT) | instid1(VALU_DEP_1)
	v_and_b32_e32 v5, 0x7f800000, v4
	v_cmpx_ne_u32_e32 0x7f800000, v5
	s_xor_b32 s22, exec_lo, s22
; %bb.65:                               ;   in Loop: Header=BB230_14 Depth=1
	v_bfe_u32 v0, v4, 16, 1
	s_delay_alu instid0(VALU_DEP_1)
	v_add3_u32 v0, v4, v0, 0x7fff
                                        ; implicit-def: $vgpr4
; %bb.66:                               ;   in Loop: Header=BB230_14 Depth=1
	s_and_not1_saveexec_b32 s22, s22
; %bb.67:                               ;   in Loop: Header=BB230_14 Depth=1
	v_and_b32_e32 v0, 0xffff, v4
	v_or_b32_e32 v1, 0x10000, v4
	s_delay_alu instid0(VALU_DEP_2) | instskip(NEXT) | instid1(VALU_DEP_2)
	v_cmp_eq_u32_e32 vcc_lo, 0, v0
	v_cndmask_b32_e32 v0, v1, v4, vcc_lo
; %bb.68:                               ;   in Loop: Header=BB230_14 Depth=1
	s_or_b32 exec_lo, exec_lo, s22
	s_waitcnt lgkmcnt(0)
	v_dual_add_f32 v1, v2, v3 :: v_dual_add_nc_u32 v2, 2, v49
	s_waitcnt vmcnt(0)
	v_dual_mov_b32 v3, v50 :: v_dual_lshlrev_b32 v4, 16, v18
	s_mov_b32 s22, exec_lo
	s_delay_alu instid0(VALU_DEP_1) | instskip(NEXT) | instid1(VALU_DEP_2)
	v_add_f32_e32 v1, v1, v4
	v_lshlrev_b64 v[2:3], 1, v[2:3]
	s_delay_alu instid0(VALU_DEP_2) | instskip(NEXT) | instid1(VALU_DEP_2)
	v_and_b32_e32 v4, 0x7f800000, v1
	v_add_co_u32 v2, vcc_lo, s10, v2
	s_delay_alu instid0(VALU_DEP_3)
	v_add_co_ci_u32_e32 v3, vcc_lo, s11, v3, vcc_lo
	global_store_d16_hi_b16 v[2:3], v0, off
                                        ; implicit-def: $vgpr0
	v_cmpx_ne_u32_e32 0x7f800000, v4
	s_xor_b32 s22, exec_lo, s22
; %bb.69:                               ;   in Loop: Header=BB230_14 Depth=1
	v_bfe_u32 v0, v1, 16, 1
	s_delay_alu instid0(VALU_DEP_1)
	v_add3_u32 v0, v1, v0, 0x7fff
                                        ; implicit-def: $vgpr1
; %bb.70:                               ;   in Loop: Header=BB230_14 Depth=1
	s_and_not1_saveexec_b32 s22, s22
	s_cbranch_execz .LBB230_12
; %bb.71:                               ;   in Loop: Header=BB230_14 Depth=1
	v_and_b32_e32 v0, 0xffff, v1
	v_or_b32_e32 v2, 0x10000, v1
	s_delay_alu instid0(VALU_DEP_2) | instskip(NEXT) | instid1(VALU_DEP_2)
	v_cmp_eq_u32_e32 vcc_lo, 0, v0
	v_cndmask_b32_e32 v0, v2, v1, vcc_lo
	s_branch .LBB230_12
.LBB230_72:
	s_nop 0
	s_sendmsg sendmsg(MSG_DEALLOC_VGPRS)
	s_endpgm
	.section	.rodata,"a",@progbits
	.p2align	6, 0x0
	.amdhsa_kernel _Z16wvSplitK_hf_sml_I14__hip_bfloat16Li32ELi4ELi16ELi8ELi2ELi3EEviiiiiiPKT_S3_S3_PS1_ii
		.amdhsa_group_segment_fixed_size 65536
		.amdhsa_private_segment_fixed_size 0
		.amdhsa_kernarg_size 64
		.amdhsa_user_sgpr_count 15
		.amdhsa_user_sgpr_dispatch_ptr 0
		.amdhsa_user_sgpr_queue_ptr 0
		.amdhsa_user_sgpr_kernarg_segment_ptr 1
		.amdhsa_user_sgpr_dispatch_id 0
		.amdhsa_user_sgpr_private_segment_size 0
		.amdhsa_wavefront_size32 1
		.amdhsa_uses_dynamic_stack 0
		.amdhsa_enable_private_segment 0
		.amdhsa_system_sgpr_workgroup_id_x 1
		.amdhsa_system_sgpr_workgroup_id_y 0
		.amdhsa_system_sgpr_workgroup_id_z 0
		.amdhsa_system_sgpr_workgroup_info 0
		.amdhsa_system_vgpr_workitem_id 1
		.amdhsa_next_free_vgpr 104
		.amdhsa_next_free_sgpr 24
		.amdhsa_reserve_vcc 1
		.amdhsa_float_round_mode_32 0
		.amdhsa_float_round_mode_16_64 0
		.amdhsa_float_denorm_mode_32 3
		.amdhsa_float_denorm_mode_16_64 3
		.amdhsa_dx10_clamp 1
		.amdhsa_ieee_mode 1
		.amdhsa_fp16_overflow 0
		.amdhsa_workgroup_processor_mode 1
		.amdhsa_memory_ordered 1
		.amdhsa_forward_progress 0
		.amdhsa_shared_vgpr_count 0
		.amdhsa_exception_fp_ieee_invalid_op 0
		.amdhsa_exception_fp_denorm_src 0
		.amdhsa_exception_fp_ieee_div_zero 0
		.amdhsa_exception_fp_ieee_overflow 0
		.amdhsa_exception_fp_ieee_underflow 0
		.amdhsa_exception_fp_ieee_inexact 0
		.amdhsa_exception_int_div_zero 0
	.end_amdhsa_kernel
	.section	.text._Z16wvSplitK_hf_sml_I14__hip_bfloat16Li32ELi4ELi16ELi8ELi2ELi3EEviiiiiiPKT_S3_S3_PS1_ii,"axG",@progbits,_Z16wvSplitK_hf_sml_I14__hip_bfloat16Li32ELi4ELi16ELi8ELi2ELi3EEviiiiiiPKT_S3_S3_PS1_ii,comdat
.Lfunc_end230:
	.size	_Z16wvSplitK_hf_sml_I14__hip_bfloat16Li32ELi4ELi16ELi8ELi2ELi3EEviiiiiiPKT_S3_S3_PS1_ii, .Lfunc_end230-_Z16wvSplitK_hf_sml_I14__hip_bfloat16Li32ELi4ELi16ELi8ELi2ELi3EEviiiiiiPKT_S3_S3_PS1_ii
                                        ; -- End function
	.section	.AMDGPU.csdata,"",@progbits
; Kernel info:
; codeLenInByte = 7228
; NumSgprs: 26
; NumVgprs: 104
; ScratchSize: 0
; MemoryBound: 0
; FloatMode: 240
; IeeeMode: 1
; LDSByteSize: 65536 bytes/workgroup (compile time only)
; SGPRBlocks: 3
; VGPRBlocks: 12
; NumSGPRsForWavesPerEU: 26
; NumVGPRsForWavesPerEU: 104
; Occupancy: 8
; WaveLimiterHint : 0
; COMPUTE_PGM_RSRC2:SCRATCH_EN: 0
; COMPUTE_PGM_RSRC2:USER_SGPR: 15
; COMPUTE_PGM_RSRC2:TRAP_HANDLER: 0
; COMPUTE_PGM_RSRC2:TGID_X_EN: 1
; COMPUTE_PGM_RSRC2:TGID_Y_EN: 0
; COMPUTE_PGM_RSRC2:TGID_Z_EN: 0
; COMPUTE_PGM_RSRC2:TIDIG_COMP_CNT: 1
	.section	.text._Z12wvSplitK_hf_I14__hip_bfloat16Li32ELi4ELi16ELi8ELi2ELi3EEviiiiiiPKT_S3_S3_PS1_ii,"axG",@progbits,_Z12wvSplitK_hf_I14__hip_bfloat16Li32ELi4ELi16ELi8ELi2ELi3EEviiiiiiPKT_S3_S3_PS1_ii,comdat
	.protected	_Z12wvSplitK_hf_I14__hip_bfloat16Li32ELi4ELi16ELi8ELi2ELi3EEviiiiiiPKT_S3_S3_PS1_ii ; -- Begin function _Z12wvSplitK_hf_I14__hip_bfloat16Li32ELi4ELi16ELi8ELi2ELi3EEviiiiiiPKT_S3_S3_PS1_ii
	.globl	_Z12wvSplitK_hf_I14__hip_bfloat16Li32ELi4ELi16ELi8ELi2ELi3EEviiiiiiPKT_S3_S3_PS1_ii
	.p2align	8
	.type	_Z12wvSplitK_hf_I14__hip_bfloat16Li32ELi4ELi16ELi8ELi2ELi3EEviiiiiiPKT_S3_S3_PS1_ii,@function
_Z12wvSplitK_hf_I14__hip_bfloat16Li32ELi4ELi16ELi8ELi2ELi3EEviiiiiiPKT_S3_S3_PS1_ii: ; @_Z12wvSplitK_hf_I14__hip_bfloat16Li32ELi4ELi16ELi8ELi2ELi3EEviiiiiiPKT_S3_S3_PS1_ii
; %bb.0:
	s_clause 0x1
	s_load_b64 s[20:21], s[0:1], 0x38
	s_load_b128 s[8:11], s[0:1], 0x0
	v_bfe_u32 v5, v0, 10, 10
	s_clause 0x1
	s_load_b64 s[16:17], s[0:1], 0x20
	s_load_b64 s[18:19], s[0:1], 0x10
	s_mov_b32 s4, 1
	s_delay_alu instid0(SALU_CYCLE_1) | instskip(SKIP_4) | instid1(SALU_CYCLE_1)
	s_mov_b32 s5, s4
	s_mov_b32 s6, s4
	;; [unrolled: 1-line block ×3, first 2 shown]
	s_waitcnt lgkmcnt(0)
	s_mul_i32 s15, s15, s20
	v_add_lshl_u32 v61, s15, v5, 2
	s_delay_alu instid0(VALU_DEP_1) | instskip(SKIP_1) | instid1(VALU_DEP_2)
	v_add_nc_u32_e32 v1, 4, v61
	v_cmp_gt_u32_e32 vcc_lo, s11, v61
	v_cmp_le_u32_e64 s2, s11, v1
	v_dual_mov_b32 v1, s4 :: v_dual_mov_b32 v4, s7
	v_dual_mov_b32 v2, s5 :: v_dual_mov_b32 v3, s6
	s_delay_alu instid0(VALU_DEP_3) | instskip(NEXT) | instid1(SALU_CYCLE_1)
	s_and_b32 s2, vcc_lo, s2
	s_and_saveexec_b32 s12, s2
	s_cbranch_execz .LBB231_6
; %bb.1:
	v_dual_mov_b32 v1, s4 :: v_dual_mov_b32 v2, s5
	v_dual_mov_b32 v3, s6 :: v_dual_mov_b32 v4, s7
	s_add_i32 s13, s11, -4
	s_mov_b32 s14, exec_lo
	v_cmpx_ne_u32_e64 s13, v61
	s_cbranch_execz .LBB231_5
; %bb.2:
	v_subrev_nc_u32_e32 v1, s13, v61
	s_mov_b32 s15, 0
	s_mov_b64 s[2:3], 0
	s_mov_b32 s5, s4
	s_mov_b32 s6, s4
	v_cmp_lt_u32_e32 vcc_lo, 1, v1
	s_mov_b32 s7, s4
	v_cndmask_b32_e32 v6, 1, v1, vcc_lo
	.p2align	6
.LBB231_3:                              ; =>This Inner Loop Header: Depth=1
	s_cmp_lg_u32 s2, 3
	s_cselect_b32 s7, s7, 0
	s_cmp_lg_u32 s2, 2
	s_cselect_b32 s6, s6, 0
	;; [unrolled: 2-line block ×4, first 2 shown]
	s_add_u32 s2, s2, 1
	v_dual_mov_b32 v1, s4 :: v_dual_mov_b32 v2, s5
	v_cmp_eq_u32_e32 vcc_lo, s2, v6
	v_dual_mov_b32 v3, s6 :: v_dual_mov_b32 v4, s7
	s_addc_u32 s3, s3, 0
	s_or_b32 s15, vcc_lo, s15
	s_delay_alu instid0(SALU_CYCLE_1)
	s_and_not1_b32 exec_lo, exec_lo, s15
	s_cbranch_execnz .LBB231_3
; %bb.4:
	s_or_b32 exec_lo, exec_lo, s15
	v_mov_b32_e32 v61, s13
.LBB231_5:
	s_or_b32 exec_lo, exec_lo, s14
.LBB231_6:
	s_delay_alu instid0(SALU_CYCLE_1) | instskip(SKIP_2) | instid1(SALU_CYCLE_1)
	s_or_b32 exec_lo, exec_lo, s12
	v_and_b32_e32 v6, 0x3ff, v0
	s_mul_i32 s2, s10, 3
	s_min_u32 s3, s2, 0x8000
	s_mov_b32 s2, exec_lo
	s_delay_alu instid0(VALU_DEP_1) | instskip(NEXT) | instid1(VALU_DEP_1)
	v_lshlrev_b32_e32 v0, 3, v6
	v_lshl_add_u32 v8, v5, 8, v0
	s_delay_alu instid0(VALU_DEP_1)
	v_cmpx_gt_u32_e64 s3, v8
	s_cbranch_execz .LBB231_15
; %bb.7:
	v_lshlrev_b32_e32 v7, 1, v8
	v_add_nc_u32_e32 v13, 0x1000, v8
	s_mov_b32 s4, exec_lo
	global_load_b128 v[9:12], v7, s[16:17]
	s_waitcnt vmcnt(0)
	ds_store_b128 v7, v[9:12]
	v_cmpx_gt_u32_e64 s3, v13
	s_xor_b32 s4, exec_lo, s4
	s_cbranch_execz .LBB231_15
; %bb.8:
	v_add_co_u32 v9, s4, s16, v7
	s_delay_alu instid0(VALU_DEP_1) | instskip(SKIP_1) | instid1(VALU_DEP_3)
	v_add_co_ci_u32_e64 v10, null, s17, 0, s4
	v_add_nc_u32_e32 v15, 0x2000, v8
	v_add_co_u32 v11, vcc_lo, 0x2000, v9
	s_delay_alu instid0(VALU_DEP_3)
	v_add_co_ci_u32_e32 v12, vcc_lo, 0, v10, vcc_lo
	s_mov_b32 s4, exec_lo
	global_load_b128 v[11:14], v[11:12], off
	s_waitcnt vmcnt(0)
	ds_store_b128 v7, v[11:14] offset:8192
	v_cmpx_gt_u32_e64 s3, v15
	s_xor_b32 s4, exec_lo, s4
	s_cbranch_execz .LBB231_15
; %bb.9:
	v_add_co_u32 v11, vcc_lo, 0x4000, v9
	v_add_co_ci_u32_e32 v12, vcc_lo, 0, v10, vcc_lo
	v_add_nc_u32_e32 v15, 0x3000, v8
	s_mov_b32 s4, exec_lo
	global_load_b128 v[11:14], v[11:12], off
	s_waitcnt vmcnt(0)
	ds_store_b128 v7, v[11:14] offset:16384
	v_cmpx_gt_u32_e64 s3, v15
	s_xor_b32 s4, exec_lo, s4
	s_cbranch_execz .LBB231_15
; %bb.10:
	v_add_co_u32 v11, vcc_lo, 0x6000, v9
	v_add_co_ci_u32_e32 v12, vcc_lo, 0, v10, vcc_lo
	v_add_nc_u32_e32 v15, 0x4000, v8
	;; [unrolled: 11-line block ×5, first 2 shown]
	global_load_b128 v[11:14], v[11:12], off
	v_cmp_gt_u32_e32 vcc_lo, s3, v8
	s_waitcnt vmcnt(0)
	ds_store_b128 v7, v[11:14] offset:49152
	s_and_saveexec_b32 s3, vcc_lo
	s_delay_alu instid0(SALU_CYCLE_1)
	s_xor_b32 s3, exec_lo, s3
	s_cbranch_execz .LBB231_15
; %bb.14:
	v_add_co_u32 v8, vcc_lo, 0xe000, v9
	v_add_co_ci_u32_e32 v9, vcc_lo, 0, v10, vcc_lo
	global_load_b128 v[8:11], v[8:9], off
	s_waitcnt vmcnt(0)
	ds_store_b128 v7, v[8:11] offset:57344
.LBB231_15:
	s_or_b32 exec_lo, exec_lo, s2
	v_cmp_gt_u32_e32 vcc_lo, s20, v5
	v_cmp_gt_u32_e64 s2, s11, v61
	s_waitcnt lgkmcnt(0)
	s_barrier
	buffer_gl0_inv
	s_and_b32 s2, vcc_lo, s2
	s_delay_alu instid0(SALU_CYCLE_1)
	s_and_saveexec_b32 s3, s2
	s_cbranch_execz .LBB231_130
; %bb.16:
	s_clause 0x1
	s_load_b128 s[12:15], s[0:1], 0x28
	s_load_b64 s[6:7], s[0:1], 0x18
	s_cmp_lg_u32 s8, 0
	v_mbcnt_lo_u32_b32 v8, -1, 0
	s_cselect_b32 s22, -1, 0
	s_add_i32 s23, s8, -8
	s_add_i32 s24, s11, -1
	v_cvt_f32_u32_e32 v7, s18
	s_mul_i32 s2, s20, s21
	v_cmp_eq_u32_e64 s0, 31, v6
	v_lshlrev_b32_e32 v79, 4, v6
	v_add_nc_u32_e32 v80, s10, v0
	v_rcp_iflag_f32_e32 v7, v7
	s_waitcnt lgkmcnt(0)
	s_cmp_lg_u64 s[12:13], 0
	s_cselect_b32 s25, -1, 0
	s_abs_i32 s1, s19
	s_lshl_b32 s20, s2, 2
	v_cvt_f32_u32_e32 v5, s1
	s_sub_i32 s2, 0, s1
	s_add_i32 s21, s11, -4
	s_sub_i32 s4, 0, s18
	s_sub_i32 s5, 1, s1
	v_rcp_iflag_f32_e32 v5, v5
	s_mov_b32 s19, 0
	s_waitcnt_depctr 0xfff
	v_mul_f32_e32 v5, 0x4f7ffffe, v5
	s_delay_alu instid0(VALU_DEP_1) | instskip(NEXT) | instid1(VALU_DEP_1)
	v_cvt_u32_f32_e32 v5, v5
	v_readfirstlane_b32 s3, v5
	v_mul_f32_e32 v5, 0x4f7ffffe, v7
	v_xor_b32_e32 v7, 16, v8
	s_delay_alu instid0(VALU_DEP_3) | instskip(NEXT) | instid1(VALU_DEP_2)
	s_mul_i32 s2, s2, s3
	v_cvt_u32_f32_e32 v5, v5
	s_mul_hi_u32 s2, s3, s2
	s_delay_alu instid0(VALU_DEP_2)
	v_cmp_gt_i32_e32 vcc_lo, 32, v7
	s_add_i32 s3, s3, s2
	s_cmp_lt_u32 s1, 2
	v_mul_lo_u32 v9, s4, v5
	s_cselect_b32 s2, s5, 1
	v_cndmask_b32_e32 v6, v8, v7, vcc_lo
	s_sub_i32 s5, s2, s1
	s_cmp_ge_u32 s2, s1
	s_cselect_b32 s27, s5, s2
	s_lshr_b32 s2, s3, 31
	s_delay_alu instid0(VALU_DEP_2)
	v_mul_hi_u32 v7, v5, v9
	s_mul_i32 s2, s2, s1
	v_mov_b32_e32 v63, 0
	s_sub_i32 s2, 2, s2
	v_lshlrev_b32_e32 v81, 2, v6
	s_sub_i32 s3, s2, s1
	s_cmp_ge_u32 s2, s1
	s_mul_i32 s27, s27, s18
	v_add_nc_u32_e32 v82, v5, v7
	s_cselect_b32 s2, s3, s2
	s_delay_alu instid0(SALU_CYCLE_1)
	s_sub_i32 s3, s2, s1
	s_cmp_ge_u32 s2, s1
	s_cselect_b32 s28, s3, s2
	s_lshl_b32 s26, s10, 1
	s_mul_i32 s28, s28, s18
	v_add_nc_u32_e32 v83, s26, v0
	s_lshl_b32 s10, s10, 2
	s_branch .LBB231_19
.LBB231_17:                             ;   in Loop: Header=BB231_19 Depth=1
	s_or_b32 exec_lo, exec_lo, s30
	v_mov_b32_e32 v61, s21
.LBB231_18:                             ;   in Loop: Header=BB231_19 Depth=1
	s_or_b32 exec_lo, exec_lo, s29
	s_delay_alu instid0(VALU_DEP_1) | instskip(SKIP_1) | instid1(SALU_CYCLE_1)
	v_cmp_le_u32_e32 vcc_lo, s11, v61
	s_or_b32 s19, vcc_lo, s19
	s_and_not1_b32 exec_lo, exec_lo, s19
	s_cbranch_execz .LBB231_130
.LBB231_19:                             ; =>This Loop Header: Depth=1
                                        ;     Child Loop BB231_24 Depth 2
                                        ;     Child Loop BB231_128 Depth 2
	v_dual_mov_b32 v85, v63 :: v_dual_add_nc_u32 v66, 1, v61
	v_dual_mov_b32 v84, v63 :: v_dual_add_nc_u32 v65, 2, v61
	;; [unrolled: 1-line block ×3, first 2 shown]
	v_mov_b32_e32 v86, v63
	v_mov_b32_e32 v95, v63
	;; [unrolled: 1-line block ×9, first 2 shown]
	s_and_not1_b32 vcc_lo, exec_lo, s22
	s_cbranch_vccnz .LBB231_50
; %bb.20:                               ;   in Loop: Header=BB231_19 Depth=1
	v_min_u32_e32 v5, s24, v61
	s_waitcnt lgkmcnt(0)
	v_min_u32_e32 v6, s24, v66
	v_min_u32_e32 v7, s24, v65
	;; [unrolled: 1-line block ×3, first 2 shown]
	v_dual_mov_b32 v10, v63 :: v_dual_mov_b32 v89, 0
	v_mul_lo_u32 v62, v5, s9
	v_mul_lo_u32 v5, v6, s9
	;; [unrolled: 1-line block ×4, first 2 shown]
	v_dual_mov_b32 v6, v63 :: v_dual_mov_b32 v93, 0
	v_dual_mov_b32 v8, v63 :: v_dual_mov_b32 v91, 0
	v_lshlrev_b64 v[67:68], 1, v[62:63]
	s_delay_alu instid0(VALU_DEP_3) | instskip(SKIP_1) | instid1(VALU_DEP_4)
	v_lshlrev_b64 v[69:70], 1, v[5:6]
	v_dual_mov_b32 v92, 0 :: v_dual_mov_b32 v95, 0
	v_lshlrev_b64 v[71:72], 1, v[7:8]
	v_lshlrev_b64 v[73:74], 1, v[9:10]
	v_dual_mov_b32 v88, v79 :: v_dual_mov_b32 v87, 0
	v_dual_mov_b32 v96, 0 :: v_dual_mov_b32 v85, 0
	v_mov_b32_e32 v94, 0
	v_mov_b32_e32 v90, 0
	;; [unrolled: 1-line block ×4, first 2 shown]
	s_mov_b32 s1, 0
	s_branch .LBB231_24
.LBB231_21:                             ;   in Loop: Header=BB231_24 Depth=2
	s_or_b32 exec_lo, exec_lo, s4
.LBB231_22:                             ;   in Loop: Header=BB231_24 Depth=2
	s_delay_alu instid0(SALU_CYCLE_1)
	s_or_b32 exec_lo, exec_lo, s3
.LBB231_23:                             ;   in Loop: Header=BB231_24 Depth=2
	s_delay_alu instid0(SALU_CYCLE_1)
	s_or_b32 exec_lo, exec_lo, s2
	s_waitcnt vmcnt(0) lgkmcnt(0)
	v_and_b32_e32 v62, 0xffff0000, v53
	v_lshlrev_b32_e32 v97, 16, v54
	v_and_b32_e32 v99, 0xffff0000, v55
	v_lshlrev_b32_e32 v55, 16, v55
	v_and_b32_e32 v109, 0xffff0000, v43
	v_and_b32_e32 v98, 0xffff0000, v50
	;; [unrolled: 1-line block ×3, first 2 shown]
	v_lshlrev_b32_e32 v43, 16, v43
	v_lshlrev_b32_e32 v76, 16, v53
	v_and_b32_e32 v77, 0xffff0000, v54
	v_and_b32_e32 v75, 0xffff0000, v49
	v_and_b32_e32 v103, 0xffff0000, v56
	v_and_b32_e32 v107, 0xffff0000, v48
	s_delay_alu instid0(VALU_DEP_4) | instskip(NEXT) | instid1(VALU_DEP_4)
	v_dual_mul_f32 v100, v77, v98 :: v_dual_and_b32 v101, 0xffff0000, v45
	v_dual_mul_f32 v78, v62, v75 :: v_dual_lshlrev_b32 v53, 16, v49
	v_lshlrev_b32_e32 v49, 16, v50
	v_lshlrev_b32_e32 v56, 16, v56
	;; [unrolled: 1-line block ×3, first 2 shown]
	v_mul_f32_e32 v108, v103, v107
	v_fmac_f32_e32 v78, v76, v53
	v_lshlrev_b32_e32 v50, 16, v51
	v_and_b32_e32 v125, 0xffff0000, v14
	v_and_b32_e32 v104, 0xffff0000, v46
	v_fmac_f32_e32 v108, v56, v48
	v_dual_add_f32 v51, v92, v78 :: v_dual_and_b32 v54, 0xffff0000, v51
	v_mul_f32_e32 v102, v62, v101
	v_fmac_f32_e32 v100, v97, v49
	v_lshlrev_b32_e32 v46, 16, v46
	s_delay_alu instid0(VALU_DEP_4)
	v_mul_f32_e32 v78, v99, v54
	v_mul_f32_e32 v106, v77, v104
	v_lshlrev_b32_e32 v14, 16, v14
	v_add_f32_e32 v92, v51, v100
	v_lshlrev_b32_e32 v100, 16, v45
	v_and_b32_e32 v51, 0xffff0000, v47
	v_lshlrev_b32_e32 v47, 16, v47
	v_dual_fmac_f32 v106, v97, v46 :: v_dual_and_b32 v105, 0xffff0000, v52
	s_delay_alu instid0(VALU_DEP_4) | instskip(SKIP_3) | instid1(VALU_DEP_4)
	v_fmac_f32_e32 v102, v76, v100
	v_dual_fmac_f32 v78, v55, v50 :: v_dual_lshlrev_b32 v37, 16, v37
	v_and_b32_e32 v111, 0xffff0000, v38
	v_lshlrev_b32_e32 v38, 16, v38
	v_dual_add_f32 v96, v96, v102 :: v_dual_lshlrev_b32 v45, 16, v52
	v_mul_f32_e32 v52, v103, v105
	v_add_f32_e32 v78, v92, v78
	v_mul_f32_e32 v102, v99, v51
	s_delay_alu instid0(VALU_DEP_4) | instskip(SKIP_2) | instid1(VALU_DEP_4)
	v_add_f32_e32 v92, v96, v106
	v_and_b32_e32 v106, 0xffff0000, v41
	v_fmac_f32_e32 v52, v56, v45
	v_dual_fmac_f32 v102, v55, v47 :: v_dual_lshlrev_b32 v41, 16, v41
	v_and_b32_e32 v112, 0xffff0000, v44
	s_delay_alu instid0(VALU_DEP_3) | instskip(SKIP_1) | instid1(VALU_DEP_4)
	v_dual_add_f32 v52, v78, v52 :: v_dual_and_b32 v115, 0xffff0000, v25
	v_mul_f32_e32 v78, v62, v106
	v_add_f32_e32 v92, v92, v102
	v_and_b32_e32 v102, 0xffff0000, v42
	v_mul_f32_e32 v62, v62, v110
	v_lshlrev_b32_e32 v42, 16, v42
	v_fmac_f32_e32 v78, v76, v41
	v_lshlrev_b32_e32 v44, 16, v44
	v_dual_mul_f32 v96, v77, v102 :: v_dual_lshlrev_b32 v25, 16, v25
	s_delay_alu instid0(VALU_DEP_3)
	v_dual_add_f32 v78, v93, v78 :: v_dual_and_b32 v113, 0xffff0000, v31
	v_mul_f32_e32 v93, v99, v109
	v_lshlrev_b32_e32 v31, 16, v31
	v_and_b32_e32 v117, 0xffff0000, v26
	v_and_b32_e32 v119, 0xffff0000, v18
	;; [unrolled: 1-line block ×3, first 2 shown]
	v_dual_fmac_f32 v93, v55, v43 :: v_dual_fmac_f32 v62, v76, v37
	v_mul_f32_e32 v76, v77, v111
	v_and_b32_e32 v77, 0xffff0000, v39
	v_lshlrev_b32_e32 v39, 16, v39
	s_delay_alu instid0(VALU_DEP_4) | instskip(NEXT) | instid1(VALU_DEP_4)
	v_dual_add_f32 v62, v94, v62 :: v_dual_lshlrev_b32 v19, 16, v19
	v_fmac_f32_e32 v76, v97, v38
	s_delay_alu instid0(VALU_DEP_4) | instskip(SKIP_1) | instid1(VALU_DEP_3)
	v_dual_mul_f32 v94, v99, v77 :: v_dual_and_b32 v99, 0xffff0000, v40
	v_dual_fmac_f32 v96, v97, v42 :: v_dual_and_b32 v97, 0xffff0000, v29
	v_add_f32_e32 v62, v62, v76
	v_and_b32_e32 v76, 0xffff0000, v57
	s_delay_alu instid0(VALU_DEP_4) | instskip(NEXT) | instid1(VALU_DEP_4)
	v_dual_fmac_f32 v94, v55, v39 :: v_dual_and_b32 v123, 0xffff0000, v13
	v_add_f32_e32 v78, v78, v96
	v_dual_mul_f32 v96, v103, v112 :: v_dual_lshlrev_b32 v57, 16, v57
	v_lshlrev_b32_e32 v29, 16, v29
	s_delay_alu instid0(VALU_DEP_3) | instskip(NEXT) | instid1(VALU_DEP_3)
	v_dual_add_f32 v55, v92, v108 :: v_dual_add_f32 v78, v78, v93
	v_fmac_f32_e32 v96, v56, v44
	v_dual_mul_f32 v92, v76, v97 :: v_dual_and_b32 v93, 0xffff0000, v58
	v_and_b32_e32 v108, 0xffff0000, v30
	v_add_f32_e32 v62, v62, v94
	s_delay_alu instid0(VALU_DEP_4)
	v_dual_add_f32 v78, v78, v96 :: v_dual_lshlrev_b32 v13, 16, v13
	v_lshlrev_b32_e32 v40, 16, v40
	v_fmac_f32_e32 v92, v57, v29
	v_lshlrev_b32_e32 v58, 16, v58
	v_lshlrev_b32_e32 v30, 16, v30
	v_mul_f32_e32 v94, v93, v108
	v_mul_f32_e32 v96, v103, v99
	v_dual_add_f32 v52, v52, v92 :: v_dual_and_b32 v103, 0xffff0000, v59
	s_delay_alu instid0(VALU_DEP_3) | instskip(NEXT) | instid1(VALU_DEP_3)
	v_dual_fmac_f32 v94, v58, v30 :: v_dual_lshlrev_b32 v59, 16, v59
	v_fmac_f32_e32 v96, v56, v40
	s_delay_alu instid0(VALU_DEP_3)
	v_mul_f32_e32 v92, v103, v113
	v_and_b32_e32 v56, 0xffff0000, v60
	v_and_b32_e32 v114, 0xffff0000, v32
	v_add_f32_e32 v52, v52, v94
	v_lshlrev_b32_e32 v60, 16, v60
	v_fmac_f32_e32 v92, v59, v31
	v_lshlrev_b32_e32 v32, 16, v32
	v_mul_f32_e32 v94, v56, v114
	v_mul_f32_e32 v116, v76, v115
	v_add_f32_e32 v62, v62, v96
	v_add_f32_e32 v52, v52, v92
	v_lshlrev_b32_e32 v26, 16, v26
	v_fmac_f32_e32 v94, v60, v32
	v_fmac_f32_e32 v116, v57, v25
	v_mul_f32_e32 v96, v93, v117
	v_and_b32_e32 v120, 0xffff0000, v28
	v_and_b32_e32 v124, 0xffff0000, v20
	v_add_f32_e32 v92, v52, v94
	v_dual_add_f32 v55, v55, v116 :: v_dual_and_b32 v52, 0xffff0000, v27
	v_and_b32_e32 v116, 0xffff0000, v17
	v_dual_fmac_f32 v96, v58, v26 :: v_dual_lshlrev_b32 v27, 16, v27
	s_delay_alu instid0(VALU_DEP_3) | instskip(NEXT) | instid1(VALU_DEP_3)
	v_dual_mul_f32 v94, v103, v52 :: v_dual_lshlrev_b32 v17, 16, v17
	v_mul_f32_e32 v118, v76, v116
	v_lshlrev_b32_e32 v28, 16, v28
	s_delay_alu instid0(VALU_DEP_4) | instskip(NEXT) | instid1(VALU_DEP_4)
	v_add_f32_e32 v55, v55, v96
	v_fmac_f32_e32 v94, v59, v27
	v_mul_f32_e32 v96, v93, v119
	v_fmac_f32_e32 v118, v57, v17
	v_mul_f32_e32 v122, v56, v120
	s_delay_alu instid0(VALU_DEP_4)
	v_dual_mul_f32 v76, v76, v123 :: v_dual_add_f32 v55, v55, v94
	v_mul_f32_e32 v94, v56, v124
	v_lshlrev_b32_e32 v18, 16, v18
	v_add_f32_e32 v78, v78, v118
	v_mul_f32_e32 v118, v103, v121
	v_fmac_f32_e32 v122, v60, v28
	v_fmac_f32_e32 v76, v57, v13
	;; [unrolled: 1-line block ×3, first 2 shown]
	v_lshlrev_b32_e32 v20, 16, v20
	v_dual_fmac_f32 v118, v59, v19 :: v_dual_mul_f32 v57, v93, v125
	v_add_nc_u32_e32 v88, 0x400, v88
	s_delay_alu instid0(VALU_DEP_4) | instskip(SKIP_3) | instid1(VALU_DEP_4)
	v_add_f32_e32 v78, v78, v96
	v_dual_add_f32 v96, v55, v122 :: v_dual_add_f32 v55, v62, v76
	v_and_b32_e32 v62, 0xffff0000, v15
	v_fmac_f32_e32 v94, v60, v20
	v_add_f32_e32 v78, v78, v118
	v_fmac_f32_e32 v57, v58, v14
	v_lshlrev_b32_e32 v15, 16, v15
	v_and_b32_e32 v58, 0xffff0000, v21
	v_mul_f32_e32 v76, v103, v62
	v_add_f32_e32 v93, v78, v94
	v_add_f32_e32 v55, v55, v57
	v_and_b32_e32 v57, 0xffff0000, v16
	v_dual_mul_f32 v78, v58, v75 :: v_dual_lshlrev_b32 v21, 16, v21
	v_dual_fmac_f32 v76, v59, v15 :: v_dual_and_b32 v59, 0xffff0000, v22
	s_delay_alu instid0(VALU_DEP_3) | instskip(SKIP_2) | instid1(VALU_DEP_3)
	v_mul_f32_e32 v56, v56, v57
	v_lshlrev_b32_e32 v22, 16, v22
	s_addk_i32 s1, 0x200
	v_add_f32_e32 v55, v55, v76
	v_dual_mul_f32 v103, v59, v98 :: v_dual_lshlrev_b32 v16, 16, v16
	v_fmac_f32_e32 v78, v21, v53
	v_and_b32_e32 v76, 0xffff0000, v23
	s_delay_alu instid0(VALU_DEP_3) | instskip(NEXT) | instid1(VALU_DEP_3)
	v_dual_fmac_f32 v56, v60, v16 :: v_dual_lshlrev_b32 v23, 16, v23
	v_dual_fmac_f32 v103, v22, v49 :: v_dual_add_f32 v60, v91, v78
	s_delay_alu instid0(VALU_DEP_3) | instskip(SKIP_1) | instid1(VALU_DEP_4)
	v_mul_f32_e32 v78, v76, v54
	v_mul_f32_e32 v118, v59, v102
	v_add_f32_e32 v94, v55, v56
	v_mul_f32_e32 v56, v58, v101
	v_add_f32_e32 v60, v60, v103
	v_fmac_f32_e32 v78, v23, v50
	v_mul_f32_e32 v103, v59, v104
	v_and_b32_e32 v55, 0xffff0000, v24
	v_fmac_f32_e32 v56, v21, v100
	v_lshlrev_b32_e32 v24, 16, v24
	v_add_f32_e32 v60, v60, v78
	v_fmac_f32_e32 v103, v22, v46
	v_mul_f32_e32 v78, v58, v106
	v_dual_mul_f32 v58, v58, v110 :: v_dual_mul_f32 v91, v55, v105
	v_add_f32_e32 v56, v90, v56
	v_mul_f32_e32 v90, v76, v51
	s_delay_alu instid0(VALU_DEP_4) | instskip(NEXT) | instid1(VALU_DEP_4)
	v_fmac_f32_e32 v78, v21, v41
	v_dual_fmac_f32 v58, v21, v37 :: v_dual_mul_f32 v21, v59, v111
	v_and_b32_e32 v59, 0xffff0000, v33
	v_fmac_f32_e32 v91, v24, v45
	v_add_f32_e32 v56, v56, v103
	v_fmac_f32_e32 v90, v23, v47
	v_add_f32_e32 v78, v89, v78
	v_dual_fmac_f32 v118, v22, v42 :: v_dual_mul_f32 v89, v76, v109
	v_add_f32_e32 v58, v95, v58
	v_dual_fmac_f32 v21, v22, v38 :: v_dual_lshlrev_b32 v22, 16, v33
	v_mul_f32_e32 v33, v59, v97
	v_dual_mul_f32 v76, v76, v77 :: v_dual_and_b32 v95, 0xffff0000, v34
	v_add_f32_e32 v60, v60, v91
	v_add_f32_e32 v56, v56, v90
	v_mul_f32_e32 v90, v55, v107
	v_dual_add_f32 v78, v78, v118 :: v_dual_fmac_f32 v89, v23, v43
	v_add_f32_e32 v21, v58, v21
	v_dual_fmac_f32 v33, v22, v29 :: v_dual_lshlrev_b32 v34, 16, v34
	v_mul_f32_e32 v58, v95, v108
	v_fmac_f32_e32 v76, v23, v39
	v_dual_fmac_f32 v90, v24, v48 :: v_dual_and_b32 v23, 0xffff0000, v35
	v_dual_add_f32 v78, v78, v89 :: v_dual_mul_f32 v89, v55, v112
	v_mul_f32_e32 v55, v55, v99
	v_dual_add_f32 v33, v60, v33 :: v_dual_fmac_f32 v58, v34, v30
	s_delay_alu instid0(VALU_DEP_4) | instskip(NEXT) | instid1(VALU_DEP_4)
	v_dual_mul_f32 v60, v23, v113 :: v_dual_lshlrev_b32 v35, 16, v35
	v_fmac_f32_e32 v89, v24, v44
	v_add_f32_e32 v21, v21, v76
	s_delay_alu instid0(VALU_DEP_4) | instskip(NEXT) | instid1(VALU_DEP_4)
	v_dual_fmac_f32 v55, v24, v40 :: v_dual_add_f32 v24, v33, v58
	v_dual_fmac_f32 v60, v35, v31 :: v_dual_add_f32 v33, v56, v90
	v_mul_f32_e32 v56, v59, v115
	s_delay_alu instid0(VALU_DEP_3) | instskip(SKIP_1) | instid1(VALU_DEP_4)
	v_add_f32_e32 v21, v21, v55
	v_and_b32_e32 v55, 0xffff0000, v36
	v_add_f32_e32 v24, v24, v60
	v_mul_f32_e32 v60, v95, v117
	v_fmac_f32_e32 v56, v22, v25
	v_add_f32_e32 v58, v78, v89
	v_lshlrev_b32_e32 v36, 16, v36
	v_mul_f32_e32 v78, v55, v114
	s_delay_alu instid0(VALU_DEP_4) | instskip(SKIP_2) | instid1(VALU_DEP_3)
	v_dual_fmac_f32 v60, v34, v26 :: v_dual_add_f32 v33, v33, v56
	v_mul_f32_e32 v56, v95, v119
	s_cmp_ge_u32 s1, s8
	v_fmac_f32_e32 v78, v36, v32
	s_delay_alu instid0(VALU_DEP_3) | instskip(SKIP_4) | instid1(VALU_DEP_3)
	v_add_f32_e32 v33, v33, v60
	v_mul_f32_e32 v89, v23, v52
	v_mul_f32_e32 v76, v59, v116
	v_mul_f32_e32 v59, v59, v123
	v_dual_add_f32 v91, v24, v78 :: v_dual_mul_f32 v24, v55, v120
	v_dual_fmac_f32 v89, v35, v27 :: v_dual_fmac_f32 v76, v22, v17
	s_delay_alu instid0(VALU_DEP_3) | instskip(SKIP_2) | instid1(VALU_DEP_4)
	v_fmac_f32_e32 v59, v22, v13
	v_mul_f32_e32 v60, v23, v121
	v_mul_f32_e32 v23, v23, v62
	v_dual_add_f32 v33, v33, v89 :: v_dual_add_f32 v58, v58, v76
	s_delay_alu instid0(VALU_DEP_4) | instskip(NEXT) | instid1(VALU_DEP_4)
	v_dual_add_f32 v21, v21, v59 :: v_dual_fmac_f32 v24, v36, v28
	v_fmac_f32_e32 v60, v35, v19
	s_delay_alu instid0(VALU_DEP_2) | instskip(SKIP_3) | instid1(VALU_DEP_3)
	v_dual_fmac_f32 v23, v35, v15 :: v_dual_add_f32 v90, v33, v24
	v_dual_mul_f32 v33, v95, v125 :: v_dual_fmac_f32 v56, v34, v18
	v_and_b32_e32 v24, 0xffff0000, v6
	v_lshlrev_b32_e32 v6, 16, v6
	v_fmac_f32_e32 v33, v34, v14
	s_delay_alu instid0(VALU_DEP_4) | instskip(SKIP_2) | instid1(VALU_DEP_3)
	v_add_f32_e32 v56, v58, v56
	v_and_b32_e32 v34, 0xffff0000, v7
	v_lshlrev_b32_e32 v7, 16, v7
	v_dual_add_f32 v21, v21, v33 :: v_dual_add_f32 v56, v56, v60
	v_and_b32_e32 v60, 0xffff0000, v5
	v_lshlrev_b32_e32 v5, 16, v5
	v_mul_f32_e32 v33, v55, v57
	s_delay_alu instid0(VALU_DEP_4) | instskip(NEXT) | instid1(VALU_DEP_4)
	v_add_f32_e32 v21, v21, v23
	v_dual_mul_f32 v22, v60, v75 :: v_dual_and_b32 v23, 0xffff0000, v8
	v_dual_mul_f32 v35, v60, v101 :: v_dual_lshlrev_b32 v8, 16, v8
	s_delay_alu instid0(VALU_DEP_2) | instskip(NEXT) | instid1(VALU_DEP_1)
	v_dual_fmac_f32 v22, v5, v53 :: v_dual_mul_f32 v53, v24, v98
	v_dual_fmac_f32 v35, v5, v100 :: v_dual_add_f32 v22, v87, v22
	s_delay_alu instid0(VALU_DEP_2) | instskip(SKIP_1) | instid1(VALU_DEP_3)
	v_fmac_f32_e32 v53, v6, v49
	v_dual_mul_f32 v49, v34, v54 :: v_dual_mul_f32 v58, v55, v124
	v_add_f32_e32 v35, v86, v35
	s_delay_alu instid0(VALU_DEP_2) | instskip(SKIP_1) | instid1(VALU_DEP_4)
	v_dual_add_f32 v22, v22, v53 :: v_dual_fmac_f32 v49, v7, v50
	v_mul_f32_e32 v50, v60, v106
	v_fmac_f32_e32 v58, v36, v20
	s_delay_alu instid0(VALU_DEP_3) | instskip(NEXT) | instid1(VALU_DEP_3)
	v_add_f32_e32 v22, v22, v49
	v_dual_fmac_f32 v50, v5, v41 :: v_dual_mul_f32 v41, v24, v102
	v_mul_f32_e32 v49, v23, v105
	s_delay_alu instid0(VALU_DEP_4) | instskip(NEXT) | instid1(VALU_DEP_3)
	v_add_f32_e32 v89, v56, v58
	v_fmac_f32_e32 v41, v6, v42
	v_fmac_f32_e32 v33, v36, v16
	v_mul_f32_e32 v36, v24, v104
	v_fmac_f32_e32 v49, v8, v45
	v_dual_mul_f32 v42, v34, v109 :: v_dual_add_f32 v45, v85, v50
	s_delay_alu instid0(VALU_DEP_3) | instskip(SKIP_2) | instid1(VALU_DEP_4)
	v_dual_add_f32 v95, v21, v33 :: v_dual_fmac_f32 v36, v6, v46
	v_mul_f32_e32 v46, v34, v51
	v_mul_f32_e32 v34, v34, v77
	v_dual_fmac_f32 v42, v7, v43 :: v_dual_add_f32 v41, v45, v41
	s_delay_alu instid0(VALU_DEP_4) | instskip(NEXT) | instid1(VALU_DEP_4)
	v_add_f32_e32 v35, v35, v36
	v_fmac_f32_e32 v46, v7, v47
	v_dual_mul_f32 v36, v23, v107 :: v_dual_mul_f32 v47, v60, v110
	v_fmac_f32_e32 v34, v7, v39
	v_mul_f32_e32 v7, v23, v99
	s_delay_alu instid0(VALU_DEP_3) | instskip(NEXT) | instid1(VALU_DEP_4)
	v_dual_add_f32 v35, v35, v46 :: v_dual_fmac_f32 v36, v8, v48
	v_fmac_f32_e32 v47, v5, v37
	v_dual_add_f32 v5, v22, v49 :: v_dual_mul_f32 v22, v24, v111
	s_delay_alu instid0(VALU_DEP_3) | instskip(NEXT) | instid1(VALU_DEP_3)
	v_dual_add_f32 v24, v35, v36 :: v_dual_and_b32 v37, 0xffff0000, v9
	v_dual_add_f32 v36, v84, v47 :: v_dual_lshlrev_b32 v9, 16, v9
	s_delay_alu instid0(VALU_DEP_3) | instskip(NEXT) | instid1(VALU_DEP_3)
	v_fmac_f32_e32 v22, v6, v38
	v_mul_f32_e32 v38, v37, v97
	v_mul_f32_e32 v6, v23, v112
	v_fmac_f32_e32 v7, v8, v40
	v_add_f32_e32 v35, v41, v42
	v_add_f32_e32 v22, v36, v22
	v_and_b32_e32 v36, 0xffff0000, v10
	v_fmac_f32_e32 v38, v9, v29
	v_lshlrev_b32_e32 v10, 16, v10
	v_fmac_f32_e32 v6, v8, v44
	s_delay_alu instid0(VALU_DEP_4) | instskip(NEXT) | instid1(VALU_DEP_4)
	v_dual_add_f32 v22, v22, v34 :: v_dual_mul_f32 v23, v36, v108
	v_add_f32_e32 v5, v5, v38
	v_mul_f32_e32 v8, v37, v115
	s_delay_alu instid0(VALU_DEP_3) | instskip(NEXT) | instid1(VALU_DEP_4)
	v_dual_add_f32 v6, v35, v6 :: v_dual_add_f32 v7, v22, v7
	v_dual_fmac_f32 v23, v10, v30 :: v_dual_and_b32 v22, 0xffff0000, v11
	s_delay_alu instid0(VALU_DEP_3) | instskip(SKIP_1) | instid1(VALU_DEP_3)
	v_dual_fmac_f32 v8, v9, v25 :: v_dual_lshlrev_b32 v11, 16, v11
	v_and_b32_e32 v29, 0xffff0000, v12
	v_add_f32_e32 v5, v5, v23
	v_mul_f32_e32 v23, v36, v117
	s_delay_alu instid0(VALU_DEP_4) | instskip(SKIP_1) | instid1(VALU_DEP_3)
	v_dual_mul_f32 v25, v22, v113 :: v_dual_add_f32 v8, v24, v8
	v_mul_f32_e32 v24, v22, v52
	v_dual_fmac_f32 v23, v10, v26 :: v_dual_lshlrev_b32 v12, 16, v12
	s_delay_alu instid0(VALU_DEP_3) | instskip(NEXT) | instid1(VALU_DEP_3)
	v_dual_fmac_f32 v25, v11, v31 :: v_dual_mul_f32 v26, v29, v114
	v_fmac_f32_e32 v24, v11, v27
	s_delay_alu instid0(VALU_DEP_3) | instskip(NEXT) | instid1(VALU_DEP_3)
	v_dual_add_f32 v8, v8, v23 :: v_dual_mul_f32 v23, v37, v116
	v_add_f32_e32 v5, v5, v25
	s_delay_alu instid0(VALU_DEP_4) | instskip(NEXT) | instid1(VALU_DEP_3)
	v_dual_mul_f32 v25, v37, v123 :: v_dual_fmac_f32 v26, v12, v32
	v_dual_add_f32 v8, v8, v24 :: v_dual_fmac_f32 v23, v9, v17
	v_mul_f32_e32 v17, v36, v119
	s_delay_alu instid0(VALU_DEP_3)
	v_fmac_f32_e32 v25, v9, v13
	v_mul_f32_e32 v9, v36, v125
	v_mul_f32_e32 v13, v22, v121
	v_add_f32_e32 v6, v6, v23
	v_fmac_f32_e32 v17, v10, v18
	v_add_f32_e32 v7, v7, v25
	v_fmac_f32_e32 v9, v10, v14
	v_mul_f32_e32 v10, v22, v62
	v_mul_f32_e32 v24, v29, v120
	v_dual_add_f32 v6, v6, v17 :: v_dual_fmac_f32 v13, v11, v19
	s_delay_alu instid0(VALU_DEP_4) | instskip(NEXT) | instid1(VALU_DEP_4)
	v_dual_mul_f32 v14, v29, v124 :: v_dual_add_f32 v7, v7, v9
	v_dual_fmac_f32 v10, v11, v15 :: v_dual_mul_f32 v9, v29, v57
	s_delay_alu instid0(VALU_DEP_4) | instskip(NEXT) | instid1(VALU_DEP_4)
	v_fmac_f32_e32 v24, v12, v28
	v_add_f32_e32 v6, v6, v13
	s_delay_alu instid0(VALU_DEP_3) | instskip(NEXT) | instid1(VALU_DEP_4)
	v_dual_fmac_f32 v14, v12, v20 :: v_dual_add_f32 v7, v7, v10
	v_fmac_f32_e32 v9, v12, v16
	s_delay_alu instid0(VALU_DEP_4) | instskip(NEXT) | instid1(VALU_DEP_2)
	v_dual_add_f32 v87, v5, v26 :: v_dual_add_f32 v86, v8, v24
	v_dual_add_f32 v85, v6, v14 :: v_dual_add_f32 v84, v7, v9
	s_cbranch_scc1 .LBB231_50
.LBB231_24:                             ;   Parent Loop BB231_19 Depth=1
                                        ; =>  This Inner Loop Header: Depth=2
	v_add_nc_u32_e32 v76, s1, v0
	s_waitcnt vmcnt(6)
	v_dual_mov_b32 v36, 0 :: v_dual_mov_b32 v35, 0
	s_waitcnt vmcnt(5)
	v_dual_mov_b32 v34, 0 :: v_dual_mov_b32 v33, 0
	v_min_u32_e32 v62, s23, v76
	v_dual_mov_b32 v60, 0 :: v_dual_add_nc_u32 v75, 0x100, v76
	v_dual_mov_b32 v59, 0 :: v_dual_mov_b32 v58, 0
	v_mov_b32_e32 v57, 0
	s_delay_alu instid0(VALU_DEP_4) | instskip(NEXT) | instid1(VALU_DEP_4)
	v_lshlrev_b64 v[5:6], 1, v[62:63]
	v_min_u32_e32 v62, s23, v75
	s_waitcnt vmcnt(2)
	v_dual_mov_b32 v24, 0 :: v_dual_mov_b32 v23, 0
	v_dual_mov_b32 v22, 0 :: v_dual_mov_b32 v21, 0
	s_delay_alu instid0(VALU_DEP_4) | instskip(SKIP_2) | instid1(VALU_DEP_3)
	v_add_co_u32 v13, vcc_lo, s6, v5
	v_add_co_ci_u32_e32 v14, vcc_lo, s7, v6, vcc_lo
	v_lshlrev_b64 v[5:6], 1, v[62:63]
	v_add_co_u32 v7, vcc_lo, v13, v67
	s_delay_alu instid0(VALU_DEP_3)
	v_add_co_ci_u32_e32 v8, vcc_lo, v14, v68, vcc_lo
	v_add_co_u32 v9, vcc_lo, v13, v69
	v_add_co_ci_u32_e32 v10, vcc_lo, v14, v70, vcc_lo
	v_add_co_u32 v11, vcc_lo, v13, v71
	;; [unrolled: 2-line block ×4, first 2 shown]
	v_add_co_ci_u32_e32 v6, vcc_lo, v14, v74, vcc_lo
	s_clause 0x1
	global_load_b128 v[49:52], v[7:8], off slc dlc
	global_load_b128 v[45:48], v[9:10], off slc dlc
	v_add_co_u32 v7, vcc_lo, v15, v67
	v_add_co_ci_u32_e32 v8, vcc_lo, v16, v68, vcc_lo
	v_add_co_u32 v9, vcc_lo, v15, v69
	v_add_co_ci_u32_e32 v10, vcc_lo, v16, v70, vcc_lo
	;; [unrolled: 2-line block ×4, first 2 shown]
	s_clause 0x5
	global_load_b128 v[41:44], v[11:12], off slc dlc
	global_load_b128 v[37:40], v[5:6], off slc dlc
	;; [unrolled: 1-line block ×6, first 2 shown]
	v_dual_mov_b32 v12, 0 :: v_dual_mov_b32 v11, 0
	v_cmp_gt_u32_e32 vcc_lo, s8, v76
	v_dual_mov_b32 v10, 0 :: v_dual_mov_b32 v9, 0
	v_dual_mov_b32 v8, 0 :: v_dual_mov_b32 v7, 0
	;; [unrolled: 1-line block ×5, first 2 shown]
	s_and_saveexec_b32 s2, vcc_lo
	s_cbranch_execz .LBB231_23
; %bb.25:                               ;   in Loop: Header=BB231_24 Depth=2
	s_mov_b32 s3, exec_lo
                                        ; implicit-def: $vgpr56
	v_cmpx_lt_u32_e32 0x7fff, v76
	s_xor_b32 s3, exec_lo, s3
	s_cbranch_execz .LBB231_27
; %bb.26:                               ;   in Loop: Header=BB231_24 Depth=2
	v_mov_b32_e32 v77, v63
	s_delay_alu instid0(VALU_DEP_1) | instskip(NEXT) | instid1(VALU_DEP_1)
	v_lshlrev_b64 v[5:6], 1, v[76:77]
	v_add_co_u32 v5, vcc_lo, s16, v5
	s_delay_alu instid0(VALU_DEP_2)
	v_add_co_ci_u32_e32 v6, vcc_lo, s17, v6, vcc_lo
	global_load_b128 v[53:56], v[5:6], off
.LBB231_27:                             ;   in Loop: Header=BB231_24 Depth=2
	s_and_not1_saveexec_b32 s3, s3
	s_cbranch_execz .LBB231_29
; %bb.28:                               ;   in Loop: Header=BB231_24 Depth=2
	s_waitcnt vmcnt(0)
	ds_load_b128 v[53:56], v88
.LBB231_29:                             ;   in Loop: Header=BB231_24 Depth=2
	s_or_b32 exec_lo, exec_lo, s3
	v_add_nc_u32_e32 v62, s1, v80
	s_mov_b32 s3, exec_lo
                                        ; implicit-def: $vgpr24
	s_delay_alu instid0(VALU_DEP_1)
	v_cmpx_lt_u32_e32 0x7fff, v62
	s_xor_b32 s3, exec_lo, s3
	s_cbranch_execz .LBB231_31
; %bb.30:                               ;   in Loop: Header=BB231_24 Depth=2
	v_lshlrev_b64 v[5:6], 1, v[62:63]
	s_delay_alu instid0(VALU_DEP_1) | instskip(NEXT) | instid1(VALU_DEP_2)
	v_add_co_u32 v5, vcc_lo, s16, v5
	v_add_co_ci_u32_e32 v6, vcc_lo, s17, v6, vcc_lo
	global_load_b128 v[21:24], v[5:6], off
.LBB231_31:                             ;   in Loop: Header=BB231_24 Depth=2
	s_and_not1_saveexec_b32 s3, s3
	s_cbranch_execz .LBB231_33
; %bb.32:                               ;   in Loop: Header=BB231_24 Depth=2
	v_add_nc_u32_e32 v5, s26, v88
	s_waitcnt vmcnt(0)
	ds_load_b128 v[21:24], v5
.LBB231_33:                             ;   in Loop: Header=BB231_24 Depth=2
	s_or_b32 exec_lo, exec_lo, s3
	v_add_nc_u32_e32 v77, s1, v83
	s_mov_b32 s3, exec_lo
                                        ; implicit-def: $vgpr8
	s_delay_alu instid0(VALU_DEP_1)
	v_cmpx_lt_u32_e32 0x7fff, v77
	s_xor_b32 s3, exec_lo, s3
	s_cbranch_execz .LBB231_35
; %bb.34:                               ;   in Loop: Header=BB231_24 Depth=2
	v_mov_b32_e32 v78, v63
	s_delay_alu instid0(VALU_DEP_1) | instskip(NEXT) | instid1(VALU_DEP_1)
	v_lshlrev_b64 v[5:6], 1, v[77:78]
	v_add_co_u32 v5, vcc_lo, s16, v5
	s_delay_alu instid0(VALU_DEP_2)
	v_add_co_ci_u32_e32 v6, vcc_lo, s17, v6, vcc_lo
	global_load_b128 v[5:8], v[5:6], off
.LBB231_35:                             ;   in Loop: Header=BB231_24 Depth=2
	s_and_not1_saveexec_b32 s3, s3
	s_cbranch_execz .LBB231_37
; %bb.36:                               ;   in Loop: Header=BB231_24 Depth=2
	s_waitcnt vmcnt(0)
	v_add_nc_u32_e32 v7, s10, v88
	ds_load_2addr_b32 v[5:6], v7 offset1:1
	ds_load_2addr_b32 v[7:8], v7 offset0:2 offset1:3
.LBB231_37:                             ;   in Loop: Header=BB231_24 Depth=2
	s_or_b32 exec_lo, exec_lo, s3
	v_dual_mov_b32 v12, 0 :: v_dual_mov_b32 v11, 0
	v_dual_mov_b32 v10, 0 :: v_dual_mov_b32 v9, 0
	v_dual_mov_b32 v36, 0 :: v_dual_mov_b32 v35, 0
	v_dual_mov_b32 v34, 0 :: v_dual_mov_b32 v33, 0
	v_dual_mov_b32 v60, 0 :: v_dual_mov_b32 v59, 0
	v_dual_mov_b32 v58, 0 :: v_dual_mov_b32 v57, 0
	s_mov_b32 s3, exec_lo
	v_cmpx_gt_u32_e64 s8, v75
	s_cbranch_execz .LBB231_22
; %bb.38:                               ;   in Loop: Header=BB231_24 Depth=2
	s_mov_b32 s4, exec_lo
                                        ; implicit-def: $vgpr60
	v_cmpx_lt_u32_e32 0x7fff, v75
	s_xor_b32 s4, exec_lo, s4
	s_cbranch_execz .LBB231_40
; %bb.39:                               ;   in Loop: Header=BB231_24 Depth=2
	v_mov_b32_e32 v76, v63
	s_delay_alu instid0(VALU_DEP_1) | instskip(NEXT) | instid1(VALU_DEP_1)
	v_lshlrev_b64 v[9:10], 1, v[75:76]
	v_add_co_u32 v9, vcc_lo, s16, v9
	s_delay_alu instid0(VALU_DEP_2)
	v_add_co_ci_u32_e32 v10, vcc_lo, s17, v10, vcc_lo
	global_load_b128 v[57:60], v[9:10], off
.LBB231_40:                             ;   in Loop: Header=BB231_24 Depth=2
	s_and_not1_saveexec_b32 s4, s4
	s_cbranch_execz .LBB231_42
; %bb.41:                               ;   in Loop: Header=BB231_24 Depth=2
	s_waitcnt vmcnt(0)
	ds_load_b128 v[57:60], v88 offset:512
.LBB231_42:                             ;   in Loop: Header=BB231_24 Depth=2
	s_or_b32 exec_lo, exec_lo, s4
	v_add_nc_u32_e32 v62, 0x100, v62
	s_mov_b32 s4, exec_lo
                                        ; implicit-def: $vgpr36
	s_delay_alu instid0(VALU_DEP_1)
	v_cmpx_lt_u32_e32 0x7fff, v62
	s_xor_b32 s4, exec_lo, s4
	s_cbranch_execz .LBB231_44
; %bb.43:                               ;   in Loop: Header=BB231_24 Depth=2
	v_lshlrev_b64 v[9:10], 1, v[62:63]
	s_delay_alu instid0(VALU_DEP_1) | instskip(NEXT) | instid1(VALU_DEP_2)
	v_add_co_u32 v9, vcc_lo, s16, v9
	v_add_co_ci_u32_e32 v10, vcc_lo, s17, v10, vcc_lo
	global_load_b128 v[33:36], v[9:10], off
.LBB231_44:                             ;   in Loop: Header=BB231_24 Depth=2
	s_and_not1_saveexec_b32 s4, s4
	s_cbranch_execz .LBB231_46
; %bb.45:                               ;   in Loop: Header=BB231_24 Depth=2
	v_add_nc_u32_e32 v9, s26, v88
	s_waitcnt vmcnt(0)
	ds_load_b128 v[33:36], v9 offset:512
.LBB231_46:                             ;   in Loop: Header=BB231_24 Depth=2
	s_or_b32 exec_lo, exec_lo, s4
	v_add_nc_u32_e32 v62, 0x100, v77
	s_mov_b32 s4, exec_lo
                                        ; implicit-def: $vgpr12
	s_delay_alu instid0(VALU_DEP_1)
	v_cmpx_lt_u32_e32 0x7fff, v62
	s_xor_b32 s4, exec_lo, s4
	s_cbranch_execz .LBB231_48
; %bb.47:                               ;   in Loop: Header=BB231_24 Depth=2
	v_lshlrev_b64 v[9:10], 1, v[62:63]
	s_delay_alu instid0(VALU_DEP_1) | instskip(NEXT) | instid1(VALU_DEP_2)
	v_add_co_u32 v9, vcc_lo, s16, v9
	v_add_co_ci_u32_e32 v10, vcc_lo, s17, v10, vcc_lo
	global_load_b128 v[9:12], v[9:10], off
.LBB231_48:                             ;   in Loop: Header=BB231_24 Depth=2
	s_and_not1_saveexec_b32 s4, s4
	s_cbranch_execz .LBB231_21
; %bb.49:                               ;   in Loop: Header=BB231_24 Depth=2
	s_waitcnt vmcnt(0)
	v_add_nc_u32_e32 v11, s10, v88
	ds_load_2addr_b32 v[9:10], v11 offset0:128 offset1:129
	ds_load_2addr_b32 v[11:12], v11 offset0:130 offset1:131
	s_branch .LBB231_21
.LBB231_50:                             ;   in Loop: Header=BB231_19 Depth=1
	s_delay_alu instid0(VALU_DEP_1)
	v_cvt_i32_f32_e32 v5, v92
	s_waitcnt lgkmcnt(0)
	v_cvt_i32_f32_e32 v6, v96
	v_cvt_i32_f32_e32 v7, v93
	;; [unrolled: 1-line block ×4, first 2 shown]
	v_cvt_f32_i32_dpp v5, v5 row_shr:8 row_mask:0xf bank_mask:0xf bound_ctrl:1
	v_cvt_f32_i32_dpp v6, v6 row_shr:8 row_mask:0xf bank_mask:0xf bound_ctrl:1
	;; [unrolled: 1-line block ×4, first 2 shown]
	v_cvt_i32_f32_e32 v10, v90
	v_add_f32_e32 v5, v92, v5
	s_delay_alu instid0(VALU_DEP_4) | instskip(NEXT) | instid1(VALU_DEP_4)
	v_dual_add_f32 v6, v96, v6 :: v_dual_add_f32 v7, v93, v7
	v_add_f32_e32 v8, v94, v8
	v_cvt_f32_i32_dpp v9, v9 row_shr:8 row_mask:0xf bank_mask:0xf bound_ctrl:1
	s_delay_alu instid0(VALU_DEP_4) | instskip(NEXT) | instid1(VALU_DEP_4)
	v_cvt_i32_f32_e32 v12, v5
	v_cvt_i32_f32_e32 v13, v6
	v_cvt_f32_i32_dpp v10, v10 row_shr:8 row_mask:0xf bank_mask:0xf bound_ctrl:1
	v_cvt_i32_f32_e32 v11, v89
	v_add_f32_e32 v9, v91, v9
	v_cvt_f32_i32_dpp v12, v12 row_shr:4 row_mask:0xf bank_mask:0xf bound_ctrl:1
	v_cvt_f32_i32_dpp v13, v13 row_shr:4 row_mask:0xf bank_mask:0xf bound_ctrl:1
	v_add_f32_e32 v10, v90, v10
	v_cvt_f32_i32_dpp v11, v11 row_shr:8 row_mask:0xf bank_mask:0xf bound_ctrl:1
	v_cvt_i32_f32_e32 v16, v9
	s_delay_alu instid0(VALU_DEP_4)
	v_dual_add_f32 v5, v5, v12 :: v_dual_add_f32 v6, v6, v13
	v_cvt_i32_f32_e32 v12, v7
	v_cvt_i32_f32_e32 v13, v8
	s_waitcnt vmcnt(0)
	v_cvt_i32_f32_e32 v17, v10
	v_cvt_i32_f32_e32 v14, v5
	v_cvt_i32_f32_e32 v15, v6
	v_cvt_f32_i32_dpp v12, v12 row_shr:4 row_mask:0xf bank_mask:0xf bound_ctrl:1
	v_cvt_f32_i32_dpp v13, v13 row_shr:4 row_mask:0xf bank_mask:0xf bound_ctrl:1
	v_add_f32_e32 v11, v89, v11
	v_cvt_f32_i32_dpp v14, v14 row_shr:2 row_mask:0xf bank_mask:0xf bound_ctrl:1
	v_cvt_f32_i32_dpp v15, v15 row_shr:2 row_mask:0xf bank_mask:0xf bound_ctrl:1
	v_cvt_f32_i32_dpp v16, v16 row_shr:4 row_mask:0xf bank_mask:0xf bound_ctrl:1
	v_add_f32_e32 v8, v8, v13
	v_cvt_i32_f32_e32 v18, v11
	s_delay_alu instid0(VALU_DEP_4) | instskip(SKIP_2) | instid1(VALU_DEP_4)
	v_dual_add_f32 v5, v5, v14 :: v_dual_add_f32 v6, v6, v15
	v_cvt_f32_i32_dpp v14, v17 row_shr:4 row_mask:0xf bank_mask:0xf bound_ctrl:1
	v_add_f32_e32 v7, v7, v12
	v_cvt_f32_i32_dpp v15, v18 row_shr:4 row_mask:0xf bank_mask:0xf bound_ctrl:1
	s_delay_alu instid0(VALU_DEP_4) | instskip(SKIP_3) | instid1(VALU_DEP_4)
	v_cvt_i32_f32_e32 v12, v5
	v_cvt_i32_f32_e32 v17, v6
	v_add_f32_e32 v10, v10, v14
	v_cvt_i32_f32_e32 v14, v7
	v_cvt_f32_i32_dpp v12, v12 row_shr:1 row_mask:0xf bank_mask:0xf bound_ctrl:1
	s_delay_alu instid0(VALU_DEP_4) | instskip(SKIP_2) | instid1(VALU_DEP_3)
	v_cvt_f32_i32_dpp v13, v17 row_shr:1 row_mask:0xf bank_mask:0xf bound_ctrl:1
	v_add_f32_e32 v11, v11, v15
	v_cvt_i32_f32_e32 v15, v8
	v_dual_add_f32 v32, v5, v12 :: v_dual_add_f32 v29, v6, v13
	v_cvt_i32_f32_e32 v6, v10
	v_cvt_f32_i32_dpp v13, v14 row_shr:2 row_mask:0xf bank_mask:0xf bound_ctrl:1
	s_delay_alu instid0(VALU_DEP_4) | instskip(SKIP_3) | instid1(VALU_DEP_4)
	v_cvt_f32_i32_dpp v14, v15 row_shr:2 row_mask:0xf bank_mask:0xf bound_ctrl:1
	v_add_f32_e32 v9, v9, v16
	v_cvt_i32_f32_e32 v12, v11
	v_cvt_f32_i32_dpp v6, v6 row_shr:2 row_mask:0xf bank_mask:0xf bound_ctrl:1
	v_dual_add_f32 v7, v7, v13 :: v_dual_add_f32 v8, v8, v14
	s_delay_alu instid0(VALU_DEP_4) | instskip(NEXT) | instid1(VALU_DEP_4)
	v_cvt_i32_f32_e32 v5, v9
	v_cvt_f32_i32_dpp v12, v12 row_shr:2 row_mask:0xf bank_mask:0xf bound_ctrl:1
	s_delay_alu instid0(VALU_DEP_4) | instskip(NEXT) | instid1(VALU_DEP_4)
	v_add_f32_e32 v6, v10, v6
	v_cvt_i32_f32_e32 v10, v7
	ds_bpermute_b32 v33, v81, v32
	v_cvt_f32_i32_dpp v5, v5 row_shr:2 row_mask:0xf bank_mask:0xf bound_ctrl:1
	v_cvt_i32_f32_e32 v13, v6
	v_cvt_f32_i32_dpp v10, v10 row_shr:1 row_mask:0xf bank_mask:0xf bound_ctrl:1
	s_delay_alu instid0(VALU_DEP_2) | instskip(NEXT) | instid1(VALU_DEP_2)
	v_cvt_f32_i32_dpp v13, v13 row_shr:1 row_mask:0xf bank_mask:0xf bound_ctrl:1
	v_add_f32_e32 v27, v7, v10
	v_cvt_i32_f32_e32 v7, v86
	s_delay_alu instid0(VALU_DEP_3) | instskip(SKIP_1) | instid1(VALU_DEP_3)
	v_add_f32_e32 v18, v6, v13
	v_cvt_i32_f32_e32 v6, v87
	v_cvt_f32_i32_dpp v7, v7 row_shr:8 row_mask:0xf bank_mask:0xf bound_ctrl:1
	ds_bpermute_b32 v28, v81, v27
	ds_bpermute_b32 v19, v81, v18
	v_cvt_f32_i32_dpp v6, v6 row_shr:8 row_mask:0xf bank_mask:0xf bound_ctrl:1
	s_delay_alu instid0(VALU_DEP_1) | instskip(SKIP_2) | instid1(VALU_DEP_3)
	v_dual_add_f32 v5, v9, v5 :: v_dual_add_f32 v6, v87, v6
	v_add_f32_e32 v9, v11, v12
	v_cvt_i32_f32_e32 v11, v8
	v_cvt_i32_f32_e32 v12, v5
	s_delay_alu instid0(VALU_DEP_2) | instskip(NEXT) | instid1(VALU_DEP_2)
	v_cvt_f32_i32_dpp v11, v11 row_shr:1 row_mask:0xf bank_mask:0xf bound_ctrl:1
	v_cvt_f32_i32_dpp v12, v12 row_shr:1 row_mask:0xf bank_mask:0xf bound_ctrl:1
	s_delay_alu instid0(VALU_DEP_2)
	v_add_f32_e32 v24, v8, v11
	v_cvt_i32_f32_e32 v8, v85
	v_cvt_i32_f32_e32 v11, v6
	ds_bpermute_b32 v30, v81, v29
	ds_bpermute_b32 v25, v81, v24
	v_cvt_f32_i32_dpp v8, v8 row_shr:8 row_mask:0xf bank_mask:0xf bound_ctrl:1
	v_add_f32_e32 v7, v86, v7
	v_cvt_f32_i32_dpp v11, v11 row_shr:4 row_mask:0xf bank_mask:0xf bound_ctrl:1
	s_delay_alu instid0(VALU_DEP_3) | instskip(NEXT) | instid1(VALU_DEP_2)
	v_add_f32_e32 v8, v85, v8
	v_add_f32_e32 v6, v6, v11
	v_cvt_i32_f32_e32 v14, v9
	s_delay_alu instid0(VALU_DEP_3) | instskip(NEXT) | instid1(VALU_DEP_3)
	v_cvt_i32_f32_e32 v15, v8
	v_cvt_i32_f32_e32 v11, v6
	s_delay_alu instid0(VALU_DEP_3) | instskip(NEXT) | instid1(VALU_DEP_3)
	v_cvt_f32_i32_dpp v14, v14 row_shr:1 row_mask:0xf bank_mask:0xf bound_ctrl:1
	v_cvt_f32_i32_dpp v15, v15 row_shr:4 row_mask:0xf bank_mask:0xf bound_ctrl:1
	v_add_f32_e32 v21, v5, v12
	v_cvt_i32_f32_e32 v5, v95
	v_cvt_f32_i32_dpp v11, v11 row_shr:2 row_mask:0xf bank_mask:0xf bound_ctrl:1
	v_add_f32_e32 v13, v9, v14
	v_cvt_i32_f32_e32 v9, v84
	v_add_f32_e32 v8, v8, v15
	v_cvt_f32_i32_dpp v5, v5 row_shr:8 row_mask:0xf bank_mask:0xf bound_ctrl:1
	v_add_f32_e32 v6, v6, v11
	v_cvt_i32_f32_e32 v12, v7
	v_cvt_f32_i32_dpp v9, v9 row_shr:8 row_mask:0xf bank_mask:0xf bound_ctrl:1
	v_cvt_i32_f32_e32 v15, v8
	ds_bpermute_b32 v22, v81, v21
	v_cvt_i32_f32_e32 v11, v6
	v_cvt_f32_i32_dpp v12, v12 row_shr:4 row_mask:0xf bank_mask:0xf bound_ctrl:1
	v_add_f32_e32 v9, v84, v9
	v_cvt_f32_i32_dpp v15, v15 row_shr:2 row_mask:0xf bank_mask:0xf bound_ctrl:1
	v_add_f32_e32 v5, v95, v5
	;; [unrolled: 2-line block ×3, first 2 shown]
	v_cvt_i32_f32_e32 v16, v9
	v_add_f32_e32 v8, v8, v15
	v_cvt_i32_f32_e32 v10, v5
	ds_bpermute_b32 v14, v81, v13
	v_cvt_i32_f32_e32 v12, v7
	v_cvt_f32_i32_dpp v16, v16 row_shr:4 row_mask:0xf bank_mask:0xf bound_ctrl:1
	v_cvt_i32_f32_e32 v15, v8
	v_cvt_f32_i32_dpp v10, v10 row_shr:4 row_mask:0xf bank_mask:0xf bound_ctrl:1
	v_add_f32_e32 v11, v6, v11
	v_cvt_f32_i32_dpp v12, v12 row_shr:2 row_mask:0xf bank_mask:0xf bound_ctrl:1
	v_add_f32_e32 v9, v9, v16
	;; [unrolled: 2-line block ×3, first 2 shown]
	s_delay_alu instid0(VALU_DEP_4) | instskip(NEXT) | instid1(VALU_DEP_4)
	v_add_f32_e32 v7, v7, v12
	v_cvt_i32_f32_e32 v16, v9
	s_delay_alu instid0(VALU_DEP_3) | instskip(NEXT) | instid1(VALU_DEP_3)
	v_cvt_i32_f32_e32 v10, v5
	v_cvt_i32_f32_e32 v12, v7
	s_delay_alu instid0(VALU_DEP_3) | instskip(NEXT) | instid1(VALU_DEP_3)
	v_cvt_f32_i32_dpp v16, v16 row_shr:2 row_mask:0xf bank_mask:0xf bound_ctrl:1
	v_cvt_f32_i32_dpp v10, v10 row_shr:2 row_mask:0xf bank_mask:0xf bound_ctrl:1
	s_delay_alu instid0(VALU_DEP_3) | instskip(NEXT) | instid1(VALU_DEP_2)
	v_cvt_f32_i32_dpp v12, v12 row_shr:1 row_mask:0xf bank_mask:0xf bound_ctrl:1
	v_add_f32_e32 v5, v5, v10
	s_delay_alu instid0(VALU_DEP_4) | instskip(NEXT) | instid1(VALU_DEP_2)
	v_add_f32_e32 v10, v9, v16
	v_cvt_i32_f32_e32 v9, v5
	s_delay_alu instid0(VALU_DEP_2) | instskip(NEXT) | instid1(VALU_DEP_2)
	v_cvt_i32_f32_e32 v16, v10
	v_cvt_f32_i32_dpp v9, v9 row_shr:1 row_mask:0xf bank_mask:0xf bound_ctrl:1
	s_delay_alu instid0(VALU_DEP_2) | instskip(NEXT) | instid1(VALU_DEP_2)
	v_cvt_f32_i32_dpp v16, v16 row_shr:1 row_mask:0xf bank_mask:0xf bound_ctrl:1
	v_add_f32_e32 v15, v5, v9
	v_add_f32_e32 v9, v7, v12
	;; [unrolled: 1-line block ×3, first 2 shown]
	s_delay_alu instid0(VALU_DEP_4)
	v_add_f32_e32 v5, v10, v16
	ds_bpermute_b32 v12, v81, v11
	ds_bpermute_b32 v16, v81, v15
	;; [unrolled: 1-line block ×5, first 2 shown]
	s_and_saveexec_b32 s5, s0
	s_cbranch_execz .LBB231_125
; %bb.51:                               ;   in Loop: Header=BB231_19 Depth=1
	v_dual_mov_b32 v40, 0 :: v_dual_mov_b32 v39, 0
	v_dual_mov_b32 v38, 0 :: v_dual_mov_b32 v37, 0
	;; [unrolled: 1-line block ×6, first 2 shown]
	s_and_not1_b32 vcc_lo, exec_lo, s25
	s_cbranch_vccnz .LBB231_53
; %bb.52:                               ;   in Loop: Header=BB231_19 Depth=1
	v_mul_hi_u32 v17, v61, v82
	v_mul_hi_u32 v20, v66, v82
	;; [unrolled: 1-line block ×4, first 2 shown]
	v_mov_b32_e32 v49, v63
	v_mov_b32_e32 v51, v63
	;; [unrolled: 1-line block ×4, first 2 shown]
	v_mul_lo_u32 v17, v17, s18
	v_mul_lo_u32 v20, v20, s18
	v_mul_lo_u32 v23, v23, s18
	v_mul_lo_u32 v26, v26, s18
	s_delay_alu instid0(VALU_DEP_4) | instskip(NEXT) | instid1(VALU_DEP_4)
	v_sub_nc_u32_e32 v17, v61, v17
	v_sub_nc_u32_e32 v20, v66, v20
	s_delay_alu instid0(VALU_DEP_4) | instskip(NEXT) | instid1(VALU_DEP_4)
	v_sub_nc_u32_e32 v23, v65, v23
	v_sub_nc_u32_e32 v26, v64, v26
	s_delay_alu instid0(VALU_DEP_4)
	v_subrev_nc_u32_e32 v31, s18, v17
	v_cmp_le_u32_e32 vcc_lo, s18, v17
	v_subrev_nc_u32_e32 v34, s18, v20
	v_subrev_nc_u32_e32 v36, s18, v23
	;; [unrolled: 1-line block ×3, first 2 shown]
	v_cndmask_b32_e32 v17, v17, v31, vcc_lo
	v_cmp_le_u32_e32 vcc_lo, s18, v20
	v_mov_b32_e32 v35, v63
	s_delay_alu instid0(VALU_DEP_3) | instskip(SKIP_2) | instid1(VALU_DEP_2)
	v_subrev_nc_u32_e32 v31, s18, v17
	v_cndmask_b32_e32 v20, v20, v34, vcc_lo
	v_cmp_le_u32_e32 vcc_lo, s18, v23
	v_subrev_nc_u32_e32 v34, s18, v20
	v_cndmask_b32_e32 v23, v23, v36, vcc_lo
	v_cmp_le_u32_e32 vcc_lo, s18, v26
	v_dual_mov_b32 v37, v63 :: v_dual_cndmask_b32 v26, v26, v38
	v_cmp_le_u32_e32 vcc_lo, s18, v17
	s_delay_alu instid0(VALU_DEP_2) | instskip(SKIP_3) | instid1(VALU_DEP_3)
	v_subrev_nc_u32_e32 v38, s18, v26
	v_cndmask_b32_e32 v62, v17, v31, vcc_lo
	v_cmp_le_u32_e32 vcc_lo, s18, v20
	v_subrev_nc_u32_e32 v36, s18, v23
	v_lshlrev_b64 v[40:41], 1, v[62:63]
	v_cndmask_b32_e32 v34, v20, v34, vcc_lo
	v_cmp_le_u32_e32 vcc_lo, s18, v23
	v_add_nc_u32_e32 v48, s27, v62
	v_add_nc_u32_e32 v62, s28, v62
	s_delay_alu instid0(VALU_DEP_4) | instskip(SKIP_4) | instid1(VALU_DEP_4)
	v_lshlrev_b64 v[42:43], 1, v[34:35]
	v_cndmask_b32_e32 v36, v23, v36, vcc_lo
	v_cmp_le_u32_e32 vcc_lo, s18, v26
	v_dual_mov_b32 v39, v63 :: v_dual_add_nc_u32 v50, s27, v34
	v_lshlrev_b64 v[48:49], 1, v[48:49]
	v_lshlrev_b64 v[44:45], 1, v[36:37]
	v_cndmask_b32_e32 v38, v26, v38, vcc_lo
	v_add_co_u32 v40, vcc_lo, s12, v40
	v_add_co_ci_u32_e32 v41, vcc_lo, s13, v41, vcc_lo
	v_add_co_u32 v42, vcc_lo, s12, v42
	s_delay_alu instid0(VALU_DEP_4)
	v_lshlrev_b64 v[46:47], 1, v[38:39]
	v_add_co_ci_u32_e32 v43, vcc_lo, s13, v43, vcc_lo
	v_add_co_u32 v44, vcc_lo, s12, v44
	v_add_nc_u32_e32 v52, s27, v36
	v_add_co_ci_u32_e32 v45, vcc_lo, s13, v45, vcc_lo
	v_add_co_u32 v46, vcc_lo, s12, v46
	v_lshlrev_b64 v[50:51], 1, v[50:51]
	v_add_nc_u32_e32 v54, s27, v38
	v_add_co_ci_u32_e32 v47, vcc_lo, s13, v47, vcc_lo
	v_add_co_u32 v48, vcc_lo, s12, v48
	v_lshlrev_b64 v[52:53], 1, v[52:53]
	v_add_co_ci_u32_e32 v49, vcc_lo, s13, v49, vcc_lo
	v_lshlrev_b64 v[56:57], 1, v[62:63]
	v_add_nc_u32_e32 v62, s28, v34
	v_add_co_u32 v50, vcc_lo, s12, v50
	v_lshlrev_b64 v[54:55], 1, v[54:55]
	v_add_co_ci_u32_e32 v51, vcc_lo, s13, v51, vcc_lo
	v_add_co_u32 v52, vcc_lo, s12, v52
	v_lshlrev_b64 v[34:35], 1, v[62:63]
	v_add_nc_u32_e32 v62, s28, v36
	v_add_co_ci_u32_e32 v53, vcc_lo, s13, v53, vcc_lo
	v_add_co_u32 v54, vcc_lo, s12, v54
	v_add_co_ci_u32_e32 v55, vcc_lo, s13, v55, vcc_lo
	v_add_co_u32 v56, vcc_lo, s12, v56
	v_lshlrev_b64 v[36:37], 1, v[62:63]
	v_add_nc_u32_e32 v62, s28, v38
	v_add_co_ci_u32_e32 v57, vcc_lo, s13, v57, vcc_lo
	v_add_co_u32 v58, vcc_lo, s12, v34
	v_add_co_ci_u32_e32 v59, vcc_lo, s13, v35, vcc_lo
	s_delay_alu instid0(VALU_DEP_4) | instskip(SKIP_2) | instid1(VALU_DEP_3)
	v_lshlrev_b64 v[34:35], 1, v[62:63]
	v_add_co_u32 v67, vcc_lo, s12, v36
	v_add_co_ci_u32_e32 v68, vcc_lo, s13, v37, vcc_lo
	v_add_co_u32 v69, vcc_lo, s12, v34
	s_delay_alu instid0(VALU_DEP_4)
	v_add_co_ci_u32_e32 v70, vcc_lo, s13, v35, vcc_lo
	s_clause 0xb
	global_load_u16 v40, v[40:41], off
	global_load_u16 v39, v[42:43], off
	;; [unrolled: 1-line block ×12, first 2 shown]
.LBB231_53:                             ;   in Loop: Header=BB231_19 Depth=1
	v_cmp_ne_u32_e32 vcc_lo, 0, v1
	s_and_saveexec_b32 s2, vcc_lo
	s_cbranch_execnz .LBB231_65
; %bb.54:                               ;   in Loop: Header=BB231_19 Depth=1
	s_or_b32 exec_lo, exec_lo, s2
	v_cmp_ne_u32_e64 s1, 0, v2
	s_delay_alu instid0(VALU_DEP_1)
	s_and_saveexec_b32 s3, s1
	s_cbranch_execnz .LBB231_70
.LBB231_55:                             ;   in Loop: Header=BB231_19 Depth=1
	s_or_b32 exec_lo, exec_lo, s3
	v_cmp_ne_u32_e64 s2, 0, v3
	s_delay_alu instid0(VALU_DEP_1)
	s_and_saveexec_b32 s4, s2
	s_cbranch_execnz .LBB231_75
.LBB231_56:                             ;   in Loop: Header=BB231_19 Depth=1
	s_or_b32 exec_lo, exec_lo, s4
	v_cmp_ne_u32_e64 s3, 0, v4
	s_delay_alu instid0(VALU_DEP_1)
	s_and_saveexec_b32 s29, s3
	s_cbranch_execnz .LBB231_80
.LBB231_57:                             ;   in Loop: Header=BB231_19 Depth=1
	s_or_b32 exec_lo, exec_lo, s29
	v_add_nc_u32_e32 v62, s11, v61
	s_and_saveexec_b32 s29, vcc_lo
	s_cbranch_execnz .LBB231_85
.LBB231_58:                             ;   in Loop: Header=BB231_19 Depth=1
	s_or_b32 exec_lo, exec_lo, s29
	s_and_saveexec_b32 s29, s1
	s_cbranch_execnz .LBB231_90
.LBB231_59:                             ;   in Loop: Header=BB231_19 Depth=1
	s_or_b32 exec_lo, exec_lo, s29
	s_and_saveexec_b32 s29, s2
	s_cbranch_execnz .LBB231_95
.LBB231_60:                             ;   in Loop: Header=BB231_19 Depth=1
	s_or_b32 exec_lo, exec_lo, s29
	s_and_saveexec_b32 s29, s3
	s_cbranch_execnz .LBB231_100
.LBB231_61:                             ;   in Loop: Header=BB231_19 Depth=1
	s_or_b32 exec_lo, exec_lo, s29
	v_add_nc_u32_e32 v62, s11, v62
	s_and_saveexec_b32 s4, vcc_lo
	s_cbranch_execnz .LBB231_105
.LBB231_62:                             ;   in Loop: Header=BB231_19 Depth=1
	s_or_b32 exec_lo, exec_lo, s4
	s_and_saveexec_b32 s4, s1
	s_cbranch_execnz .LBB231_110
.LBB231_63:                             ;   in Loop: Header=BB231_19 Depth=1
	s_or_b32 exec_lo, exec_lo, s4
	s_and_saveexec_b32 s1, s2
	s_cbranch_execnz .LBB231_115
.LBB231_64:                             ;   in Loop: Header=BB231_19 Depth=1
	s_or_b32 exec_lo, exec_lo, s1
	s_delay_alu instid0(SALU_CYCLE_1)
	s_and_b32 exec_lo, exec_lo, s3
	s_cbranch_execnz .LBB231_120
	s_branch .LBB231_125
.LBB231_65:                             ;   in Loop: Header=BB231_19 Depth=1
	s_waitcnt vmcnt(11) lgkmcnt(11)
	v_dual_add_f32 v32, v32, v33 :: v_dual_lshlrev_b32 v33, 16, v40
	s_delay_alu instid0(VALU_DEP_1) | instskip(NEXT) | instid1(VALU_DEP_1)
	v_add_f32_e32 v33, v32, v33
	v_and_b32_e32 v32, 0x7f800000, v33
	s_delay_alu instid0(VALU_DEP_1) | instskip(NEXT) | instid1(VALU_DEP_1)
	v_cmp_ne_u32_e64 s1, 0x7f800000, v32
                                        ; implicit-def: $vgpr32
	s_and_saveexec_b32 s3, s1
	s_delay_alu instid0(SALU_CYCLE_1)
	s_xor_b32 s1, exec_lo, s3
; %bb.66:                               ;   in Loop: Header=BB231_19 Depth=1
	v_bfe_u32 v32, v33, 16, 1
	s_delay_alu instid0(VALU_DEP_1)
	v_add3_u32 v32, v33, v32, 0x7fff
                                        ; implicit-def: $vgpr33
; %bb.67:                               ;   in Loop: Header=BB231_19 Depth=1
	s_and_not1_saveexec_b32 s3, s1
; %bb.68:                               ;   in Loop: Header=BB231_19 Depth=1
	v_and_b32_e32 v32, 0xffff, v33
	v_or_b32_e32 v40, 0x10000, v33
	s_delay_alu instid0(VALU_DEP_2) | instskip(NEXT) | instid1(VALU_DEP_1)
	v_cmp_eq_u32_e64 s1, 0, v32
	v_cndmask_b32_e64 v32, v40, v33, s1
; %bb.69:                               ;   in Loop: Header=BB231_19 Depth=1
	s_or_b32 exec_lo, exec_lo, s3
	v_mov_b32_e32 v62, v63
	s_delay_alu instid0(VALU_DEP_1) | instskip(NEXT) | instid1(VALU_DEP_1)
	v_lshlrev_b64 v[40:41], 1, v[61:62]
	v_add_co_u32 v40, s1, s14, v40
	s_delay_alu instid0(VALU_DEP_1) | instskip(SKIP_3) | instid1(VALU_DEP_1)
	v_add_co_ci_u32_e64 v41, s1, s15, v41, s1
	global_store_d16_hi_b16 v[40:41], v32, off
	s_or_b32 exec_lo, exec_lo, s2
	v_cmp_ne_u32_e64 s1, 0, v2
	s_and_saveexec_b32 s3, s1
	s_cbranch_execz .LBB231_55
.LBB231_70:                             ;   in Loop: Header=BB231_19 Depth=1
	s_waitcnt vmcnt(10) lgkmcnt(8)
	v_dual_add_f32 v29, v29, v30 :: v_dual_lshlrev_b32 v30, 16, v39
	s_delay_alu instid0(VALU_DEP_1) | instskip(NEXT) | instid1(VALU_DEP_1)
	v_add_f32_e32 v30, v29, v30
	v_and_b32_e32 v29, 0x7f800000, v30
	s_delay_alu instid0(VALU_DEP_1) | instskip(NEXT) | instid1(VALU_DEP_1)
	v_cmp_ne_u32_e64 s2, 0x7f800000, v29
                                        ; implicit-def: $vgpr29
	s_and_saveexec_b32 s4, s2
	s_delay_alu instid0(SALU_CYCLE_1)
	s_xor_b32 s2, exec_lo, s4
; %bb.71:                               ;   in Loop: Header=BB231_19 Depth=1
	v_bfe_u32 v29, v30, 16, 1
	s_delay_alu instid0(VALU_DEP_1)
	v_add3_u32 v29, v30, v29, 0x7fff
                                        ; implicit-def: $vgpr30
; %bb.72:                               ;   in Loop: Header=BB231_19 Depth=1
	s_and_not1_saveexec_b32 s4, s2
; %bb.73:                               ;   in Loop: Header=BB231_19 Depth=1
	v_and_b32_e32 v29, 0xffff, v30
	v_or_b32_e32 v32, 0x10000, v30
	s_delay_alu instid0(VALU_DEP_2) | instskip(NEXT) | instid1(VALU_DEP_1)
	v_cmp_eq_u32_e64 s2, 0, v29
	v_cndmask_b32_e64 v29, v32, v30, s2
; %bb.74:                               ;   in Loop: Header=BB231_19 Depth=1
	s_or_b32 exec_lo, exec_lo, s4
	v_mov_b32_e32 v67, v63
	s_delay_alu instid0(VALU_DEP_1) | instskip(NEXT) | instid1(VALU_DEP_1)
	v_lshlrev_b64 v[32:33], 1, v[66:67]
	v_add_co_u32 v32, s2, s14, v32
	s_delay_alu instid0(VALU_DEP_1) | instskip(SKIP_3) | instid1(VALU_DEP_1)
	v_add_co_ci_u32_e64 v33, s2, s15, v33, s2
	global_store_d16_hi_b16 v[32:33], v29, off
	s_or_b32 exec_lo, exec_lo, s3
	v_cmp_ne_u32_e64 s2, 0, v3
	s_and_saveexec_b32 s4, s2
	s_cbranch_execz .LBB231_56
.LBB231_75:                             ;   in Loop: Header=BB231_19 Depth=1
	s_waitcnt vmcnt(9) lgkmcnt(10)
	v_dual_add_f32 v27, v27, v28 :: v_dual_lshlrev_b32 v28, 16, v38
	s_delay_alu instid0(VALU_DEP_1) | instskip(NEXT) | instid1(VALU_DEP_1)
	v_add_f32_e32 v28, v27, v28
	v_and_b32_e32 v27, 0x7f800000, v28
	s_delay_alu instid0(VALU_DEP_1) | instskip(NEXT) | instid1(VALU_DEP_1)
	v_cmp_ne_u32_e64 s3, 0x7f800000, v27
                                        ; implicit-def: $vgpr27
	s_and_saveexec_b32 s29, s3
	s_delay_alu instid0(SALU_CYCLE_1)
	s_xor_b32 s3, exec_lo, s29
; %bb.76:                               ;   in Loop: Header=BB231_19 Depth=1
	v_bfe_u32 v27, v28, 16, 1
	s_delay_alu instid0(VALU_DEP_1)
	v_add3_u32 v27, v28, v27, 0x7fff
                                        ; implicit-def: $vgpr28
; %bb.77:                               ;   in Loop: Header=BB231_19 Depth=1
	s_and_not1_saveexec_b32 s29, s3
; %bb.78:                               ;   in Loop: Header=BB231_19 Depth=1
	v_and_b32_e32 v27, 0xffff, v28
	v_or_b32_e32 v29, 0x10000, v28
	s_delay_alu instid0(VALU_DEP_2) | instskip(NEXT) | instid1(VALU_DEP_1)
	v_cmp_eq_u32_e64 s3, 0, v27
	v_cndmask_b32_e64 v27, v29, v28, s3
; %bb.79:                               ;   in Loop: Header=BB231_19 Depth=1
	s_or_b32 exec_lo, exec_lo, s29
	v_mov_b32_e32 v66, v63
	s_delay_alu instid0(VALU_DEP_1) | instskip(NEXT) | instid1(VALU_DEP_1)
	v_lshlrev_b64 v[28:29], 1, v[65:66]
	v_add_co_u32 v28, s3, s14, v28
	s_delay_alu instid0(VALU_DEP_1) | instskip(SKIP_3) | instid1(VALU_DEP_1)
	v_add_co_ci_u32_e64 v29, s3, s15, v29, s3
	global_store_d16_hi_b16 v[28:29], v27, off
	s_or_b32 exec_lo, exec_lo, s4
	v_cmp_ne_u32_e64 s3, 0, v4
	s_and_saveexec_b32 s29, s3
	s_cbranch_execz .LBB231_57
.LBB231_80:                             ;   in Loop: Header=BB231_19 Depth=1
	s_waitcnt lgkmcnt(7)
	v_add_f32_e32 v24, v24, v25
	s_waitcnt vmcnt(8)
	v_lshlrev_b32_e32 v25, 16, v37
	s_delay_alu instid0(VALU_DEP_1) | instskip(NEXT) | instid1(VALU_DEP_1)
	v_add_f32_e32 v25, v24, v25
	v_and_b32_e32 v24, 0x7f800000, v25
	s_delay_alu instid0(VALU_DEP_1) | instskip(NEXT) | instid1(VALU_DEP_1)
	v_cmp_ne_u32_e64 s4, 0x7f800000, v24
                                        ; implicit-def: $vgpr24
	s_and_saveexec_b32 s30, s4
	s_delay_alu instid0(SALU_CYCLE_1)
	s_xor_b32 s4, exec_lo, s30
; %bb.81:                               ;   in Loop: Header=BB231_19 Depth=1
	v_bfe_u32 v24, v25, 16, 1
	s_delay_alu instid0(VALU_DEP_1)
	v_add3_u32 v24, v25, v24, 0x7fff
                                        ; implicit-def: $vgpr25
; %bb.82:                               ;   in Loop: Header=BB231_19 Depth=1
	s_and_not1_saveexec_b32 s30, s4
; %bb.83:                               ;   in Loop: Header=BB231_19 Depth=1
	v_and_b32_e32 v24, 0xffff, v25
	v_or_b32_e32 v27, 0x10000, v25
	s_delay_alu instid0(VALU_DEP_2) | instskip(NEXT) | instid1(VALU_DEP_1)
	v_cmp_eq_u32_e64 s4, 0, v24
	v_cndmask_b32_e64 v24, v27, v25, s4
; %bb.84:                               ;   in Loop: Header=BB231_19 Depth=1
	s_or_b32 exec_lo, exec_lo, s30
	v_mov_b32_e32 v65, v63
	s_delay_alu instid0(VALU_DEP_1) | instskip(NEXT) | instid1(VALU_DEP_1)
	v_lshlrev_b64 v[27:28], 1, v[64:65]
	v_add_co_u32 v27, s4, s14, v27
	s_delay_alu instid0(VALU_DEP_1)
	v_add_co_ci_u32_e64 v28, s4, s15, v28, s4
	global_store_d16_hi_b16 v[27:28], v24, off
	s_or_b32 exec_lo, exec_lo, s29
	v_add_nc_u32_e32 v62, s11, v61
	s_and_saveexec_b32 s29, vcc_lo
	s_cbranch_execz .LBB231_58
.LBB231_85:                             ;   in Loop: Header=BB231_19 Depth=1
	s_waitcnt vmcnt(7) lgkmcnt(6)
	v_dual_add_f32 v21, v21, v22 :: v_dual_lshlrev_b32 v22, 16, v36
	s_delay_alu instid0(VALU_DEP_1) | instskip(NEXT) | instid1(VALU_DEP_1)
	v_add_f32_e32 v22, v21, v22
	v_and_b32_e32 v21, 0x7f800000, v22
	s_delay_alu instid0(VALU_DEP_1) | instskip(NEXT) | instid1(VALU_DEP_1)
	v_cmp_ne_u32_e64 s4, 0x7f800000, v21
                                        ; implicit-def: $vgpr21
	s_and_saveexec_b32 s30, s4
	s_delay_alu instid0(SALU_CYCLE_1)
	s_xor_b32 s4, exec_lo, s30
; %bb.86:                               ;   in Loop: Header=BB231_19 Depth=1
	v_bfe_u32 v21, v22, 16, 1
	s_delay_alu instid0(VALU_DEP_1)
	v_add3_u32 v21, v22, v21, 0x7fff
                                        ; implicit-def: $vgpr22
; %bb.87:                               ;   in Loop: Header=BB231_19 Depth=1
	s_and_not1_saveexec_b32 s30, s4
; %bb.88:                               ;   in Loop: Header=BB231_19 Depth=1
	v_and_b32_e32 v21, 0xffff, v22
	v_or_b32_e32 v24, 0x10000, v22
	s_delay_alu instid0(VALU_DEP_2) | instskip(NEXT) | instid1(VALU_DEP_1)
	v_cmp_eq_u32_e64 s4, 0, v21
	v_cndmask_b32_e64 v21, v24, v22, s4
; %bb.89:                               ;   in Loop: Header=BB231_19 Depth=1
	s_or_b32 exec_lo, exec_lo, s30
	v_lshlrev_b64 v[24:25], 1, v[62:63]
	s_delay_alu instid0(VALU_DEP_1) | instskip(NEXT) | instid1(VALU_DEP_1)
	v_add_co_u32 v24, s4, s14, v24
	v_add_co_ci_u32_e64 v25, s4, s15, v25, s4
	global_store_d16_hi_b16 v[24:25], v21, off
	s_or_b32 exec_lo, exec_lo, s29
	s_and_saveexec_b32 s29, s1
	s_cbranch_execz .LBB231_59
.LBB231_90:                             ;   in Loop: Header=BB231_19 Depth=1
	s_waitcnt lgkmcnt(9)
	v_add_f32_e32 v18, v18, v19
	s_waitcnt vmcnt(6)
	v_lshlrev_b32_e32 v19, 16, v35
	s_delay_alu instid0(VALU_DEP_1) | instskip(NEXT) | instid1(VALU_DEP_1)
	v_add_f32_e32 v19, v18, v19
	v_and_b32_e32 v18, 0x7f800000, v19
	s_delay_alu instid0(VALU_DEP_1) | instskip(NEXT) | instid1(VALU_DEP_1)
	v_cmp_ne_u32_e64 s4, 0x7f800000, v18
                                        ; implicit-def: $vgpr18
	s_and_saveexec_b32 s30, s4
	s_delay_alu instid0(SALU_CYCLE_1)
	s_xor_b32 s4, exec_lo, s30
; %bb.91:                               ;   in Loop: Header=BB231_19 Depth=1
	v_bfe_u32 v18, v19, 16, 1
	s_delay_alu instid0(VALU_DEP_1)
	v_add3_u32 v18, v19, v18, 0x7fff
                                        ; implicit-def: $vgpr19
; %bb.92:                               ;   in Loop: Header=BB231_19 Depth=1
	s_and_not1_saveexec_b32 s30, s4
; %bb.93:                               ;   in Loop: Header=BB231_19 Depth=1
	v_and_b32_e32 v18, 0xffff, v19
	v_or_b32_e32 v21, 0x10000, v19
	s_delay_alu instid0(VALU_DEP_2) | instskip(NEXT) | instid1(VALU_DEP_1)
	v_cmp_eq_u32_e64 s4, 0, v18
	v_cndmask_b32_e64 v18, v21, v19, s4
; %bb.94:                               ;   in Loop: Header=BB231_19 Depth=1
	s_or_b32 exec_lo, exec_lo, s30
	s_waitcnt lgkmcnt(6)
	v_dual_mov_b32 v22, v63 :: v_dual_add_nc_u32 v21, 1, v62
	s_delay_alu instid0(VALU_DEP_1) | instskip(NEXT) | instid1(VALU_DEP_1)
	v_lshlrev_b64 v[21:22], 1, v[21:22]
	v_add_co_u32 v21, s4, s14, v21
	s_delay_alu instid0(VALU_DEP_1)
	v_add_co_ci_u32_e64 v22, s4, s15, v22, s4
	global_store_d16_hi_b16 v[21:22], v18, off
	s_or_b32 exec_lo, exec_lo, s29
	s_and_saveexec_b32 s29, s2
	s_cbranch_execz .LBB231_60
.LBB231_95:                             ;   in Loop: Header=BB231_19 Depth=1
	s_waitcnt lgkmcnt(5)
	v_add_f32_e32 v13, v13, v14
	s_waitcnt vmcnt(5)
	v_lshlrev_b32_e32 v14, 16, v34
	s_delay_alu instid0(VALU_DEP_1) | instskip(NEXT) | instid1(VALU_DEP_1)
	v_add_f32_e32 v14, v13, v14
	v_and_b32_e32 v13, 0x7f800000, v14
	s_delay_alu instid0(VALU_DEP_1) | instskip(NEXT) | instid1(VALU_DEP_1)
	v_cmp_ne_u32_e64 s4, 0x7f800000, v13
                                        ; implicit-def: $vgpr13
	s_and_saveexec_b32 s30, s4
	s_delay_alu instid0(SALU_CYCLE_1)
	s_xor_b32 s4, exec_lo, s30
; %bb.96:                               ;   in Loop: Header=BB231_19 Depth=1
	v_bfe_u32 v13, v14, 16, 1
	s_delay_alu instid0(VALU_DEP_1)
	v_add3_u32 v13, v14, v13, 0x7fff
                                        ; implicit-def: $vgpr14
; %bb.97:                               ;   in Loop: Header=BB231_19 Depth=1
	s_and_not1_saveexec_b32 s30, s4
; %bb.98:                               ;   in Loop: Header=BB231_19 Depth=1
	v_and_b32_e32 v13, 0xffff, v14
	v_or_b32_e32 v18, 0x10000, v14
	s_delay_alu instid0(VALU_DEP_2) | instskip(NEXT) | instid1(VALU_DEP_1)
	v_cmp_eq_u32_e64 s4, 0, v13
	v_cndmask_b32_e64 v13, v18, v14, s4
; %bb.99:                               ;   in Loop: Header=BB231_19 Depth=1
	s_or_b32 exec_lo, exec_lo, s30
	v_dual_mov_b32 v19, v63 :: v_dual_add_nc_u32 v18, 2, v62
	s_delay_alu instid0(VALU_DEP_1) | instskip(NEXT) | instid1(VALU_DEP_1)
	v_lshlrev_b64 v[18:19], 1, v[18:19]
	v_add_co_u32 v18, s4, s14, v18
	s_delay_alu instid0(VALU_DEP_1)
	v_add_co_ci_u32_e64 v19, s4, s15, v19, s4
	global_store_d16_hi_b16 v[18:19], v13, off
	s_or_b32 exec_lo, exec_lo, s29
	s_and_saveexec_b32 s29, s3
	s_cbranch_execz .LBB231_61
.LBB231_100:                            ;   in Loop: Header=BB231_19 Depth=1
	s_waitcnt vmcnt(4) lgkmcnt(3)
	v_dual_add_f32 v13, v15, v16 :: v_dual_lshlrev_b32 v14, 16, v31
	s_delay_alu instid0(VALU_DEP_1) | instskip(NEXT) | instid1(VALU_DEP_1)
	v_add_f32_e32 v14, v13, v14
	v_and_b32_e32 v13, 0x7f800000, v14
	s_delay_alu instid0(VALU_DEP_1) | instskip(NEXT) | instid1(VALU_DEP_1)
	v_cmp_ne_u32_e64 s4, 0x7f800000, v13
                                        ; implicit-def: $vgpr13
	s_and_saveexec_b32 s30, s4
	s_delay_alu instid0(SALU_CYCLE_1)
	s_xor_b32 s4, exec_lo, s30
; %bb.101:                              ;   in Loop: Header=BB231_19 Depth=1
	v_bfe_u32 v13, v14, 16, 1
	s_delay_alu instid0(VALU_DEP_1)
	v_add3_u32 v13, v14, v13, 0x7fff
                                        ; implicit-def: $vgpr14
; %bb.102:                              ;   in Loop: Header=BB231_19 Depth=1
	s_and_not1_saveexec_b32 s30, s4
; %bb.103:                              ;   in Loop: Header=BB231_19 Depth=1
	v_and_b32_e32 v13, 0xffff, v14
	v_or_b32_e32 v15, 0x10000, v14
	s_delay_alu instid0(VALU_DEP_2) | instskip(NEXT) | instid1(VALU_DEP_1)
	v_cmp_eq_u32_e64 s4, 0, v13
	v_cndmask_b32_e64 v13, v15, v14, s4
; %bb.104:                              ;   in Loop: Header=BB231_19 Depth=1
	s_or_b32 exec_lo, exec_lo, s30
	v_dual_mov_b32 v15, v63 :: v_dual_add_nc_u32 v14, 3, v62
	s_delay_alu instid0(VALU_DEP_1) | instskip(NEXT) | instid1(VALU_DEP_1)
	v_lshlrev_b64 v[14:15], 1, v[14:15]
	v_add_co_u32 v14, s4, s14, v14
	s_delay_alu instid0(VALU_DEP_1)
	v_add_co_ci_u32_e64 v15, s4, s15, v15, s4
	global_store_d16_hi_b16 v[14:15], v13, off
	s_or_b32 exec_lo, exec_lo, s29
	v_add_nc_u32_e32 v62, s11, v62
	s_and_saveexec_b32 s4, vcc_lo
	s_cbranch_execz .LBB231_62
.LBB231_105:                            ;   in Loop: Header=BB231_19 Depth=1
	s_waitcnt vmcnt(3) lgkmcnt(4)
	v_dual_add_f32 v11, v11, v12 :: v_dual_lshlrev_b32 v12, 16, v26
	s_delay_alu instid0(VALU_DEP_1) | instskip(NEXT) | instid1(VALU_DEP_1)
	v_add_f32_e32 v12, v11, v12
	v_and_b32_e32 v11, 0x7f800000, v12
	s_delay_alu instid0(VALU_DEP_1) | instskip(SKIP_1) | instid1(SALU_CYCLE_1)
	v_cmp_ne_u32_e32 vcc_lo, 0x7f800000, v11
                                        ; implicit-def: $vgpr11
	s_and_saveexec_b32 s29, vcc_lo
	s_xor_b32 s29, exec_lo, s29
; %bb.106:                              ;   in Loop: Header=BB231_19 Depth=1
	v_bfe_u32 v11, v12, 16, 1
	s_delay_alu instid0(VALU_DEP_1)
	v_add3_u32 v11, v12, v11, 0x7fff
                                        ; implicit-def: $vgpr12
; %bb.107:                              ;   in Loop: Header=BB231_19 Depth=1
	s_and_not1_saveexec_b32 s29, s29
; %bb.108:                              ;   in Loop: Header=BB231_19 Depth=1
	v_and_b32_e32 v11, 0xffff, v12
	v_or_b32_e32 v13, 0x10000, v12
	s_delay_alu instid0(VALU_DEP_2) | instskip(NEXT) | instid1(VALU_DEP_2)
	v_cmp_eq_u32_e32 vcc_lo, 0, v11
	v_cndmask_b32_e32 v11, v13, v12, vcc_lo
; %bb.109:                              ;   in Loop: Header=BB231_19 Depth=1
	s_or_b32 exec_lo, exec_lo, s29
	v_lshlrev_b64 v[12:13], 1, v[62:63]
	s_delay_alu instid0(VALU_DEP_1) | instskip(NEXT) | instid1(VALU_DEP_2)
	v_add_co_u32 v12, vcc_lo, s14, v12
	v_add_co_ci_u32_e32 v13, vcc_lo, s15, v13, vcc_lo
	global_store_d16_hi_b16 v[12:13], v11, off
	s_or_b32 exec_lo, exec_lo, s4
	s_and_saveexec_b32 s4, s1
	s_cbranch_execz .LBB231_63
.LBB231_110:                            ;   in Loop: Header=BB231_19 Depth=1
	s_waitcnt vmcnt(2) lgkmcnt(2)
	v_dual_add_f32 v9, v9, v10 :: v_dual_lshlrev_b32 v10, 16, v23
	s_delay_alu instid0(VALU_DEP_1) | instskip(NEXT) | instid1(VALU_DEP_1)
	v_add_f32_e32 v10, v9, v10
	v_and_b32_e32 v9, 0x7f800000, v10
	s_delay_alu instid0(VALU_DEP_1) | instskip(SKIP_1) | instid1(SALU_CYCLE_1)
	v_cmp_ne_u32_e32 vcc_lo, 0x7f800000, v9
                                        ; implicit-def: $vgpr9
	s_and_saveexec_b32 s1, vcc_lo
	s_xor_b32 s1, exec_lo, s1
; %bb.111:                              ;   in Loop: Header=BB231_19 Depth=1
	v_bfe_u32 v9, v10, 16, 1
	s_delay_alu instid0(VALU_DEP_1)
	v_add3_u32 v9, v10, v9, 0x7fff
                                        ; implicit-def: $vgpr10
; %bb.112:                              ;   in Loop: Header=BB231_19 Depth=1
	s_and_not1_saveexec_b32 s1, s1
; %bb.113:                              ;   in Loop: Header=BB231_19 Depth=1
	v_and_b32_e32 v9, 0xffff, v10
	v_or_b32_e32 v11, 0x10000, v10
	s_delay_alu instid0(VALU_DEP_2) | instskip(NEXT) | instid1(VALU_DEP_2)
	v_cmp_eq_u32_e32 vcc_lo, 0, v9
	v_cndmask_b32_e32 v9, v11, v10, vcc_lo
; %bb.114:                              ;   in Loop: Header=BB231_19 Depth=1
	s_or_b32 exec_lo, exec_lo, s1
	v_dual_mov_b32 v11, v63 :: v_dual_add_nc_u32 v10, 1, v62
	s_delay_alu instid0(VALU_DEP_1) | instskip(NEXT) | instid1(VALU_DEP_1)
	v_lshlrev_b64 v[10:11], 1, v[10:11]
	v_add_co_u32 v10, vcc_lo, s14, v10
	s_delay_alu instid0(VALU_DEP_2)
	v_add_co_ci_u32_e32 v11, vcc_lo, s15, v11, vcc_lo
	global_store_d16_hi_b16 v[10:11], v9, off
	s_or_b32 exec_lo, exec_lo, s4
	s_and_saveexec_b32 s1, s2
	s_cbranch_execz .LBB231_64
.LBB231_115:                            ;   in Loop: Header=BB231_19 Depth=1
	s_waitcnt lgkmcnt(1)
	v_add_f32_e32 v7, v7, v8
	s_waitcnt vmcnt(1)
	v_lshlrev_b32_e32 v8, 16, v20
	s_delay_alu instid0(VALU_DEP_1) | instskip(NEXT) | instid1(VALU_DEP_1)
	v_add_f32_e32 v8, v7, v8
	v_and_b32_e32 v7, 0x7f800000, v8
	s_delay_alu instid0(VALU_DEP_1) | instskip(SKIP_1) | instid1(SALU_CYCLE_1)
	v_cmp_ne_u32_e32 vcc_lo, 0x7f800000, v7
                                        ; implicit-def: $vgpr7
	s_and_saveexec_b32 s2, vcc_lo
	s_xor_b32 s2, exec_lo, s2
; %bb.116:                              ;   in Loop: Header=BB231_19 Depth=1
	v_bfe_u32 v7, v8, 16, 1
	s_delay_alu instid0(VALU_DEP_1)
	v_add3_u32 v7, v8, v7, 0x7fff
                                        ; implicit-def: $vgpr8
; %bb.117:                              ;   in Loop: Header=BB231_19 Depth=1
	s_and_not1_saveexec_b32 s2, s2
; %bb.118:                              ;   in Loop: Header=BB231_19 Depth=1
	v_and_b32_e32 v7, 0xffff, v8
	v_or_b32_e32 v9, 0x10000, v8
	s_delay_alu instid0(VALU_DEP_2) | instskip(NEXT) | instid1(VALU_DEP_2)
	v_cmp_eq_u32_e32 vcc_lo, 0, v7
	v_cndmask_b32_e32 v7, v9, v8, vcc_lo
; %bb.119:                              ;   in Loop: Header=BB231_19 Depth=1
	s_or_b32 exec_lo, exec_lo, s2
	v_dual_mov_b32 v9, v63 :: v_dual_add_nc_u32 v8, 2, v62
	s_delay_alu instid0(VALU_DEP_1) | instskip(NEXT) | instid1(VALU_DEP_1)
	v_lshlrev_b64 v[8:9], 1, v[8:9]
	v_add_co_u32 v8, vcc_lo, s14, v8
	s_delay_alu instid0(VALU_DEP_2) | instskip(SKIP_2) | instid1(SALU_CYCLE_1)
	v_add_co_ci_u32_e32 v9, vcc_lo, s15, v9, vcc_lo
	global_store_d16_hi_b16 v[8:9], v7, off
	s_or_b32 exec_lo, exec_lo, s1
	s_and_b32 exec_lo, exec_lo, s3
	s_cbranch_execz .LBB231_125
.LBB231_120:                            ;   in Loop: Header=BB231_19 Depth=1
	s_waitcnt vmcnt(0) lgkmcnt(0)
	v_dual_add_f32 v5, v5, v6 :: v_dual_lshlrev_b32 v6, 16, v17
	s_delay_alu instid0(VALU_DEP_1) | instskip(NEXT) | instid1(VALU_DEP_1)
	v_add_f32_e32 v6, v5, v6
	v_and_b32_e32 v5, 0x7f800000, v6
	s_delay_alu instid0(VALU_DEP_1) | instskip(SKIP_1) | instid1(SALU_CYCLE_1)
	v_cmp_ne_u32_e32 vcc_lo, 0x7f800000, v5
                                        ; implicit-def: $vgpr5
	s_and_saveexec_b32 s1, vcc_lo
	s_xor_b32 s1, exec_lo, s1
; %bb.121:                              ;   in Loop: Header=BB231_19 Depth=1
	v_bfe_u32 v5, v6, 16, 1
	s_delay_alu instid0(VALU_DEP_1)
	v_add3_u32 v5, v6, v5, 0x7fff
                                        ; implicit-def: $vgpr6
; %bb.122:                              ;   in Loop: Header=BB231_19 Depth=1
	s_and_not1_saveexec_b32 s1, s1
; %bb.123:                              ;   in Loop: Header=BB231_19 Depth=1
	v_and_b32_e32 v5, 0xffff, v6
	v_or_b32_e32 v7, 0x10000, v6
	s_delay_alu instid0(VALU_DEP_2) | instskip(NEXT) | instid1(VALU_DEP_2)
	v_cmp_eq_u32_e32 vcc_lo, 0, v5
	v_cndmask_b32_e32 v5, v7, v6, vcc_lo
; %bb.124:                              ;   in Loop: Header=BB231_19 Depth=1
	s_or_b32 exec_lo, exec_lo, s1
	v_add_nc_u32_e32 v62, 3, v62
	s_delay_alu instid0(VALU_DEP_1) | instskip(NEXT) | instid1(VALU_DEP_1)
	v_lshlrev_b64 v[6:7], 1, v[62:63]
	v_add_co_u32 v6, vcc_lo, s14, v6
	s_delay_alu instid0(VALU_DEP_2)
	v_add_co_ci_u32_e32 v7, vcc_lo, s15, v7, vcc_lo
	global_store_d16_hi_b16 v[6:7], v5, off
.LBB231_125:                            ;   in Loop: Header=BB231_19 Depth=1
	s_or_b32 exec_lo, exec_lo, s5
	v_add_nc_u32_e32 v61, s20, v61
	s_delay_alu instid0(VALU_DEP_1) | instskip(SKIP_1) | instid1(VALU_DEP_2)
	v_add_nc_u32_e32 v5, 4, v61
	v_cmp_gt_u32_e32 vcc_lo, s11, v61
	v_cmp_le_u32_e64 s1, s11, v5
	s_delay_alu instid0(VALU_DEP_1) | instskip(NEXT) | instid1(SALU_CYCLE_1)
	s_and_b32 s1, vcc_lo, s1
	s_and_saveexec_b32 s29, s1
	s_cbranch_execz .LBB231_18
; %bb.126:                              ;   in Loop: Header=BB231_19 Depth=1
	s_mov_b32 s30, exec_lo
	v_cmpx_ne_u32_e64 s21, v61
	s_cbranch_execz .LBB231_17
; %bb.127:                              ;   in Loop: Header=BB231_19 Depth=1
	v_subrev_nc_u32_e32 v5, s21, v61
	s_mov_b32 s31, 0
	s_mov_b64 s[4:5], 0
	s_delay_alu instid0(VALU_DEP_1)
	v_cmp_lt_u32_e32 vcc_lo, 1, v5
	v_cndmask_b32_e32 v5, 1, v5, vcc_lo
	.p2align	6
.LBB231_128:                            ;   Parent Loop BB231_19 Depth=1
                                        ; =>  This Inner Loop Header: Depth=2
	s_cmp_lg_u32 s4, 3
	s_cselect_b32 vcc_lo, -1, 0
	s_cmp_lg_u32 s4, 2
	v_cndmask_b32_e32 v4, 0, v4, vcc_lo
	s_cselect_b32 s1, -1, 0
	s_cmp_lg_u32 s4, 1
	v_cndmask_b32_e64 v3, 0, v3, s1
	s_cselect_b32 s2, -1, 0
	s_cmp_lg_u32 s4, 0
	v_cndmask_b32_e64 v2, 0, v2, s2
	s_cselect_b32 s3, -1, 0
	s_add_u32 s4, s4, 1
	v_cndmask_b32_e64 v1, 0, v1, s3
	v_cmp_eq_u32_e32 vcc_lo, s4, v5
	s_addc_u32 s5, s5, 0
	s_or_b32 s31, vcc_lo, s31
	s_delay_alu instid0(SALU_CYCLE_1)
	s_and_not1_b32 exec_lo, exec_lo, s31
	s_cbranch_execnz .LBB231_128
; %bb.129:                              ;   in Loop: Header=BB231_19 Depth=1
	s_or_b32 exec_lo, exec_lo, s31
	s_branch .LBB231_17
.LBB231_130:
	s_nop 0
	s_sendmsg sendmsg(MSG_DEALLOC_VGPRS)
	s_endpgm
	.section	.rodata,"a",@progbits
	.p2align	6, 0x0
	.amdhsa_kernel _Z12wvSplitK_hf_I14__hip_bfloat16Li32ELi4ELi16ELi8ELi2ELi3EEviiiiiiPKT_S3_S3_PS1_ii
		.amdhsa_group_segment_fixed_size 65536
		.amdhsa_private_segment_fixed_size 0
		.amdhsa_kernarg_size 64
		.amdhsa_user_sgpr_count 15
		.amdhsa_user_sgpr_dispatch_ptr 0
		.amdhsa_user_sgpr_queue_ptr 0
		.amdhsa_user_sgpr_kernarg_segment_ptr 1
		.amdhsa_user_sgpr_dispatch_id 0
		.amdhsa_user_sgpr_private_segment_size 0
		.amdhsa_wavefront_size32 1
		.amdhsa_uses_dynamic_stack 0
		.amdhsa_enable_private_segment 0
		.amdhsa_system_sgpr_workgroup_id_x 1
		.amdhsa_system_sgpr_workgroup_id_y 0
		.amdhsa_system_sgpr_workgroup_id_z 0
		.amdhsa_system_sgpr_workgroup_info 0
		.amdhsa_system_vgpr_workitem_id 1
		.amdhsa_next_free_vgpr 126
		.amdhsa_next_free_sgpr 32
		.amdhsa_reserve_vcc 1
		.amdhsa_float_round_mode_32 0
		.amdhsa_float_round_mode_16_64 0
		.amdhsa_float_denorm_mode_32 3
		.amdhsa_float_denorm_mode_16_64 3
		.amdhsa_dx10_clamp 1
		.amdhsa_ieee_mode 1
		.amdhsa_fp16_overflow 0
		.amdhsa_workgroup_processor_mode 1
		.amdhsa_memory_ordered 1
		.amdhsa_forward_progress 0
		.amdhsa_shared_vgpr_count 0
		.amdhsa_exception_fp_ieee_invalid_op 0
		.amdhsa_exception_fp_denorm_src 0
		.amdhsa_exception_fp_ieee_div_zero 0
		.amdhsa_exception_fp_ieee_overflow 0
		.amdhsa_exception_fp_ieee_underflow 0
		.amdhsa_exception_fp_ieee_inexact 0
		.amdhsa_exception_int_div_zero 0
	.end_amdhsa_kernel
	.section	.text._Z12wvSplitK_hf_I14__hip_bfloat16Li32ELi4ELi16ELi8ELi2ELi3EEviiiiiiPKT_S3_S3_PS1_ii,"axG",@progbits,_Z12wvSplitK_hf_I14__hip_bfloat16Li32ELi4ELi16ELi8ELi2ELi3EEviiiiiiPKT_S3_S3_PS1_ii,comdat
.Lfunc_end231:
	.size	_Z12wvSplitK_hf_I14__hip_bfloat16Li32ELi4ELi16ELi8ELi2ELi3EEviiiiiiPKT_S3_S3_PS1_ii, .Lfunc_end231-_Z12wvSplitK_hf_I14__hip_bfloat16Li32ELi4ELi16ELi8ELi2ELi3EEviiiiiiPKT_S3_S3_PS1_ii
                                        ; -- End function
	.section	.AMDGPU.csdata,"",@progbits
; Kernel info:
; codeLenInByte = 8684
; NumSgprs: 34
; NumVgprs: 126
; ScratchSize: 0
; MemoryBound: 0
; FloatMode: 240
; IeeeMode: 1
; LDSByteSize: 65536 bytes/workgroup (compile time only)
; SGPRBlocks: 4
; VGPRBlocks: 15
; NumSGPRsForWavesPerEU: 34
; NumVGPRsForWavesPerEU: 126
; Occupancy: 8
; WaveLimiterHint : 0
; COMPUTE_PGM_RSRC2:SCRATCH_EN: 0
; COMPUTE_PGM_RSRC2:USER_SGPR: 15
; COMPUTE_PGM_RSRC2:TRAP_HANDLER: 0
; COMPUTE_PGM_RSRC2:TGID_X_EN: 1
; COMPUTE_PGM_RSRC2:TGID_Y_EN: 0
; COMPUTE_PGM_RSRC2:TGID_Z_EN: 0
; COMPUTE_PGM_RSRC2:TIDIG_COMP_CNT: 1
	.section	.text._Z16wvSplitK_hf_big_I14__hip_bfloat16Li32ELi4ELi16ELi8ELi2ELi3EEviiiiiiPKT_S3_S3_PS1_ii,"axG",@progbits,_Z16wvSplitK_hf_big_I14__hip_bfloat16Li32ELi4ELi16ELi8ELi2ELi3EEviiiiiiPKT_S3_S3_PS1_ii,comdat
	.protected	_Z16wvSplitK_hf_big_I14__hip_bfloat16Li32ELi4ELi16ELi8ELi2ELi3EEviiiiiiPKT_S3_S3_PS1_ii ; -- Begin function _Z16wvSplitK_hf_big_I14__hip_bfloat16Li32ELi4ELi16ELi8ELi2ELi3EEviiiiiiPKT_S3_S3_PS1_ii
	.globl	_Z16wvSplitK_hf_big_I14__hip_bfloat16Li32ELi4ELi16ELi8ELi2ELi3EEviiiiiiPKT_S3_S3_PS1_ii
	.p2align	8
	.type	_Z16wvSplitK_hf_big_I14__hip_bfloat16Li32ELi4ELi16ELi8ELi2ELi3EEviiiiiiPKT_S3_S3_PS1_ii,@function
_Z16wvSplitK_hf_big_I14__hip_bfloat16Li32ELi4ELi16ELi8ELi2ELi3EEviiiiiiPKT_S3_S3_PS1_ii: ; @_Z16wvSplitK_hf_big_I14__hip_bfloat16Li32ELi4ELi16ELi8ELi2ELi3EEviiiiiiPKT_S3_S3_PS1_ii
; %bb.0:
	s_load_b64 s[20:21], s[0:1], 0x38
	v_bfe_u32 v5, v0, 10, 10
	s_mov_b32 s2, exec_lo
	s_waitcnt lgkmcnt(0)
	s_delay_alu instid0(VALU_DEP_1)
	v_cmpx_gt_u32_e64 s20, v5
	s_cbranch_execz .LBB232_112
; %bb.1:
	s_load_b128 s[16:19], s[0:1], 0x0
	s_mul_i32 s15, s15, s20
	s_mov_b32 s4, 1
	v_add_lshl_u32 v61, s15, v5, 2
	s_mov_b32 s5, s4
	s_mov_b32 s6, s4
	s_mov_b32 s7, s4
	s_delay_alu instid0(VALU_DEP_1) | instskip(SKIP_2) | instid1(VALU_DEP_2)
	v_add_nc_u32_e32 v1, 4, v61
	s_waitcnt lgkmcnt(0)
	v_cmp_gt_u32_e32 vcc_lo, s19, v61
	v_cmp_le_u32_e64 s2, s19, v1
	v_dual_mov_b32 v1, s4 :: v_dual_mov_b32 v4, s7
	v_dual_mov_b32 v2, s5 :: v_dual_mov_b32 v3, s6
	s_delay_alu instid0(VALU_DEP_3) | instskip(NEXT) | instid1(SALU_CYCLE_1)
	s_and_b32 s2, vcc_lo, s2
	s_and_saveexec_b32 s8, s2
	s_cbranch_execz .LBB232_7
; %bb.2:
	v_dual_mov_b32 v1, s4 :: v_dual_mov_b32 v2, s5
	v_dual_mov_b32 v3, s6 :: v_dual_mov_b32 v4, s7
	s_add_i32 s9, s19, -4
	s_mov_b32 s10, exec_lo
	v_cmpx_ne_u32_e64 s9, v61
	s_cbranch_execz .LBB232_6
; %bb.3:
	v_subrev_nc_u32_e32 v1, s9, v61
	s_mov_b32 s11, 0
	s_mov_b64 s[2:3], 0
	s_mov_b32 s5, s4
	s_mov_b32 s6, s4
	v_cmp_lt_u32_e32 vcc_lo, 1, v1
	s_mov_b32 s7, s4
	v_cndmask_b32_e32 v6, 1, v1, vcc_lo
	.p2align	6
.LBB232_4:                              ; =>This Inner Loop Header: Depth=1
	s_cmp_lg_u32 s2, 3
	s_cselect_b32 s7, s7, 0
	s_cmp_lg_u32 s2, 2
	s_cselect_b32 s6, s6, 0
	;; [unrolled: 2-line block ×4, first 2 shown]
	s_add_u32 s2, s2, 1
	v_dual_mov_b32 v1, s4 :: v_dual_mov_b32 v2, s5
	v_cmp_eq_u32_e32 vcc_lo, s2, v6
	v_dual_mov_b32 v3, s6 :: v_dual_mov_b32 v4, s7
	s_addc_u32 s3, s3, 0
	s_or_b32 s11, vcc_lo, s11
	s_delay_alu instid0(SALU_CYCLE_1)
	s_and_not1_b32 exec_lo, exec_lo, s11
	s_cbranch_execnz .LBB232_4
; %bb.5:
	s_or_b32 exec_lo, exec_lo, s11
	v_mov_b32_e32 v61, s9
.LBB232_6:
	s_or_b32 exec_lo, exec_lo, s10
.LBB232_7:
	s_delay_alu instid0(SALU_CYCLE_1)
	s_or_b32 exec_lo, exec_lo, s8
	s_lshl_b32 s2, s20, 2
	s_abs_i32 s6, s19
	s_abs_i32 s3, s2
	s_mov_b32 s23, 0
	v_cvt_f32_u32_e32 v6, s3
	s_sub_i32 s5, 0, s3
	s_delay_alu instid0(VALU_DEP_1) | instskip(SKIP_2) | instid1(VALU_DEP_1)
	v_rcp_iflag_f32_e32 v6, v6
	s_waitcnt_depctr 0xfff
	v_mul_f32_e32 v6, 0x4f7ffffe, v6
	v_cvt_u32_f32_e32 v6, v6
	s_delay_alu instid0(VALU_DEP_1) | instskip(NEXT) | instid1(VALU_DEP_1)
	v_readfirstlane_b32 s4, v6
	s_mul_i32 s5, s5, s4
	s_delay_alu instid0(SALU_CYCLE_1) | instskip(NEXT) | instid1(SALU_CYCLE_1)
	s_mul_hi_u32 s5, s4, s5
	s_add_i32 s4, s4, s5
	s_ashr_i32 s5, s19, 31
	s_mul_hi_u32 s4, s6, s4
	s_delay_alu instid0(SALU_CYCLE_1) | instskip(NEXT) | instid1(SALU_CYCLE_1)
	s_mul_i32 s4, s4, s3
	s_sub_i32 s4, s6, s4
	s_delay_alu instid0(SALU_CYCLE_1) | instskip(SKIP_2) | instid1(SALU_CYCLE_1)
	s_sub_i32 s6, s4, s3
	s_cmp_ge_u32 s4, s3
	s_cselect_b32 s4, s6, s4
	s_sub_i32 s6, s4, s3
	s_cmp_ge_u32 s4, s3
	s_cselect_b32 s3, s6, s4
	s_add_i32 s2, s2, s19
	s_xor_b32 s3, s3, s5
	s_delay_alu instid0(SALU_CYCLE_1) | instskip(NEXT) | instid1(SALU_CYCLE_1)
	s_sub_i32 s3, s3, s5
	s_sub_i32 s2, s2, s3
	s_cmp_eq_u32 s3, 0
	s_cselect_b32 s22, s19, s2
	s_delay_alu instid0(SALU_CYCLE_1)
	v_cmp_gt_u32_e32 vcc_lo, s22, v61
	s_and_b32 exec_lo, exec_lo, vcc_lo
	s_cbranch_execz .LBB232_112
; %bb.8:
	s_load_b256 s[8:15], s[0:1], 0x10
	s_min_u32 s24, s18, 0x2a00
	s_cmp_lg_u32 s16, 0
	s_mul_i32 s2, s21, s20
	s_cselect_b32 s25, -1, 0
	s_cmp_lg_u32 s18, 0
	v_and_b32_e32 v8, 0x3ff, v0
	s_cselect_b32 s21, -1, 0
	s_lshl_b32 s26, s20, 8
	s_add_i32 s27, s16, -8
	s_add_i32 s28, s19, -1
	s_lshl_b32 s29, s2, 2
	s_load_b64 s[6:7], s[0:1], 0x30
	v_cmp_eq_u32_e64 s0, 31, v8
	v_mbcnt_lo_u32_b32 v0, -1, 0
	v_lshlrev_b32_e32 v73, 3, v8
	v_lshlrev_b32_e32 v8, 4, v8
	s_waitcnt lgkmcnt(0)
	s_cmp_lg_u64 s[14:15], 0
	v_cvt_f32_u32_e32 v7, s8
	s_cselect_b32 s30, -1, 0
	s_abs_i32 s2, s9
	s_add_i32 s9, s19, -4
	v_cvt_f32_u32_e32 v6, s2
	v_rcp_iflag_f32_e32 v7, v7
	s_sub_i32 s3, 0, s2
	s_sub_i32 s4, 0, s8
	;; [unrolled: 1-line block ×3, first 2 shown]
	v_rcp_iflag_f32_e32 v6, v6
	v_lshl_add_u32 v74, v5, 8, v73
	v_mov_b32_e32 v64, 0
	v_lshl_add_u32 v75, v5, 9, v8
	s_delay_alu instid0(VALU_DEP_3) | instskip(SKIP_3) | instid1(VALU_DEP_1)
	v_add_nc_u32_e32 v77, s18, v74
	v_lshl_add_u32 v76, s18, 1, v74
	s_waitcnt_depctr 0xfff
	v_mul_f32_e32 v6, 0x4f7ffffe, v6
	v_cvt_u32_f32_e32 v6, v6
	s_delay_alu instid0(VALU_DEP_1) | instskip(SKIP_1) | instid1(VALU_DEP_2)
	v_readfirstlane_b32 s1, v6
	v_mul_f32_e32 v6, 0x4f7ffffe, v7
	s_mul_i32 s3, s3, s1
	s_delay_alu instid0(VALU_DEP_1) | instskip(SKIP_1) | instid1(SALU_CYCLE_1)
	v_cvt_u32_f32_e32 v6, v6
	s_mul_hi_u32 s3, s1, s3
	s_add_i32 s1, s1, s3
	s_cmp_lt_u32 s2, 2
	s_delay_alu instid0(VALU_DEP_1) | instskip(SKIP_1) | instid1(SALU_CYCLE_1)
	v_mul_lo_u32 v7, s4, v6
	s_cselect_b32 s3, s5, 1
	s_sub_i32 s4, s3, s2
	s_cmp_ge_u32 s3, s2
	s_cselect_b32 s31, s4, s3
	s_lshr_b32 s1, s1, 31
	s_delay_alu instid0(VALU_DEP_1) | instskip(SKIP_3) | instid1(SALU_CYCLE_1)
	v_mul_hi_u32 v7, v6, v7
	s_mul_i32 s1, s1, s2
	s_mul_i32 s31, s31, s8
	s_sub_i32 s1, 2, s1
	s_sub_i32 s3, s1, s2
	s_cmp_ge_u32 s1, s2
	s_cselect_b32 s1, s3, s1
	s_delay_alu instid0(VALU_DEP_1)
	v_add_nc_u32_e32 v78, v6, v7
	s_sub_i32 s3, s1, s2
	s_cmp_ge_u32 s1, s2
	s_cselect_b32 s36, s3, s1
	s_add_u32 s33, s6, 2
	s_addc_u32 s34, s7, 0
	s_lshl_b32 s35, s24, 2
	s_lshl_b32 s20, s20, 9
	s_mul_i32 s36, s36, s8
	s_lshl_b32 s37, s24, 1
	s_branch .LBB232_12
.LBB232_9:                              ;   in Loop: Header=BB232_12 Depth=1
	s_or_b32 exec_lo, exec_lo, s40
	v_mov_b32_e32 v61, s9
.LBB232_10:                             ;   in Loop: Header=BB232_12 Depth=1
	s_or_b32 exec_lo, exec_lo, s39
.LBB232_11:                             ;   in Loop: Header=BB232_12 Depth=1
	s_delay_alu instid0(SALU_CYCLE_1) | instskip(NEXT) | instid1(VALU_DEP_1)
	s_or_b32 exec_lo, exec_lo, s38
	v_cmp_le_u32_e32 vcc_lo, s22, v61
	s_or_b32 s23, vcc_lo, s23
	s_delay_alu instid0(SALU_CYCLE_1)
	s_and_not1_b32 exec_lo, exec_lo, s23
	s_cbranch_execz .LBB232_112
.LBB232_12:                             ; =>This Loop Header: Depth=1
                                        ;     Child Loop BB232_17 Depth 2
                                        ;       Child Loop BB232_22 Depth 3
                                        ;     Child Loop BB232_110 Depth 2
	v_mov_b32_e32 v62, v64
	v_mov_b32_e32 v79, v64
	;; [unrolled: 1-line block ×12, first 2 shown]
	s_and_not1_b32 vcc_lo, exec_lo, s25
	s_mov_b32 s3, 0
	s_cbranch_vccnz .LBB232_29
; %bb.13:                               ;   in Loop: Header=BB232_12 Depth=1
	v_dual_mov_b32 v89, 0 :: v_dual_add_nc_u32 v6, 2, v61
	v_add_nc_u32_e32 v5, 1, v61
	v_add_nc_u32_e32 v7, 3, v61
	s_waitcnt lgkmcnt(2)
	v_min_u32_e32 v8, s28, v61
	v_min_u32_e32 v6, s28, v6
	v_dual_mov_b32 v10, v64 :: v_dual_mov_b32 v85, 0
	v_cmp_gt_u32_e64 s1, s19, v61
	s_delay_alu instid0(VALU_DEP_4)
	v_mul_lo_u32 v63, v8, s17
	v_mov_b32_e32 v8, v64
	v_min_u32_e32 v9, s28, v7
	v_mul_lo_u32 v7, v6, s17
	v_mov_b32_e32 v6, v64
	v_min_u32_e32 v5, s28, v5
	v_dual_mov_b32 v86, 0 :: v_dual_mov_b32 v87, 0
	v_mul_lo_u32 v9, v9, s17
	v_lshlrev_b64 v[65:66], 1, v[63:64]
	s_delay_alu instid0(VALU_DEP_4)
	v_mul_lo_u32 v5, v5, s17
	v_lshlrev_b64 v[69:70], 1, v[7:8]
	v_dual_mov_b32 v88, 0 :: v_dual_mov_b32 v83, 0
	v_dual_mov_b32 v84, 0 :: v_dual_mov_b32 v81, 0
	v_lshlrev_b64 v[71:72], 1, v[9:10]
	v_dual_mov_b32 v82, 0 :: v_dual_mov_b32 v79, 0
	v_lshlrev_b64 v[67:68], 1, v[5:6]
	v_mov_b32_e32 v80, 0
	v_mov_b32_e32 v62, 0
	s_mov_b32 s4, 0
	s_branch .LBB232_17
.LBB232_14:                             ;   in Loop: Header=BB232_17 Depth=2
	s_or_b32 exec_lo, exec_lo, s38
.LBB232_15:                             ;   in Loop: Header=BB232_17 Depth=2
	s_delay_alu instid0(SALU_CYCLE_1)
	s_or_b32 exec_lo, exec_lo, s5
	s_waitcnt lgkmcnt(2)
	v_and_b32_e32 v91, 0xffff0000, v58
	s_waitcnt vmcnt(7)
	v_and_b32_e32 v98, 0xffff0000, v56
	v_and_b32_e32 v96, 0xffff0000, v55
	v_lshlrev_b32_e32 v56, 16, v56
	s_waitcnt vmcnt(6)
	v_and_b32_e32 v100, 0xffff0000, v50
	v_and_b32_e32 v95, 0xffff0000, v59
	;; [unrolled: 1-line block ×3, first 2 shown]
	v_lshlrev_b32_e32 v53, 16, v53
	v_and_b32_e32 v92, 0xffff0000, v54
	v_and_b32_e32 v63, 0xffff0000, v57
	v_lshlrev_b32_e32 v59, 16, v59
	s_waitcnt vmcnt(4)
	v_dual_mul_f32 v97, v95, v96 :: v_dual_and_b32 v108, 0xffff0000, v42
	v_mul_f32_e32 v94, v91, v92
	v_lshlrev_b32_e32 v50, 16, v50
	v_lshlrev_b32_e32 v55, 16, v55
	v_mul_f32_e32 v93, v63, v90
	v_lshlrev_b32_e32 v58, 16, v58
	v_lshlrev_b32_e32 v54, 16, v54
	s_delay_alu instid0(VALU_DEP_4) | instskip(NEXT) | instid1(VALU_DEP_2)
	v_dual_fmac_f32 v97, v59, v55 :: v_dual_lshlrev_b32 v42, 16, v42
	v_dual_fmac_f32 v94, v58, v54 :: v_dual_lshlrev_b32 v57, 16, v57
	s_delay_alu instid0(VALU_DEP_1) | instskip(NEXT) | instid1(VALU_DEP_1)
	v_dual_fmac_f32 v93, v57, v53 :: v_dual_and_b32 v104, 0xffff0000, v52
	v_add_f32_e32 v86, v86, v93
	v_lshlrev_b32_e32 v52, 16, v52
	s_delay_alu instid0(VALU_DEP_2) | instskip(SKIP_3) | instid1(VALU_DEP_4)
	v_add_f32_e32 v86, v86, v94
	v_and_b32_e32 v94, 0xffff0000, v60
	v_and_b32_e32 v93, 0xffff0000, v49
	v_lshlrev_b32_e32 v60, 16, v60
	v_add_f32_e32 v86, v86, v97
	s_delay_alu instid0(VALU_DEP_4) | instskip(NEXT) | instid1(VALU_DEP_1)
	v_dual_mul_f32 v106, v94, v104 :: v_dual_lshlrev_b32 v49, 16, v49
	v_dual_mul_f32 v99, v63, v93 :: v_dual_fmac_f32 v106, v60, v52
	s_delay_alu instid0(VALU_DEP_1) | instskip(SKIP_1) | instid1(VALU_DEP_2)
	v_fmac_f32_e32 v99, v57, v49
	v_mul_f32_e32 v101, v94, v98
	v_add_f32_e32 v89, v89, v99
	s_delay_alu instid0(VALU_DEP_2) | instskip(SKIP_3) | instid1(VALU_DEP_3)
	v_fmac_f32_e32 v101, v60, v56
	v_dual_mul_f32 v102, v91, v100 :: v_dual_and_b32 v99, 0xffff0000, v45
	v_and_b32_e32 v97, 0xffff0000, v51
	v_lshlrev_b32_e32 v45, 16, v45
	v_dual_add_f32 v86, v86, v101 :: v_dual_mul_f32 v101, v63, v99
	s_delay_alu instid0(VALU_DEP_3) | instskip(NEXT) | instid1(VALU_DEP_2)
	v_dual_fmac_f32 v102, v58, v50 :: v_dual_mul_f32 v103, v95, v97
	v_fmac_f32_e32 v101, v57, v45
	s_delay_alu instid0(VALU_DEP_1) | instskip(NEXT) | instid1(VALU_DEP_3)
	v_dual_add_f32 v88, v88, v101 :: v_dual_lshlrev_b32 v51, 16, v51
	v_add_f32_e32 v89, v89, v102
	s_delay_alu instid0(VALU_DEP_2) | instskip(SKIP_1) | instid1(VALU_DEP_2)
	v_dual_fmac_f32 v103, v59, v51 :: v_dual_and_b32 v102, 0xffff0000, v46
	v_lshlrev_b32_e32 v46, 16, v46
	v_mul_f32_e32 v105, v91, v102
	s_delay_alu instid0(VALU_DEP_1) | instskip(NEXT) | instid1(VALU_DEP_1)
	v_fmac_f32_e32 v105, v58, v46
	v_dual_add_f32 v88, v88, v105 :: v_dual_and_b32 v105, 0xffff0000, v48
	v_dual_add_f32 v89, v89, v103 :: v_dual_lshlrev_b32 v48, 16, v48
	v_and_b32_e32 v103, 0xffff0000, v41
	v_lshlrev_b32_e32 v41, 16, v41
	s_delay_alu instid0(VALU_DEP_4) | instskip(NEXT) | instid1(VALU_DEP_3)
	v_mul_f32_e32 v109, v94, v105
	v_mul_f32_e32 v63, v63, v103
	s_delay_alu instid0(VALU_DEP_2) | instskip(SKIP_1) | instid1(VALU_DEP_3)
	v_fmac_f32_e32 v109, v60, v48
	v_and_b32_e32 v101, 0xffff0000, v47
	v_fmac_f32_e32 v63, v57, v41
	v_mul_f32_e32 v57, v91, v108
	v_and_b32_e32 v91, 0xffff0000, v43
	s_delay_alu instid0(VALU_DEP_4) | instskip(NEXT) | instid1(VALU_DEP_2)
	v_mul_f32_e32 v107, v95, v101
	v_dual_fmac_f32 v57, v58, v42 :: v_dual_mul_f32 v58, v95, v91
	s_waitcnt lgkmcnt(1)
	v_and_b32_e32 v95, 0xffff0000, v38
	v_dual_add_f32 v63, v85, v63 :: v_dual_lshlrev_b32 v38, 16, v38
	v_lshlrev_b32_e32 v43, 16, v43
	v_lshlrev_b32_e32 v47, 16, v47
	v_add_f32_e32 v85, v89, v106
	s_delay_alu instid0(VALU_DEP_4) | instskip(NEXT) | instid1(VALU_DEP_4)
	v_add_f32_e32 v57, v63, v57
	v_fmac_f32_e32 v58, v59, v43
	s_delay_alu instid0(VALU_DEP_1) | instskip(SKIP_3) | instid1(VALU_DEP_4)
	v_dual_add_f32 v57, v57, v58 :: v_dual_mul_f32 v58, v95, v92
	v_fmac_f32_e32 v107, v59, v47
	v_and_b32_e32 v59, 0xffff0000, v44
	v_lshlrev_b32_e32 v44, 16, v44
	v_fmac_f32_e32 v58, v38, v54
	s_delay_alu instid0(VALU_DEP_4) | instskip(NEXT) | instid1(VALU_DEP_4)
	v_add_f32_e32 v88, v88, v107
	v_mul_f32_e32 v94, v94, v59
	s_delay_alu instid0(VALU_DEP_1) | instskip(SKIP_1) | instid1(VALU_DEP_1)
	v_fmac_f32_e32 v94, v60, v44
	v_and_b32_e32 v60, 0xffff0000, v39
	v_dual_mul_f32 v106, v60, v96 :: v_dual_lshlrev_b32 v39, 16, v39
	s_delay_alu instid0(VALU_DEP_3) | instskip(NEXT) | instid1(VALU_DEP_2)
	v_dual_add_f32 v57, v57, v94 :: v_dual_mul_f32 v94, v95, v100
	v_fmac_f32_e32 v106, v39, v55
	s_delay_alu instid0(VALU_DEP_2) | instskip(SKIP_1) | instid1(VALU_DEP_2)
	v_dual_fmac_f32 v94, v38, v50 :: v_dual_and_b32 v89, 0xffff0000, v37
	v_lshlrev_b32_e32 v37, 16, v37
	v_mul_f32_e32 v63, v89, v90
	s_delay_alu instid0(VALU_DEP_1) | instskip(NEXT) | instid1(VALU_DEP_1)
	v_fmac_f32_e32 v63, v37, v53
	v_add_f32_e32 v63, v87, v63
	s_delay_alu instid0(VALU_DEP_1) | instskip(SKIP_1) | instid1(VALU_DEP_2)
	v_add_f32_e32 v58, v63, v58
	v_add_f32_e32 v88, v88, v109
	;; [unrolled: 1-line block ×3, first 2 shown]
	v_mul_f32_e32 v106, v60, v101
	s_delay_alu instid0(VALU_DEP_1) | instskip(NEXT) | instid1(VALU_DEP_1)
	v_dual_mul_f32 v87, v89, v93 :: v_dual_fmac_f32 v106, v39, v47
	v_fmac_f32_e32 v87, v37, v49
	s_delay_alu instid0(VALU_DEP_1) | instskip(NEXT) | instid1(VALU_DEP_1)
	v_add_f32_e32 v84, v84, v87
	v_dual_add_f32 v84, v84, v94 :: v_dual_mul_f32 v107, v89, v99
	v_dual_mul_f32 v89, v89, v103 :: v_dual_mul_f32 v94, v95, v102
	s_delay_alu instid0(VALU_DEP_2) | instskip(NEXT) | instid1(VALU_DEP_2)
	v_fmac_f32_e32 v107, v37, v45
	v_dual_fmac_f32 v89, v37, v41 :: v_dual_fmac_f32 v94, v38, v46
	s_delay_alu instid0(VALU_DEP_1)
	v_add_f32_e32 v82, v82, v89
	v_mul_f32_e32 v87, v60, v97
	s_waitcnt lgkmcnt(0)
	v_and_b32_e32 v89, 0xffff0000, v33
	v_and_b32_e32 v63, 0xffff0000, v40
	v_lshlrev_b32_e32 v40, 16, v40
	v_lshlrev_b32_e32 v33, 16, v33
	v_fmac_f32_e32 v87, v39, v51
	s_delay_alu instid0(VALU_DEP_1) | instskip(NEXT) | instid1(VALU_DEP_1)
	v_dual_add_f32 v84, v84, v87 :: v_dual_mul_f32 v87, v63, v104
	v_fmac_f32_e32 v87, v40, v52
	s_delay_alu instid0(VALU_DEP_1) | instskip(NEXT) | instid1(VALU_DEP_1)
	v_dual_add_f32 v37, v84, v87 :: v_dual_mul_f32 v84, v95, v108
	v_fmac_f32_e32 v84, v38, v42
	v_mul_f32_e32 v38, v60, v91
	v_mul_f32_e32 v60, v89, v90
	;; [unrolled: 1-line block ×3, first 2 shown]
	s_delay_alu instid0(VALU_DEP_4) | instskip(SKIP_3) | instid1(VALU_DEP_3)
	v_dual_mul_f32 v87, v63, v105 :: v_dual_add_f32 v82, v82, v84
	v_and_b32_e32 v84, 0xffff0000, v34
	v_fmac_f32_e32 v38, v39, v43
	v_dual_mul_f32 v39, v63, v59 :: v_dual_fmac_f32 v60, v33, v53
	v_dual_mul_f32 v53, v84, v92 :: v_dual_lshlrev_b32 v34, 16, v34
	s_delay_alu instid0(VALU_DEP_3)
	v_dual_fmac_f32 v109, v40, v56 :: v_dual_add_f32 v38, v82, v38
	v_add_f32_e32 v83, v83, v107
	v_and_b32_e32 v63, 0xffff0000, v35
	v_fmac_f32_e32 v87, v40, v48
	v_fmac_f32_e32 v39, v40, v44
	v_dual_add_f32 v40, v81, v60 :: v_dual_fmac_f32 v53, v34, v54
	v_add_f32_e32 v83, v83, v94
	v_dual_mul_f32 v54, v63, v96 :: v_dual_lshlrev_b32 v35, 16, v35
	v_add_f32_e32 v58, v58, v109
	s_delay_alu instid0(VALU_DEP_4) | instskip(NEXT) | instid1(VALU_DEP_3)
	v_add_f32_e32 v40, v40, v53
	v_dual_mul_f32 v53, v89, v93 :: v_dual_fmac_f32 v54, v35, v55
	s_delay_alu instid0(VALU_DEP_1) | instskip(SKIP_1) | instid1(VALU_DEP_3)
	v_fmac_f32_e32 v53, v33, v49
	v_mul_f32_e32 v49, v84, v100
	v_add_f32_e32 v40, v40, v54
	s_delay_alu instid0(VALU_DEP_3) | instskip(NEXT) | instid1(VALU_DEP_3)
	v_add_f32_e32 v53, v80, v53
	v_dual_fmac_f32 v49, v34, v50 :: v_dual_mul_f32 v50, v63, v97
	s_delay_alu instid0(VALU_DEP_1) | instskip(SKIP_2) | instid1(VALU_DEP_2)
	v_dual_add_f32 v49, v53, v49 :: v_dual_fmac_f32 v50, v35, v51
	v_mul_f32_e32 v81, v89, v99
	v_mul_f32_e32 v53, v89, v103
	v_fmac_f32_e32 v81, v33, v45
	s_delay_alu instid0(VALU_DEP_1) | instskip(NEXT) | instid1(VALU_DEP_1)
	v_dual_mul_f32 v45, v84, v102 :: v_dual_add_f32 v54, v79, v81
	v_dual_fmac_f32 v45, v34, v46 :: v_dual_mul_f32 v46, v63, v101
	v_dual_add_f32 v38, v38, v39 :: v_dual_and_b32 v39, 0xffff0000, v36
	s_delay_alu instid0(VALU_DEP_2) | instskip(NEXT) | instid1(VALU_DEP_3)
	v_dual_add_f32 v45, v54, v45 :: v_dual_lshlrev_b32 v36, 16, v36
	v_dual_fmac_f32 v46, v35, v47 :: v_dual_fmac_f32 v53, v33, v41
	v_mul_f32_e32 v41, v84, v108
	s_delay_alu instid0(VALU_DEP_4) | instskip(SKIP_1) | instid1(VALU_DEP_4)
	v_mul_f32_e32 v47, v39, v105
	v_and_b32_e32 v81, 0xffff0000, v11
	v_dual_add_f32 v45, v45, v46 :: v_dual_add_f32 v46, v62, v53
	s_delay_alu instid0(VALU_DEP_4) | instskip(NEXT) | instid1(VALU_DEP_1)
	v_fmac_f32_e32 v41, v34, v42
	v_dual_add_f32 v41, v46, v41 :: v_dual_and_b32 v46, 0xffff0000, v30
	v_dual_fmac_f32 v47, v36, v48 :: v_dual_lshlrev_b32 v30, 16, v30
	s_waitcnt vmcnt(3)
	v_and_b32_e32 v48, 0xffff0000, v25
	v_lshlrev_b32_e32 v25, 16, v25
	s_delay_alu instid0(VALU_DEP_3) | instskip(SKIP_1) | instid1(VALU_DEP_1)
	v_add_f32_e32 v45, v45, v47
	v_and_b32_e32 v47, 0xffff0000, v29
	v_dual_mul_f32 v42, v47, v48 :: v_dual_lshlrev_b32 v29, 16, v29
	v_mul_f32_e32 v34, v63, v91
	s_delay_alu instid0(VALU_DEP_2) | instskip(NEXT) | instid1(VALU_DEP_2)
	v_dual_mul_f32 v51, v39, v104 :: v_dual_fmac_f32 v42, v29, v25
	v_fmac_f32_e32 v34, v35, v43
	s_delay_alu instid0(VALU_DEP_2) | instskip(NEXT) | instid1(VALU_DEP_2)
	v_dual_add_f32 v42, v86, v42 :: v_dual_and_b32 v43, 0xffff0000, v27
	v_dual_add_f32 v34, v41, v34 :: v_dual_and_b32 v41, 0xffff0000, v31
	v_mul_f32_e32 v55, v39, v98
	v_mul_f32_e32 v39, v39, v59
	v_lshlrev_b32_e32 v31, 16, v31
	s_delay_alu instid0(VALU_DEP_2)
	v_fmac_f32_e32 v39, v36, v44
	v_add_f32_e32 v49, v49, v50
	v_dual_mul_f32 v50, v41, v43 :: v_dual_fmac_f32 v55, v36, v56
	s_waitcnt vmcnt(1)
	v_and_b32_e32 v56, 0xffff0000, v19
	v_add_f32_e32 v34, v34, v39
	v_lshlrev_b32_e32 v11, 16, v11
	s_delay_alu instid0(VALU_DEP_3)
	v_dual_add_f32 v33, v40, v55 :: v_dual_mul_f32 v62, v41, v56
	v_dual_fmac_f32 v51, v36, v52 :: v_dual_and_b32 v52, 0xffff0000, v21
	s_waitcnt vmcnt(0)
	v_and_b32_e32 v79, 0xffff0000, v15
	v_lshlrev_b32_e32 v15, 16, v15
	v_lshlrev_b32_e32 v21, 16, v21
	v_and_b32_e32 v36, 0xffff0000, v22
	v_mul_f32_e32 v54, v47, v52
	v_lshlrev_b32_e32 v22, 16, v22
	s_delay_alu instid0(VALU_DEP_3) | instskip(NEXT) | instid1(VALU_DEP_3)
	v_mul_f32_e32 v44, v46, v36
	v_dual_fmac_f32 v54, v29, v21 :: v_dual_add_f32 v83, v83, v106
	v_dual_add_f32 v40, v49, v51 :: v_dual_and_b32 v51, 0xffff0000, v28
	v_lshlrev_b32_e32 v28, 16, v28
	v_lshlrev_b32_e32 v19, 16, v19
	v_and_b32_e32 v49, 0xffff0000, v26
	v_lshlrev_b32_e32 v26, 16, v26
	v_fmac_f32_e32 v44, v30, v22
	v_add_f32_e32 v60, v83, v87
	s_delay_alu instid0(VALU_DEP_4) | instskip(NEXT) | instid1(VALU_DEP_1)
	v_dual_fmac_f32 v62, v31, v19 :: v_dual_mul_f32 v35, v46, v49
	v_fmac_f32_e32 v35, v30, v26
	s_delay_alu instid0(VALU_DEP_1) | instskip(SKIP_3) | instid1(VALU_DEP_4)
	v_dual_add_f32 v35, v42, v35 :: v_dual_and_b32 v42, 0xffff0000, v32
	v_lshlrev_b32_e32 v32, 16, v32
	v_lshlrev_b32_e32 v27, 16, v27
	v_add_f32_e32 v39, v85, v54
	v_dual_mul_f32 v53, v42, v51 :: v_dual_and_b32 v54, 0xffff0000, v18
	v_lshlrev_b32_e32 v18, 16, v18
	s_delay_alu instid0(VALU_DEP_4) | instskip(NEXT) | instid1(VALU_DEP_3)
	v_fmac_f32_e32 v50, v31, v27
	v_dual_add_f32 v39, v39, v44 :: v_dual_mul_f32 v44, v46, v54
	s_delay_alu instid0(VALU_DEP_4) | instskip(NEXT) | instid1(VALU_DEP_3)
	v_fmac_f32_e32 v53, v32, v28
	v_dual_add_f32 v35, v35, v50 :: v_dual_and_b32 v50, 0xffff0000, v23
	s_delay_alu instid0(VALU_DEP_3) | instskip(NEXT) | instid1(VALU_DEP_2)
	v_dual_fmac_f32 v44, v30, v18 :: v_dual_lshlrev_b32 v23, 16, v23
	v_add_f32_e32 v86, v35, v53
	v_and_b32_e32 v35, 0xffff0000, v17
	v_lshlrev_b32_e32 v17, 16, v17
	v_mul_f32_e32 v55, v41, v50
	s_delay_alu instid0(VALU_DEP_3) | instskip(NEXT) | instid1(VALU_DEP_2)
	v_mul_f32_e32 v53, v47, v35
	v_fmac_f32_e32 v55, v31, v23
	s_delay_alu instid0(VALU_DEP_2) | instskip(NEXT) | instid1(VALU_DEP_1)
	v_fmac_f32_e32 v53, v29, v17
	v_add_f32_e32 v53, v88, v53
	s_delay_alu instid0(VALU_DEP_1) | instskip(NEXT) | instid1(VALU_DEP_1)
	v_dual_add_f32 v44, v53, v44 :: v_dual_and_b32 v53, 0xffff0000, v13
	v_dual_add_f32 v44, v44, v62 :: v_dual_lshlrev_b32 v13, 16, v13
	s_delay_alu instid0(VALU_DEP_2) | instskip(SKIP_2) | instid1(VALU_DEP_3)
	v_dual_mul_f32 v47, v47, v53 :: v_dual_and_b32 v62, 0xffff0000, v20
	v_dual_add_f32 v39, v39, v55 :: v_dual_lshlrev_b32 v20, 16, v20
	v_and_b32_e32 v55, 0xffff0000, v14
	v_dual_fmac_f32 v47, v29, v13 :: v_dual_lshlrev_b32 v14, 16, v14
	s_delay_alu instid0(VALU_DEP_2) | instskip(NEXT) | instid1(VALU_DEP_2)
	v_mul_f32_e32 v29, v46, v55
	v_add_f32_e32 v47, v57, v47
	v_dual_mul_f32 v46, v42, v62 :: v_dual_and_b32 v57, 0xffff0000, v9
	v_lshlrev_b32_e32 v9, 16, v9
	s_delay_alu instid0(VALU_DEP_4) | instskip(NEXT) | instid1(VALU_DEP_3)
	v_dual_fmac_f32 v29, v30, v14 :: v_dual_mul_f32 v30, v41, v79
	v_mul_f32_e32 v41, v57, v48
	s_delay_alu instid0(VALU_DEP_2) | instskip(SKIP_1) | instid1(VALU_DEP_3)
	v_dual_fmac_f32 v46, v32, v20 :: v_dual_add_f32 v29, v47, v29
	v_and_b32_e32 v47, 0xffff0000, v10
	v_dual_fmac_f32 v41, v9, v25 :: v_dual_lshlrev_b32 v10, 16, v10
	s_delay_alu instid0(VALU_DEP_3) | instskip(NEXT) | instid1(VALU_DEP_3)
	v_dual_add_f32 v88, v44, v46 :: v_dual_and_b32 v59, 0xffff0000, v24
	v_mul_f32_e32 v44, v47, v54
	v_mul_f32_e32 v80, v47, v49
	s_delay_alu instid0(VALU_DEP_4) | instskip(NEXT) | instid1(VALU_DEP_4)
	v_dual_add_f32 v41, v58, v41 :: v_dual_mul_f32 v58, v81, v43
	v_dual_mul_f32 v63, v42, v59 :: v_dual_lshlrev_b32 v24, 16, v24
	s_delay_alu instid0(VALU_DEP_3) | instskip(SKIP_1) | instid1(VALU_DEP_4)
	v_fmac_f32_e32 v80, v10, v26
	v_fmac_f32_e32 v30, v31, v15
	;; [unrolled: 1-line block ×4, first 2 shown]
	v_mul_f32_e32 v46, v81, v56
	s_delay_alu instid0(VALU_DEP_4) | instskip(SKIP_1) | instid1(VALU_DEP_1)
	v_add_f32_e32 v29, v29, v30
	v_add_f32_e32 v30, v41, v80
	v_dual_mul_f32 v41, v47, v36 :: v_dual_add_f32 v30, v30, v58
	v_and_b32_e32 v31, 0xffff0000, v16
	s_delay_alu instid0(VALU_DEP_2) | instskip(NEXT) | instid1(VALU_DEP_2)
	v_dual_fmac_f32 v41, v10, v22 :: v_dual_lshlrev_b32 v16, 16, v16
	v_mul_f32_e32 v42, v42, v31
	s_delay_alu instid0(VALU_DEP_1) | instskip(NEXT) | instid1(VALU_DEP_1)
	v_fmac_f32_e32 v42, v32, v16
	v_add_f32_e32 v85, v29, v42
	v_mul_f32_e32 v29, v57, v52
	s_delay_alu instid0(VALU_DEP_1) | instskip(NEXT) | instid1(VALU_DEP_1)
	v_fmac_f32_e32 v29, v9, v21
	v_add_f32_e32 v29, v37, v29
	v_mul_f32_e32 v37, v81, v50
	s_delay_alu instid0(VALU_DEP_2) | instskip(NEXT) | instid1(VALU_DEP_2)
	v_add_f32_e32 v29, v29, v41
	v_fmac_f32_e32 v37, v11, v23
	s_delay_alu instid0(VALU_DEP_1) | instskip(SKIP_2) | instid1(VALU_DEP_1)
	v_add_f32_e32 v29, v29, v37
	v_fmac_f32_e32 v63, v32, v24
	v_and_b32_e32 v32, 0xffff0000, v12
	v_dual_mul_f32 v41, v32, v59 :: v_dual_lshlrev_b32 v12, 16, v12
	v_mul_f32_e32 v42, v32, v51
	s_delay_alu instid0(VALU_DEP_2) | instskip(NEXT) | instid1(VALU_DEP_2)
	v_fmac_f32_e32 v41, v12, v24
	v_fmac_f32_e32 v42, v12, v28
	;; [unrolled: 1-line block ×3, first 2 shown]
	s_delay_alu instid0(VALU_DEP_3) | instskip(SKIP_4) | instid1(VALU_DEP_4)
	v_dual_add_f32 v84, v29, v41 :: v_dual_add_f32 v89, v39, v63
	v_mul_f32_e32 v39, v57, v35
	v_and_b32_e32 v29, 0xffff0000, v5
	v_add_f32_e32 v87, v30, v42
	v_lshlrev_b32_e32 v5, 16, v5
	v_fmac_f32_e32 v39, v9, v17
	s_delay_alu instid0(VALU_DEP_1) | instskip(NEXT) | instid1(VALU_DEP_1)
	v_dual_mul_f32 v30, v29, v48 :: v_dual_add_f32 v39, v60, v39
	v_dual_fmac_f32 v30, v5, v25 :: v_dual_add_f32 v39, v39, v44
	v_mul_f32_e32 v44, v32, v62
	s_delay_alu instid0(VALU_DEP_2) | instskip(NEXT) | instid1(VALU_DEP_3)
	v_add_f32_e32 v30, v33, v30
	v_add_f32_e32 v37, v39, v46
	s_delay_alu instid0(VALU_DEP_3) | instskip(NEXT) | instid1(VALU_DEP_1)
	v_dual_mul_f32 v39, v57, v53 :: v_dual_fmac_f32 v44, v12, v20
	v_fmac_f32_e32 v39, v9, v13
	s_delay_alu instid0(VALU_DEP_2) | instskip(NEXT) | instid1(VALU_DEP_2)
	v_add_f32_e32 v83, v37, v44
	v_dual_add_f32 v37, v38, v39 :: v_dual_and_b32 v38, 0xffff0000, v6
	s_delay_alu instid0(VALU_DEP_1) | instskip(NEXT) | instid1(VALU_DEP_1)
	v_dual_mul_f32 v25, v38, v49 :: v_dual_lshlrev_b32 v6, 16, v6
	v_dual_fmac_f32 v25, v6, v26 :: v_dual_mul_f32 v26, v29, v52
	s_delay_alu instid0(VALU_DEP_1) | instskip(NEXT) | instid1(VALU_DEP_1)
	v_dual_fmac_f32 v26, v5, v21 :: v_dual_mul_f32 v9, v47, v55
	v_dual_mul_f32 v21, v38, v36 :: v_dual_add_f32 v26, v40, v26
	s_delay_alu instid0(VALU_DEP_2) | instskip(NEXT) | instid1(VALU_DEP_2)
	v_dual_fmac_f32 v9, v10, v14 :: v_dual_mul_f32 v10, v81, v79
	v_fmac_f32_e32 v21, v6, v22
	s_delay_alu instid0(VALU_DEP_2) | instskip(NEXT) | instid1(VALU_DEP_2)
	v_dual_add_f32 v9, v37, v9 :: v_dual_fmac_f32 v10, v11, v15
	v_add_f32_e32 v21, v26, v21
	s_delay_alu instid0(VALU_DEP_2) | instskip(NEXT) | instid1(VALU_DEP_1)
	v_dual_add_f32 v9, v9, v10 :: v_dual_and_b32 v10, 0xffff0000, v7
	v_dual_mul_f32 v22, v10, v50 :: v_dual_lshlrev_b32 v7, 16, v7
	s_delay_alu instid0(VALU_DEP_1) | instskip(SKIP_2) | instid1(VALU_DEP_3)
	v_fmac_f32_e32 v22, v7, v23
	v_mul_f32_e32 v11, v32, v31
	v_mul_f32_e32 v23, v29, v35
	v_add_f32_e32 v21, v21, v22
	s_delay_alu instid0(VALU_DEP_3) | instskip(SKIP_1) | instid1(VALU_DEP_4)
	v_dual_fmac_f32 v11, v12, v16 :: v_dual_add_f32 v12, v30, v25
	v_mul_f32_e32 v25, v10, v43
	v_fmac_f32_e32 v23, v5, v17
	v_dual_mul_f32 v17, v38, v54 :: v_dual_and_b32 v30, 0xffff0000, v8
	s_delay_alu instid0(VALU_DEP_3) | instskip(NEXT) | instid1(VALU_DEP_2)
	v_dual_fmac_f32 v25, v7, v27 :: v_dual_lshlrev_b32 v8, 16, v8
	v_dual_add_f32 v82, v9, v11 :: v_dual_fmac_f32 v17, v6, v18
	v_mul_f32_e32 v18, v10, v56
	s_delay_alu instid0(VALU_DEP_3) | instskip(SKIP_1) | instid1(VALU_DEP_2)
	v_dual_mul_f32 v27, v30, v51 :: v_dual_add_f32 v12, v12, v25
	v_dual_mul_f32 v25, v29, v53 :: v_dual_mul_f32 v22, v30, v59
	v_dual_fmac_f32 v18, v7, v19 :: v_dual_fmac_f32 v27, v8, v28
	s_delay_alu instid0(VALU_DEP_2) | instskip(SKIP_1) | instid1(VALU_DEP_4)
	v_fmac_f32_e32 v25, v5, v13
	v_mul_f32_e32 v5, v38, v55
	v_dual_add_f32 v13, v45, v23 :: v_dual_fmac_f32 v22, v8, v24
	s_delay_alu instid0(VALU_DEP_4) | instskip(NEXT) | instid1(VALU_DEP_4)
	v_add_f32_e32 v81, v12, v27
	v_add_f32_e32 v23, v34, v25
	s_delay_alu instid0(VALU_DEP_4) | instskip(SKIP_3) | instid1(VALU_DEP_4)
	v_fmac_f32_e32 v5, v6, v14
	v_mul_f32_e32 v6, v10, v79
	v_add_f32_e32 v80, v21, v22
	v_dual_add_f32 v10, v13, v17 :: v_dual_mul_f32 v13, v30, v62
	v_add_f32_e32 v5, v23, v5
	s_delay_alu instid0(VALU_DEP_4) | instskip(SKIP_1) | instid1(VALU_DEP_4)
	v_fmac_f32_e32 v6, v7, v15
	v_mul_f32_e32 v7, v30, v31
	v_dual_add_f32 v10, v10, v18 :: v_dual_fmac_f32 v13, v8, v20
	s_delay_alu instid0(VALU_DEP_3) | instskip(NEXT) | instid1(VALU_DEP_3)
	v_add_f32_e32 v5, v5, v6
	v_fmac_f32_e32 v7, v8, v16
	s_delay_alu instid0(VALU_DEP_1)
	v_dual_add_f32 v79, v10, v13 :: v_dual_add_f32 v62, v5, v7
.LBB232_16:                             ;   in Loop: Header=BB232_17 Depth=2
	s_or_b32 exec_lo, exec_lo, s2
	s_addk_i32 s4, 0x200
	s_delay_alu instid0(SALU_CYCLE_1)
	s_cmp_ge_u32 s4, s16
	s_cbranch_scc1 .LBB232_29
.LBB232_17:                             ;   Parent Loop BB232_12 Depth=1
                                        ; =>  This Loop Header: Depth=2
                                        ;       Child Loop BB232_22 Depth 3
	s_cmp_eq_u32 s4, 0
	s_cselect_b32 s5, -1, 0
	s_add_i32 s2, s3, s24
	s_delay_alu instid0(SALU_CYCLE_1) | instskip(SKIP_1) | instid1(SALU_CYCLE_1)
	s_cmp_eq_u32 s4, s2
	s_cselect_b32 s38, -1, 0
	s_or_b32 s38, s5, s38
	s_delay_alu instid0(SALU_CYCLE_1)
	s_and_not1_b32 vcc_lo, exec_lo, s38
	s_cbranch_vccz .LBB232_19
; %bb.18:                               ;   in Loop: Header=BB232_17 Depth=2
	s_and_saveexec_b32 s2, s1
	s_cbranch_execz .LBB232_16
	s_branch .LBB232_26
.LBB232_19:                             ;   in Loop: Header=BB232_17 Depth=2
	s_and_b32 s5, s5, exec_lo
	s_cselect_b32 s3, s3, s2
	s_and_not1_b32 vcc_lo, exec_lo, s21
	s_waitcnt vmcnt(0) lgkmcnt(0)
	s_waitcnt_vscnt null, 0x0
	s_barrier
	buffer_gl0_inv
	s_cbranch_vccnz .LBB232_25
; %bb.20:                               ;   in Loop: Header=BB232_17 Depth=2
	v_dual_mov_b32 v8, v75 :: v_dual_add_nc_u32 v5, s3, v76
	v_add_nc_u32_e32 v6, s3, v77
	v_add_nc_u32_e32 v7, s3, v74
	s_mov_b32 s5, 0
	s_mov_b32 s38, 0
                                        ; implicit-def: $sgpr39
	s_branch .LBB232_22
.LBB232_21:                             ;   in Loop: Header=BB232_22 Depth=3
	s_or_b32 exec_lo, exec_lo, s2
	s_delay_alu instid0(SALU_CYCLE_1) | instskip(NEXT) | instid1(SALU_CYCLE_1)
	s_and_b32 s2, exec_lo, s39
	s_or_b32 s5, s2, s5
	s_delay_alu instid0(SALU_CYCLE_1)
	s_and_not1_b32 exec_lo, exec_lo, s5
	s_cbranch_execz .LBB232_24
.LBB232_22:                             ;   Parent Loop BB232_12 Depth=1
                                        ;     Parent Loop BB232_17 Depth=2
                                        ; =>    This Inner Loop Header: Depth=3
	s_delay_alu instid0(VALU_DEP_1) | instskip(SKIP_2) | instid1(VALU_DEP_2)
	v_add_nc_u32_e32 v63, s38, v7
	v_add_nc_u32_e32 v9, s38, v74
	s_or_b32 s39, s39, exec_lo
	v_cmp_gt_u32_e32 vcc_lo, s18, v63
	s_delay_alu instid0(VALU_DEP_2) | instskip(NEXT) | instid1(VALU_DEP_1)
	v_cmp_gt_u32_e64 s2, s24, v9
	s_and_b32 s40, s2, vcc_lo
	s_delay_alu instid0(SALU_CYCLE_1)
	s_and_saveexec_b32 s2, s40
	s_cbranch_execz .LBB232_21
; %bb.23:                               ;   in Loop: Header=BB232_22 Depth=3
	v_lshlrev_b64 v[9:10], 1, v[63:64]
	v_add_nc_u32_e32 v63, s38, v6
	v_add_nc_u32_e32 v21, s37, v8
	;; [unrolled: 1-line block ×3, first 2 shown]
	s_delay_alu instid0(VALU_DEP_3) | instskip(SKIP_3) | instid1(VALU_DEP_3)
	v_lshlrev_b64 v[11:12], 1, v[63:64]
	v_add_nc_u32_e32 v63, s38, v5
	v_add_co_u32 v9, vcc_lo, s12, v9
	v_add_co_ci_u32_e32 v10, vcc_lo, s13, v10, vcc_lo
	v_lshlrev_b64 v[13:14], 1, v[63:64]
	v_add_co_u32 v15, vcc_lo, s12, v11
	v_add_co_ci_u32_e32 v16, vcc_lo, s13, v12, vcc_lo
	s_add_i32 s38, s38, s26
	s_delay_alu instid0(VALU_DEP_3) | instskip(NEXT) | instid1(VALU_DEP_4)
	v_add_co_u32 v17, vcc_lo, s12, v13
	v_add_co_ci_u32_e32 v18, vcc_lo, s13, v14, vcc_lo
	s_clause 0x2
	global_load_b128 v[9:12], v[9:10], off
	global_load_b128 v[13:16], v[15:16], off
	;; [unrolled: 1-line block ×3, first 2 shown]
	s_cmp_ge_u32 s38, s24
	s_cselect_b32 s40, -1, 0
	s_and_not1_b32 s39, s39, exec_lo
	s_and_b32 s40, s40, exec_lo
	s_delay_alu instid0(SALU_CYCLE_1)
	s_or_b32 s39, s39, s40
	s_waitcnt vmcnt(2)
	ds_store_b128 v8, v[9:12]
	v_add_nc_u32_e32 v8, s20, v8
	s_waitcnt vmcnt(1)
	ds_store_2addr_b64 v21, v[13:14], v[15:16] offset1:1
	s_waitcnt vmcnt(0)
	ds_store_2addr_b32 v22, v17, v18 offset1:1
	ds_store_2addr_b32 v22, v19, v20 offset0:2 offset1:3
	s_branch .LBB232_21
.LBB232_24:                             ;   in Loop: Header=BB232_17 Depth=2
	s_or_b32 exec_lo, exec_lo, s5
.LBB232_25:                             ;   in Loop: Header=BB232_17 Depth=2
	s_waitcnt lgkmcnt(0)
	s_barrier
	buffer_gl0_inv
	s_and_saveexec_b32 s2, s1
	s_cbranch_execz .LBB232_16
.LBB232_26:                             ;   in Loop: Header=BB232_17 Depth=2
	v_add_nc_u32_e32 v90, s4, v73
	s_waitcnt vmcnt(4)
	v_dual_mov_b32 v32, 0 :: v_dual_mov_b32 v31, 0
	v_dual_mov_b32 v30, 0 :: v_dual_mov_b32 v29, 0
	s_delay_alu instid0(VALU_DEP_3) | instskip(SKIP_3) | instid1(VALU_DEP_4)
	v_min_u32_e32 v63, s27, v90
	v_dual_mov_b32 v36, 0 :: v_dual_add_nc_u32 v91, 0x100, v90
	v_dual_mov_b32 v35, 0 :: v_dual_mov_b32 v34, 0
	v_mov_b32_e32 v33, 0
	v_lshlrev_b64 v[5:6], 1, v[63:64]
	s_delay_alu instid0(VALU_DEP_4) | instskip(SKIP_2) | instid1(VALU_DEP_4)
	v_min_u32_e32 v63, s27, v91
	v_dual_mov_b32 v40, 0 :: v_dual_mov_b32 v39, 0
	v_dual_mov_b32 v38, 0 :: v_dual_mov_b32 v37, 0
	v_add_co_u32 v13, vcc_lo, s10, v5
	v_add_co_ci_u32_e32 v14, vcc_lo, s11, v6, vcc_lo
	v_lshlrev_b64 v[5:6], 1, v[63:64]
	s_delay_alu instid0(VALU_DEP_3) | instskip(NEXT) | instid1(VALU_DEP_3)
	v_add_co_u32 v7, vcc_lo, v13, v65
	v_add_co_ci_u32_e32 v8, vcc_lo, v14, v66, vcc_lo
	v_add_co_u32 v9, vcc_lo, v13, v67
	v_add_co_ci_u32_e32 v10, vcc_lo, v14, v68, vcc_lo
	v_add_co_u32 v11, vcc_lo, v13, v69
	s_waitcnt lgkmcnt(0)
	v_add_co_ci_u32_e32 v12, vcc_lo, v14, v70, vcc_lo
	v_add_co_u32 v15, vcc_lo, s10, v5
	v_add_co_ci_u32_e32 v16, vcc_lo, s11, v6, vcc_lo
	v_add_co_u32 v5, vcc_lo, v13, v71
	v_add_co_ci_u32_e32 v6, vcc_lo, v14, v72, vcc_lo
	s_clause 0x1
	global_load_b128 v[53:56], v[7:8], off slc dlc
	global_load_b128 v[49:52], v[9:10], off slc dlc
	v_add_co_u32 v7, vcc_lo, v15, v65
	v_add_co_ci_u32_e32 v8, vcc_lo, v16, v66, vcc_lo
	v_add_co_u32 v9, vcc_lo, v15, v67
	v_add_co_ci_u32_e32 v10, vcc_lo, v16, v68, vcc_lo
	;; [unrolled: 2-line block ×4, first 2 shown]
	s_clause 0x5
	global_load_b128 v[45:48], v[11:12], off slc dlc
	global_load_b128 v[41:44], v[5:6], off slc dlc
	;; [unrolled: 1-line block ×6, first 2 shown]
	v_dual_mov_b32 v8, 0 :: v_dual_mov_b32 v7, 0
	v_cmp_gt_u32_e32 vcc_lo, s16, v90
	v_dual_mov_b32 v6, 0 :: v_dual_mov_b32 v5, 0
	v_dual_mov_b32 v12, 0 :: v_dual_mov_b32 v11, 0
	;; [unrolled: 1-line block ×5, first 2 shown]
	s_and_saveexec_b32 s5, vcc_lo
	s_cbranch_execz .LBB232_15
; %bb.27:                               ;   in Loop: Header=BB232_17 Depth=2
	v_subrev_nc_u32_e32 v5, s3, v90
	v_dual_mov_b32 v32, 0 :: v_dual_mov_b32 v9, 0
	v_dual_mov_b32 v10, 0 :: v_dual_mov_b32 v11, 0
	s_delay_alu instid0(VALU_DEP_3) | instskip(SKIP_2) | instid1(VALU_DEP_3)
	v_dual_mov_b32 v29, 0 :: v_dual_lshlrev_b32 v92, 1, v5
	v_dual_mov_b32 v12, 0 :: v_dual_mov_b32 v5, 0
	v_dual_mov_b32 v6, 0 :: v_dual_mov_b32 v7, 0
	v_dual_mov_b32 v31, 0 :: v_dual_add_nc_u32 v90, s37, v92
	v_mov_b32_e32 v8, 0
	s_mov_b32 s38, exec_lo
	s_delay_alu instid0(VALU_DEP_2)
	v_dual_mov_b32 v30, 0 :: v_dual_add_nc_u32 v63, s37, v90
	ds_load_b128 v[57:60], v92
	ds_load_b128 v[37:40], v90
	;; [unrolled: 1-line block ×3, first 2 shown]
	v_cmpx_gt_u32_e64 s16, v91
	s_cbranch_execz .LBB232_14
; %bb.28:                               ;   in Loop: Header=BB232_17 Depth=2
	ds_load_b128 v[29:32], v92 offset:512
	ds_load_b128 v[9:12], v90 offset:512
	;; [unrolled: 1-line block ×3, first 2 shown]
	s_branch .LBB232_14
.LBB232_29:                             ;   in Loop: Header=BB232_12 Depth=1
	s_mov_b32 s1, exec_lo
	v_cmpx_le_u32_e64 s19, v61
	s_xor_b32 s1, exec_lo, s1
; %bb.30:                               ;   in Loop: Header=BB232_12 Depth=1
	v_add_nc_u32_e32 v61, s29, v61
                                        ; implicit-def: $vgpr62
                                        ; implicit-def: $vgpr79
                                        ; implicit-def: $vgpr80
                                        ; implicit-def: $vgpr81
                                        ; implicit-def: $vgpr82
                                        ; implicit-def: $vgpr83
                                        ; implicit-def: $vgpr84
                                        ; implicit-def: $vgpr87
                                        ; implicit-def: $vgpr85
                                        ; implicit-def: $vgpr88
                                        ; implicit-def: $vgpr89
                                        ; implicit-def: $vgpr86
; %bb.31:                               ;   in Loop: Header=BB232_12 Depth=1
	s_and_not1_saveexec_b32 s38, s1
	s_cbranch_execz .LBB232_11
; %bb.32:                               ;   in Loop: Header=BB232_12 Depth=1
	v_cvt_i32_f32_e32 v5, v86
	v_cvt_i32_f32_e32 v6, v89
	v_xor_b32_e32 v7, 16, v0
	s_waitcnt lgkmcnt(2)
	v_cvt_i32_f32_e32 v8, v88
	v_cvt_i32_f32_e32 v9, v85
	v_cvt_f32_i32_dpp v5, v5 row_shr:8 row_mask:0xf bank_mask:0xf bound_ctrl:1
	v_cvt_f32_i32_dpp v6, v6 row_shr:8 row_mask:0xf bank_mask:0xf bound_ctrl:1
	v_cmp_gt_i32_e32 vcc_lo, 32, v7
	s_waitcnt lgkmcnt(0)
	v_cvt_i32_f32_e32 v12, v83
	v_cvt_f32_i32_dpp v8, v8 row_shr:8 row_mask:0xf bank_mask:0xf bound_ctrl:1
	v_dual_add_f32 v5, v86, v5 :: v_dual_add_f32 v6, v89, v6
	v_cvt_f32_i32_dpp v9, v9 row_shr:8 row_mask:0xf bank_mask:0xf bound_ctrl:1
	s_delay_alu instid0(VALU_DEP_4) | instskip(SKIP_1) | instid1(VALU_DEP_4)
	v_cvt_f32_i32_dpp v12, v12 row_shr:8 row_mask:0xf bank_mask:0xf bound_ctrl:1
	v_cvt_i32_f32_e32 v10, v87
	v_cvt_i32_f32_e32 v13, v5
	v_cvt_i32_f32_e32 v14, v6
	v_cvt_i32_f32_e32 v11, v84
	v_add_f32_e32 v12, v83, v12
	v_cvt_f32_i32_dpp v10, v10 row_shr:8 row_mask:0xf bank_mask:0xf bound_ctrl:1
	v_cvt_f32_i32_dpp v13, v13 row_shr:4 row_mask:0xf bank_mask:0xf bound_ctrl:1
	;; [unrolled: 1-line block ×3, first 2 shown]
	v_cndmask_b32_e32 v7, v0, v7, vcc_lo
	v_cvt_f32_i32_dpp v11, v11 row_shr:8 row_mask:0xf bank_mask:0xf bound_ctrl:1
	s_delay_alu instid0(VALU_DEP_3) | instskip(SKIP_1) | instid1(VALU_DEP_3)
	v_dual_add_f32 v5, v5, v13 :: v_dual_add_f32 v6, v6, v14
	s_waitcnt vmcnt(0)
	v_lshlrev_b32_e32 v21, 2, v7
	s_delay_alu instid0(VALU_DEP_2) | instskip(NEXT) | instid1(VALU_DEP_1)
	v_cvt_i32_f32_e32 v13, v6
	v_cvt_f32_i32_dpp v13, v13 row_shr:2 row_mask:0xf bank_mask:0xf bound_ctrl:1
	v_dual_add_f32 v7, v88, v8 :: v_dual_add_f32 v8, v85, v9
	s_delay_alu instid0(VALU_DEP_2) | instskip(NEXT) | instid1(VALU_DEP_2)
	v_add_f32_e32 v6, v6, v13
	v_cvt_i32_f32_e32 v14, v7
	s_delay_alu instid0(VALU_DEP_3) | instskip(NEXT) | instid1(VALU_DEP_3)
	v_cvt_i32_f32_e32 v15, v8
	v_cvt_i32_f32_e32 v18, v6
	s_delay_alu instid0(VALU_DEP_3) | instskip(NEXT) | instid1(VALU_DEP_3)
	v_cvt_f32_i32_dpp v13, v14 row_shr:4 row_mask:0xf bank_mask:0xf bound_ctrl:1
	v_cvt_f32_i32_dpp v14, v15 row_shr:4 row_mask:0xf bank_mask:0xf bound_ctrl:1
	s_delay_alu instid0(VALU_DEP_3) | instskip(NEXT) | instid1(VALU_DEP_2)
	v_cvt_f32_i32_dpp v18, v18 row_shr:1 row_mask:0xf bank_mask:0xf bound_ctrl:1
	v_dual_add_f32 v7, v7, v13 :: v_dual_add_f32 v8, v8, v14
	v_add_f32_e32 v9, v87, v10
	v_cvt_i32_f32_e32 v10, v5
	s_delay_alu instid0(VALU_DEP_4) | instskip(NEXT) | instid1(VALU_DEP_2)
	v_dual_add_f32 v11, v84, v11 :: v_dual_add_f32 v30, v6, v18
	v_cvt_f32_i32_dpp v10, v10 row_shr:2 row_mask:0xf bank_mask:0xf bound_ctrl:1
	s_delay_alu instid0(VALU_DEP_2) | instskip(SKIP_4) | instid1(VALU_DEP_3)
	v_cvt_i32_f32_e32 v17, v11
	ds_bpermute_b32 v31, v21, v30
	v_add_f32_e32 v5, v5, v10
	v_cvt_f32_i32_dpp v17, v17 row_shr:4 row_mask:0xf bank_mask:0xf bound_ctrl:1
	v_cvt_i32_f32_e32 v10, v12
	v_cvt_i32_f32_e32 v15, v5
	s_delay_alu instid0(VALU_DEP_2) | instskip(NEXT) | instid1(VALU_DEP_2)
	v_cvt_f32_i32_dpp v10, v10 row_shr:4 row_mask:0xf bank_mask:0xf bound_ctrl:1
	v_cvt_f32_i32_dpp v15, v15 row_shr:1 row_mask:0xf bank_mask:0xf bound_ctrl:1
	s_delay_alu instid0(VALU_DEP_2) | instskip(SKIP_1) | instid1(VALU_DEP_3)
	v_add_f32_e32 v6, v12, v10
	v_cvt_i32_f32_e32 v10, v7
	v_add_f32_e32 v33, v5, v15
	v_add_f32_e32 v5, v11, v17
	v_cvt_i32_f32_e32 v11, v8
	v_cvt_i32_f32_e32 v14, v6
	v_cvt_f32_i32_dpp v10, v10 row_shr:2 row_mask:0xf bank_mask:0xf bound_ctrl:1
	s_delay_alu instid0(VALU_DEP_3) | instskip(NEXT) | instid1(VALU_DEP_3)
	v_cvt_f32_i32_dpp v11, v11 row_shr:2 row_mask:0xf bank_mask:0xf bound_ctrl:1
	v_cvt_f32_i32_dpp v14, v14 row_shr:2 row_mask:0xf bank_mask:0xf bound_ctrl:1
	s_delay_alu instid0(VALU_DEP_2) | instskip(SKIP_1) | instid1(VALU_DEP_3)
	v_dual_add_f32 v7, v7, v10 :: v_dual_add_f32 v8, v8, v11
	v_cvt_i32_f32_e32 v16, v9
	v_add_f32_e32 v10, v6, v14
	s_delay_alu instid0(VALU_DEP_3)
	v_cvt_i32_f32_e32 v6, v7
	ds_bpermute_b32 v34, v21, v33
	v_cvt_i32_f32_e32 v11, v8
	v_cvt_f32_i32_dpp v16, v16 row_shr:4 row_mask:0xf bank_mask:0xf bound_ctrl:1
	v_cvt_i32_f32_e32 v14, v10
	v_cvt_f32_i32_dpp v6, v6 row_shr:1 row_mask:0xf bank_mask:0xf bound_ctrl:1
	s_delay_alu instid0(VALU_DEP_4) | instskip(NEXT) | instid1(VALU_DEP_4)
	v_cvt_f32_i32_dpp v11, v11 row_shr:1 row_mask:0xf bank_mask:0xf bound_ctrl:1
	v_add_f32_e32 v9, v9, v16
	s_delay_alu instid0(VALU_DEP_4) | instskip(NEXT) | instid1(VALU_DEP_4)
	v_cvt_f32_i32_dpp v14, v14 row_shr:1 row_mask:0xf bank_mask:0xf bound_ctrl:1
	v_add_f32_e32 v27, v7, v6
	v_cvt_i32_f32_e32 v7, v81
	v_add_f32_e32 v6, v8, v11
	v_cvt_i32_f32_e32 v12, v9
	v_cvt_i32_f32_e32 v8, v80
	v_add_f32_e32 v15, v10, v14
	v_cvt_i32_f32_e32 v10, v62
	v_cvt_f32_i32_dpp v7, v7 row_shr:8 row_mask:0xf bank_mask:0xf bound_ctrl:1
	v_cvt_f32_i32_dpp v12, v12 row_shr:2 row_mask:0xf bank_mask:0xf bound_ctrl:1
	;; [unrolled: 1-line block ×3, first 2 shown]
	ds_bpermute_b32 v26, v21, v6
	v_cvt_f32_i32_dpp v10, v10 row_shr:8 row_mask:0xf bank_mask:0xf bound_ctrl:1
	v_add_f32_e32 v9, v9, v12
	v_add_f32_e32 v8, v80, v8
	s_delay_alu instid0(VALU_DEP_3) | instskip(NEXT) | instid1(VALU_DEP_3)
	v_add_f32_e32 v10, v62, v10
	v_cvt_i32_f32_e32 v12, v9
	s_delay_alu instid0(VALU_DEP_2) | instskip(NEXT) | instid1(VALU_DEP_2)
	v_cvt_i32_f32_e32 v17, v10
	v_cvt_f32_i32_dpp v12, v12 row_shr:1 row_mask:0xf bank_mask:0xf bound_ctrl:1
	s_delay_alu instid0(VALU_DEP_2) | instskip(SKIP_1) | instid1(VALU_DEP_3)
	v_cvt_f32_i32_dpp v17, v17 row_shr:4 row_mask:0xf bank_mask:0xf bound_ctrl:1
	v_add_f32_e32 v7, v81, v7
	v_add_f32_e32 v22, v9, v12
	v_cvt_i32_f32_e32 v13, v5
	v_cvt_i32_f32_e32 v9, v79
	v_add_f32_e32 v10, v10, v17
	v_cvt_i32_f32_e32 v12, v7
	ds_bpermute_b32 v24, v21, v22
	v_cvt_f32_i32_dpp v13, v13 row_shr:2 row_mask:0xf bank_mask:0xf bound_ctrl:1
	v_cvt_f32_i32_dpp v9, v9 row_shr:8 row_mask:0xf bank_mask:0xf bound_ctrl:1
	v_cvt_i32_f32_e32 v17, v10
	v_cvt_f32_i32_dpp v12, v12 row_shr:4 row_mask:0xf bank_mask:0xf bound_ctrl:1
	s_delay_alu instid0(VALU_DEP_4) | instskip(NEXT) | instid1(VALU_DEP_4)
	v_add_f32_e32 v5, v5, v13
	v_add_f32_e32 v9, v79, v9
	s_delay_alu instid0(VALU_DEP_4) | instskip(NEXT) | instid1(VALU_DEP_4)
	v_cvt_f32_i32_dpp v17, v17 row_shr:2 row_mask:0xf bank_mask:0xf bound_ctrl:1
	v_add_f32_e32 v7, v7, v12
	s_delay_alu instid0(VALU_DEP_4) | instskip(NEXT) | instid1(VALU_DEP_4)
	v_cvt_i32_f32_e32 v13, v5
	v_cvt_i32_f32_e32 v14, v9
	s_delay_alu instid0(VALU_DEP_4) | instskip(NEXT) | instid1(VALU_DEP_4)
	v_add_f32_e32 v10, v10, v17
	v_cvt_i32_f32_e32 v12, v7
	s_delay_alu instid0(VALU_DEP_4) | instskip(NEXT) | instid1(VALU_DEP_4)
	v_cvt_f32_i32_dpp v13, v13 row_shr:1 row_mask:0xf bank_mask:0xf bound_ctrl:1
	v_cvt_f32_i32_dpp v14, v14 row_shr:4 row_mask:0xf bank_mask:0xf bound_ctrl:1
	s_delay_alu instid0(VALU_DEP_4) | instskip(NEXT) | instid1(VALU_DEP_4)
	v_cvt_i32_f32_e32 v17, v10
	v_cvt_f32_i32_dpp v12, v12 row_shr:2 row_mask:0xf bank_mask:0xf bound_ctrl:1
	s_delay_alu instid0(VALU_DEP_4)
	v_add_f32_e32 v19, v5, v13
	v_cvt_i32_f32_e32 v5, v82
	v_cvt_i32_f32_e32 v13, v8
	v_add_f32_e32 v9, v9, v14
	v_add_f32_e32 v7, v7, v12
	ds_bpermute_b32 v20, v21, v19
	v_cvt_f32_i32_dpp v5, v5 row_shr:8 row_mask:0xf bank_mask:0xf bound_ctrl:1
	v_cvt_f32_i32_dpp v13, v13 row_shr:4 row_mask:0xf bank_mask:0xf bound_ctrl:1
	v_cvt_i32_f32_e32 v14, v9
	v_cvt_i32_f32_e32 v12, v7
	v_cvt_f32_i32_dpp v23, v17 row_shr:1 row_mask:0xf bank_mask:0xf bound_ctrl:1
	v_add_f32_e32 v5, v82, v5
	v_add_f32_e32 v8, v8, v13
	v_cvt_f32_i32_dpp v14, v14 row_shr:2 row_mask:0xf bank_mask:0xf bound_ctrl:1
	v_cvt_f32_i32_dpp v12, v12 row_shr:1 row_mask:0xf bank_mask:0xf bound_ctrl:1
	ds_bpermute_b32 v29, v21, v27
	v_cvt_i32_f32_e32 v11, v5
	v_cvt_i32_f32_e32 v13, v8
	v_add_f32_e32 v9, v9, v14
	s_delay_alu instid0(VALU_DEP_3) | instskip(NEXT) | instid1(VALU_DEP_3)
	v_cvt_f32_i32_dpp v11, v11 row_shr:4 row_mask:0xf bank_mask:0xf bound_ctrl:1
	v_cvt_f32_i32_dpp v13, v13 row_shr:2 row_mask:0xf bank_mask:0xf bound_ctrl:1
	s_delay_alu instid0(VALU_DEP_3) | instskip(NEXT) | instid1(VALU_DEP_2)
	v_cvt_i32_f32_e32 v14, v9
	v_dual_add_f32 v5, v5, v11 :: v_dual_add_f32 v8, v8, v13
	s_delay_alu instid0(VALU_DEP_2) | instskip(SKIP_4) | instid1(VALU_DEP_3)
	v_cvt_f32_i32_dpp v14, v14 row_shr:1 row_mask:0xf bank_mask:0xf bound_ctrl:1
	ds_bpermute_b32 v16, v21, v15
	v_cvt_i32_f32_e32 v11, v5
	v_cvt_i32_f32_e32 v13, v8
	v_add_f32_e32 v9, v9, v14
	v_cvt_f32_i32_dpp v11, v11 row_shr:2 row_mask:0xf bank_mask:0xf bound_ctrl:1
	s_delay_alu instid0(VALU_DEP_3)
	v_cvt_f32_i32_dpp v18, v13 row_shr:1 row_mask:0xf bank_mask:0xf bound_ctrl:1
	v_add_f32_e32 v13, v7, v12
	v_add_f32_e32 v7, v10, v23
	ds_bpermute_b32 v10, v21, v9
	v_add_f32_e32 v5, v5, v11
	ds_bpermute_b32 v14, v21, v13
	v_cvt_i32_f32_e32 v11, v5
	s_delay_alu instid0(VALU_DEP_1) | instskip(NEXT) | instid1(VALU_DEP_1)
	v_cvt_f32_i32_dpp v11, v11 row_shr:1 row_mask:0xf bank_mask:0xf bound_ctrl:1
	v_add_f32_e32 v17, v5, v11
	v_add_f32_e32 v11, v8, v18
	ds_bpermute_b32 v8, v21, v7
	ds_bpermute_b32 v18, v21, v17
	;; [unrolled: 1-line block ×3, first 2 shown]
	s_and_saveexec_b32 s5, s0
	s_cbranch_execz .LBB232_107
; %bb.33:                               ;   in Loop: Header=BB232_12 Depth=1
	v_dual_mov_b32 v41, 0 :: v_dual_mov_b32 v40, 0
	v_dual_mov_b32 v38, 0 :: v_dual_add_nc_u32 v63, 2, v61
	v_dual_mov_b32 v36, 0 :: v_dual_add_nc_u32 v5, 3, v61
	v_dual_mov_b32 v39, 0 :: v_dual_mov_b32 v32, 0
	v_dual_mov_b32 v37, 0 :: v_dual_mov_b32 v28, 0
	v_mov_b32_e32 v35, 0
	v_mov_b32_e32 v25, 0
	;; [unrolled: 1-line block ×4, first 2 shown]
	s_and_not1_b32 vcc_lo, exec_lo, s30
	s_cbranch_vccnz .LBB232_35
; %bb.34:                               ;   in Loop: Header=BB232_12 Depth=1
	v_mul_hi_u32 v21, v61, v78
	v_dual_mov_b32 v36, v64 :: v_dual_add_nc_u32 v23, 1, v61
	v_mul_hi_u32 v25, v63, v78
	v_mul_hi_u32 v28, v5, v78
	v_mov_b32_e32 v52, v64
	s_delay_alu instid0(VALU_DEP_4)
	v_mul_hi_u32 v32, v23, v78
	v_mov_b32_e32 v56, v64
	v_mul_lo_u32 v21, v21, s8
	v_mov_b32_e32 v54, v64
	v_mov_b32_e32 v58, v64
	v_mul_lo_u32 v25, v25, s8
	v_mul_lo_u32 v28, v28, s8
	v_mul_lo_u32 v32, v32, s8
	v_sub_nc_u32_e32 v21, v61, v21
	s_delay_alu instid0(VALU_DEP_4) | instskip(NEXT) | instid1(VALU_DEP_4)
	v_sub_nc_u32_e32 v25, v63, v25
	v_sub_nc_u32_e32 v28, v5, v28
	s_delay_alu instid0(VALU_DEP_3)
	v_subrev_nc_u32_e32 v35, s8, v21
	v_cmp_le_u32_e32 vcc_lo, s8, v21
	v_mov_b32_e32 v38, v64
	v_sub_nc_u32_e32 v23, v23, v32
	v_subrev_nc_u32_e32 v32, s8, v25
	v_subrev_nc_u32_e32 v37, s8, v28
	v_cndmask_b32_e32 v21, v21, v35, vcc_lo
	v_cmp_le_u32_e32 vcc_lo, s8, v25
	v_mov_b32_e32 v40, v64
	v_subrev_nc_u32_e32 v35, s8, v23
	v_cndmask_b32_e32 v25, v25, v32, vcc_lo
	v_cmp_le_u32_e32 vcc_lo, s8, v28
	v_subrev_nc_u32_e32 v32, s8, v21
	v_cndmask_b32_e32 v28, v28, v37, vcc_lo
	v_cmp_le_u32_e32 vcc_lo, s8, v23
	v_mov_b32_e32 v42, v64
	v_subrev_nc_u32_e32 v37, s8, v25
	v_cndmask_b32_e32 v23, v23, v35, vcc_lo
	v_cmp_le_u32_e32 vcc_lo, s8, v21
	v_cndmask_b32_e32 v35, v21, v32, vcc_lo
	v_cmp_le_u32_e32 vcc_lo, s8, v25
	v_subrev_nc_u32_e32 v41, s8, v28
	v_subrev_nc_u32_e32 v21, s8, v23
	s_delay_alu instid0(VALU_DEP_4) | instskip(SKIP_4) | instid1(VALU_DEP_4)
	v_lshlrev_b64 v[43:44], 1, v[35:36]
	v_cndmask_b32_e32 v39, v25, v37, vcc_lo
	v_cmp_le_u32_e32 vcc_lo, s8, v28
	v_add_nc_u32_e32 v51, s31, v35
	v_add_nc_u32_e32 v35, s36, v35
	v_lshlrev_b64 v[45:46], 1, v[39:40]
	v_cndmask_b32_e32 v41, v28, v41, vcc_lo
	v_cmp_le_u32_e32 vcc_lo, s8, v23
	v_lshlrev_b64 v[51:52], 1, v[51:52]
	v_add_nc_u32_e32 v55, s31, v39
	v_lshlrev_b64 v[35:36], 1, v[35:36]
	v_lshlrev_b64 v[47:48], 1, v[41:42]
	v_cndmask_b32_e32 v37, v23, v21, vcc_lo
	v_add_co_u32 v42, vcc_lo, s14, v43
	v_add_co_ci_u32_e32 v43, vcc_lo, s15, v44, vcc_lo
	s_delay_alu instid0(VALU_DEP_3)
	v_lshlrev_b64 v[49:50], 1, v[37:38]
	v_add_nc_u32_e32 v53, s31, v37
	v_add_nc_u32_e32 v57, s31, v41
	v_lshlrev_b64 v[55:56], 1, v[55:56]
	v_add_nc_u32_e32 v37, s36, v37
	v_add_nc_u32_e32 v39, s36, v39
	v_add_co_u32 v49, vcc_lo, s14, v49
	v_add_co_ci_u32_e32 v50, vcc_lo, s15, v50, vcc_lo
	v_add_co_u32 v44, vcc_lo, s14, v45
	v_add_co_ci_u32_e32 v45, vcc_lo, s15, v46, vcc_lo
	v_add_co_u32 v46, vcc_lo, s14, v47
	v_lshlrev_b64 v[53:54], 1, v[53:54]
	v_add_co_ci_u32_e32 v47, vcc_lo, s15, v48, vcc_lo
	v_add_co_u32 v51, vcc_lo, s14, v51
	v_add_co_ci_u32_e32 v52, vcc_lo, s15, v52, vcc_lo
	s_delay_alu instid0(VALU_DEP_4) | instskip(SKIP_4) | instid1(VALU_DEP_4)
	v_add_co_u32 v53, vcc_lo, s14, v53
	v_lshlrev_b64 v[57:58], 1, v[57:58]
	v_add_co_ci_u32_e32 v54, vcc_lo, s15, v54, vcc_lo
	v_add_co_u32 v55, vcc_lo, s14, v55
	v_add_co_ci_u32_e32 v56, vcc_lo, s15, v56, vcc_lo
	v_add_co_u32 v57, vcc_lo, s14, v57
	v_add_co_ci_u32_e32 v58, vcc_lo, s15, v58, vcc_lo
	v_lshlrev_b64 v[37:38], 1, v[37:38]
	v_add_co_u32 v59, vcc_lo, s14, v35
	v_add_co_ci_u32_e32 v60, vcc_lo, s15, v36, vcc_lo
	v_lshlrev_b64 v[35:36], 1, v[39:40]
	v_add_nc_u32_e32 v39, s36, v41
	v_add_co_u32 v65, vcc_lo, s14, v37
	v_add_co_ci_u32_e32 v66, vcc_lo, s15, v38, vcc_lo
	s_delay_alu instid0(VALU_DEP_3) | instskip(SKIP_2) | instid1(VALU_DEP_3)
	v_lshlrev_b64 v[37:38], 1, v[39:40]
	v_add_co_u32 v67, vcc_lo, s14, v35
	v_add_co_ci_u32_e32 v68, vcc_lo, s15, v36, vcc_lo
	v_add_co_u32 v69, vcc_lo, s14, v37
	s_delay_alu instid0(VALU_DEP_4)
	v_add_co_ci_u32_e32 v70, vcc_lo, s15, v38, vcc_lo
	s_clause 0xb
	global_load_u16 v41, v[42:43], off
	global_load_u16 v40, v[49:50], off
	;; [unrolled: 1-line block ×12, first 2 shown]
.LBB232_35:                             ;   in Loop: Header=BB232_12 Depth=1
	v_cmp_ne_u32_e32 vcc_lo, 0, v1
	s_and_saveexec_b32 s2, vcc_lo
	s_cbranch_execnz .LBB232_47
; %bb.36:                               ;   in Loop: Header=BB232_12 Depth=1
	s_or_b32 exec_lo, exec_lo, s2
	v_cmp_ne_u32_e64 s1, 0, v2
	s_delay_alu instid0(VALU_DEP_1)
	s_and_saveexec_b32 s3, s1
	s_cbranch_execnz .LBB232_52
.LBB232_37:                             ;   in Loop: Header=BB232_12 Depth=1
	s_or_b32 exec_lo, exec_lo, s3
	v_cmp_ne_u32_e64 s2, 0, v3
	s_delay_alu instid0(VALU_DEP_1)
	s_and_saveexec_b32 s4, s2
	s_cbranch_execnz .LBB232_57
.LBB232_38:                             ;   in Loop: Header=BB232_12 Depth=1
	s_or_b32 exec_lo, exec_lo, s4
	v_cmp_ne_u32_e64 s3, 0, v4
	s_delay_alu instid0(VALU_DEP_1)
	s_and_saveexec_b32 s39, s3
	s_cbranch_execnz .LBB232_62
.LBB232_39:                             ;   in Loop: Header=BB232_12 Depth=1
	s_or_b32 exec_lo, exec_lo, s39
	v_add_nc_u32_e32 v63, s19, v61
	s_and_saveexec_b32 s39, vcc_lo
	s_cbranch_execnz .LBB232_67
.LBB232_40:                             ;   in Loop: Header=BB232_12 Depth=1
	s_or_b32 exec_lo, exec_lo, s39
	s_and_saveexec_b32 s39, s1
	s_cbranch_execnz .LBB232_72
.LBB232_41:                             ;   in Loop: Header=BB232_12 Depth=1
	s_or_b32 exec_lo, exec_lo, s39
	s_and_saveexec_b32 s39, s2
	s_cbranch_execnz .LBB232_77
.LBB232_42:                             ;   in Loop: Header=BB232_12 Depth=1
	s_or_b32 exec_lo, exec_lo, s39
	s_and_saveexec_b32 s39, s3
	s_cbranch_execnz .LBB232_82
.LBB232_43:                             ;   in Loop: Header=BB232_12 Depth=1
	s_or_b32 exec_lo, exec_lo, s39
	v_add_nc_u32_e32 v63, s19, v63
	s_and_saveexec_b32 s4, vcc_lo
	s_cbranch_execnz .LBB232_87
.LBB232_44:                             ;   in Loop: Header=BB232_12 Depth=1
	s_or_b32 exec_lo, exec_lo, s4
	s_and_saveexec_b32 s4, s1
	s_cbranch_execnz .LBB232_92
.LBB232_45:                             ;   in Loop: Header=BB232_12 Depth=1
	s_or_b32 exec_lo, exec_lo, s4
	s_and_saveexec_b32 s1, s2
	s_cbranch_execnz .LBB232_97
.LBB232_46:                             ;   in Loop: Header=BB232_12 Depth=1
	s_or_b32 exec_lo, exec_lo, s1
	s_delay_alu instid0(SALU_CYCLE_1)
	s_and_b32 exec_lo, exec_lo, s3
	s_cbranch_execnz .LBB232_102
	s_branch .LBB232_107
.LBB232_47:                             ;   in Loop: Header=BB232_12 Depth=1
	s_waitcnt vmcnt(11) lgkmcnt(10)
	v_dual_add_f32 v33, v33, v34 :: v_dual_lshlrev_b32 v34, 16, v41
	s_delay_alu instid0(VALU_DEP_1) | instskip(NEXT) | instid1(VALU_DEP_1)
	v_add_f32_e32 v34, v33, v34
	v_and_b32_e32 v33, 0x7f800000, v34
	s_delay_alu instid0(VALU_DEP_1) | instskip(NEXT) | instid1(VALU_DEP_1)
	v_cmp_ne_u32_e64 s1, 0x7f800000, v33
                                        ; implicit-def: $vgpr33
	s_and_saveexec_b32 s3, s1
	s_delay_alu instid0(SALU_CYCLE_1)
	s_xor_b32 s1, exec_lo, s3
; %bb.48:                               ;   in Loop: Header=BB232_12 Depth=1
	v_bfe_u32 v33, v34, 16, 1
	s_delay_alu instid0(VALU_DEP_1)
	v_add3_u32 v33, v34, v33, 0x7fff
                                        ; implicit-def: $vgpr34
; %bb.49:                               ;   in Loop: Header=BB232_12 Depth=1
	s_and_not1_saveexec_b32 s3, s1
; %bb.50:                               ;   in Loop: Header=BB232_12 Depth=1
	v_and_b32_e32 v33, 0xffff, v34
	v_or_b32_e32 v41, 0x10000, v34
	s_delay_alu instid0(VALU_DEP_2) | instskip(NEXT) | instid1(VALU_DEP_1)
	v_cmp_eq_u32_e64 s1, 0, v33
	v_cndmask_b32_e64 v33, v41, v34, s1
; %bb.51:                               ;   in Loop: Header=BB232_12 Depth=1
	s_or_b32 exec_lo, exec_lo, s3
	v_mov_b32_e32 v62, v64
	s_delay_alu instid0(VALU_DEP_1) | instskip(NEXT) | instid1(VALU_DEP_1)
	v_lshlrev_b64 v[41:42], 1, v[61:62]
	v_add_co_u32 v41, s1, s6, v41
	s_delay_alu instid0(VALU_DEP_1) | instskip(SKIP_3) | instid1(VALU_DEP_1)
	v_add_co_ci_u32_e64 v42, s1, s7, v42, s1
	global_store_d16_hi_b16 v[41:42], v33, off
	s_or_b32 exec_lo, exec_lo, s2
	v_cmp_ne_u32_e64 s1, 0, v2
	s_and_saveexec_b32 s3, s1
	s_cbranch_execz .LBB232_37
.LBB232_52:                             ;   in Loop: Header=BB232_12 Depth=1
	s_waitcnt vmcnt(10) lgkmcnt(11)
	v_dual_add_f32 v30, v30, v31 :: v_dual_lshlrev_b32 v31, 16, v40
	s_delay_alu instid0(VALU_DEP_1) | instskip(NEXT) | instid1(VALU_DEP_1)
	v_add_f32_e32 v31, v30, v31
	v_and_b32_e32 v30, 0x7f800000, v31
	s_delay_alu instid0(VALU_DEP_1) | instskip(NEXT) | instid1(VALU_DEP_1)
	v_cmp_ne_u32_e64 s2, 0x7f800000, v30
                                        ; implicit-def: $vgpr30
	s_and_saveexec_b32 s4, s2
	s_delay_alu instid0(SALU_CYCLE_1)
	s_xor_b32 s2, exec_lo, s4
; %bb.53:                               ;   in Loop: Header=BB232_12 Depth=1
	v_bfe_u32 v30, v31, 16, 1
	s_delay_alu instid0(VALU_DEP_1)
	v_add3_u32 v30, v31, v30, 0x7fff
                                        ; implicit-def: $vgpr31
; %bb.54:                               ;   in Loop: Header=BB232_12 Depth=1
	s_and_not1_saveexec_b32 s4, s2
; %bb.55:                               ;   in Loop: Header=BB232_12 Depth=1
	v_and_b32_e32 v30, 0xffff, v31
	v_or_b32_e32 v33, 0x10000, v31
	s_delay_alu instid0(VALU_DEP_2) | instskip(NEXT) | instid1(VALU_DEP_1)
	v_cmp_eq_u32_e64 s2, 0, v30
	v_cndmask_b32_e64 v30, v33, v31, s2
; %bb.56:                               ;   in Loop: Header=BB232_12 Depth=1
	s_or_b32 exec_lo, exec_lo, s4
	v_mov_b32_e32 v62, v64
	s_waitcnt lgkmcnt(10)
	s_delay_alu instid0(VALU_DEP_1) | instskip(NEXT) | instid1(VALU_DEP_1)
	v_lshlrev_b64 v[33:34], 1, v[61:62]
	v_add_co_u32 v33, s2, s33, v33
	s_delay_alu instid0(VALU_DEP_1) | instskip(SKIP_3) | instid1(VALU_DEP_1)
	v_add_co_ci_u32_e64 v34, s2, s34, v34, s2
	global_store_d16_hi_b16 v[33:34], v30, off
	s_or_b32 exec_lo, exec_lo, s3
	v_cmp_ne_u32_e64 s2, 0, v3
	s_and_saveexec_b32 s4, s2
	s_cbranch_execz .LBB232_38
.LBB232_57:                             ;   in Loop: Header=BB232_12 Depth=1
	s_waitcnt lgkmcnt(6)
	v_add_f32_e32 v27, v27, v29
	s_waitcnt vmcnt(9)
	v_lshlrev_b32_e32 v29, 16, v39
	s_delay_alu instid0(VALU_DEP_1) | instskip(NEXT) | instid1(VALU_DEP_1)
	v_add_f32_e32 v29, v27, v29
	v_and_b32_e32 v27, 0x7f800000, v29
	s_delay_alu instid0(VALU_DEP_1) | instskip(NEXT) | instid1(VALU_DEP_1)
	v_cmp_ne_u32_e64 s3, 0x7f800000, v27
                                        ; implicit-def: $vgpr27
	s_and_saveexec_b32 s39, s3
	s_delay_alu instid0(SALU_CYCLE_1)
	s_xor_b32 s3, exec_lo, s39
; %bb.58:                               ;   in Loop: Header=BB232_12 Depth=1
	v_bfe_u32 v27, v29, 16, 1
	s_delay_alu instid0(VALU_DEP_1)
	v_add3_u32 v27, v29, v27, 0x7fff
                                        ; implicit-def: $vgpr29
; %bb.59:                               ;   in Loop: Header=BB232_12 Depth=1
	s_and_not1_saveexec_b32 s39, s3
; %bb.60:                               ;   in Loop: Header=BB232_12 Depth=1
	v_and_b32_e32 v27, 0xffff, v29
	v_or_b32_e32 v30, 0x10000, v29
	s_delay_alu instid0(VALU_DEP_2) | instskip(NEXT) | instid1(VALU_DEP_1)
	v_cmp_eq_u32_e64 s3, 0, v27
	v_cndmask_b32_e64 v27, v30, v29, s3
; %bb.61:                               ;   in Loop: Header=BB232_12 Depth=1
	s_or_b32 exec_lo, exec_lo, s39
	v_lshlrev_b64 v[29:30], 1, v[63:64]
	s_delay_alu instid0(VALU_DEP_1) | instskip(NEXT) | instid1(VALU_DEP_1)
	v_add_co_u32 v29, s3, s6, v29
	v_add_co_ci_u32_e64 v30, s3, s7, v30, s3
	global_store_d16_hi_b16 v[29:30], v27, off
	s_or_b32 exec_lo, exec_lo, s4
	v_cmp_ne_u32_e64 s3, 0, v4
	s_delay_alu instid0(VALU_DEP_1)
	s_and_saveexec_b32 s39, s3
	s_cbranch_execz .LBB232_39
.LBB232_62:                             ;   in Loop: Header=BB232_12 Depth=1
	s_waitcnt lgkmcnt(9)
	v_add_f32_e32 v6, v6, v26
	s_waitcnt vmcnt(8)
	v_lshlrev_b32_e32 v26, 16, v38
	s_delay_alu instid0(VALU_DEP_1) | instskip(NEXT) | instid1(VALU_DEP_1)
	v_add_f32_e32 v6, v6, v26
	v_and_b32_e32 v26, 0x7f800000, v6
	s_delay_alu instid0(VALU_DEP_1) | instskip(NEXT) | instid1(VALU_DEP_1)
	v_cmp_ne_u32_e64 s4, 0x7f800000, v26
                                        ; implicit-def: $vgpr26
	s_and_saveexec_b32 s40, s4
	s_delay_alu instid0(SALU_CYCLE_1)
	s_xor_b32 s4, exec_lo, s40
; %bb.63:                               ;   in Loop: Header=BB232_12 Depth=1
	v_bfe_u32 v26, v6, 16, 1
	s_delay_alu instid0(VALU_DEP_1)
	v_add3_u32 v26, v6, v26, 0x7fff
                                        ; implicit-def: $vgpr6
; %bb.64:                               ;   in Loop: Header=BB232_12 Depth=1
	s_and_not1_saveexec_b32 s40, s4
; %bb.65:                               ;   in Loop: Header=BB232_12 Depth=1
	v_and_b32_e32 v26, 0xffff, v6
	v_or_b32_e32 v27, 0x10000, v6
	s_delay_alu instid0(VALU_DEP_2) | instskip(NEXT) | instid1(VALU_DEP_1)
	v_cmp_eq_u32_e64 s4, 0, v26
	v_cndmask_b32_e64 v26, v27, v6, s4
; %bb.66:                               ;   in Loop: Header=BB232_12 Depth=1
	s_or_b32 exec_lo, exec_lo, s40
	v_mov_b32_e32 v6, v64
	s_delay_alu instid0(VALU_DEP_1) | instskip(NEXT) | instid1(VALU_DEP_1)
	v_lshlrev_b64 v[5:6], 1, v[5:6]
	v_add_co_u32 v5, s4, s6, v5
	s_delay_alu instid0(VALU_DEP_1)
	v_add_co_ci_u32_e64 v6, s4, s7, v6, s4
	global_store_d16_hi_b16 v[5:6], v26, off
	s_or_b32 exec_lo, exec_lo, s39
	v_add_nc_u32_e32 v63, s19, v61
	s_and_saveexec_b32 s39, vcc_lo
	s_cbranch_execz .LBB232_40
.LBB232_67:                             ;   in Loop: Header=BB232_12 Depth=1
	s_waitcnt vmcnt(7) lgkmcnt(8)
	v_dual_add_f32 v5, v22, v24 :: v_dual_lshlrev_b32 v6, 16, v37
	s_delay_alu instid0(VALU_DEP_1) | instskip(NEXT) | instid1(VALU_DEP_1)
	v_add_f32_e32 v6, v5, v6
	v_and_b32_e32 v5, 0x7f800000, v6
	s_delay_alu instid0(VALU_DEP_1) | instskip(NEXT) | instid1(VALU_DEP_1)
	v_cmp_ne_u32_e64 s4, 0x7f800000, v5
                                        ; implicit-def: $vgpr5
	s_and_saveexec_b32 s40, s4
	s_delay_alu instid0(SALU_CYCLE_1)
	s_xor_b32 s4, exec_lo, s40
; %bb.68:                               ;   in Loop: Header=BB232_12 Depth=1
	v_bfe_u32 v5, v6, 16, 1
	s_delay_alu instid0(VALU_DEP_1)
	v_add3_u32 v5, v6, v5, 0x7fff
                                        ; implicit-def: $vgpr6
; %bb.69:                               ;   in Loop: Header=BB232_12 Depth=1
	s_and_not1_saveexec_b32 s40, s4
; %bb.70:                               ;   in Loop: Header=BB232_12 Depth=1
	v_and_b32_e32 v5, 0xffff, v6
	v_or_b32_e32 v22, 0x10000, v6
	s_delay_alu instid0(VALU_DEP_2) | instskip(NEXT) | instid1(VALU_DEP_1)
	v_cmp_eq_u32_e64 s4, 0, v5
	v_cndmask_b32_e64 v5, v22, v6, s4
; %bb.71:                               ;   in Loop: Header=BB232_12 Depth=1
	s_or_b32 exec_lo, exec_lo, s40
	v_lshlrev_b64 v[26:27], 1, v[63:64]
	s_delay_alu instid0(VALU_DEP_1) | instskip(NEXT) | instid1(VALU_DEP_1)
	v_add_co_u32 v26, s4, s6, v26
	v_add_co_ci_u32_e64 v27, s4, s7, v27, s4
	global_store_d16_hi_b16 v[26:27], v5, off
	s_or_b32 exec_lo, exec_lo, s39
	s_and_saveexec_b32 s39, s1
	s_cbranch_execz .LBB232_41
.LBB232_72:                             ;   in Loop: Header=BB232_12 Depth=1
	s_waitcnt lgkmcnt(7)
	v_add_f32_e32 v5, v19, v20
	s_waitcnt vmcnt(6)
	v_lshlrev_b32_e32 v6, 16, v36
	s_delay_alu instid0(VALU_DEP_1) | instskip(NEXT) | instid1(VALU_DEP_1)
	v_add_f32_e32 v6, v5, v6
	v_and_b32_e32 v5, 0x7f800000, v6
	s_delay_alu instid0(VALU_DEP_1) | instskip(NEXT) | instid1(VALU_DEP_1)
	v_cmp_ne_u32_e64 s4, 0x7f800000, v5
                                        ; implicit-def: $vgpr5
	s_and_saveexec_b32 s40, s4
	s_delay_alu instid0(SALU_CYCLE_1)
	s_xor_b32 s4, exec_lo, s40
; %bb.73:                               ;   in Loop: Header=BB232_12 Depth=1
	v_bfe_u32 v5, v6, 16, 1
	s_delay_alu instid0(VALU_DEP_1)
	v_add3_u32 v5, v6, v5, 0x7fff
                                        ; implicit-def: $vgpr6
; %bb.74:                               ;   in Loop: Header=BB232_12 Depth=1
	s_and_not1_saveexec_b32 s40, s4
; %bb.75:                               ;   in Loop: Header=BB232_12 Depth=1
	v_and_b32_e32 v5, 0xffff, v6
	v_or_b32_e32 v19, 0x10000, v6
	s_delay_alu instid0(VALU_DEP_2) | instskip(NEXT) | instid1(VALU_DEP_1)
	v_cmp_eq_u32_e64 s4, 0, v5
	v_cndmask_b32_e64 v5, v19, v6, s4
; %bb.76:                               ;   in Loop: Header=BB232_12 Depth=1
	s_or_b32 exec_lo, exec_lo, s40
	v_dual_mov_b32 v20, v64 :: v_dual_add_nc_u32 v19, 1, v63
	s_delay_alu instid0(VALU_DEP_1) | instskip(NEXT) | instid1(VALU_DEP_1)
	v_lshlrev_b64 v[19:20], 1, v[19:20]
	v_add_co_u32 v19, s4, s6, v19
	s_delay_alu instid0(VALU_DEP_1)
	v_add_co_ci_u32_e64 v20, s4, s7, v20, s4
	global_store_d16_hi_b16 v[19:20], v5, off
	s_or_b32 exec_lo, exec_lo, s39
	s_and_saveexec_b32 s39, s2
	s_cbranch_execz .LBB232_42
.LBB232_77:                             ;   in Loop: Header=BB232_12 Depth=1
	s_waitcnt vmcnt(5) lgkmcnt(5)
	v_dual_add_f32 v5, v15, v16 :: v_dual_lshlrev_b32 v6, 16, v35
	s_delay_alu instid0(VALU_DEP_1) | instskip(NEXT) | instid1(VALU_DEP_1)
	v_add_f32_e32 v6, v5, v6
	v_and_b32_e32 v5, 0x7f800000, v6
	s_delay_alu instid0(VALU_DEP_1) | instskip(NEXT) | instid1(VALU_DEP_1)
	v_cmp_ne_u32_e64 s4, 0x7f800000, v5
                                        ; implicit-def: $vgpr5
	s_and_saveexec_b32 s40, s4
	s_delay_alu instid0(SALU_CYCLE_1)
	s_xor_b32 s4, exec_lo, s40
; %bb.78:                               ;   in Loop: Header=BB232_12 Depth=1
	v_bfe_u32 v5, v6, 16, 1
	s_delay_alu instid0(VALU_DEP_1)
	v_add3_u32 v5, v6, v5, 0x7fff
                                        ; implicit-def: $vgpr6
; %bb.79:                               ;   in Loop: Header=BB232_12 Depth=1
	s_and_not1_saveexec_b32 s40, s4
; %bb.80:                               ;   in Loop: Header=BB232_12 Depth=1
	v_and_b32_e32 v5, 0xffff, v6
	v_or_b32_e32 v15, 0x10000, v6
	s_delay_alu instid0(VALU_DEP_2) | instskip(NEXT) | instid1(VALU_DEP_1)
	v_cmp_eq_u32_e64 s4, 0, v5
	v_cndmask_b32_e64 v5, v15, v6, s4
; %bb.81:                               ;   in Loop: Header=BB232_12 Depth=1
	s_or_b32 exec_lo, exec_lo, s40
	v_dual_mov_b32 v16, v64 :: v_dual_add_nc_u32 v15, 2, v63
	s_delay_alu instid0(VALU_DEP_1) | instskip(NEXT) | instid1(VALU_DEP_1)
	v_lshlrev_b64 v[15:16], 1, v[15:16]
	v_add_co_u32 v15, s4, s6, v15
	s_delay_alu instid0(VALU_DEP_1)
	v_add_co_ci_u32_e64 v16, s4, s7, v16, s4
	global_store_d16_hi_b16 v[15:16], v5, off
	s_or_b32 exec_lo, exec_lo, s39
	s_and_saveexec_b32 s39, s3
	s_cbranch_execz .LBB232_43
.LBB232_82:                             ;   in Loop: Header=BB232_12 Depth=1
	s_waitcnt vmcnt(4) lgkmcnt(1)
	v_dual_add_f32 v5, v17, v18 :: v_dual_lshlrev_b32 v6, 16, v32
	s_delay_alu instid0(VALU_DEP_1) | instskip(NEXT) | instid1(VALU_DEP_1)
	v_add_f32_e32 v6, v5, v6
	v_and_b32_e32 v5, 0x7f800000, v6
	s_delay_alu instid0(VALU_DEP_1) | instskip(NEXT) | instid1(VALU_DEP_1)
	v_cmp_ne_u32_e64 s4, 0x7f800000, v5
                                        ; implicit-def: $vgpr5
	s_and_saveexec_b32 s40, s4
	s_delay_alu instid0(SALU_CYCLE_1)
	s_xor_b32 s4, exec_lo, s40
; %bb.83:                               ;   in Loop: Header=BB232_12 Depth=1
	v_bfe_u32 v5, v6, 16, 1
	s_delay_alu instid0(VALU_DEP_1)
	v_add3_u32 v5, v6, v5, 0x7fff
                                        ; implicit-def: $vgpr6
; %bb.84:                               ;   in Loop: Header=BB232_12 Depth=1
	s_and_not1_saveexec_b32 s40, s4
; %bb.85:                               ;   in Loop: Header=BB232_12 Depth=1
	v_and_b32_e32 v5, 0xffff, v6
	v_or_b32_e32 v15, 0x10000, v6
	s_delay_alu instid0(VALU_DEP_2) | instskip(NEXT) | instid1(VALU_DEP_1)
	v_cmp_eq_u32_e64 s4, 0, v5
	v_cndmask_b32_e64 v5, v15, v6, s4
; %bb.86:                               ;   in Loop: Header=BB232_12 Depth=1
	s_or_b32 exec_lo, exec_lo, s40
	v_dual_mov_b32 v16, v64 :: v_dual_add_nc_u32 v15, 3, v63
	s_delay_alu instid0(VALU_DEP_1) | instskip(NEXT) | instid1(VALU_DEP_1)
	v_lshlrev_b64 v[15:16], 1, v[15:16]
	v_add_co_u32 v15, s4, s6, v15
	s_delay_alu instid0(VALU_DEP_1)
	v_add_co_ci_u32_e64 v16, s4, s7, v16, s4
	global_store_d16_hi_b16 v[15:16], v5, off
	s_or_b32 exec_lo, exec_lo, s39
	v_add_nc_u32_e32 v63, s19, v63
	s_and_saveexec_b32 s4, vcc_lo
	s_cbranch_execz .LBB232_44
.LBB232_87:                             ;   in Loop: Header=BB232_12 Depth=1
	s_waitcnt vmcnt(3) lgkmcnt(3)
	v_dual_add_f32 v5, v13, v14 :: v_dual_lshlrev_b32 v6, 16, v28
	s_delay_alu instid0(VALU_DEP_1) | instskip(NEXT) | instid1(VALU_DEP_1)
	v_add_f32_e32 v6, v5, v6
	v_and_b32_e32 v5, 0x7f800000, v6
	s_delay_alu instid0(VALU_DEP_1) | instskip(SKIP_1) | instid1(SALU_CYCLE_1)
	v_cmp_ne_u32_e32 vcc_lo, 0x7f800000, v5
                                        ; implicit-def: $vgpr5
	s_and_saveexec_b32 s39, vcc_lo
	s_xor_b32 s39, exec_lo, s39
; %bb.88:                               ;   in Loop: Header=BB232_12 Depth=1
	v_bfe_u32 v5, v6, 16, 1
	s_delay_alu instid0(VALU_DEP_1)
	v_add3_u32 v5, v6, v5, 0x7fff
                                        ; implicit-def: $vgpr6
; %bb.89:                               ;   in Loop: Header=BB232_12 Depth=1
	s_and_not1_saveexec_b32 s39, s39
; %bb.90:                               ;   in Loop: Header=BB232_12 Depth=1
	v_and_b32_e32 v5, 0xffff, v6
	v_or_b32_e32 v13, 0x10000, v6
	s_delay_alu instid0(VALU_DEP_2) | instskip(NEXT) | instid1(VALU_DEP_2)
	v_cmp_eq_u32_e32 vcc_lo, 0, v5
	v_cndmask_b32_e32 v5, v13, v6, vcc_lo
; %bb.91:                               ;   in Loop: Header=BB232_12 Depth=1
	s_or_b32 exec_lo, exec_lo, s39
	v_lshlrev_b64 v[13:14], 1, v[63:64]
	s_delay_alu instid0(VALU_DEP_1) | instskip(NEXT) | instid1(VALU_DEP_2)
	v_add_co_u32 v13, vcc_lo, s6, v13
	v_add_co_ci_u32_e32 v14, vcc_lo, s7, v14, vcc_lo
	global_store_d16_hi_b16 v[13:14], v5, off
	s_or_b32 exec_lo, exec_lo, s4
	s_and_saveexec_b32 s4, s1
	s_cbranch_execz .LBB232_45
.LBB232_92:                             ;   in Loop: Header=BB232_12 Depth=1
	s_waitcnt vmcnt(2) lgkmcnt(0)
	v_dual_add_f32 v5, v11, v12 :: v_dual_lshlrev_b32 v6, 16, v25
	s_delay_alu instid0(VALU_DEP_1) | instskip(NEXT) | instid1(VALU_DEP_1)
	v_add_f32_e32 v6, v5, v6
	v_and_b32_e32 v5, 0x7f800000, v6
	s_delay_alu instid0(VALU_DEP_1) | instskip(SKIP_1) | instid1(SALU_CYCLE_1)
	v_cmp_ne_u32_e32 vcc_lo, 0x7f800000, v5
                                        ; implicit-def: $vgpr5
	s_and_saveexec_b32 s1, vcc_lo
	s_xor_b32 s1, exec_lo, s1
; %bb.93:                               ;   in Loop: Header=BB232_12 Depth=1
	v_bfe_u32 v5, v6, 16, 1
	s_delay_alu instid0(VALU_DEP_1)
	v_add3_u32 v5, v6, v5, 0x7fff
                                        ; implicit-def: $vgpr6
; %bb.94:                               ;   in Loop: Header=BB232_12 Depth=1
	s_and_not1_saveexec_b32 s1, s1
; %bb.95:                               ;   in Loop: Header=BB232_12 Depth=1
	v_and_b32_e32 v5, 0xffff, v6
	v_or_b32_e32 v11, 0x10000, v6
	s_delay_alu instid0(VALU_DEP_2) | instskip(NEXT) | instid1(VALU_DEP_2)
	v_cmp_eq_u32_e32 vcc_lo, 0, v5
	v_cndmask_b32_e32 v5, v11, v6, vcc_lo
; %bb.96:                               ;   in Loop: Header=BB232_12 Depth=1
	s_or_b32 exec_lo, exec_lo, s1
	v_dual_mov_b32 v12, v64 :: v_dual_add_nc_u32 v11, 1, v63
	s_delay_alu instid0(VALU_DEP_1) | instskip(NEXT) | instid1(VALU_DEP_1)
	v_lshlrev_b64 v[11:12], 1, v[11:12]
	v_add_co_u32 v11, vcc_lo, s6, v11
	s_delay_alu instid0(VALU_DEP_2)
	v_add_co_ci_u32_e32 v12, vcc_lo, s7, v12, vcc_lo
	global_store_d16_hi_b16 v[11:12], v5, off
	s_or_b32 exec_lo, exec_lo, s4
	s_and_saveexec_b32 s1, s2
	s_cbranch_execz .LBB232_46
.LBB232_97:                             ;   in Loop: Header=BB232_12 Depth=1
	s_waitcnt vmcnt(1) lgkmcnt(4)
	v_dual_add_f32 v5, v9, v10 :: v_dual_lshlrev_b32 v6, 16, v23
	s_delay_alu instid0(VALU_DEP_1) | instskip(NEXT) | instid1(VALU_DEP_1)
	v_add_f32_e32 v6, v5, v6
	v_and_b32_e32 v5, 0x7f800000, v6
	s_delay_alu instid0(VALU_DEP_1) | instskip(SKIP_1) | instid1(SALU_CYCLE_1)
	v_cmp_ne_u32_e32 vcc_lo, 0x7f800000, v5
                                        ; implicit-def: $vgpr5
	s_and_saveexec_b32 s2, vcc_lo
	s_xor_b32 s2, exec_lo, s2
; %bb.98:                               ;   in Loop: Header=BB232_12 Depth=1
	v_bfe_u32 v5, v6, 16, 1
	s_delay_alu instid0(VALU_DEP_1)
	v_add3_u32 v5, v6, v5, 0x7fff
                                        ; implicit-def: $vgpr6
; %bb.99:                               ;   in Loop: Header=BB232_12 Depth=1
	s_and_not1_saveexec_b32 s2, s2
; %bb.100:                              ;   in Loop: Header=BB232_12 Depth=1
	v_and_b32_e32 v5, 0xffff, v6
	v_or_b32_e32 v9, 0x10000, v6
	s_delay_alu instid0(VALU_DEP_2) | instskip(NEXT) | instid1(VALU_DEP_2)
	v_cmp_eq_u32_e32 vcc_lo, 0, v5
	v_cndmask_b32_e32 v5, v9, v6, vcc_lo
; %bb.101:                              ;   in Loop: Header=BB232_12 Depth=1
	s_or_b32 exec_lo, exec_lo, s2
	v_dual_mov_b32 v10, v64 :: v_dual_add_nc_u32 v9, 2, v63
	s_delay_alu instid0(VALU_DEP_1) | instskip(NEXT) | instid1(VALU_DEP_1)
	v_lshlrev_b64 v[9:10], 1, v[9:10]
	v_add_co_u32 v9, vcc_lo, s6, v9
	s_delay_alu instid0(VALU_DEP_2) | instskip(SKIP_2) | instid1(SALU_CYCLE_1)
	v_add_co_ci_u32_e32 v10, vcc_lo, s7, v10, vcc_lo
	global_store_d16_hi_b16 v[9:10], v5, off
	s_or_b32 exec_lo, exec_lo, s1
	s_and_b32 exec_lo, exec_lo, s3
	s_cbranch_execz .LBB232_107
.LBB232_102:                            ;   in Loop: Header=BB232_12 Depth=1
	s_waitcnt vmcnt(0) lgkmcnt(2)
	v_dual_add_f32 v5, v7, v8 :: v_dual_lshlrev_b32 v6, 16, v21
	s_delay_alu instid0(VALU_DEP_1) | instskip(NEXT) | instid1(VALU_DEP_1)
	v_add_f32_e32 v6, v5, v6
	v_and_b32_e32 v5, 0x7f800000, v6
	s_delay_alu instid0(VALU_DEP_1) | instskip(SKIP_1) | instid1(SALU_CYCLE_1)
	v_cmp_ne_u32_e32 vcc_lo, 0x7f800000, v5
                                        ; implicit-def: $vgpr5
	s_and_saveexec_b32 s1, vcc_lo
	s_xor_b32 s1, exec_lo, s1
; %bb.103:                              ;   in Loop: Header=BB232_12 Depth=1
	v_bfe_u32 v5, v6, 16, 1
	s_delay_alu instid0(VALU_DEP_1)
	v_add3_u32 v5, v6, v5, 0x7fff
                                        ; implicit-def: $vgpr6
; %bb.104:                              ;   in Loop: Header=BB232_12 Depth=1
	s_and_not1_saveexec_b32 s1, s1
; %bb.105:                              ;   in Loop: Header=BB232_12 Depth=1
	v_and_b32_e32 v5, 0xffff, v6
	v_or_b32_e32 v7, 0x10000, v6
	s_delay_alu instid0(VALU_DEP_2) | instskip(NEXT) | instid1(VALU_DEP_2)
	v_cmp_eq_u32_e32 vcc_lo, 0, v5
	v_cndmask_b32_e32 v5, v7, v6, vcc_lo
; %bb.106:                              ;   in Loop: Header=BB232_12 Depth=1
	s_or_b32 exec_lo, exec_lo, s1
	v_add_nc_u32_e32 v63, 3, v63
	s_delay_alu instid0(VALU_DEP_1) | instskip(NEXT) | instid1(VALU_DEP_1)
	v_lshlrev_b64 v[6:7], 1, v[63:64]
	v_add_co_u32 v6, vcc_lo, s6, v6
	s_delay_alu instid0(VALU_DEP_2)
	v_add_co_ci_u32_e32 v7, vcc_lo, s7, v7, vcc_lo
	global_store_d16_hi_b16 v[6:7], v5, off
.LBB232_107:                            ;   in Loop: Header=BB232_12 Depth=1
	s_or_b32 exec_lo, exec_lo, s5
	v_add_nc_u32_e32 v61, s29, v61
	s_delay_alu instid0(VALU_DEP_1) | instskip(SKIP_1) | instid1(VALU_DEP_2)
	v_add_nc_u32_e32 v5, 4, v61
	v_cmp_gt_u32_e32 vcc_lo, s19, v61
	v_cmp_le_u32_e64 s1, s19, v5
	s_delay_alu instid0(VALU_DEP_1) | instskip(NEXT) | instid1(SALU_CYCLE_1)
	s_and_b32 s1, vcc_lo, s1
	s_and_saveexec_b32 s39, s1
	s_cbranch_execz .LBB232_10
; %bb.108:                              ;   in Loop: Header=BB232_12 Depth=1
	s_mov_b32 s40, exec_lo
	v_cmpx_ne_u32_e64 s9, v61
	s_cbranch_execz .LBB232_9
; %bb.109:                              ;   in Loop: Header=BB232_12 Depth=1
	v_subrev_nc_u32_e32 v5, s9, v61
	s_mov_b32 s41, 0
	s_mov_b64 s[4:5], 0
	s_delay_alu instid0(VALU_DEP_1)
	v_cmp_lt_u32_e32 vcc_lo, 1, v5
	v_cndmask_b32_e32 v5, 1, v5, vcc_lo
	.p2align	6
.LBB232_110:                            ;   Parent Loop BB232_12 Depth=1
                                        ; =>  This Inner Loop Header: Depth=2
	s_cmp_lg_u32 s4, 3
	s_cselect_b32 vcc_lo, -1, 0
	s_cmp_lg_u32 s4, 2
	v_cndmask_b32_e32 v4, 0, v4, vcc_lo
	s_cselect_b32 s1, -1, 0
	s_cmp_lg_u32 s4, 1
	v_cndmask_b32_e64 v3, 0, v3, s1
	s_cselect_b32 s2, -1, 0
	s_cmp_lg_u32 s4, 0
	v_cndmask_b32_e64 v2, 0, v2, s2
	s_cselect_b32 s3, -1, 0
	s_add_u32 s4, s4, 1
	v_cndmask_b32_e64 v1, 0, v1, s3
	v_cmp_eq_u32_e32 vcc_lo, s4, v5
	s_addc_u32 s5, s5, 0
	s_or_b32 s41, vcc_lo, s41
	s_delay_alu instid0(SALU_CYCLE_1)
	s_and_not1_b32 exec_lo, exec_lo, s41
	s_cbranch_execnz .LBB232_110
; %bb.111:                              ;   in Loop: Header=BB232_12 Depth=1
	s_or_b32 exec_lo, exec_lo, s41
	s_branch .LBB232_9
.LBB232_112:
	s_nop 0
	s_sendmsg sendmsg(MSG_DEALLOC_VGPRS)
	s_endpgm
	.section	.rodata,"a",@progbits
	.p2align	6, 0x0
	.amdhsa_kernel _Z16wvSplitK_hf_big_I14__hip_bfloat16Li32ELi4ELi16ELi8ELi2ELi3EEviiiiiiPKT_S3_S3_PS1_ii
		.amdhsa_group_segment_fixed_size 65536
		.amdhsa_private_segment_fixed_size 0
		.amdhsa_kernarg_size 64
		.amdhsa_user_sgpr_count 15
		.amdhsa_user_sgpr_dispatch_ptr 0
		.amdhsa_user_sgpr_queue_ptr 0
		.amdhsa_user_sgpr_kernarg_segment_ptr 1
		.amdhsa_user_sgpr_dispatch_id 0
		.amdhsa_user_sgpr_private_segment_size 0
		.amdhsa_wavefront_size32 1
		.amdhsa_uses_dynamic_stack 0
		.amdhsa_enable_private_segment 0
		.amdhsa_system_sgpr_workgroup_id_x 1
		.amdhsa_system_sgpr_workgroup_id_y 0
		.amdhsa_system_sgpr_workgroup_id_z 0
		.amdhsa_system_sgpr_workgroup_info 0
		.amdhsa_system_vgpr_workitem_id 1
		.amdhsa_next_free_vgpr 110
		.amdhsa_next_free_sgpr 42
		.amdhsa_reserve_vcc 1
		.amdhsa_float_round_mode_32 0
		.amdhsa_float_round_mode_16_64 0
		.amdhsa_float_denorm_mode_32 3
		.amdhsa_float_denorm_mode_16_64 3
		.amdhsa_dx10_clamp 1
		.amdhsa_ieee_mode 1
		.amdhsa_fp16_overflow 0
		.amdhsa_workgroup_processor_mode 1
		.amdhsa_memory_ordered 1
		.amdhsa_forward_progress 0
		.amdhsa_shared_vgpr_count 0
		.amdhsa_exception_fp_ieee_invalid_op 0
		.amdhsa_exception_fp_denorm_src 0
		.amdhsa_exception_fp_ieee_div_zero 0
		.amdhsa_exception_fp_ieee_overflow 0
		.amdhsa_exception_fp_ieee_underflow 0
		.amdhsa_exception_fp_ieee_inexact 0
		.amdhsa_exception_int_div_zero 0
	.end_amdhsa_kernel
	.section	.text._Z16wvSplitK_hf_big_I14__hip_bfloat16Li32ELi4ELi16ELi8ELi2ELi3EEviiiiiiPKT_S3_S3_PS1_ii,"axG",@progbits,_Z16wvSplitK_hf_big_I14__hip_bfloat16Li32ELi4ELi16ELi8ELi2ELi3EEviiiiiiPKT_S3_S3_PS1_ii,comdat
.Lfunc_end232:
	.size	_Z16wvSplitK_hf_big_I14__hip_bfloat16Li32ELi4ELi16ELi8ELi2ELi3EEviiiiiiPKT_S3_S3_PS1_ii, .Lfunc_end232-_Z16wvSplitK_hf_big_I14__hip_bfloat16Li32ELi4ELi16ELi8ELi2ELi3EEviiiiiiPKT_S3_S3_PS1_ii
                                        ; -- End function
	.section	.AMDGPU.csdata,"",@progbits
; Kernel info:
; codeLenInByte = 8464
; NumSgprs: 44
; NumVgprs: 110
; ScratchSize: 0
; MemoryBound: 0
; FloatMode: 240
; IeeeMode: 1
; LDSByteSize: 65536 bytes/workgroup (compile time only)
; SGPRBlocks: 5
; VGPRBlocks: 13
; NumSGPRsForWavesPerEU: 44
; NumVGPRsForWavesPerEU: 110
; Occupancy: 8
; WaveLimiterHint : 0
; COMPUTE_PGM_RSRC2:SCRATCH_EN: 0
; COMPUTE_PGM_RSRC2:USER_SGPR: 15
; COMPUTE_PGM_RSRC2:TRAP_HANDLER: 0
; COMPUTE_PGM_RSRC2:TGID_X_EN: 1
; COMPUTE_PGM_RSRC2:TGID_Y_EN: 0
; COMPUTE_PGM_RSRC2:TGID_Z_EN: 0
; COMPUTE_PGM_RSRC2:TIDIG_COMP_CNT: 1
	.section	.text._Z16wvSplitK_hf_sml_I14__hip_bfloat16Li64ELi1ELi16ELi8ELi4ELi3EEviiiiiiPKT_S3_S3_PS1_ii,"axG",@progbits,_Z16wvSplitK_hf_sml_I14__hip_bfloat16Li64ELi1ELi16ELi8ELi4ELi3EEviiiiiiPKT_S3_S3_PS1_ii,comdat
	.protected	_Z16wvSplitK_hf_sml_I14__hip_bfloat16Li64ELi1ELi16ELi8ELi4ELi3EEviiiiiiPKT_S3_S3_PS1_ii ; -- Begin function _Z16wvSplitK_hf_sml_I14__hip_bfloat16Li64ELi1ELi16ELi8ELi4ELi3EEviiiiiiPKT_S3_S3_PS1_ii
	.globl	_Z16wvSplitK_hf_sml_I14__hip_bfloat16Li64ELi1ELi16ELi8ELi4ELi3EEviiiiiiPKT_S3_S3_PS1_ii
	.p2align	8
	.type	_Z16wvSplitK_hf_sml_I14__hip_bfloat16Li64ELi1ELi16ELi8ELi4ELi3EEviiiiiiPKT_S3_S3_PS1_ii,@function
_Z16wvSplitK_hf_sml_I14__hip_bfloat16Li64ELi1ELi16ELi8ELi4ELi3EEviiiiiiPKT_S3_S3_PS1_ii: ; @_Z16wvSplitK_hf_sml_I14__hip_bfloat16Li64ELi1ELi16ELi8ELi4ELi3EEviiiiiiPKT_S3_S3_PS1_ii
; %bb.0:
	s_clause 0x2
	s_load_b128 s[4:7], s[0:1], 0x0
	s_load_b64 s[8:9], s[0:1], 0x10
	s_load_b64 s[10:11], s[0:1], 0x28
	v_and_b32_e32 v3, 0x3ff, v0
	v_bfe_u32 v0, v0, 10, 10
	s_mov_b32 s12, exec_lo
	s_delay_alu instid0(VALU_DEP_2) | instskip(NEXT) | instid1(VALU_DEP_1)
	v_lshlrev_b32_e32 v67, 3, v3
	v_lshl_add_u32 v4, v0, 9, v67
	s_waitcnt lgkmcnt(0)
	s_mul_i32 s2, s6, 3
	s_delay_alu instid0(SALU_CYCLE_1)
	s_min_u32 s3, s2, 0x8000
	s_delay_alu instid0(VALU_DEP_1) | instid1(SALU_CYCLE_1)
	v_cmpx_gt_u32_e64 s3, v4
	s_cbranch_execz .LBB233_3
; %bb.1:
	s_load_b64 s[16:17], s[0:1], 0x20
	v_lshlrev_b32_e32 v5, 10, v0
	v_lshlrev_b32_e32 v6, 4, v3
	s_mov_b32 s13, 0
	s_delay_alu instid0(VALU_DEP_1) | instskip(NEXT) | instid1(VALU_DEP_1)
	v_add_co_u32 v1, s2, v5, v6
	v_add_co_ci_u32_e64 v2, null, 0, 0, s2
	v_add_nc_u32_e32 v5, v5, v6
	s_waitcnt lgkmcnt(0)
	s_delay_alu instid0(VALU_DEP_3) | instskip(NEXT) | instid1(VALU_DEP_3)
	v_add_co_u32 v1, vcc_lo, s16, v1
	v_add_co_ci_u32_e32 v2, vcc_lo, s17, v2, vcc_lo
	.p2align	6
.LBB233_2:                              ; =>This Inner Loop Header: Depth=1
	global_load_b128 v[6:9], v[1:2], off
	v_add_nc_u32_e32 v4, 0x2000, v4
	v_add_co_u32 v1, vcc_lo, 0x4000, v1
	v_add_co_ci_u32_e32 v2, vcc_lo, 0, v2, vcc_lo
	s_delay_alu instid0(VALU_DEP_3) | instskip(NEXT) | instid1(VALU_DEP_1)
	v_cmp_le_u32_e64 s2, s3, v4
	s_or_b32 s13, s2, s13
	s_waitcnt vmcnt(0)
	ds_store_b128 v5, v[6:9]
	v_add_nc_u32_e32 v5, 0x4000, v5
	s_and_not1_b32 exec_lo, exec_lo, s13
	s_cbranch_execnz .LBB233_2
.LBB233_3:
	s_or_b32 exec_lo, exec_lo, s12
	s_load_b64 s[16:17], s[0:1], 0x38
	s_waitcnt lgkmcnt(0)
	s_barrier
	buffer_gl0_inv
	s_mov_b32 s2, exec_lo
	v_cmpx_gt_u32_e64 s16, v0
	s_cbranch_execz .LBB233_34
; %bb.4:
	v_mad_u64_u32 v[48:49], null, s15, s16, v[0:1]
	s_delay_alu instid0(VALU_DEP_1)
	v_cmp_gt_u32_e32 vcc_lo, s7, v48
	s_and_b32 exec_lo, exec_lo, vcc_lo
	s_cbranch_execz .LBB233_34
; %bb.5:
	s_cmp_lg_u32 s4, 0
	v_mbcnt_lo_u32_b32 v2, -1, 0
	s_cselect_b32 s14, -1, 0
	s_add_i32 s15, s4, -8
	s_add_i32 s18, s7, -1
	s_cmp_lg_u64 s[10:11], 0
	s_clause 0x1
	s_load_b64 s[2:3], s[0:1], 0x18
	s_load_b64 s[12:13], s[0:1], 0x30
	s_cselect_b32 s19, -1, 0
	s_abs_i32 s20, s9
	v_cmp_eq_u32_e64 s0, 63, v3
	v_cvt_f32_u32_e32 v0, s20
	v_lshlrev_b32_e32 v68, 4, v3
	v_xor_b32_e32 v3, 16, v2
	v_cvt_f32_u32_e32 v1, s8
	s_mul_i32 s9, s17, s16
	v_rcp_iflag_f32_e32 v0, v0
	s_sub_i32 s17, 0, s20
	v_cmp_gt_i32_e32 vcc_lo, 32, v3
	v_rcp_iflag_f32_e32 v1, v1
	s_sub_i32 s21, 0, s8
	s_sub_i32 s22, 1, s20
	v_mov_b32_e32 v50, 0
	v_cndmask_b32_e32 v2, v2, v3, vcc_lo
	s_mov_b32 s1, 0
	s_waitcnt_depctr 0xfff
	v_dual_mul_f32 v0, 0x4f7ffffe, v0 :: v_dual_lshlrev_b32 v69, 2, v2
	s_delay_alu instid0(VALU_DEP_1) | instskip(NEXT) | instid1(VALU_DEP_1)
	v_cvt_u32_f32_e32 v0, v0
	v_readfirstlane_b32 s16, v0
	v_mul_f32_e32 v0, 0x4f7ffffe, v1
	s_delay_alu instid0(VALU_DEP_2) | instskip(NEXT) | instid1(VALU_DEP_1)
	s_mul_i32 s17, s17, s16
	v_cvt_u32_f32_e32 v0, v0
	s_mul_hi_u32 s17, s16, s17
	s_delay_alu instid0(SALU_CYCLE_1) | instskip(SKIP_1) | instid1(VALU_DEP_1)
	s_add_i32 s16, s16, s17
	s_cmp_lt_u32 s20, 2
	v_mul_lo_u32 v1, s21, v0
	s_cselect_b32 s17, s22, 1
	s_delay_alu instid0(SALU_CYCLE_1) | instskip(SKIP_3) | instid1(VALU_DEP_1)
	s_sub_i32 s21, s17, s20
	s_cmp_ge_u32 s17, s20
	s_cselect_b32 s17, s21, s17
	s_lshr_b32 s16, s16, 31
	v_mul_hi_u32 v1, v0, v1
	s_mul_i32 s16, s16, s20
	s_delay_alu instid0(SALU_CYCLE_1) | instskip(NEXT) | instid1(SALU_CYCLE_1)
	s_sub_i32 s16, 2, s16
	s_sub_i32 s21, s16, s20
	s_cmp_ge_u32 s16, s20
	s_cselect_b32 s21, s21, s16
	s_delay_alu instid0(VALU_DEP_1)
	v_add_nc_u32_e32 v70, v0, v1
	s_sub_i32 s22, s21, s20
	s_cmp_ge_u32 s21, s20
	s_mul_i32 s16, s17, s8
	s_cselect_b32 s20, s22, s21
	s_lshl_b32 s17, s6, 2
	s_mul_i32 s20, s20, s8
	s_lshl_b32 s6, s6, 1
	s_branch .LBB233_8
.LBB233_6:                              ;   in Loop: Header=BB233_8 Depth=1
	s_or_b32 exec_lo, exec_lo, s22
	v_add_nc_u32_e32 v49, s7, v49
	s_delay_alu instid0(VALU_DEP_1) | instskip(NEXT) | instid1(VALU_DEP_1)
	v_lshlrev_b64 v[1:2], 1, v[49:50]
	v_add_co_u32 v1, vcc_lo, s12, v1
	s_delay_alu instid0(VALU_DEP_2)
	v_add_co_ci_u32_e32 v2, vcc_lo, s13, v2, vcc_lo
	global_store_d16_hi_b16 v[1:2], v0, off
.LBB233_7:                              ;   in Loop: Header=BB233_8 Depth=1
	s_or_b32 exec_lo, exec_lo, s21
	v_add_nc_u32_e32 v48, s9, v48
	s_delay_alu instid0(VALU_DEP_1) | instskip(SKIP_1) | instid1(SALU_CYCLE_1)
	v_cmp_le_u32_e32 vcc_lo, s7, v48
	s_or_b32 s1, vcc_lo, s1
	s_and_not1_b32 exec_lo, exec_lo, s1
	s_cbranch_execz .LBB233_34
.LBB233_8:                              ; =>This Loop Header: Depth=1
                                        ;     Child Loop BB233_14 Depth 2
	v_mov_b32_e32 v74, v50
	v_mov_b32_e32 v75, v50
	;; [unrolled: 1-line block ×3, first 2 shown]
	s_and_not1_b32 vcc_lo, exec_lo, s14
	s_cbranch_vccnz .LBB233_19
; %bb.9:                                ;   in Loop: Header=BB233_8 Depth=1
	v_min_u32_e32 v0, s18, v48
	v_dual_mov_b32 v76, 0 :: v_dual_mov_b32 v71, v68
	v_dual_mov_b32 v75, 0 :: v_dual_mov_b32 v74, 0
	s_delay_alu instid0(VALU_DEP_3) | instskip(SKIP_2) | instid1(VALU_DEP_1)
	v_mul_lo_u32 v49, v0, s5
	s_mov_b32 s21, 0
	s_waitcnt lgkmcnt(0)
	v_lshlrev_b64 v[0:1], 1, v[49:50]
	s_waitcnt lgkmcnt(0)
	s_delay_alu instid0(VALU_DEP_1) | instskip(NEXT) | instid1(VALU_DEP_2)
	v_add_co_u32 v72, vcc_lo, s2, v0
	v_add_co_ci_u32_e32 v73, vcc_lo, s3, v1, vcc_lo
	s_branch .LBB233_14
.LBB233_10:                             ;   in Loop: Header=BB233_14 Depth=2
	s_or_b32 exec_lo, exec_lo, s25
.LBB233_11:                             ;   in Loop: Header=BB233_14 Depth=2
	s_delay_alu instid0(SALU_CYCLE_1)
	s_or_b32 exec_lo, exec_lo, s24
.LBB233_12:                             ;   in Loop: Header=BB233_14 Depth=2
	s_delay_alu instid0(SALU_CYCLE_1)
	s_or_b32 exec_lo, exec_lo, s23
.LBB233_13:                             ;   in Loop: Header=BB233_14 Depth=2
	s_delay_alu instid0(SALU_CYCLE_1)
	s_or_b32 exec_lo, exec_lo, s22
	s_waitcnt lgkmcnt(1)
	v_and_b32_e32 v78, 0xffff0000, v45
	v_and_b32_e32 v80, 0xffff0000, v46
	v_lshlrev_b32_e32 v46, 16, v46
	s_waitcnt vmcnt(3)
	v_and_b32_e32 v79, 0xffff0000, v37
	v_and_b32_e32 v49, 0xffff0000, v44
	v_lshlrev_b32_e32 v45, 16, v45
	v_lshlrev_b32_e32 v37, 16, v37
	s_addk_i32 s21, 0x800
	v_dual_mul_f32 v78, v78, v79 :: v_dual_and_b32 v77, 0xffff0000, v36
	v_lshlrev_b32_e32 v36, 16, v36
	s_cmp_ge_u32 s21, s4
	s_delay_alu instid0(VALU_DEP_2) | instskip(NEXT) | instid1(VALU_DEP_3)
	v_dual_fmac_f32 v78, v45, v37 :: v_dual_add_nc_u32 v71, 0x1000, v71
	v_dual_mul_f32 v49, v49, v77 :: v_dual_lshlrev_b32 v44, 16, v44
	v_and_b32_e32 v45, 0xffff0000, v40
	v_lshlrev_b32_e32 v40, 16, v40
	s_delay_alu instid0(VALU_DEP_3) | instskip(NEXT) | instid1(VALU_DEP_3)
	v_fmac_f32_e32 v49, v44, v36
	v_mul_f32_e32 v45, v45, v77
	s_delay_alu instid0(VALU_DEP_2) | instskip(NEXT) | instid1(VALU_DEP_2)
	v_dual_add_f32 v49, v76, v49 :: v_dual_and_b32 v44, 0xffff0000, v38
	v_dual_fmac_f32 v45, v40, v36 :: v_dual_lshlrev_b32 v40, 16, v41
	s_delay_alu instid0(VALU_DEP_2) | instskip(SKIP_3) | instid1(VALU_DEP_2)
	v_mul_f32_e32 v76, v80, v44
	v_and_b32_e32 v80, 0xffff0000, v39
	v_lshlrev_b32_e32 v38, 16, v38
	v_lshlrev_b32_e32 v39, 16, v39
	v_dual_add_f32 v45, v75, v45 :: v_dual_fmac_f32 v76, v46, v38
	v_add_f32_e32 v46, v49, v78
	v_and_b32_e32 v78, 0xffff0000, v41
	s_delay_alu instid0(VALU_DEP_2) | instskip(NEXT) | instid1(VALU_DEP_2)
	v_dual_add_f32 v46, v46, v76 :: v_dual_and_b32 v75, 0xffff0000, v65
	v_mul_f32_e32 v41, v78, v79
	s_delay_alu instid0(VALU_DEP_1) | instskip(NEXT) | instid1(VALU_DEP_1)
	v_dual_fmac_f32 v41, v40, v37 :: v_dual_and_b32 v78, 0xffff0000, v42
	v_dual_add_f32 v41, v45, v41 :: v_dual_lshlrev_b32 v40, 16, v42
	s_delay_alu instid0(VALU_DEP_4) | instskip(NEXT) | instid1(VALU_DEP_3)
	v_mul_f32_e32 v45, v75, v77
	v_dual_mul_f32 v42, v78, v44 :: v_dual_and_b32 v49, 0xffff0000, v47
	v_lshlrev_b32_e32 v47, 16, v47
	s_delay_alu instid0(VALU_DEP_2) | instskip(NEXT) | instid1(VALU_DEP_1)
	v_dual_mul_f32 v49, v49, v80 :: v_dual_fmac_f32 v42, v40, v38
	v_dual_fmac_f32 v49, v47, v39 :: v_dual_lshlrev_b32 v40, 16, v65
	s_delay_alu instid0(VALU_DEP_2) | instskip(NEXT) | instid1(VALU_DEP_2)
	v_dual_add_f32 v41, v41, v42 :: v_dual_and_b32 v42, 0xffff0000, v43
	v_fmac_f32_e32 v45, v40, v36
	v_and_b32_e32 v47, 0xffff0000, v66
	v_lshlrev_b32_e32 v36, 16, v66
	v_add_f32_e32 v46, v46, v49
	v_mul_f32_e32 v42, v42, v80
	s_delay_alu instid0(VALU_DEP_4) | instskip(NEXT) | instid1(VALU_DEP_1)
	v_dual_add_f32 v45, v74, v45 :: v_dual_mul_f32 v40, v47, v79
	v_dual_fmac_f32 v40, v36, v37 :: v_dual_lshlrev_b32 v43, 16, v43
	s_waitcnt lgkmcnt(0)
	v_and_b32_e32 v47, 0xffff0000, v63
	s_delay_alu instid0(VALU_DEP_2) | instskip(SKIP_2) | instid1(VALU_DEP_4)
	v_dual_fmac_f32 v42, v43, v39 :: v_dual_and_b32 v43, 0xffff0000, v32
	v_lshlrev_b32_e32 v32, 16, v32
	v_add_f32_e32 v40, v45, v40
	v_mul_f32_e32 v37, v47, v44
	s_delay_alu instid0(VALU_DEP_4) | instskip(SKIP_3) | instid1(VALU_DEP_1)
	v_add_f32_e32 v41, v41, v42
	s_waitcnt vmcnt(2)
	v_and_b32_e32 v45, 0xffff0000, v25
	v_lshlrev_b32_e32 v36, 16, v63
	v_dual_fmac_f32 v37, v36, v38 :: v_dual_and_b32 v44, 0xffff0000, v24
	v_and_b32_e32 v38, 0xffff0000, v64
	s_delay_alu instid0(VALU_DEP_2) | instskip(NEXT) | instid1(VALU_DEP_3)
	v_dual_mul_f32 v36, v43, v44 :: v_dual_and_b32 v43, 0xffff0000, v33
	v_add_f32_e32 v37, v40, v37
	s_delay_alu instid0(VALU_DEP_3) | instskip(SKIP_3) | instid1(VALU_DEP_3)
	v_dual_mul_f32 v38, v38, v80 :: v_dual_lshlrev_b32 v25, 16, v25
	v_lshlrev_b32_e32 v24, 16, v24
	v_and_b32_e32 v49, 0xffff0000, v26
	v_and_b32_e32 v40, 0xffff0000, v29
	v_fmac_f32_e32 v36, v32, v24
	v_lshlrev_b32_e32 v32, 16, v33
	v_mul_f32_e32 v33, v43, v45
	v_and_b32_e32 v43, 0xffff0000, v34
	v_lshlrev_b32_e32 v26, 16, v26
	v_add_f32_e32 v36, v46, v36
	v_lshlrev_b32_e32 v47, 16, v64
	v_dual_fmac_f32 v33, v32, v25 :: v_dual_lshlrev_b32 v32, 16, v34
	v_mul_f32_e32 v34, v43, v49
	s_delay_alu instid0(VALU_DEP_2) | instskip(SKIP_1) | instid1(VALU_DEP_3)
	v_dual_fmac_f32 v38, v47, v39 :: v_dual_add_f32 v33, v36, v33
	v_and_b32_e32 v36, 0xffff0000, v35
	v_dual_fmac_f32 v34, v32, v26 :: v_dual_lshlrev_b32 v35, 16, v35
	v_and_b32_e32 v32, 0xffff0000, v28
	v_and_b32_e32 v39, 0xffff0000, v27
	s_delay_alu instid0(VALU_DEP_3) | instskip(SKIP_1) | instid1(VALU_DEP_4)
	v_dual_add_f32 v33, v33, v34 :: v_dual_lshlrev_b32 v28, 16, v28
	v_add_f32_e32 v34, v37, v38
	v_dual_mul_f32 v32, v32, v44 :: v_dual_lshlrev_b32 v27, 16, v27
	s_delay_alu instid0(VALU_DEP_4) | instskip(NEXT) | instid1(VALU_DEP_2)
	v_mul_f32_e32 v36, v36, v39
	v_fmac_f32_e32 v32, v28, v24
	s_delay_alu instid0(VALU_DEP_2) | instskip(SKIP_1) | instid1(VALU_DEP_2)
	v_dual_fmac_f32 v36, v35, v27 :: v_dual_and_b32 v35, 0xffff0000, v30
	v_lshlrev_b32_e32 v30, 16, v30
	v_dual_add_f32 v32, v41, v32 :: v_dual_mul_f32 v35, v35, v49
	v_lshlrev_b32_e32 v28, 16, v29
	v_mul_f32_e32 v29, v40, v45
	s_delay_alu instid0(VALU_DEP_3) | instskip(NEXT) | instid1(VALU_DEP_2)
	v_fmac_f32_e32 v35, v30, v26
	v_dual_fmac_f32 v29, v28, v25 :: v_dual_add_f32 v28, v33, v36
	v_and_b32_e32 v33, 0xffff0000, v61
	s_delay_alu instid0(VALU_DEP_2) | instskip(NEXT) | instid1(VALU_DEP_2)
	v_add_f32_e32 v29, v32, v29
	v_dual_mul_f32 v33, v33, v44 :: v_dual_lshlrev_b32 v36, 16, v61
	s_delay_alu instid0(VALU_DEP_2) | instskip(NEXT) | instid1(VALU_DEP_2)
	v_dual_add_f32 v29, v29, v35 :: v_dual_and_b32 v30, 0xffff0000, v62
	v_dual_fmac_f32 v33, v36, v24 :: v_dual_lshlrev_b32 v24, 16, v62
	v_and_b32_e32 v35, 0xffff0000, v59
	v_and_b32_e32 v32, 0xffff0000, v31
	s_delay_alu instid0(VALU_DEP_4) | instskip(NEXT) | instid1(VALU_DEP_1)
	v_dual_mul_f32 v30, v30, v45 :: v_dual_lshlrev_b32 v31, 16, v31
	v_fmac_f32_e32 v30, v24, v25
	s_delay_alu instid0(VALU_DEP_3)
	v_dual_mul_f32 v25, v35, v49 :: v_dual_mul_f32 v32, v32, v39
	v_lshlrev_b32_e32 v24, 16, v59
	s_waitcnt vmcnt(1)
	v_and_b32_e32 v35, 0xffff0000, v14
	v_lshlrev_b32_e32 v14, 16, v14
	v_dual_fmac_f32 v32, v31, v27 :: v_dual_add_f32 v31, v34, v33
	v_and_b32_e32 v33, 0xffff0000, v12
	v_fmac_f32_e32 v25, v24, v26
	s_delay_alu instid0(VALU_DEP_3) | instskip(NEXT) | instid1(VALU_DEP_4)
	v_dual_add_f32 v30, v31, v30 :: v_dual_and_b32 v31, 0xffff0000, v21
	v_add_f32_e32 v29, v29, v32
	v_and_b32_e32 v32, 0xffff0000, v20
	s_delay_alu instid0(VALU_DEP_3) | instskip(NEXT) | instid1(VALU_DEP_2)
	v_dual_add_f32 v25, v30, v25 :: v_dual_lshlrev_b32 v20, 16, v20
	v_mul_f32_e32 v24, v32, v33
	v_and_b32_e32 v32, 0xffff0000, v13
	v_lshlrev_b32_e32 v13, 16, v13
	v_lshlrev_b32_e32 v12, 16, v12
	s_delay_alu instid0(VALU_DEP_1) | instskip(NEXT) | instid1(VALU_DEP_4)
	v_fmac_f32_e32 v24, v20, v12
	v_dual_mul_f32 v21, v31, v32 :: v_dual_lshlrev_b32 v20, 16, v21
	s_delay_alu instid0(VALU_DEP_2) | instskip(NEXT) | instid1(VALU_DEP_2)
	v_dual_add_f32 v24, v28, v24 :: v_dual_and_b32 v31, 0xffff0000, v22
	v_dual_fmac_f32 v21, v20, v13 :: v_dual_and_b32 v28, 0xffff0000, v16
	v_lshlrev_b32_e32 v20, 16, v22
	s_delay_alu instid0(VALU_DEP_3) | instskip(NEXT) | instid1(VALU_DEP_3)
	v_mul_f32_e32 v22, v31, v35
	v_dual_add_f32 v21, v24, v21 :: v_dual_lshlrev_b32 v16, 16, v16
	v_and_b32_e32 v24, 0xffff0000, v23
	s_delay_alu instid0(VALU_DEP_3) | instskip(SKIP_3) | instid1(VALU_DEP_4)
	v_fmac_f32_e32 v22, v20, v14
	v_mul_f32_e32 v20, v28, v33
	v_and_b32_e32 v28, 0xffff0000, v15
	v_lshlrev_b32_e32 v15, 16, v15
	v_dual_add_f32 v21, v21, v22 :: v_dual_and_b32 v26, 0xffff0000, v60
	s_delay_alu instid0(VALU_DEP_4) | instskip(NEXT) | instid1(VALU_DEP_4)
	v_dual_fmac_f32 v20, v16, v12 :: v_dual_lshlrev_b32 v23, 16, v23
	v_mul_f32_e32 v24, v24, v28
	s_delay_alu instid0(VALU_DEP_3) | instskip(SKIP_1) | instid1(VALU_DEP_4)
	v_mul_f32_e32 v26, v26, v39
	v_lshlrev_b32_e32 v16, 16, v17
	v_add_f32_e32 v20, v29, v20
	v_lshlrev_b32_e32 v34, 16, v60
	v_fmac_f32_e32 v24, v23, v15
	v_and_b32_e32 v22, 0xffff0000, v57
	s_delay_alu instid0(VALU_DEP_3) | instskip(SKIP_1) | instid1(VALU_DEP_4)
	v_dual_fmac_f32 v26, v34, v27 :: v_dual_and_b32 v23, 0xffff0000, v58
	v_and_b32_e32 v27, 0xffff0000, v17
	v_add_f32_e32 v21, v21, v24
	v_lshlrev_b32_e32 v24, 16, v56
	s_delay_alu instid0(VALU_DEP_3) | instskip(SKIP_1) | instid1(VALU_DEP_2)
	v_mul_f32_e32 v17, v27, v32
	v_and_b32_e32 v27, 0xffff0000, v18
	v_dual_fmac_f32 v17, v16, v13 :: v_dual_lshlrev_b32 v16, 16, v18
	s_delay_alu instid0(VALU_DEP_1) | instskip(SKIP_1) | instid1(VALU_DEP_2)
	v_dual_mul_f32 v18, v27, v35 :: v_dual_add_f32 v17, v20, v17
	v_mul_f32_e32 v20, v22, v33
	v_fmac_f32_e32 v18, v16, v14
	v_lshlrev_b32_e32 v16, 16, v57
	s_delay_alu instid0(VALU_DEP_1) | instskip(SKIP_2) | instid1(VALU_DEP_1)
	v_fmac_f32_e32 v20, v16, v12
	v_lshlrev_b32_e32 v12, 16, v58
	v_dual_mul_f32 v16, v23, v32 :: v_dual_and_b32 v23, 0xffff0000, v55
	v_dual_fmac_f32 v16, v12, v13 :: v_dual_mul_f32 v13, v23, v35
	s_waitcnt vmcnt(0)
	v_dual_add_f32 v22, v25, v26 :: v_dual_and_b32 v23, 0xffff0000, v0
	v_lshlrev_b32_e32 v12, 16, v55
	v_lshlrev_b32_e32 v0, 16, v0
	v_and_b32_e32 v25, 0xffff0000, v2
	v_lshlrev_b32_e32 v2, 16, v2
	v_add_f32_e32 v20, v22, v20
	v_dual_fmac_f32 v13, v12, v14 :: v_dual_and_b32 v22, 0xffff0000, v8
	v_lshlrev_b32_e32 v8, 16, v8
	v_and_b32_e32 v14, 0xffff0000, v56
	s_delay_alu instid0(VALU_DEP_4) | instskip(NEXT) | instid1(VALU_DEP_4)
	v_add_f32_e32 v16, v20, v16
	v_mul_f32_e32 v12, v22, v23
	v_and_b32_e32 v20, 0xffff0000, v9
	v_and_b32_e32 v22, 0xffff0000, v1
	v_lshlrev_b32_e32 v1, 16, v1
	v_add_f32_e32 v13, v16, v13
	v_fmac_f32_e32 v12, v8, v0
	s_delay_alu instid0(VALU_DEP_4) | instskip(SKIP_2) | instid1(VALU_DEP_4)
	v_dual_mul_f32 v9, v20, v22 :: v_dual_lshlrev_b32 v8, 16, v9
	v_and_b32_e32 v20, 0xffff0000, v10
	v_mul_f32_e32 v14, v14, v28
	v_add_f32_e32 v12, v21, v12
	s_delay_alu instid0(VALU_DEP_4) | instskip(SKIP_3) | instid1(VALU_DEP_4)
	v_dual_fmac_f32 v9, v8, v1 :: v_dual_and_b32 v16, 0xffff0000, v54
	v_lshlrev_b32_e32 v8, 16, v10
	v_mul_f32_e32 v10, v20, v25
	v_fmac_f32_e32 v14, v24, v15
	v_add_f32_e32 v9, v12, v9
	s_delay_alu instid0(VALU_DEP_3) | instskip(NEXT) | instid1(VALU_DEP_3)
	v_fmac_f32_e32 v10, v8, v2
	v_dual_add_f32 v13, v13, v14 :: v_dual_and_b32 v8, 0xffff0000, v4
	v_lshlrev_b32_e32 v4, 16, v4
	s_delay_alu instid0(VALU_DEP_3)
	v_dual_add_f32 v9, v9, v10 :: v_dual_and_b32 v14, 0xffff0000, v5
	v_and_b32_e32 v10, 0xffff0000, v11
	v_lshlrev_b32_e32 v11, 16, v11
	v_dual_add_f32 v17, v17, v18 :: v_dual_and_b32 v18, 0xffff0000, v19
	v_lshlrev_b32_e32 v19, 16, v19
	v_mul_f32_e32 v8, v8, v23
	s_delay_alu instid0(VALU_DEP_3) | instskip(NEXT) | instid1(VALU_DEP_2)
	v_mul_f32_e32 v18, v18, v28
	v_fmac_f32_e32 v8, v4, v0
	v_dual_mul_f32 v5, v14, v22 :: v_dual_lshlrev_b32 v4, 16, v5
	s_delay_alu instid0(VALU_DEP_3) | instskip(SKIP_3) | instid1(VALU_DEP_4)
	v_fmac_f32_e32 v18, v19, v15
	v_and_b32_e32 v14, 0xffff0000, v53
	v_and_b32_e32 v15, 0xffff0000, v3
	v_lshlrev_b32_e32 v3, 16, v3
	v_dual_fmac_f32 v5, v4, v1 :: v_dual_add_f32 v12, v17, v18
	v_and_b32_e32 v4, 0xffff0000, v6
	v_mul_f32_e32 v14, v14, v23
	v_lshlrev_b32_e32 v6, 16, v6
	v_mul_f32_e32 v10, v10, v15
	v_add_f32_e32 v8, v12, v8
	v_lshlrev_b32_e32 v12, 16, v53
	v_mul_f32_e32 v4, v4, v25
	s_delay_alu instid0(VALU_DEP_3) | instskip(NEXT) | instid1(VALU_DEP_3)
	v_dual_fmac_f32 v10, v11, v3 :: v_dual_add_f32 v5, v8, v5
	v_fmac_f32_e32 v14, v12, v0
	v_lshlrev_b32_e32 v0, 16, v54
	v_mul_f32_e32 v8, v16, v22
	v_fmac_f32_e32 v4, v6, v2
	v_and_b32_e32 v6, 0xffff0000, v51
	v_dual_add_f32 v13, v13, v14 :: v_dual_and_b32 v12, 0xffff0000, v7
	s_delay_alu instid0(VALU_DEP_4) | instskip(NEXT) | instid1(VALU_DEP_3)
	v_fmac_f32_e32 v8, v0, v1
	v_dual_mul_f32 v1, v6, v25 :: v_dual_lshlrev_b32 v0, 16, v51
	v_lshlrev_b32_e32 v6, 16, v7
	s_delay_alu instid0(VALU_DEP_4) | instskip(NEXT) | instid1(VALU_DEP_3)
	v_dual_mul_f32 v12, v12, v15 :: v_dual_and_b32 v7, 0xffff0000, v52
	v_dual_add_f32 v8, v13, v8 :: v_dual_fmac_f32 v1, v0, v2
	v_lshlrev_b32_e32 v0, 16, v52
	s_delay_alu instid0(VALU_DEP_3) | instskip(SKIP_1) | instid1(VALU_DEP_4)
	v_mul_f32_e32 v2, v7, v15
	v_add_f32_e32 v4, v5, v4
	v_dual_fmac_f32 v12, v6, v3 :: v_dual_add_f32 v1, v8, v1
	v_add_f32_e32 v76, v9, v10
	s_delay_alu instid0(VALU_DEP_4) | instskip(NEXT) | instid1(VALU_DEP_1)
	v_fmac_f32_e32 v2, v0, v3
	v_dual_add_f32 v75, v4, v12 :: v_dual_add_f32 v74, v1, v2
	s_cbranch_scc1 .LBB233_19
.LBB233_14:                             ;   Parent Loop BB233_8 Depth=1
                                        ; =>  This Inner Loop Header: Depth=2
	v_dual_mov_b32 v51, 0 :: v_dual_add_nc_u32 v8, s21, v67
	v_mov_b32_e32 v54, 0
	v_dual_mov_b32 v10, 0 :: v_dual_mov_b32 v55, 0
	s_delay_alu instid0(VALU_DEP_3) | instskip(SKIP_3) | instid1(VALU_DEP_4)
	v_min_u32_e32 v49, s15, v8
	v_dual_mov_b32 v53, 0 :: v_dual_add_nc_u32 v80, 0x200, v8
	v_add_nc_u32_e32 v78, 0x400, v8
	v_dual_mov_b32 v52, 0 :: v_dual_add_nc_u32 v77, 0x600, v8
	v_lshlrev_b64 v[0:1], 1, v[49:50]
	s_delay_alu instid0(VALU_DEP_4) | instskip(SKIP_2) | instid1(VALU_DEP_3)
	v_min_u32_e32 v49, s15, v80
	v_dual_mov_b32 v56, 0 :: v_dual_mov_b32 v19, 0
	v_dual_mov_b32 v58, 0 :: v_dual_mov_b32 v17, 0
	v_lshlrev_b64 v[2:3], 1, v[49:50]
	v_min_u32_e32 v49, s15, v78
	v_add_co_u32 v0, vcc_lo, v72, v0
	v_add_co_ci_u32_e32 v1, vcc_lo, v73, v1, vcc_lo
	s_delay_alu instid0(VALU_DEP_3) | instskip(SKIP_3) | instid1(VALU_DEP_3)
	v_lshlrev_b64 v[4:5], 1, v[49:50]
	v_min_u32_e32 v49, s15, v77
	v_add_co_u32 v2, vcc_lo, v72, v2
	v_add_co_ci_u32_e32 v3, vcc_lo, v73, v3, vcc_lo
	v_lshlrev_b64 v[6:7], 1, v[49:50]
	v_add_co_u32 v4, vcc_lo, v72, v4
	v_add_co_ci_u32_e32 v5, vcc_lo, v73, v5, vcc_lo
	v_mov_b32_e32 v57, 0
	s_delay_alu instid0(VALU_DEP_4)
	v_add_co_u32 v6, vcc_lo, v72, v6
	v_add_co_ci_u32_e32 v7, vcc_lo, v73, v7, vcc_lo
	s_clause 0x3
	global_load_b128 v[36:39], v[0:1], off slc dlc
	global_load_b128 v[24:27], v[2:3], off slc dlc
	;; [unrolled: 1-line block ×4, first 2 shown]
	v_cmp_gt_u32_e32 vcc_lo, s4, v8
	v_dual_mov_b32 v7, 0 :: v_dual_mov_b32 v6, 0
	v_mov_b32_e32 v11, 0
	v_dual_mov_b32 v5, 0 :: v_dual_mov_b32 v4, 0
	v_dual_mov_b32 v9, 0 :: v_dual_mov_b32 v8, 0
	;; [unrolled: 1-line block ×16, first 2 shown]
	v_mov_b32_e32 v46, 0
	v_mov_b32_e32 v44, 0
	s_and_saveexec_b32 s22, vcc_lo
	s_cbranch_execz .LBB233_13
; %bb.15:                               ;   in Loop: Header=BB233_14 Depth=2
	v_dual_mov_b32 v32, 0 :: v_dual_add_nc_u32 v49, s6, v71
	v_dual_mov_b32 v34, 0 :: v_dual_add_nc_u32 v79, s17, v71
	v_cmp_gt_u32_e32 vcc_lo, s4, v80
	ds_load_b128 v[40:43], v49
	ds_load_2addr_b32 v[65:66], v79 offset1:1
	ds_load_b128 v[44:47], v71
	ds_load_2addr_b32 v[63:64], v79 offset0:2 offset1:3
	v_dual_mov_b32 v33, 0 :: v_dual_mov_b32 v28, 0
	v_dual_mov_b32 v35, 0 :: v_dual_mov_b32 v30, 0
	;; [unrolled: 1-line block ×16, first 2 shown]
	v_mov_b32_e32 v53, 0
	v_mov_b32_e32 v51, 0
	s_and_saveexec_b32 s23, vcc_lo
	s_cbranch_execz .LBB233_12
; %bb.16:                               ;   in Loop: Header=BB233_14 Depth=2
	v_dual_mov_b32 v21, 0 :: v_dual_add_nc_u32 v4, 0x400, v79
	v_dual_mov_b32 v20, 0 :: v_dual_add_nc_u32 v5, 0x408, v79
	ds_load_b128 v[28:31], v49 offset:1024
	ds_load_2addr_b32 v[61:62], v4 offset1:1
	ds_load_b128 v[32:35], v71 offset:1024
	ds_load_2addr_b32 v[59:60], v5 offset1:1
	v_cmp_gt_u32_e32 vcc_lo, s4, v78
	v_dual_mov_b32 v22, 0 :: v_dual_mov_b32 v23, 0
	v_dual_mov_b32 v16, 0 :: v_dual_mov_b32 v17, 0
	;; [unrolled: 1-line block ×11, first 2 shown]
	s_and_saveexec_b32 s24, vcc_lo
	s_cbranch_execz .LBB233_11
; %bb.17:                               ;   in Loop: Header=BB233_14 Depth=2
	v_dual_mov_b32 v9, 0 :: v_dual_add_nc_u32 v4, 0x800, v79
	v_dual_mov_b32 v8, 0 :: v_dual_add_nc_u32 v5, 0x808, v79
	ds_load_b128 v[16:19], v49 offset:2048
	ds_load_2addr_b32 v[57:58], v4 offset1:1
	ds_load_b128 v[20:23], v71 offset:2048
	ds_load_2addr_b32 v[55:56], v5 offset1:1
	v_dual_mov_b32 v10, 0 :: v_dual_mov_b32 v11, 0
	v_dual_mov_b32 v4, 0 :: v_dual_mov_b32 v5, 0
	;; [unrolled: 1-line block ×5, first 2 shown]
	s_mov_b32 s25, exec_lo
	v_cmpx_gt_u32_e64 s4, v77
	s_cbranch_execz .LBB233_10
; %bb.18:                               ;   in Loop: Header=BB233_14 Depth=2
	v_add_nc_u32_e32 v8, 0xc00, v79
	v_add_nc_u32_e32 v51, 0xc08, v79
	ds_load_b128 v[4:7], v49 offset:3072
	ds_load_2addr_b32 v[53:54], v8 offset1:1
	ds_load_b128 v[8:11], v71 offset:3072
	ds_load_2addr_b32 v[51:52], v51 offset1:1
	s_branch .LBB233_10
.LBB233_19:                             ;   in Loop: Header=BB233_8 Depth=1
	; sched_barrier mask(0x00000000)
	s_delay_alu instid0(VALU_DEP_1) | instskip(SKIP_1) | instid1(VALU_DEP_2)
	v_cvt_i32_f32_e32 v0, v76
	s_waitcnt lgkmcnt(0)
	v_cvt_i32_f32_e32 v1, v75
	v_cvt_i32_f32_e32 v2, v74
	s_delay_alu instid0(VALU_DEP_3) | instskip(NEXT) | instid1(VALU_DEP_3)
	v_cvt_f32_i32_dpp v0, v0 row_shr:8 row_mask:0xf bank_mask:0xf bound_ctrl:1
	v_cvt_f32_i32_dpp v1, v1 row_shr:8 row_mask:0xf bank_mask:0xf bound_ctrl:1
	s_delay_alu instid0(VALU_DEP_3) | instskip(NEXT) | instid1(VALU_DEP_2)
	v_cvt_f32_i32_dpp v2, v2 row_shr:8 row_mask:0xf bank_mask:0xf bound_ctrl:1
	v_dual_add_f32 v0, v76, v0 :: v_dual_add_f32 v1, v75, v1
	s_delay_alu instid0(VALU_DEP_1) | instskip(NEXT) | instid1(VALU_DEP_2)
	v_cvt_i32_f32_e32 v3, v0
	v_cvt_i32_f32_e32 v4, v1
	s_delay_alu instid0(VALU_DEP_2) | instskip(NEXT) | instid1(VALU_DEP_2)
	v_cvt_f32_i32_dpp v3, v3 row_shr:4 row_mask:0xf bank_mask:0xf bound_ctrl:1
	v_cvt_f32_i32_dpp v4, v4 row_shr:4 row_mask:0xf bank_mask:0xf bound_ctrl:1
	s_delay_alu instid0(VALU_DEP_1) | instskip(NEXT) | instid1(VALU_DEP_1)
	v_dual_add_f32 v2, v74, v2 :: v_dual_add_f32 v1, v1, v4
	v_cvt_i32_f32_e32 v5, v2
	s_delay_alu instid0(VALU_DEP_2) | instskip(NEXT) | instid1(VALU_DEP_2)
	v_cvt_i32_f32_e32 v4, v1
	v_cvt_f32_i32_dpp v5, v5 row_shr:4 row_mask:0xf bank_mask:0xf bound_ctrl:1
	s_delay_alu instid0(VALU_DEP_2) | instskip(SKIP_1) | instid1(VALU_DEP_2)
	v_cvt_f32_i32_dpp v4, v4 row_shr:2 row_mask:0xf bank_mask:0xf bound_ctrl:1
	v_add_f32_e32 v0, v0, v3
	v_dual_add_f32 v2, v2, v5 :: v_dual_add_f32 v1, v1, v4
	s_delay_alu instid0(VALU_DEP_2) | instskip(NEXT) | instid1(VALU_DEP_2)
	v_cvt_i32_f32_e32 v3, v0
	v_cvt_i32_f32_e32 v5, v2
	s_delay_alu instid0(VALU_DEP_3) | instskip(NEXT) | instid1(VALU_DEP_3)
	v_cvt_i32_f32_e32 v4, v1
	v_cvt_f32_i32_dpp v3, v3 row_shr:2 row_mask:0xf bank_mask:0xf bound_ctrl:1
	s_delay_alu instid0(VALU_DEP_3) | instskip(NEXT) | instid1(VALU_DEP_3)
	v_cvt_f32_i32_dpp v5, v5 row_shr:2 row_mask:0xf bank_mask:0xf bound_ctrl:1
	v_cvt_f32_i32_dpp v4, v4 row_shr:1 row_mask:0xf bank_mask:0xf bound_ctrl:1
	s_delay_alu instid0(VALU_DEP_2) | instskip(NEXT) | instid1(VALU_DEP_1)
	v_dual_add_f32 v0, v0, v3 :: v_dual_add_f32 v3, v2, v5
	v_cvt_i32_f32_e32 v2, v0
	s_delay_alu instid0(VALU_DEP_2) | instskip(NEXT) | instid1(VALU_DEP_2)
	v_cvt_i32_f32_e32 v5, v3
	v_cvt_f32_i32_dpp v2, v2 row_shr:1 row_mask:0xf bank_mask:0xf bound_ctrl:1
	s_delay_alu instid0(VALU_DEP_2) | instskip(NEXT) | instid1(VALU_DEP_2)
	v_cvt_f32_i32_dpp v6, v5 row_shr:1 row_mask:0xf bank_mask:0xf bound_ctrl:1
	v_dual_add_f32 v5, v0, v2 :: v_dual_add_f32 v2, v1, v4
	s_delay_alu instid0(VALU_DEP_2)
	v_add_f32_e32 v0, v3, v6
	ds_bpermute_b32 v6, v69, v5
	ds_bpermute_b32 v3, v69, v2
	;; [unrolled: 1-line block ×3, first 2 shown]
	s_and_saveexec_b32 s21, s0
	s_cbranch_execz .LBB233_7
; %bb.20:                               ;   in Loop: Header=BB233_8 Depth=1
	v_dual_mov_b32 v8, 0 :: v_dual_mov_b32 v7, 0
	v_mov_b32_e32 v4, 0
	s_and_not1_b32 vcc_lo, exec_lo, s19
	s_cbranch_vccnz .LBB233_22
; %bb.21:                               ;   in Loop: Header=BB233_8 Depth=1
	v_mul_hi_u32 v4, v48, v70
	v_mov_b32_e32 v8, v50
	s_delay_alu instid0(VALU_DEP_2) | instskip(NEXT) | instid1(VALU_DEP_1)
	v_mul_lo_u32 v4, v4, s8
	v_sub_nc_u32_e32 v4, v48, v4
	s_delay_alu instid0(VALU_DEP_1) | instskip(SKIP_1) | instid1(VALU_DEP_2)
	v_subrev_nc_u32_e32 v7, s8, v4
	v_cmp_le_u32_e32 vcc_lo, s8, v4
	v_cndmask_b32_e32 v4, v4, v7, vcc_lo
	s_delay_alu instid0(VALU_DEP_1) | instskip(SKIP_1) | instid1(VALU_DEP_2)
	v_subrev_nc_u32_e32 v7, s8, v4
	v_cmp_le_u32_e32 vcc_lo, s8, v4
	v_cndmask_b32_e32 v49, v4, v7, vcc_lo
	s_delay_alu instid0(VALU_DEP_1) | instskip(SKIP_2) | instid1(VALU_DEP_3)
	v_add_nc_u32_e32 v7, s16, v49
	v_lshlrev_b64 v[9:10], 1, v[49:50]
	v_add_nc_u32_e32 v49, s20, v49
	v_lshlrev_b64 v[7:8], 1, v[7:8]
	s_delay_alu instid0(VALU_DEP_2) | instskip(NEXT) | instid1(VALU_DEP_4)
	v_lshlrev_b64 v[11:12], 1, v[49:50]
	v_add_co_u32 v9, vcc_lo, s10, v9
	v_add_co_ci_u32_e32 v10, vcc_lo, s11, v10, vcc_lo
	s_delay_alu instid0(VALU_DEP_4)
	v_add_co_u32 v13, vcc_lo, s10, v7
	v_add_co_ci_u32_e32 v14, vcc_lo, s11, v8, vcc_lo
	v_add_co_u32 v11, vcc_lo, s10, v11
	v_add_co_ci_u32_e32 v12, vcc_lo, s11, v12, vcc_lo
	s_clause 0x2
	global_load_u16 v8, v[9:10], off
	global_load_u16 v7, v[13:14], off
	;; [unrolled: 1-line block ×3, first 2 shown]
.LBB233_22:                             ;   in Loop: Header=BB233_8 Depth=1
	s_waitcnt vmcnt(2) lgkmcnt(0)
	v_dual_add_f32 v5, v5, v6 :: v_dual_lshlrev_b32 v6, 16, v8
	s_delay_alu instid0(VALU_DEP_1) | instskip(NEXT) | instid1(VALU_DEP_1)
	v_add_f32_e32 v6, v5, v6
	v_and_b32_e32 v5, 0x7f800000, v6
	s_delay_alu instid0(VALU_DEP_1) | instskip(SKIP_1) | instid1(SALU_CYCLE_1)
	v_cmp_ne_u32_e32 vcc_lo, 0x7f800000, v5
                                        ; implicit-def: $vgpr5
	s_and_saveexec_b32 s22, vcc_lo
	s_xor_b32 s22, exec_lo, s22
; %bb.23:                               ;   in Loop: Header=BB233_8 Depth=1
	v_bfe_u32 v5, v6, 16, 1
	s_delay_alu instid0(VALU_DEP_1)
	v_add3_u32 v5, v6, v5, 0x7fff
                                        ; implicit-def: $vgpr6
; %bb.24:                               ;   in Loop: Header=BB233_8 Depth=1
	s_and_not1_saveexec_b32 s22, s22
; %bb.25:                               ;   in Loop: Header=BB233_8 Depth=1
	v_and_b32_e32 v5, 0xffff, v6
	v_or_b32_e32 v8, 0x10000, v6
	s_delay_alu instid0(VALU_DEP_2) | instskip(NEXT) | instid1(VALU_DEP_2)
	v_cmp_eq_u32_e32 vcc_lo, 0, v5
	v_cndmask_b32_e32 v5, v8, v6, vcc_lo
; %bb.26:                               ;   in Loop: Header=BB233_8 Depth=1
	s_or_b32 exec_lo, exec_lo, s22
	v_add_f32_e32 v2, v2, v3
	s_waitcnt vmcnt(1)
	v_lshlrev_b32_e32 v3, 16, v7
	s_delay_alu instid0(VALU_DEP_1) | instskip(NEXT) | instid1(VALU_DEP_1)
	v_add_f32_e32 v3, v2, v3
	v_dual_mov_b32 v49, v50 :: v_dual_and_b32 v2, 0x7f800000, v3
	s_delay_alu instid0(VALU_DEP_1) | instskip(NEXT) | instid1(VALU_DEP_1)
	v_lshlrev_b64 v[6:7], 1, v[48:49]
	v_add_co_u32 v6, vcc_lo, s12, v6
	s_delay_alu instid0(VALU_DEP_2) | instskip(NEXT) | instid1(VALU_DEP_4)
	v_add_co_ci_u32_e32 v7, vcc_lo, s13, v7, vcc_lo
	v_cmp_ne_u32_e32 vcc_lo, 0x7f800000, v2
                                        ; implicit-def: $vgpr2
	global_store_d16_hi_b16 v[6:7], v5, off
	s_and_saveexec_b32 s22, vcc_lo
	s_delay_alu instid0(SALU_CYCLE_1)
	s_xor_b32 s22, exec_lo, s22
; %bb.27:                               ;   in Loop: Header=BB233_8 Depth=1
	v_bfe_u32 v2, v3, 16, 1
	s_delay_alu instid0(VALU_DEP_1)
	v_add3_u32 v2, v3, v2, 0x7fff
                                        ; implicit-def: $vgpr3
; %bb.28:                               ;   in Loop: Header=BB233_8 Depth=1
	s_and_not1_saveexec_b32 s22, s22
; %bb.29:                               ;   in Loop: Header=BB233_8 Depth=1
	v_and_b32_e32 v2, 0xffff, v3
	v_or_b32_e32 v5, 0x10000, v3
	s_delay_alu instid0(VALU_DEP_2) | instskip(NEXT) | instid1(VALU_DEP_2)
	v_cmp_eq_u32_e32 vcc_lo, 0, v2
	v_cndmask_b32_e32 v2, v5, v3, vcc_lo
; %bb.30:                               ;   in Loop: Header=BB233_8 Depth=1
	s_or_b32 exec_lo, exec_lo, s22
	s_waitcnt vmcnt(0)
	v_dual_add_f32 v0, v0, v1 :: v_dual_lshlrev_b32 v1, 16, v4
	v_add_nc_u32_e32 v49, s7, v48
	s_delay_alu instid0(VALU_DEP_2) | instskip(NEXT) | instid1(VALU_DEP_2)
	v_add_f32_e32 v1, v0, v1
	v_lshlrev_b64 v[3:4], 1, v[49:50]
	s_delay_alu instid0(VALU_DEP_2) | instskip(NEXT) | instid1(VALU_DEP_2)
	v_and_b32_e32 v0, 0x7f800000, v1
	v_add_co_u32 v3, vcc_lo, s12, v3
	s_delay_alu instid0(VALU_DEP_3) | instskip(NEXT) | instid1(VALU_DEP_3)
	v_add_co_ci_u32_e32 v4, vcc_lo, s13, v4, vcc_lo
	v_cmp_ne_u32_e32 vcc_lo, 0x7f800000, v0
                                        ; implicit-def: $vgpr0
	global_store_d16_hi_b16 v[3:4], v2, off
	s_and_saveexec_b32 s22, vcc_lo
	s_delay_alu instid0(SALU_CYCLE_1)
	s_xor_b32 s22, exec_lo, s22
; %bb.31:                               ;   in Loop: Header=BB233_8 Depth=1
	v_bfe_u32 v0, v1, 16, 1
	s_delay_alu instid0(VALU_DEP_1)
	v_add3_u32 v0, v1, v0, 0x7fff
                                        ; implicit-def: $vgpr1
; %bb.32:                               ;   in Loop: Header=BB233_8 Depth=1
	s_and_not1_saveexec_b32 s22, s22
	s_cbranch_execz .LBB233_6
; %bb.33:                               ;   in Loop: Header=BB233_8 Depth=1
	v_and_b32_e32 v0, 0xffff, v1
	v_or_b32_e32 v2, 0x10000, v1
	s_delay_alu instid0(VALU_DEP_2) | instskip(NEXT) | instid1(VALU_DEP_2)
	v_cmp_eq_u32_e32 vcc_lo, 0, v0
	v_cndmask_b32_e32 v0, v2, v1, vcc_lo
	s_branch .LBB233_6
.LBB233_34:
	s_nop 0
	s_sendmsg sendmsg(MSG_DEALLOC_VGPRS)
	s_endpgm
	.section	.rodata,"a",@progbits
	.p2align	6, 0x0
	.amdhsa_kernel _Z16wvSplitK_hf_sml_I14__hip_bfloat16Li64ELi1ELi16ELi8ELi4ELi3EEviiiiiiPKT_S3_S3_PS1_ii
		.amdhsa_group_segment_fixed_size 65536
		.amdhsa_private_segment_fixed_size 0
		.amdhsa_kernarg_size 64
		.amdhsa_user_sgpr_count 15
		.amdhsa_user_sgpr_dispatch_ptr 0
		.amdhsa_user_sgpr_queue_ptr 0
		.amdhsa_user_sgpr_kernarg_segment_ptr 1
		.amdhsa_user_sgpr_dispatch_id 0
		.amdhsa_user_sgpr_private_segment_size 0
		.amdhsa_wavefront_size32 1
		.amdhsa_uses_dynamic_stack 0
		.amdhsa_enable_private_segment 0
		.amdhsa_system_sgpr_workgroup_id_x 1
		.amdhsa_system_sgpr_workgroup_id_y 0
		.amdhsa_system_sgpr_workgroup_id_z 0
		.amdhsa_system_sgpr_workgroup_info 0
		.amdhsa_system_vgpr_workitem_id 1
		.amdhsa_next_free_vgpr 81
		.amdhsa_next_free_sgpr 26
		.amdhsa_reserve_vcc 1
		.amdhsa_float_round_mode_32 0
		.amdhsa_float_round_mode_16_64 0
		.amdhsa_float_denorm_mode_32 3
		.amdhsa_float_denorm_mode_16_64 3
		.amdhsa_dx10_clamp 1
		.amdhsa_ieee_mode 1
		.amdhsa_fp16_overflow 0
		.amdhsa_workgroup_processor_mode 1
		.amdhsa_memory_ordered 1
		.amdhsa_forward_progress 0
		.amdhsa_shared_vgpr_count 0
		.amdhsa_exception_fp_ieee_invalid_op 0
		.amdhsa_exception_fp_denorm_src 0
		.amdhsa_exception_fp_ieee_div_zero 0
		.amdhsa_exception_fp_ieee_overflow 0
		.amdhsa_exception_fp_ieee_underflow 0
		.amdhsa_exception_fp_ieee_inexact 0
		.amdhsa_exception_int_div_zero 0
	.end_amdhsa_kernel
	.section	.text._Z16wvSplitK_hf_sml_I14__hip_bfloat16Li64ELi1ELi16ELi8ELi4ELi3EEviiiiiiPKT_S3_S3_PS1_ii,"axG",@progbits,_Z16wvSplitK_hf_sml_I14__hip_bfloat16Li64ELi1ELi16ELi8ELi4ELi3EEviiiiiiPKT_S3_S3_PS1_ii,comdat
.Lfunc_end233:
	.size	_Z16wvSplitK_hf_sml_I14__hip_bfloat16Li64ELi1ELi16ELi8ELi4ELi3EEviiiiiiPKT_S3_S3_PS1_ii, .Lfunc_end233-_Z16wvSplitK_hf_sml_I14__hip_bfloat16Li64ELi1ELi16ELi8ELi4ELi3EEviiiiiiPKT_S3_S3_PS1_ii
                                        ; -- End function
	.section	.AMDGPU.csdata,"",@progbits
; Kernel info:
; codeLenInByte = 4156
; NumSgprs: 28
; NumVgprs: 81
; ScratchSize: 0
; MemoryBound: 0
; FloatMode: 240
; IeeeMode: 1
; LDSByteSize: 65536 bytes/workgroup (compile time only)
; SGPRBlocks: 3
; VGPRBlocks: 10
; NumSGPRsForWavesPerEU: 28
; NumVGPRsForWavesPerEU: 81
; Occupancy: 16
; WaveLimiterHint : 0
; COMPUTE_PGM_RSRC2:SCRATCH_EN: 0
; COMPUTE_PGM_RSRC2:USER_SGPR: 15
; COMPUTE_PGM_RSRC2:TRAP_HANDLER: 0
; COMPUTE_PGM_RSRC2:TGID_X_EN: 1
; COMPUTE_PGM_RSRC2:TGID_Y_EN: 0
; COMPUTE_PGM_RSRC2:TGID_Z_EN: 0
; COMPUTE_PGM_RSRC2:TIDIG_COMP_CNT: 1
	.section	.text._Z12wvSplitK_hf_I14__hip_bfloat16Li64ELi1ELi16ELi8ELi4ELi3EEviiiiiiPKT_S3_S3_PS1_ii,"axG",@progbits,_Z12wvSplitK_hf_I14__hip_bfloat16Li64ELi1ELi16ELi8ELi4ELi3EEviiiiiiPKT_S3_S3_PS1_ii,comdat
	.protected	_Z12wvSplitK_hf_I14__hip_bfloat16Li64ELi1ELi16ELi8ELi4ELi3EEviiiiiiPKT_S3_S3_PS1_ii ; -- Begin function _Z12wvSplitK_hf_I14__hip_bfloat16Li64ELi1ELi16ELi8ELi4ELi3EEviiiiiiPKT_S3_S3_PS1_ii
	.globl	_Z12wvSplitK_hf_I14__hip_bfloat16Li64ELi1ELi16ELi8ELi4ELi3EEviiiiiiPKT_S3_S3_PS1_ii
	.p2align	8
	.type	_Z12wvSplitK_hf_I14__hip_bfloat16Li64ELi1ELi16ELi8ELi4ELi3EEviiiiiiPKT_S3_S3_PS1_ii,@function
_Z12wvSplitK_hf_I14__hip_bfloat16Li64ELi1ELi16ELi8ELi4ELi3EEviiiiiiPKT_S3_S3_PS1_ii: ; @_Z12wvSplitK_hf_I14__hip_bfloat16Li64ELi1ELi16ELi8ELi4ELi3EEviiiiiiPKT_S3_S3_PS1_ii
; %bb.0:
	s_clause 0x1
	s_load_b64 s[18:19], s[0:1], 0x38
	s_load_b128 s[4:7], s[0:1], 0x0
	v_bfe_u32 v1, v0, 10, 10
	s_clause 0x1
	s_load_b64 s[8:9], s[0:1], 0x20
	s_load_b64 s[10:11], s[0:1], 0x10
	v_mov_b32_e32 v74, 1
	s_waitcnt lgkmcnt(0)
	v_mad_u64_u32 v[64:65], null, s15, s18, v[1:2]
	s_delay_alu instid0(VALU_DEP_1) | instskip(SKIP_1) | instid1(VALU_DEP_2)
	v_add_nc_u32_e32 v2, 1, v64
	v_cmp_gt_u32_e32 vcc_lo, s7, v64
	v_cmp_le_u32_e64 s2, s7, v2
	s_delay_alu instid0(VALU_DEP_1) | instskip(NEXT) | instid1(SALU_CYCLE_1)
	s_and_b32 s3, vcc_lo, s2
	s_and_saveexec_b32 s2, s3
; %bb.1:
	v_subrev_nc_u32_e32 v2, s7, v64
	s_add_i32 s3, s7, -1
	s_delay_alu instid0(SALU_CYCLE_1) | instskip(NEXT) | instid1(VALU_DEP_2)
	v_mov_b32_e32 v64, s3
	v_cmp_eq_u32_e32 vcc_lo, -1, v2
	v_cndmask_b32_e64 v74, 0, 1, vcc_lo
; %bb.2:
	s_or_b32 exec_lo, exec_lo, s2
	s_load_b64 s[12:13], s[0:1], 0x28
	v_and_b32_e32 v0, 0x3ff, v0
	s_mul_i32 s2, s6, 3
	s_mov_b32 s14, exec_lo
	s_min_u32 s3, s2, 0x8000
	s_delay_alu instid0(VALU_DEP_1) | instskip(NEXT) | instid1(VALU_DEP_1)
	v_lshlrev_b32_e32 v75, 3, v0
	v_lshl_add_u32 v4, v1, 9, v75
	s_delay_alu instid0(VALU_DEP_1)
	v_cmpx_gt_u32_e64 s3, v4
	s_cbranch_execz .LBB234_5
; %bb.3:
	v_lshlrev_b32_e32 v5, 10, v1
	v_lshlrev_b32_e32 v6, 4, v0
	s_mov_b32 s15, 0
	s_delay_alu instid0(VALU_DEP_1) | instskip(NEXT) | instid1(VALU_DEP_1)
	v_add_co_u32 v2, s2, v5, v6
	v_add_co_ci_u32_e64 v3, null, 0, 0, s2
	v_add_nc_u32_e32 v5, v5, v6
	s_delay_alu instid0(VALU_DEP_3) | instskip(NEXT) | instid1(VALU_DEP_3)
	v_add_co_u32 v2, vcc_lo, s8, v2
	v_add_co_ci_u32_e32 v3, vcc_lo, s9, v3, vcc_lo
	.p2align	6
.LBB234_4:                              ; =>This Inner Loop Header: Depth=1
	global_load_b128 v[6:9], v[2:3], off
	v_add_nc_u32_e32 v4, 0x2000, v4
	v_add_co_u32 v2, vcc_lo, 0x4000, v2
	v_add_co_ci_u32_e32 v3, vcc_lo, 0, v3, vcc_lo
	s_delay_alu instid0(VALU_DEP_3) | instskip(NEXT) | instid1(VALU_DEP_1)
	v_cmp_le_u32_e64 s2, s3, v4
	s_or_b32 s15, s2, s15
	s_waitcnt vmcnt(0)
	ds_store_b128 v5, v[6:9]
	v_add_nc_u32_e32 v5, 0x4000, v5
	s_and_not1_b32 exec_lo, exec_lo, s15
	s_cbranch_execnz .LBB234_4
.LBB234_5:
	s_or_b32 exec_lo, exec_lo, s14
	v_cmp_gt_u32_e32 vcc_lo, s18, v1
	v_cmp_gt_u32_e64 s2, s7, v64
	s_waitcnt lgkmcnt(0)
	s_barrier
	buffer_gl0_inv
	s_and_b32 s2, vcc_lo, s2
	s_delay_alu instid0(SALU_CYCLE_1)
	s_and_saveexec_b32 s3, s2
	s_cbranch_execz .LBB234_84
; %bb.6:
	s_cmp_lg_u32 s4, 0
	v_mbcnt_lo_u32_b32 v2, -1, 0
	s_cselect_b32 s3, -1, 0
	s_add_i32 s20, s4, -8
	s_add_i32 s21, s7, -1
	s_cmp_lg_u64 s[12:13], 0
	v_cvt_f32_u32_e32 v3, s10
	s_cselect_b32 s22, -1, 0
	s_abs_i32 s2, s11
	s_clause 0x1
	s_load_b64 s[14:15], s[0:1], 0x18
	s_load_b64 s[16:17], s[0:1], 0x30
	v_cvt_f32_u32_e32 v1, s2
	v_rcp_iflag_f32_e32 v3, v3
	s_sub_i32 s25, 0, s2
	v_cmp_eq_u32_e64 s0, 63, v0
	s_mul_i32 s18, s19, s18
	v_rcp_iflag_f32_e32 v1, v1
	s_sub_i32 s23, s18, s7
	s_lshl_b32 s19, s6, 1
	s_sub_i32 s24, 0, s10
	s_add_i32 s23, s23, 2
	s_sub_i32 s26, 1, s2
	v_dual_mov_b32 v66, 0 :: v_dual_add_nc_u32 v77, s6, v75
	v_add_nc_u32_e32 v78, s19, v75
	s_mov_b32 s11, 0
	s_waitcnt_depctr 0xfff
	v_mul_f32_e32 v1, 0x4f7ffffe, v1
	s_delay_alu instid0(VALU_DEP_1) | instskip(NEXT) | instid1(VALU_DEP_1)
	v_cvt_u32_f32_e32 v1, v1
	v_readfirstlane_b32 s1, v1
	v_xor_b32_e32 v1, 16, v2
	s_delay_alu instid0(VALU_DEP_2) | instskip(NEXT) | instid1(VALU_DEP_1)
	s_mul_i32 s25, s25, s1
	v_cmp_gt_i32_e32 vcc_lo, 32, v1
	v_lshlrev_b32_e32 v76, 4, v0
	s_mul_hi_u32 s25, s1, s25
	s_delay_alu instid0(SALU_CYCLE_1) | instskip(SKIP_3) | instid1(VALU_DEP_1)
	s_add_i32 s1, s1, s25
	v_dual_cndmask_b32 v1, v2, v1 :: v_dual_mul_f32 v0, 0x4f7ffffe, v3
	s_cmp_lt_u32 s2, 2
	s_cselect_b32 s25, s26, 1
	v_lshlrev_b32_e32 v79, 2, v1
	s_delay_alu instid0(VALU_DEP_2) | instskip(SKIP_2) | instid1(VALU_DEP_1)
	v_cvt_u32_f32_e32 v0, v0
	s_sub_i32 s26, s25, s2
	s_cmp_ge_u32 s25, s2
	v_mul_lo_u32 v3, s24, v0
	s_cselect_b32 s24, s26, s25
	s_lshr_b32 s1, s1, 31
	s_mul_i32 s24, s24, s10
	s_mul_i32 s1, s1, s2
	s_delay_alu instid0(SALU_CYCLE_1) | instskip(NEXT) | instid1(VALU_DEP_1)
	s_sub_i32 s1, 2, s1
	v_mul_hi_u32 v2, v0, v3
	s_sub_i32 s25, s1, s2
	s_cmp_ge_u32 s1, s2
	s_cselect_b32 s1, s25, s1
	s_delay_alu instid0(SALU_CYCLE_1) | instskip(SKIP_1) | instid1(VALU_DEP_1)
	s_sub_i32 s25, s1, s2
	s_cmp_ge_u32 s1, s2
	v_add_nc_u32_e32 v80, v0, v2
	s_cselect_b32 s25, s25, s1
	s_lshl_b32 s6, s6, 2
	s_mul_i32 s25, s25, s10
	s_branch .LBB234_9
.LBB234_7:                              ;   in Loop: Header=BB234_9 Depth=1
	s_or_b32 exec_lo, exec_lo, s2
	v_add_nc_u32_e32 v65, s7, v65
	s_delay_alu instid0(VALU_DEP_1) | instskip(NEXT) | instid1(VALU_DEP_1)
	v_lshlrev_b64 v[1:2], 1, v[65:66]
	v_add_co_u32 v1, vcc_lo, s16, v1
	s_delay_alu instid0(VALU_DEP_2)
	v_add_co_ci_u32_e32 v2, vcc_lo, s17, v2, vcc_lo
	global_store_d16_hi_b16 v[1:2], v0, off
.LBB234_8:                              ;   in Loop: Header=BB234_9 Depth=1
	s_or_b32 exec_lo, exec_lo, s1
	v_add_nc_u32_e32 v0, s18, v64
	s_waitcnt lgkmcnt(0)
	s_delay_alu instid0(VALU_DEP_1) | instskip(SKIP_1) | instid1(VALU_DEP_2)
	v_add_nc_u32_e32 v1, 1, v0
	v_cmp_le_u32_e32 vcc_lo, s7, v0
	v_cmp_gt_u32_e64 s1, s7, v1
	v_add_nc_u32_e32 v1, s23, v64
	s_delay_alu instid0(VALU_DEP_2) | instskip(NEXT) | instid1(VALU_DEP_1)
	s_or_b32 vcc_lo, vcc_lo, s1
	v_cmp_eq_u32_e64 s1, 1, v1
	v_cndmask_b32_e32 v64, s21, v0, vcc_lo
	s_delay_alu instid0(VALU_DEP_2) | instskip(NEXT) | instid1(VALU_DEP_1)
	s_or_b32 vcc_lo, vcc_lo, s1
	v_cmp_le_u32_e64 s2, s7, v64
	v_cndmask_b32_e32 v74, 0, v74, vcc_lo
	s_delay_alu instid0(VALU_DEP_2) | instskip(NEXT) | instid1(SALU_CYCLE_1)
	s_or_b32 s11, s2, s11
	s_and_not1_b32 exec_lo, exec_lo, s11
	s_cbranch_execz .LBB234_84
.LBB234_9:                              ; =>This Loop Header: Depth=1
                                        ;     Child Loop BB234_16 Depth 2
	v_mov_b32_e32 v84, v66
	v_mov_b32_e32 v85, v66
	;; [unrolled: 1-line block ×3, first 2 shown]
	s_and_not1_b32 vcc_lo, exec_lo, s3
	s_cbranch_vccnz .LBB234_68
; %bb.10:                               ;   in Loop: Header=BB234_9 Depth=1
	v_min_u32_e32 v0, s21, v64
	v_dual_mov_b32 v86, 0 :: v_dual_mov_b32 v81, v76
	v_dual_mov_b32 v85, 0 :: v_dual_mov_b32 v84, 0
	s_delay_alu instid0(VALU_DEP_3) | instskip(SKIP_1) | instid1(VALU_DEP_1)
	v_mul_lo_u32 v65, v0, s5
	s_mov_b32 s1, 0
	v_lshlrev_b64 v[0:1], 1, v[65:66]
	s_waitcnt lgkmcnt(0)
	s_delay_alu instid0(VALU_DEP_1) | instskip(NEXT) | instid1(VALU_DEP_2)
	v_add_co_u32 v82, vcc_lo, s14, v0
	v_add_co_ci_u32_e32 v83, vcc_lo, s15, v1, vcc_lo
	s_branch .LBB234_16
.LBB234_11:                             ;   in Loop: Header=BB234_16 Depth=2
	s_or_b32 exec_lo, exec_lo, s29
.LBB234_12:                             ;   in Loop: Header=BB234_16 Depth=2
	s_delay_alu instid0(SALU_CYCLE_1)
	s_or_b32 exec_lo, exec_lo, s28
.LBB234_13:                             ;   in Loop: Header=BB234_16 Depth=2
	s_delay_alu instid0(SALU_CYCLE_1)
	s_or_b32 exec_lo, exec_lo, s27
.LBB234_14:                             ;   in Loop: Header=BB234_16 Depth=2
	s_delay_alu instid0(SALU_CYCLE_1)
	s_or_b32 exec_lo, exec_lo, s26
.LBB234_15:                             ;   in Loop: Header=BB234_16 Depth=2
	s_delay_alu instid0(SALU_CYCLE_1)
	s_or_b32 exec_lo, exec_lo, s2
	s_waitcnt vmcnt(0) lgkmcnt(0)
	v_and_b32_e32 v68, 0xffff0000, v29
	v_and_b32_e32 v71, 0xffff0000, v23
	;; [unrolled: 1-line block ×5, first 2 shown]
	v_lshlrev_b32_e32 v21, 16, v21
	v_lshlrev_b32_e32 v23, 16, v23
	;; [unrolled: 1-line block ×4, first 2 shown]
	v_dual_mul_f32 v68, v68, v69 :: v_dual_and_b32 v67, 0xffff0000, v20
	v_lshlrev_b32_e32 v20, 16, v20
	s_addk_i32 s1, 0x800
	v_add_nc_u32_e32 v81, 0x1000, v81
	s_delay_alu instid0(VALU_DEP_3) | instskip(SKIP_2) | instid1(VALU_DEP_1)
	v_fmac_f32_e32 v68, v29, v21
	v_dual_mul_f32 v65, v65, v67 :: v_dual_lshlrev_b32 v28, 16, v28
	s_cmp_ge_u32 s1, s4
	v_fmac_f32_e32 v65, v28, v20
	s_delay_alu instid0(VALU_DEP_1) | instskip(NEXT) | instid1(VALU_DEP_1)
	v_dual_add_f32 v29, v86, v65 :: v_dual_and_b32 v28, 0xffff0000, v30
	v_dual_add_f32 v29, v29, v68 :: v_dual_lshlrev_b32 v30, 16, v30
	s_delay_alu instid0(VALU_DEP_2) | instskip(SKIP_2) | instid1(VALU_DEP_3)
	v_mul_f32_e32 v28, v28, v70
	v_and_b32_e32 v68, 0xffff0000, v12
	v_lshlrev_b32_e32 v12, 16, v12
	v_fmac_f32_e32 v28, v30, v22
	v_lshlrev_b32_e32 v30, 16, v31
	s_delay_alu instid0(VALU_DEP_2) | instskip(SKIP_2) | instid1(VALU_DEP_1)
	v_add_f32_e32 v28, v29, v28
	v_lshlrev_b32_e32 v29, 16, v44
	v_and_b32_e32 v65, 0xffff0000, v31
	v_mul_f32_e32 v31, v65, v71
	s_delay_alu instid0(VALU_DEP_1) | instskip(SKIP_2) | instid1(VALU_DEP_3)
	v_fmac_f32_e32 v31, v30, v23
	v_and_b32_e32 v65, 0xffff0000, v44
	v_and_b32_e32 v44, 0xffff0000, v45
	v_add_f32_e32 v28, v28, v31
	s_delay_alu instid0(VALU_DEP_3) | instskip(NEXT) | instid1(VALU_DEP_1)
	v_mul_f32_e32 v30, v65, v68
	v_dual_fmac_f32 v30, v29, v12 :: v_dual_lshlrev_b32 v29, 16, v45
	v_and_b32_e32 v45, 0xffff0000, v14
	v_lshlrev_b32_e32 v14, 16, v14
	s_delay_alu instid0(VALU_DEP_3) | instskip(NEXT) | instid1(VALU_DEP_1)
	v_dual_add_f32 v28, v28, v30 :: v_dual_and_b32 v65, 0xffff0000, v13
	v_dual_mul_f32 v31, v44, v65 :: v_dual_and_b32 v44, 0xffff0000, v46
	s_delay_alu instid0(VALU_DEP_1) | instskip(SKIP_1) | instid1(VALU_DEP_1)
	v_mul_f32_e32 v30, v44, v45
	v_lshlrev_b32_e32 v13, 16, v13
	v_dual_fmac_f32 v31, v29, v13 :: v_dual_and_b32 v44, 0xffff0000, v47
	v_lshlrev_b32_e32 v29, 16, v46
	v_and_b32_e32 v46, 0xffff0000, v15
	s_delay_alu instid0(VALU_DEP_3) | instskip(NEXT) | instid1(VALU_DEP_3)
	v_add_f32_e32 v28, v28, v31
	v_dual_fmac_f32 v30, v29, v14 :: v_dual_lshlrev_b32 v29, 16, v47
	s_delay_alu instid0(VALU_DEP_3) | instskip(NEXT) | instid1(VALU_DEP_2)
	v_dual_mul_f32 v31, v44, v46 :: v_dual_and_b32 v44, 0xffff0000, v56
	v_dual_add_f32 v28, v28, v30 :: v_dual_and_b32 v47, 0xffff0000, v8
	v_lshlrev_b32_e32 v8, 16, v8
	s_delay_alu instid0(VALU_DEP_2) | instskip(SKIP_1) | instid1(VALU_DEP_1)
	v_mul_f32_e32 v30, v44, v47
	v_lshlrev_b32_e32 v15, 16, v15
	v_dual_fmac_f32 v31, v29, v15 :: v_dual_and_b32 v44, 0xffff0000, v57
	v_lshlrev_b32_e32 v29, 16, v56
	v_and_b32_e32 v56, 0xffff0000, v9
	s_delay_alu instid0(VALU_DEP_3) | instskip(NEXT) | instid1(VALU_DEP_3)
	v_add_f32_e32 v28, v28, v31
	v_dual_fmac_f32 v30, v29, v8 :: v_dual_lshlrev_b32 v29, 16, v57
	s_delay_alu instid0(VALU_DEP_3) | instskip(SKIP_1) | instid1(VALU_DEP_3)
	v_dual_mul_f32 v31, v44, v56 :: v_dual_and_b32 v44, 0xffff0000, v58
	v_and_b32_e32 v57, 0xffff0000, v10
	v_add_f32_e32 v28, v28, v30
	v_lshlrev_b32_e32 v10, 16, v10
	s_delay_alu instid0(VALU_DEP_3) | instskip(SKIP_1) | instid1(VALU_DEP_1)
	v_mul_f32_e32 v30, v44, v57
	v_lshlrev_b32_e32 v9, 16, v9
	v_dual_fmac_f32 v31, v29, v9 :: v_dual_and_b32 v44, 0xffff0000, v59
	v_lshlrev_b32_e32 v29, 16, v58
	v_and_b32_e32 v58, 0xffff0000, v11
	s_delay_alu instid0(VALU_DEP_3) | instskip(NEXT) | instid1(VALU_DEP_3)
	v_add_f32_e32 v28, v28, v31
	v_dual_fmac_f32 v30, v29, v10 :: v_dual_lshlrev_b32 v29, 16, v59
	s_delay_alu instid0(VALU_DEP_3) | instskip(NEXT) | instid1(VALU_DEP_2)
	v_dual_mul_f32 v31, v44, v58 :: v_dual_and_b32 v44, 0xffff0000, v60
	v_dual_add_f32 v28, v28, v30 :: v_dual_and_b32 v59, 0xffff0000, v0
	v_lshlrev_b32_e32 v0, 16, v0
	s_delay_alu instid0(VALU_DEP_2) | instskip(SKIP_1) | instid1(VALU_DEP_1)
	v_mul_f32_e32 v30, v44, v59
	v_lshlrev_b32_e32 v11, 16, v11
	v_dual_fmac_f32 v31, v29, v11 :: v_dual_lshlrev_b32 v44, 16, v61
	v_lshlrev_b32_e32 v29, 16, v60
	v_and_b32_e32 v60, 0xffff0000, v1
	s_delay_alu instid0(VALU_DEP_3) | instskip(NEXT) | instid1(VALU_DEP_3)
	v_add_f32_e32 v28, v28, v31
	v_fmac_f32_e32 v30, v29, v0
	v_and_b32_e32 v29, 0xffff0000, v16
	v_lshlrev_b32_e32 v16, 16, v16
	s_delay_alu instid0(VALU_DEP_3) | instskip(NEXT) | instid1(VALU_DEP_3)
	v_dual_add_f32 v28, v28, v30 :: v_dual_and_b32 v31, 0xffff0000, v17
	v_mul_f32_e32 v29, v29, v67
	s_delay_alu instid0(VALU_DEP_1) | instskip(NEXT) | instid1(VALU_DEP_3)
	v_dual_fmac_f32 v29, v16, v20 :: v_dual_lshlrev_b32 v16, 16, v17
	v_mul_f32_e32 v17, v31, v69
	v_and_b32_e32 v31, 0xffff0000, v18
	s_delay_alu instid0(VALU_DEP_3) | instskip(NEXT) | instid1(VALU_DEP_3)
	v_add_f32_e32 v29, v85, v29
	v_dual_fmac_f32 v17, v16, v21 :: v_dual_lshlrev_b32 v16, 16, v18
	s_delay_alu instid0(VALU_DEP_3) | instskip(NEXT) | instid1(VALU_DEP_1)
	v_dual_mul_f32 v18, v31, v70 :: v_dual_and_b32 v31, 0xffff0000, v19
	v_dual_add_f32 v17, v29, v17 :: v_dual_fmac_f32 v18, v16, v22
	v_lshlrev_b32_e32 v16, 16, v19
	s_delay_alu instid0(VALU_DEP_3) | instskip(SKIP_3) | instid1(VALU_DEP_3)
	v_mul_f32_e32 v19, v31, v71
	v_and_b32_e32 v31, 0xffff0000, v32
	v_lshlrev_b32_e32 v1, 16, v1
	v_add_f32_e32 v17, v17, v18
	v_dual_fmac_f32 v19, v16, v23 :: v_dual_mul_f32 v18, v31, v68
	v_lshlrev_b32_e32 v16, 16, v32
	v_and_b32_e32 v31, 0xffff0000, v33
	s_delay_alu instid0(VALU_DEP_2) | instskip(SKIP_1) | instid1(VALU_DEP_3)
	v_dual_add_f32 v17, v17, v19 :: v_dual_fmac_f32 v18, v16, v12
	v_lshlrev_b32_e32 v16, 16, v33
	v_mul_f32_e32 v19, v31, v65
	v_and_b32_e32 v31, 0xffff0000, v40
	s_delay_alu instid0(VALU_DEP_4) | instskip(NEXT) | instid1(VALU_DEP_3)
	v_add_f32_e32 v17, v17, v18
	v_dual_fmac_f32 v19, v16, v13 :: v_dual_lshlrev_b32 v16, 16, v34
	s_delay_alu instid0(VALU_DEP_1) | instskip(NEXT) | instid1(VALU_DEP_1)
	v_dual_add_f32 v17, v17, v19 :: v_dual_and_b32 v30, 0xffff0000, v61
	v_mul_f32_e32 v30, v30, v60
	s_delay_alu instid0(VALU_DEP_1) | instskip(NEXT) | instid1(VALU_DEP_1)
	v_fmac_f32_e32 v30, v44, v1
	v_add_f32_e32 v28, v28, v30
	v_and_b32_e32 v30, 0xffff0000, v34
	v_lshlrev_b32_e32 v29, 16, v62
	s_delay_alu instid0(VALU_DEP_2) | instskip(NEXT) | instid1(VALU_DEP_1)
	v_dual_mul_f32 v18, v30, v45 :: v_dual_and_b32 v61, 0xffff0000, v2
	v_fmac_f32_e32 v18, v16, v14
	v_lshlrev_b32_e32 v16, 16, v35
	v_and_b32_e32 v44, 0xffff0000, v62
	s_delay_alu instid0(VALU_DEP_3) | instskip(SKIP_1) | instid1(VALU_DEP_1)
	v_dual_add_f32 v17, v17, v18 :: v_dual_mul_f32 v18, v31, v47
	v_and_b32_e32 v31, 0xffff0000, v41
	v_dual_mul_f32 v32, v44, v61 :: v_dual_mul_f32 v31, v31, v56
	v_lshlrev_b32_e32 v2, 16, v2
	s_delay_alu instid0(VALU_DEP_1) | instskip(NEXT) | instid1(VALU_DEP_1)
	v_dual_fmac_f32 v32, v29, v2 :: v_dual_and_b32 v29, 0xffff0000, v35
	v_dual_add_f32 v28, v28, v32 :: v_dual_mul_f32 v19, v29, v46
	v_lshlrev_b32_e32 v29, 16, v63
	s_delay_alu instid0(VALU_DEP_2) | instskip(NEXT) | instid1(VALU_DEP_1)
	v_dual_fmac_f32 v19, v16, v15 :: v_dual_lshlrev_b32 v16, 16, v40
	v_add_f32_e32 v17, v17, v19
	v_and_b32_e32 v19, 0xffff0000, v4
	s_delay_alu instid0(VALU_DEP_3) | instskip(NEXT) | instid1(VALU_DEP_2)
	v_fmac_f32_e32 v18, v16, v8
	v_dual_mul_f32 v19, v19, v67 :: v_dual_lshlrev_b32 v4, 16, v4
	s_delay_alu instid0(VALU_DEP_2) | instskip(NEXT) | instid1(VALU_DEP_2)
	v_dual_add_f32 v17, v17, v18 :: v_dual_and_b32 v18, 0xffff0000, v5
	v_dual_fmac_f32 v19, v4, v20 :: v_dual_lshlrev_b32 v4, 16, v5
	s_delay_alu instid0(VALU_DEP_2) | instskip(NEXT) | instid1(VALU_DEP_2)
	v_dual_mul_f32 v5, v18, v69 :: v_dual_and_b32 v30, 0xffff0000, v63
	v_dual_add_f32 v19, v84, v19 :: v_dual_lshlrev_b32 v16, 16, v41
	s_delay_alu instid0(VALU_DEP_2) | instskip(NEXT) | instid1(VALU_DEP_2)
	v_dual_fmac_f32 v5, v4, v21 :: v_dual_and_b32 v18, 0xffff0000, v6
	v_fmac_f32_e32 v31, v16, v9
	s_delay_alu instid0(VALU_DEP_2) | instskip(SKIP_1) | instid1(VALU_DEP_3)
	v_add_f32_e32 v5, v19, v5
	v_and_b32_e32 v19, 0xffff0000, v43
	v_add_f32_e32 v17, v17, v31
	s_delay_alu instid0(VALU_DEP_2) | instskip(SKIP_2) | instid1(VALU_DEP_1)
	v_mul_f32_e32 v19, v19, v58
	v_lshlrev_b32_e32 v4, 16, v6
	v_dual_mul_f32 v6, v18, v70 :: v_dual_and_b32 v21, 0xffff0000, v7
	v_fmac_f32_e32 v6, v4, v22
	v_lshlrev_b32_e32 v4, 16, v7
	s_delay_alu instid0(VALU_DEP_3) | instskip(NEXT) | instid1(VALU_DEP_3)
	v_mul_f32_e32 v7, v21, v71
	v_dual_add_f32 v5, v5, v6 :: v_dual_and_b32 v32, 0xffff0000, v3
	v_lshlrev_b32_e32 v3, 16, v3
	s_delay_alu instid0(VALU_DEP_2) | instskip(SKIP_2) | instid1(VALU_DEP_3)
	v_dual_fmac_f32 v7, v4, v23 :: v_dual_mul_f32 v16, v30, v32
	v_lshlrev_b32_e32 v4, 16, v24
	v_and_b32_e32 v21, 0xffff0000, v25
	v_dual_add_f32 v5, v5, v7 :: v_dual_and_b32 v20, 0xffff0000, v42
	s_delay_alu instid0(VALU_DEP_4) | instskip(NEXT) | instid1(VALU_DEP_3)
	v_fmac_f32_e32 v16, v29, v3
	v_dual_mul_f32 v7, v21, v65 :: v_dual_lshlrev_b32 v18, 16, v42
	s_delay_alu instid0(VALU_DEP_3) | instskip(NEXT) | instid1(VALU_DEP_3)
	v_mul_f32_e32 v20, v20, v57
	v_add_f32_e32 v86, v28, v16
	s_delay_alu instid0(VALU_DEP_2) | instskip(SKIP_1) | instid1(VALU_DEP_1)
	v_fmac_f32_e32 v20, v18, v10
	v_and_b32_e32 v18, 0xffff0000, v24
	v_mul_f32_e32 v6, v18, v68
	s_delay_alu instid0(VALU_DEP_1) | instskip(NEXT) | instid1(VALU_DEP_1)
	v_fmac_f32_e32 v6, v4, v12
	v_dual_add_f32 v5, v5, v6 :: v_dual_lshlrev_b32 v4, 16, v25
	s_delay_alu instid0(VALU_DEP_1) | instskip(SKIP_2) | instid1(VALU_DEP_3)
	v_fmac_f32_e32 v7, v4, v13
	v_dual_add_f32 v12, v17, v20 :: v_dual_and_b32 v13, 0xffff0000, v27
	v_and_b32_e32 v17, 0xffff0000, v26
	v_add_f32_e32 v5, v5, v7
	s_delay_alu instid0(VALU_DEP_3) | instskip(NEXT) | instid1(VALU_DEP_3)
	v_mul_f32_e32 v7, v13, v46
	v_dual_mul_f32 v6, v17, v45 :: v_dual_lshlrev_b32 v13, 16, v48
	v_and_b32_e32 v17, 0xffff0000, v48
	s_delay_alu instid0(VALU_DEP_1) | instskip(NEXT) | instid1(VALU_DEP_1)
	v_dual_mul_f32 v17, v17, v59 :: v_dual_lshlrev_b32 v4, 16, v26
	v_dual_fmac_f32 v17, v13, v0 :: v_dual_fmac_f32 v6, v4, v14
	v_lshlrev_b32_e32 v18, 16, v43
	v_and_b32_e32 v13, 0xffff0000, v37
	v_lshlrev_b32_e32 v4, 16, v27
	s_delay_alu instid0(VALU_DEP_4) | instskip(NEXT) | instid1(VALU_DEP_4)
	v_dual_add_f32 v5, v5, v6 :: v_dual_and_b32 v14, 0xffff0000, v36
	v_fmac_f32_e32 v19, v18, v11
	s_delay_alu instid0(VALU_DEP_3) | instskip(NEXT) | instid1(VALU_DEP_3)
	v_fmac_f32_e32 v7, v4, v15
	v_mul_f32_e32 v6, v14, v47
	s_delay_alu instid0(VALU_DEP_3) | instskip(NEXT) | instid1(VALU_DEP_3)
	v_add_f32_e32 v12, v12, v19
	v_dual_add_f32 v5, v5, v7 :: v_dual_lshlrev_b32 v4, 16, v36
	v_mul_f32_e32 v7, v13, v56
	s_delay_alu instid0(VALU_DEP_2) | instskip(NEXT) | instid1(VALU_DEP_1)
	v_dual_fmac_f32 v6, v4, v8 :: v_dual_and_b32 v13, 0xffff0000, v38
	v_dual_add_f32 v5, v5, v6 :: v_dual_lshlrev_b32 v4, 16, v37
	s_delay_alu instid0(VALU_DEP_1) | instskip(SKIP_1) | instid1(VALU_DEP_4)
	v_dual_fmac_f32 v7, v4, v9 :: v_dual_lshlrev_b32 v4, 16, v38
	v_and_b32_e32 v14, 0xffff0000, v49
	v_mul_f32_e32 v6, v13, v57
	v_dual_add_f32 v9, v12, v17 :: v_dual_and_b32 v12, 0xffff0000, v39
	s_delay_alu instid0(VALU_DEP_3) | instskip(NEXT) | instid1(VALU_DEP_3)
	v_dual_add_f32 v5, v5, v7 :: v_dual_mul_f32 v14, v14, v60
	v_fmac_f32_e32 v6, v4, v10
	s_delay_alu instid0(VALU_DEP_3) | instskip(NEXT) | instid1(VALU_DEP_1)
	v_dual_mul_f32 v7, v12, v58 :: v_dual_lshlrev_b32 v4, 16, v39
	v_dual_fmac_f32 v7, v4, v11 :: v_dual_and_b32 v10, 0xffff0000, v50
	v_and_b32_e32 v11, 0xffff0000, v53
	s_delay_alu instid0(VALU_DEP_4) | instskip(SKIP_1) | instid1(VALU_DEP_4)
	v_dual_add_f32 v5, v5, v6 :: v_dual_lshlrev_b32 v8, 16, v49
	v_lshlrev_b32_e32 v4, 16, v52
	v_mul_f32_e32 v10, v10, v61
	s_delay_alu instid0(VALU_DEP_3) | instskip(SKIP_1) | instid1(VALU_DEP_2)
	v_dual_fmac_f32 v14, v8, v1 :: v_dual_add_f32 v5, v5, v7
	v_and_b32_e32 v7, 0xffff0000, v54
	v_dual_add_f32 v8, v9, v14 :: v_dual_and_b32 v9, 0xffff0000, v52
	s_delay_alu instid0(VALU_DEP_1) | instskip(NEXT) | instid1(VALU_DEP_1)
	v_dual_mul_f32 v6, v9, v59 :: v_dual_lshlrev_b32 v9, 16, v50
	v_fmac_f32_e32 v6, v4, v0
	v_lshlrev_b32_e32 v0, 16, v53
	s_delay_alu instid0(VALU_DEP_2) | instskip(SKIP_1) | instid1(VALU_DEP_2)
	v_dual_mul_f32 v4, v11, v60 :: v_dual_add_f32 v5, v5, v6
	v_lshlrev_b32_e32 v6, 16, v51
	v_fmac_f32_e32 v4, v0, v1
	v_mul_f32_e32 v1, v7, v61
	v_dual_fmac_f32 v10, v9, v2 :: v_dual_and_b32 v7, 0xffff0000, v55
	s_delay_alu instid0(VALU_DEP_3) | instskip(NEXT) | instid1(VALU_DEP_1)
	v_dual_add_f32 v4, v5, v4 :: v_dual_and_b32 v9, 0xffff0000, v51
	v_dual_mul_f32 v9, v9, v32 :: v_dual_lshlrev_b32 v0, 16, v54
	s_delay_alu instid0(VALU_DEP_1) | instskip(NEXT) | instid1(VALU_DEP_2)
	v_dual_fmac_f32 v1, v0, v2 :: v_dual_lshlrev_b32 v0, 16, v55
	v_dual_mul_f32 v2, v7, v32 :: v_dual_fmac_f32 v9, v6, v3
	v_add_f32_e32 v5, v8, v10
	s_delay_alu instid0(VALU_DEP_3) | instskip(NEXT) | instid1(VALU_DEP_2)
	v_add_f32_e32 v1, v4, v1
	v_dual_fmac_f32 v2, v0, v3 :: v_dual_add_f32 v85, v5, v9
	s_delay_alu instid0(VALU_DEP_1)
	v_add_f32_e32 v84, v1, v2
	s_cbranch_scc1 .LBB234_68
.LBB234_16:                             ;   Parent Loop BB234_9 Depth=1
                                        ; =>  This Inner Loop Header: Depth=2
	v_dual_mov_b32 v55, 0 :: v_dual_add_nc_u32 v68, s1, v75
	v_dual_mov_b32 v51, 0 :: v_dual_mov_b32 v50, 0
	v_dual_mov_b32 v49, 0 :: v_dual_mov_b32 v48, 0
	s_delay_alu instid0(VALU_DEP_3) | instskip(SKIP_2) | instid1(VALU_DEP_3)
	v_min_u32_e32 v65, s20, v68
	v_dual_mov_b32 v53, 0 :: v_dual_add_nc_u32 v72, 0x200, v68
	v_dual_mov_b32 v54, 0 :: v_dual_add_nc_u32 v71, 0x400, v68
	v_lshlrev_b64 v[0:1], 1, v[65:66]
	s_delay_alu instid0(VALU_DEP_3) | instskip(SKIP_2) | instid1(VALU_DEP_3)
	v_min_u32_e32 v65, s20, v72
	v_dual_mov_b32 v52, 0 :: v_dual_add_nc_u32 v67, 0x600, v68
	v_dual_mov_b32 v63, 0 :: v_dual_mov_b32 v62, 0
	v_lshlrev_b64 v[2:3], 1, v[65:66]
	v_min_u32_e32 v65, s20, v71
	v_add_co_u32 v0, vcc_lo, v82, v0
	v_add_co_ci_u32_e32 v1, vcc_lo, v83, v1, vcc_lo
	s_waitcnt vmcnt(0)
	s_delay_alu instid0(VALU_DEP_3) | instskip(SKIP_3) | instid1(VALU_DEP_3)
	v_lshlrev_b64 v[4:5], 1, v[65:66]
	v_min_u32_e32 v65, s20, v67
	v_add_co_u32 v2, vcc_lo, v82, v2
	v_add_co_ci_u32_e32 v3, vcc_lo, v83, v3, vcc_lo
	v_lshlrev_b64 v[6:7], 1, v[65:66]
	v_add_co_u32 v4, vcc_lo, v82, v4
	v_add_co_ci_u32_e32 v5, vcc_lo, v83, v5, vcc_lo
	v_dual_mov_b32 v61, 0 :: v_dual_mov_b32 v60, 0
	s_delay_alu instid0(VALU_DEP_4)
	v_add_co_u32 v6, vcc_lo, v82, v6
	v_add_co_ci_u32_e32 v7, vcc_lo, v83, v7, vcc_lo
	s_clause 0x3
	global_load_b128 v[20:23], v[0:1], off slc dlc
	global_load_b128 v[12:15], v[2:3], off slc dlc
	;; [unrolled: 1-line block ×4, first 2 shown]
	v_cmp_gt_u32_e32 vcc_lo, s4, v68
	v_dual_mov_b32 v39, 0 :: v_dual_mov_b32 v38, 0
	v_dual_mov_b32 v37, 0 :: v_dual_mov_b32 v36, 0
	v_dual_mov_b32 v43, 0 :: v_dual_mov_b32 v42, 0
	v_dual_mov_b32 v41, 0 :: v_dual_mov_b32 v40, 0
	v_dual_mov_b32 v59, 0 :: v_dual_mov_b32 v58, 0
	v_dual_mov_b32 v57, 0 :: v_dual_mov_b32 v56, 0
	v_dual_mov_b32 v27, 0 :: v_dual_mov_b32 v26, 0
	v_dual_mov_b32 v25, 0 :: v_dual_mov_b32 v24, 0
	v_dual_mov_b32 v35, 0 :: v_dual_mov_b32 v34, 0
	v_dual_mov_b32 v33, 0 :: v_dual_mov_b32 v32, 0
	v_dual_mov_b32 v47, 0 :: v_dual_mov_b32 v46, 0
	v_dual_mov_b32 v45, 0 :: v_dual_mov_b32 v44, 0
	v_dual_mov_b32 v7, 0 :: v_dual_mov_b32 v6, 0
	v_dual_mov_b32 v5, 0 :: v_dual_mov_b32 v4, 0
	v_dual_mov_b32 v19, 0 :: v_dual_mov_b32 v18, 0
	v_dual_mov_b32 v17, 0 :: v_dual_mov_b32 v16, 0
	v_dual_mov_b32 v31, 0 :: v_dual_mov_b32 v30, 0
	v_dual_mov_b32 v29, 0 :: v_dual_mov_b32 v28, 0
	s_and_saveexec_b32 s2, vcc_lo
	s_cbranch_execz .LBB234_15
; %bb.17:                               ;   in Loop: Header=BB234_16 Depth=2
	s_mov_b32 s26, exec_lo
                                        ; implicit-def: $vgpr31
	v_cmpx_lt_u32_e32 0x7fff, v68
	s_xor_b32 s26, exec_lo, s26
	s_cbranch_execz .LBB234_19
; %bb.18:                               ;   in Loop: Header=BB234_16 Depth=2
	v_mov_b32_e32 v69, v66
	s_delay_alu instid0(VALU_DEP_1) | instskip(NEXT) | instid1(VALU_DEP_1)
	v_lshlrev_b64 v[4:5], 1, v[68:69]
	v_add_co_u32 v4, vcc_lo, s8, v4
	s_delay_alu instid0(VALU_DEP_2)
	v_add_co_ci_u32_e32 v5, vcc_lo, s9, v5, vcc_lo
	global_load_b128 v[28:31], v[4:5], off
.LBB234_19:                             ;   in Loop: Header=BB234_16 Depth=2
	s_and_not1_saveexec_b32 s26, s26
	s_cbranch_execz .LBB234_21
; %bb.20:                               ;   in Loop: Header=BB234_16 Depth=2
	s_waitcnt vmcnt(0)
	ds_load_b128 v[28:31], v81
.LBB234_21:                             ;   in Loop: Header=BB234_16 Depth=2
	s_or_b32 exec_lo, exec_lo, s26
	v_add_nc_u32_e32 v65, s1, v77
	s_mov_b32 s26, exec_lo
                                        ; implicit-def: $vgpr19
	s_delay_alu instid0(VALU_DEP_1)
	v_cmpx_lt_u32_e32 0x7fff, v65
	s_xor_b32 s26, exec_lo, s26
	s_cbranch_execz .LBB234_23
; %bb.22:                               ;   in Loop: Header=BB234_16 Depth=2
	v_lshlrev_b64 v[4:5], 1, v[65:66]
	s_delay_alu instid0(VALU_DEP_1) | instskip(NEXT) | instid1(VALU_DEP_2)
	v_add_co_u32 v4, vcc_lo, s8, v4
	v_add_co_ci_u32_e32 v5, vcc_lo, s9, v5, vcc_lo
	global_load_b128 v[16:19], v[4:5], off
.LBB234_23:                             ;   in Loop: Header=BB234_16 Depth=2
	s_and_not1_saveexec_b32 s26, s26
	s_cbranch_execz .LBB234_25
; %bb.24:                               ;   in Loop: Header=BB234_16 Depth=2
	v_add_nc_u32_e32 v4, s19, v81
	s_waitcnt vmcnt(0)
	ds_load_b128 v[16:19], v4
.LBB234_25:                             ;   in Loop: Header=BB234_16 Depth=2
	s_or_b32 exec_lo, exec_lo, s26
	v_add_nc_u32_e32 v69, s1, v78
	s_mov_b32 s26, exec_lo
                                        ; implicit-def: $vgpr7
	s_delay_alu instid0(VALU_DEP_1)
	v_cmpx_lt_u32_e32 0x7fff, v69
	s_xor_b32 s26, exec_lo, s26
	s_cbranch_execz .LBB234_27
; %bb.26:                               ;   in Loop: Header=BB234_16 Depth=2
	v_mov_b32_e32 v70, v66
	s_delay_alu instid0(VALU_DEP_1) | instskip(NEXT) | instid1(VALU_DEP_1)
	v_lshlrev_b64 v[4:5], 1, v[69:70]
	v_add_co_u32 v4, vcc_lo, s8, v4
	s_delay_alu instid0(VALU_DEP_2)
	v_add_co_ci_u32_e32 v5, vcc_lo, s9, v5, vcc_lo
	global_load_b128 v[4:7], v[4:5], off
.LBB234_27:                             ;   in Loop: Header=BB234_16 Depth=2
	s_and_not1_saveexec_b32 s26, s26
	s_cbranch_execz .LBB234_29
; %bb.28:                               ;   in Loop: Header=BB234_16 Depth=2
	s_waitcnt vmcnt(0)
	v_add_nc_u32_e32 v6, s6, v81
	ds_load_2addr_b32 v[4:5], v6 offset1:1
	ds_load_2addr_b32 v[6:7], v6 offset0:2 offset1:3
.LBB234_29:                             ;   in Loop: Header=BB234_16 Depth=2
	s_or_b32 exec_lo, exec_lo, s26
	v_cmp_gt_u32_e32 vcc_lo, s4, v72
	v_dual_mov_b32 v55, 0 :: v_dual_mov_b32 v54, 0
	v_dual_mov_b32 v53, 0 :: v_dual_mov_b32 v52, 0
	;; [unrolled: 1-line block ×18, first 2 shown]
	s_and_saveexec_b32 s26, vcc_lo
	s_cbranch_execz .LBB234_14
; %bb.30:                               ;   in Loop: Header=BB234_16 Depth=2
	s_mov_b32 s27, exec_lo
                                        ; implicit-def: $vgpr47
	v_cmpx_lt_u32_e32 0x7fff, v72
	s_xor_b32 s27, exec_lo, s27
	s_cbranch_execz .LBB234_32
; %bb.31:                               ;   in Loop: Header=BB234_16 Depth=2
	v_mov_b32_e32 v73, v66
	s_delay_alu instid0(VALU_DEP_1) | instskip(NEXT) | instid1(VALU_DEP_1)
	v_lshlrev_b64 v[24:25], 1, v[72:73]
	v_add_co_u32 v24, vcc_lo, s8, v24
	s_delay_alu instid0(VALU_DEP_2)
	v_add_co_ci_u32_e32 v25, vcc_lo, s9, v25, vcc_lo
	global_load_b128 v[44:47], v[24:25], off
.LBB234_32:                             ;   in Loop: Header=BB234_16 Depth=2
	s_and_not1_saveexec_b32 s27, s27
	s_cbranch_execz .LBB234_34
; %bb.33:                               ;   in Loop: Header=BB234_16 Depth=2
	s_waitcnt vmcnt(0)
	ds_load_b128 v[44:47], v81 offset:1024
.LBB234_34:                             ;   in Loop: Header=BB234_16 Depth=2
	s_or_b32 exec_lo, exec_lo, s27
	v_add_nc_u32_e32 v24, 0x200, v65
	s_mov_b32 s27, exec_lo
                                        ; implicit-def: $vgpr35
	s_delay_alu instid0(VALU_DEP_1)
	v_cmpx_lt_u32_e32 0x7fff, v24
	s_xor_b32 s27, exec_lo, s27
	s_cbranch_execz .LBB234_36
; %bb.35:                               ;   in Loop: Header=BB234_16 Depth=2
	v_mov_b32_e32 v25, v66
	s_delay_alu instid0(VALU_DEP_1) | instskip(NEXT) | instid1(VALU_DEP_1)
	v_lshlrev_b64 v[24:25], 1, v[24:25]
	v_add_co_u32 v24, vcc_lo, s8, v24
	s_delay_alu instid0(VALU_DEP_2)
	v_add_co_ci_u32_e32 v25, vcc_lo, s9, v25, vcc_lo
	global_load_b128 v[32:35], v[24:25], off
.LBB234_36:                             ;   in Loop: Header=BB234_16 Depth=2
	s_and_not1_saveexec_b32 s27, s27
	s_cbranch_execz .LBB234_38
; %bb.37:                               ;   in Loop: Header=BB234_16 Depth=2
	v_add_nc_u32_e32 v24, s19, v81
	s_waitcnt vmcnt(0)
	ds_load_b128 v[32:35], v24 offset:1024
.LBB234_38:                             ;   in Loop: Header=BB234_16 Depth=2
	s_or_b32 exec_lo, exec_lo, s27
	v_add_nc_u32_e32 v24, 0x200, v69
	s_mov_b32 s27, exec_lo
                                        ; implicit-def: $vgpr27
	s_delay_alu instid0(VALU_DEP_1)
	v_cmpx_lt_u32_e32 0x7fff, v24
	s_xor_b32 s27, exec_lo, s27
	s_cbranch_execz .LBB234_40
; %bb.39:                               ;   in Loop: Header=BB234_16 Depth=2
	v_mov_b32_e32 v25, v66
	s_delay_alu instid0(VALU_DEP_1) | instskip(NEXT) | instid1(VALU_DEP_1)
	v_lshlrev_b64 v[24:25], 1, v[24:25]
	v_add_co_u32 v24, vcc_lo, s8, v24
	s_delay_alu instid0(VALU_DEP_2)
	v_add_co_ci_u32_e32 v25, vcc_lo, s9, v25, vcc_lo
	global_load_b128 v[24:27], v[24:25], off
.LBB234_40:                             ;   in Loop: Header=BB234_16 Depth=2
	s_and_not1_saveexec_b32 s27, s27
	s_cbranch_execz .LBB234_42
; %bb.41:                               ;   in Loop: Header=BB234_16 Depth=2
	s_waitcnt vmcnt(0)
	v_add_nc_u32_e32 v24, s6, v81
	s_delay_alu instid0(VALU_DEP_1)
	v_add_nc_u32_e32 v25, 0x400, v24
	v_add_nc_u32_e32 v26, 0x408, v24
	ds_load_2addr_b32 v[24:25], v25 offset1:1
	ds_load_2addr_b32 v[26:27], v26 offset1:1
.LBB234_42:                             ;   in Loop: Header=BB234_16 Depth=2
	s_or_b32 exec_lo, exec_lo, s27
	v_cmp_gt_u32_e32 vcc_lo, s4, v71
	v_dual_mov_b32 v55, 0 :: v_dual_mov_b32 v54, 0
	v_dual_mov_b32 v53, 0 :: v_dual_mov_b32 v52, 0
	;; [unrolled: 1-line block ×12, first 2 shown]
	s_and_saveexec_b32 s27, vcc_lo
	s_cbranch_execz .LBB234_13
; %bb.43:                               ;   in Loop: Header=BB234_16 Depth=2
	s_mov_b32 s28, exec_lo
                                        ; implicit-def: $vgpr59
	v_cmpx_lt_u32_e32 0x7fff, v71
	s_xor_b32 s28, exec_lo, s28
	s_cbranch_execz .LBB234_45
; %bb.44:                               ;   in Loop: Header=BB234_16 Depth=2
	v_mov_b32_e32 v72, v66
	s_delay_alu instid0(VALU_DEP_1) | instskip(NEXT) | instid1(VALU_DEP_1)
	v_lshlrev_b64 v[36:37], 1, v[71:72]
	v_add_co_u32 v36, vcc_lo, s8, v36
	s_delay_alu instid0(VALU_DEP_2)
	v_add_co_ci_u32_e32 v37, vcc_lo, s9, v37, vcc_lo
	global_load_b128 v[56:59], v[36:37], off
.LBB234_45:                             ;   in Loop: Header=BB234_16 Depth=2
	s_and_not1_saveexec_b32 s28, s28
	s_cbranch_execz .LBB234_47
; %bb.46:                               ;   in Loop: Header=BB234_16 Depth=2
	s_waitcnt vmcnt(0)
	ds_load_b128 v[56:59], v81 offset:2048
.LBB234_47:                             ;   in Loop: Header=BB234_16 Depth=2
	s_or_b32 exec_lo, exec_lo, s28
	v_add_nc_u32_e32 v36, 0x400, v65
	s_mov_b32 s28, exec_lo
                                        ; implicit-def: $vgpr43
	s_delay_alu instid0(VALU_DEP_1)
	v_cmpx_lt_u32_e32 0x7fff, v36
	s_xor_b32 s28, exec_lo, s28
	s_cbranch_execz .LBB234_49
; %bb.48:                               ;   in Loop: Header=BB234_16 Depth=2
	v_mov_b32_e32 v37, v66
	s_delay_alu instid0(VALU_DEP_1) | instskip(NEXT) | instid1(VALU_DEP_1)
	v_lshlrev_b64 v[36:37], 1, v[36:37]
	v_add_co_u32 v36, vcc_lo, s8, v36
	s_delay_alu instid0(VALU_DEP_2)
	v_add_co_ci_u32_e32 v37, vcc_lo, s9, v37, vcc_lo
	global_load_b128 v[40:43], v[36:37], off
.LBB234_49:                             ;   in Loop: Header=BB234_16 Depth=2
	s_and_not1_saveexec_b32 s28, s28
	s_cbranch_execz .LBB234_51
; %bb.50:                               ;   in Loop: Header=BB234_16 Depth=2
	v_add_nc_u32_e32 v36, s19, v81
	s_waitcnt vmcnt(0)
	ds_load_b128 v[40:43], v36 offset:2048
.LBB234_51:                             ;   in Loop: Header=BB234_16 Depth=2
	s_or_b32 exec_lo, exec_lo, s28
	v_add_nc_u32_e32 v36, 0x400, v69
	s_mov_b32 s28, exec_lo
                                        ; implicit-def: $vgpr39
	s_delay_alu instid0(VALU_DEP_1)
	v_cmpx_lt_u32_e32 0x7fff, v36
	s_xor_b32 s28, exec_lo, s28
	s_cbranch_execz .LBB234_53
; %bb.52:                               ;   in Loop: Header=BB234_16 Depth=2
	v_mov_b32_e32 v37, v66
	s_delay_alu instid0(VALU_DEP_1) | instskip(NEXT) | instid1(VALU_DEP_1)
	v_lshlrev_b64 v[36:37], 1, v[36:37]
	v_add_co_u32 v36, vcc_lo, s8, v36
	s_delay_alu instid0(VALU_DEP_2)
	v_add_co_ci_u32_e32 v37, vcc_lo, s9, v37, vcc_lo
	global_load_b128 v[36:39], v[36:37], off
.LBB234_53:                             ;   in Loop: Header=BB234_16 Depth=2
	s_and_not1_saveexec_b32 s28, s28
	s_cbranch_execz .LBB234_55
; %bb.54:                               ;   in Loop: Header=BB234_16 Depth=2
	s_waitcnt vmcnt(0)
	v_add_nc_u32_e32 v36, s6, v81
	s_delay_alu instid0(VALU_DEP_1)
	v_add_nc_u32_e32 v37, 0x800, v36
	v_add_nc_u32_e32 v38, 0x808, v36
	ds_load_2addr_b32 v[36:37], v37 offset1:1
	ds_load_2addr_b32 v[38:39], v38 offset1:1
.LBB234_55:                             ;   in Loop: Header=BB234_16 Depth=2
	s_or_b32 exec_lo, exec_lo, s28
	v_dual_mov_b32 v55, 0 :: v_dual_mov_b32 v54, 0
	v_dual_mov_b32 v53, 0 :: v_dual_mov_b32 v52, 0
	;; [unrolled: 1-line block ×6, first 2 shown]
	s_mov_b32 s28, exec_lo
	v_cmpx_gt_u32_e64 s4, v67
	s_cbranch_execz .LBB234_12
; %bb.56:                               ;   in Loop: Header=BB234_16 Depth=2
	s_mov_b32 s29, exec_lo
                                        ; implicit-def: $vgpr63
	v_cmpx_lt_u32_e32 0x7fff, v67
	s_xor_b32 s29, exec_lo, s29
	s_cbranch_execz .LBB234_58
; %bb.57:                               ;   in Loop: Header=BB234_16 Depth=2
	v_mov_b32_e32 v68, v66
	s_delay_alu instid0(VALU_DEP_1) | instskip(NEXT) | instid1(VALU_DEP_1)
	v_lshlrev_b64 v[48:49], 1, v[67:68]
	v_add_co_u32 v48, vcc_lo, s8, v48
	s_delay_alu instid0(VALU_DEP_2)
	v_add_co_ci_u32_e32 v49, vcc_lo, s9, v49, vcc_lo
	global_load_b128 v[60:63], v[48:49], off
.LBB234_58:                             ;   in Loop: Header=BB234_16 Depth=2
	s_and_not1_saveexec_b32 s29, s29
	s_cbranch_execz .LBB234_60
; %bb.59:                               ;   in Loop: Header=BB234_16 Depth=2
	s_waitcnt vmcnt(0)
	ds_load_b128 v[60:63], v81 offset:3072
.LBB234_60:                             ;   in Loop: Header=BB234_16 Depth=2
	s_or_b32 exec_lo, exec_lo, s29
	v_add_nc_u32_e32 v65, 0x600, v65
	s_mov_b32 s29, exec_lo
                                        ; implicit-def: $vgpr51
	s_delay_alu instid0(VALU_DEP_1)
	v_cmpx_lt_u32_e32 0x7fff, v65
	s_xor_b32 s29, exec_lo, s29
	s_cbranch_execz .LBB234_62
; %bb.61:                               ;   in Loop: Header=BB234_16 Depth=2
	v_lshlrev_b64 v[48:49], 1, v[65:66]
	s_delay_alu instid0(VALU_DEP_1) | instskip(NEXT) | instid1(VALU_DEP_2)
	v_add_co_u32 v48, vcc_lo, s8, v48
	v_add_co_ci_u32_e32 v49, vcc_lo, s9, v49, vcc_lo
	global_load_b128 v[48:51], v[48:49], off
.LBB234_62:                             ;   in Loop: Header=BB234_16 Depth=2
	s_and_not1_saveexec_b32 s29, s29
	s_cbranch_execz .LBB234_64
; %bb.63:                               ;   in Loop: Header=BB234_16 Depth=2
	s_waitcnt vmcnt(0)
	v_add_nc_u32_e32 v48, s19, v81
	ds_load_b128 v[48:51], v48 offset:3072
.LBB234_64:                             ;   in Loop: Header=BB234_16 Depth=2
	s_or_b32 exec_lo, exec_lo, s29
	v_add_nc_u32_e32 v65, 0x600, v69
	s_mov_b32 s29, exec_lo
                                        ; implicit-def: $vgpr55
	s_delay_alu instid0(VALU_DEP_1)
	v_cmpx_lt_u32_e32 0x7fff, v65
	s_xor_b32 s29, exec_lo, s29
	s_cbranch_execz .LBB234_66
; %bb.65:                               ;   in Loop: Header=BB234_16 Depth=2
	v_lshlrev_b64 v[52:53], 1, v[65:66]
	s_delay_alu instid0(VALU_DEP_1) | instskip(NEXT) | instid1(VALU_DEP_2)
	v_add_co_u32 v52, vcc_lo, s8, v52
	v_add_co_ci_u32_e32 v53, vcc_lo, s9, v53, vcc_lo
	global_load_b128 v[52:55], v[52:53], off
.LBB234_66:                             ;   in Loop: Header=BB234_16 Depth=2
	s_and_not1_saveexec_b32 s29, s29
	s_cbranch_execz .LBB234_11
; %bb.67:                               ;   in Loop: Header=BB234_16 Depth=2
	s_waitcnt vmcnt(0)
	v_add_nc_u32_e32 v52, s6, v81
	s_delay_alu instid0(VALU_DEP_1)
	v_add_nc_u32_e32 v53, 0xc00, v52
	v_add_nc_u32_e32 v54, 0xc08, v52
	ds_load_2addr_b32 v[52:53], v53 offset1:1
	ds_load_2addr_b32 v[54:55], v54 offset1:1
	s_branch .LBB234_11
.LBB234_68:                             ;   in Loop: Header=BB234_9 Depth=1
	s_delay_alu instid0(VALU_DEP_1) | instskip(NEXT) | instid1(VALU_DEP_3)
	v_cvt_i32_f32_e32 v0, v86
	v_cvt_i32_f32_e32 v1, v85
	s_delay_alu instid0(VALU_DEP_3) | instskip(NEXT) | instid1(VALU_DEP_3)
	v_cvt_i32_f32_e32 v2, v84
	v_cvt_f32_i32_dpp v0, v0 row_shr:8 row_mask:0xf bank_mask:0xf bound_ctrl:1
	s_delay_alu instid0(VALU_DEP_3) | instskip(NEXT) | instid1(VALU_DEP_3)
	v_cvt_f32_i32_dpp v1, v1 row_shr:8 row_mask:0xf bank_mask:0xf bound_ctrl:1
	v_cvt_f32_i32_dpp v2, v2 row_shr:8 row_mask:0xf bank_mask:0xf bound_ctrl:1
	s_delay_alu instid0(VALU_DEP_2) | instskip(NEXT) | instid1(VALU_DEP_1)
	v_dual_add_f32 v0, v86, v0 :: v_dual_add_f32 v1, v85, v1
	v_cvt_i32_f32_e32 v3, v0
	s_waitcnt vmcnt(0)
	s_delay_alu instid0(VALU_DEP_2) | instskip(NEXT) | instid1(VALU_DEP_2)
	v_cvt_i32_f32_e32 v4, v1
	v_cvt_f32_i32_dpp v3, v3 row_shr:4 row_mask:0xf bank_mask:0xf bound_ctrl:1
	s_delay_alu instid0(VALU_DEP_2) | instskip(NEXT) | instid1(VALU_DEP_1)
	v_cvt_f32_i32_dpp v4, v4 row_shr:4 row_mask:0xf bank_mask:0xf bound_ctrl:1
	v_dual_add_f32 v2, v84, v2 :: v_dual_add_f32 v1, v1, v4
	s_delay_alu instid0(VALU_DEP_1) | instskip(NEXT) | instid1(VALU_DEP_2)
	v_cvt_i32_f32_e32 v5, v2
	v_cvt_i32_f32_e32 v4, v1
	s_delay_alu instid0(VALU_DEP_2) | instskip(NEXT) | instid1(VALU_DEP_2)
	v_cvt_f32_i32_dpp v5, v5 row_shr:4 row_mask:0xf bank_mask:0xf bound_ctrl:1
	v_cvt_f32_i32_dpp v4, v4 row_shr:2 row_mask:0xf bank_mask:0xf bound_ctrl:1
	v_add_f32_e32 v0, v0, v3
	s_delay_alu instid0(VALU_DEP_2) | instskip(NEXT) | instid1(VALU_DEP_2)
	v_dual_add_f32 v2, v2, v5 :: v_dual_add_f32 v1, v1, v4
	v_cvt_i32_f32_e32 v3, v0
	s_delay_alu instid0(VALU_DEP_2) | instskip(NEXT) | instid1(VALU_DEP_3)
	v_cvt_i32_f32_e32 v5, v2
	v_cvt_i32_f32_e32 v4, v1
	s_delay_alu instid0(VALU_DEP_3) | instskip(NEXT) | instid1(VALU_DEP_3)
	v_cvt_f32_i32_dpp v3, v3 row_shr:2 row_mask:0xf bank_mask:0xf bound_ctrl:1
	v_cvt_f32_i32_dpp v5, v5 row_shr:2 row_mask:0xf bank_mask:0xf bound_ctrl:1
	s_delay_alu instid0(VALU_DEP_3) | instskip(NEXT) | instid1(VALU_DEP_2)
	v_cvt_f32_i32_dpp v4, v4 row_shr:1 row_mask:0xf bank_mask:0xf bound_ctrl:1
	v_dual_add_f32 v0, v0, v3 :: v_dual_add_f32 v3, v2, v5
	s_delay_alu instid0(VALU_DEP_1) | instskip(NEXT) | instid1(VALU_DEP_2)
	v_cvt_i32_f32_e32 v2, v0
	v_cvt_i32_f32_e32 v5, v3
	s_delay_alu instid0(VALU_DEP_2) | instskip(NEXT) | instid1(VALU_DEP_2)
	v_cvt_f32_i32_dpp v2, v2 row_shr:1 row_mask:0xf bank_mask:0xf bound_ctrl:1
	v_cvt_f32_i32_dpp v6, v5 row_shr:1 row_mask:0xf bank_mask:0xf bound_ctrl:1
	s_delay_alu instid0(VALU_DEP_2) | instskip(NEXT) | instid1(VALU_DEP_2)
	v_dual_add_f32 v5, v0, v2 :: v_dual_add_f32 v2, v1, v4
	v_add_f32_e32 v0, v3, v6
	ds_bpermute_b32 v6, v79, v5
	ds_bpermute_b32 v3, v79, v2
	;; [unrolled: 1-line block ×3, first 2 shown]
	s_and_saveexec_b32 s1, s0
	s_cbranch_execz .LBB234_8
; %bb.69:                               ;   in Loop: Header=BB234_9 Depth=1
	v_dual_mov_b32 v8, 0 :: v_dual_mov_b32 v7, 0
	v_mov_b32_e32 v4, 0
	s_and_not1_b32 vcc_lo, exec_lo, s22
	s_cbranch_vccnz .LBB234_71
; %bb.70:                               ;   in Loop: Header=BB234_9 Depth=1
	v_mul_hi_u32 v4, v64, v80
	v_mov_b32_e32 v8, v66
	s_delay_alu instid0(VALU_DEP_2) | instskip(NEXT) | instid1(VALU_DEP_1)
	v_mul_lo_u32 v4, v4, s10
	v_sub_nc_u32_e32 v4, v64, v4
	s_delay_alu instid0(VALU_DEP_1) | instskip(SKIP_1) | instid1(VALU_DEP_2)
	v_subrev_nc_u32_e32 v7, s10, v4
	v_cmp_le_u32_e32 vcc_lo, s10, v4
	v_cndmask_b32_e32 v4, v4, v7, vcc_lo
	s_delay_alu instid0(VALU_DEP_1) | instskip(SKIP_1) | instid1(VALU_DEP_2)
	v_subrev_nc_u32_e32 v7, s10, v4
	v_cmp_le_u32_e32 vcc_lo, s10, v4
	v_cndmask_b32_e32 v65, v4, v7, vcc_lo
	s_delay_alu instid0(VALU_DEP_1) | instskip(SKIP_2) | instid1(VALU_DEP_3)
	v_add_nc_u32_e32 v7, s24, v65
	v_lshlrev_b64 v[9:10], 1, v[65:66]
	v_add_nc_u32_e32 v65, s25, v65
	v_lshlrev_b64 v[7:8], 1, v[7:8]
	s_delay_alu instid0(VALU_DEP_2) | instskip(NEXT) | instid1(VALU_DEP_4)
	v_lshlrev_b64 v[11:12], 1, v[65:66]
	v_add_co_u32 v9, vcc_lo, s12, v9
	v_add_co_ci_u32_e32 v10, vcc_lo, s13, v10, vcc_lo
	s_delay_alu instid0(VALU_DEP_4)
	v_add_co_u32 v13, vcc_lo, s12, v7
	v_add_co_ci_u32_e32 v14, vcc_lo, s13, v8, vcc_lo
	v_add_co_u32 v11, vcc_lo, s12, v11
	v_add_co_ci_u32_e32 v12, vcc_lo, s13, v12, vcc_lo
	s_clause 0x2
	global_load_u16 v8, v[9:10], off
	global_load_u16 v7, v[13:14], off
	;; [unrolled: 1-line block ×3, first 2 shown]
.LBB234_71:                             ;   in Loop: Header=BB234_9 Depth=1
	v_cmp_ne_u32_e32 vcc_lo, 0, v74
	s_and_b32 exec_lo, exec_lo, vcc_lo
	s_cbranch_execz .LBB234_8
; %bb.72:                               ;   in Loop: Header=BB234_9 Depth=1
	s_waitcnt vmcnt(2) lgkmcnt(0)
	v_dual_add_f32 v5, v5, v6 :: v_dual_lshlrev_b32 v6, 16, v8
	s_delay_alu instid0(VALU_DEP_1) | instskip(NEXT) | instid1(VALU_DEP_1)
	v_add_f32_e32 v6, v5, v6
	v_and_b32_e32 v5, 0x7f800000, v6
	s_delay_alu instid0(VALU_DEP_1) | instskip(SKIP_1) | instid1(SALU_CYCLE_1)
	v_cmp_ne_u32_e32 vcc_lo, 0x7f800000, v5
                                        ; implicit-def: $vgpr5
	s_and_saveexec_b32 s2, vcc_lo
	s_xor_b32 s2, exec_lo, s2
; %bb.73:                               ;   in Loop: Header=BB234_9 Depth=1
	v_bfe_u32 v5, v6, 16, 1
	s_delay_alu instid0(VALU_DEP_1)
	v_add3_u32 v5, v6, v5, 0x7fff
                                        ; implicit-def: $vgpr6
; %bb.74:                               ;   in Loop: Header=BB234_9 Depth=1
	s_and_not1_saveexec_b32 s2, s2
; %bb.75:                               ;   in Loop: Header=BB234_9 Depth=1
	v_and_b32_e32 v5, 0xffff, v6
	v_or_b32_e32 v8, 0x10000, v6
	s_delay_alu instid0(VALU_DEP_2) | instskip(NEXT) | instid1(VALU_DEP_2)
	v_cmp_eq_u32_e32 vcc_lo, 0, v5
	v_cndmask_b32_e32 v5, v8, v6, vcc_lo
; %bb.76:                               ;   in Loop: Header=BB234_9 Depth=1
	s_or_b32 exec_lo, exec_lo, s2
	v_add_f32_e32 v2, v2, v3
	s_waitcnt vmcnt(1)
	v_lshlrev_b32_e32 v3, 16, v7
	s_delay_alu instid0(VALU_DEP_1) | instskip(NEXT) | instid1(VALU_DEP_1)
	v_add_f32_e32 v3, v2, v3
	v_dual_mov_b32 v65, v66 :: v_dual_and_b32 v2, 0x7f800000, v3
	s_delay_alu instid0(VALU_DEP_1) | instskip(NEXT) | instid1(VALU_DEP_1)
	v_lshlrev_b64 v[6:7], 1, v[64:65]
	v_add_co_u32 v6, vcc_lo, s16, v6
	s_delay_alu instid0(VALU_DEP_2) | instskip(NEXT) | instid1(VALU_DEP_4)
	v_add_co_ci_u32_e32 v7, vcc_lo, s17, v7, vcc_lo
	v_cmp_ne_u32_e32 vcc_lo, 0x7f800000, v2
                                        ; implicit-def: $vgpr2
	global_store_d16_hi_b16 v[6:7], v5, off
	s_and_saveexec_b32 s2, vcc_lo
	s_delay_alu instid0(SALU_CYCLE_1)
	s_xor_b32 s2, exec_lo, s2
; %bb.77:                               ;   in Loop: Header=BB234_9 Depth=1
	v_bfe_u32 v2, v3, 16, 1
	s_delay_alu instid0(VALU_DEP_1)
	v_add3_u32 v2, v3, v2, 0x7fff
                                        ; implicit-def: $vgpr3
; %bb.78:                               ;   in Loop: Header=BB234_9 Depth=1
	s_and_not1_saveexec_b32 s2, s2
; %bb.79:                               ;   in Loop: Header=BB234_9 Depth=1
	v_and_b32_e32 v2, 0xffff, v3
	v_or_b32_e32 v5, 0x10000, v3
	s_delay_alu instid0(VALU_DEP_2) | instskip(NEXT) | instid1(VALU_DEP_2)
	v_cmp_eq_u32_e32 vcc_lo, 0, v2
	v_cndmask_b32_e32 v2, v5, v3, vcc_lo
; %bb.80:                               ;   in Loop: Header=BB234_9 Depth=1
	s_or_b32 exec_lo, exec_lo, s2
	s_waitcnt vmcnt(0)
	v_dual_add_f32 v0, v0, v1 :: v_dual_lshlrev_b32 v1, 16, v4
	v_add_nc_u32_e32 v65, s7, v64
	s_delay_alu instid0(VALU_DEP_2) | instskip(NEXT) | instid1(VALU_DEP_2)
	v_add_f32_e32 v1, v0, v1
	v_lshlrev_b64 v[3:4], 1, v[65:66]
	s_delay_alu instid0(VALU_DEP_2) | instskip(NEXT) | instid1(VALU_DEP_2)
	v_and_b32_e32 v0, 0x7f800000, v1
	v_add_co_u32 v3, vcc_lo, s16, v3
	s_delay_alu instid0(VALU_DEP_3) | instskip(NEXT) | instid1(VALU_DEP_3)
	v_add_co_ci_u32_e32 v4, vcc_lo, s17, v4, vcc_lo
	v_cmp_ne_u32_e32 vcc_lo, 0x7f800000, v0
                                        ; implicit-def: $vgpr0
	global_store_d16_hi_b16 v[3:4], v2, off
	s_and_saveexec_b32 s2, vcc_lo
	s_delay_alu instid0(SALU_CYCLE_1)
	s_xor_b32 s2, exec_lo, s2
; %bb.81:                               ;   in Loop: Header=BB234_9 Depth=1
	v_bfe_u32 v0, v1, 16, 1
	s_delay_alu instid0(VALU_DEP_1)
	v_add3_u32 v0, v1, v0, 0x7fff
                                        ; implicit-def: $vgpr1
; %bb.82:                               ;   in Loop: Header=BB234_9 Depth=1
	s_and_not1_saveexec_b32 s2, s2
	s_cbranch_execz .LBB234_7
; %bb.83:                               ;   in Loop: Header=BB234_9 Depth=1
	v_and_b32_e32 v0, 0xffff, v1
	v_or_b32_e32 v2, 0x10000, v1
	s_delay_alu instid0(VALU_DEP_2) | instskip(NEXT) | instid1(VALU_DEP_2)
	v_cmp_eq_u32_e32 vcc_lo, 0, v0
	v_cndmask_b32_e32 v0, v2, v1, vcc_lo
	s_branch .LBB234_7
.LBB234_84:
	s_nop 0
	s_sendmsg sendmsg(MSG_DEALLOC_VGPRS)
	s_endpgm
	.section	.rodata,"a",@progbits
	.p2align	6, 0x0
	.amdhsa_kernel _Z12wvSplitK_hf_I14__hip_bfloat16Li64ELi1ELi16ELi8ELi4ELi3EEviiiiiiPKT_S3_S3_PS1_ii
		.amdhsa_group_segment_fixed_size 65536
		.amdhsa_private_segment_fixed_size 0
		.amdhsa_kernarg_size 64
		.amdhsa_user_sgpr_count 15
		.amdhsa_user_sgpr_dispatch_ptr 0
		.amdhsa_user_sgpr_queue_ptr 0
		.amdhsa_user_sgpr_kernarg_segment_ptr 1
		.amdhsa_user_sgpr_dispatch_id 0
		.amdhsa_user_sgpr_private_segment_size 0
		.amdhsa_wavefront_size32 1
		.amdhsa_uses_dynamic_stack 0
		.amdhsa_enable_private_segment 0
		.amdhsa_system_sgpr_workgroup_id_x 1
		.amdhsa_system_sgpr_workgroup_id_y 0
		.amdhsa_system_sgpr_workgroup_id_z 0
		.amdhsa_system_sgpr_workgroup_info 0
		.amdhsa_system_vgpr_workitem_id 1
		.amdhsa_next_free_vgpr 87
		.amdhsa_next_free_sgpr 30
		.amdhsa_reserve_vcc 1
		.amdhsa_float_round_mode_32 0
		.amdhsa_float_round_mode_16_64 0
		.amdhsa_float_denorm_mode_32 3
		.amdhsa_float_denorm_mode_16_64 3
		.amdhsa_dx10_clamp 1
		.amdhsa_ieee_mode 1
		.amdhsa_fp16_overflow 0
		.amdhsa_workgroup_processor_mode 1
		.amdhsa_memory_ordered 1
		.amdhsa_forward_progress 0
		.amdhsa_shared_vgpr_count 0
		.amdhsa_exception_fp_ieee_invalid_op 0
		.amdhsa_exception_fp_denorm_src 0
		.amdhsa_exception_fp_ieee_div_zero 0
		.amdhsa_exception_fp_ieee_overflow 0
		.amdhsa_exception_fp_ieee_underflow 0
		.amdhsa_exception_fp_ieee_inexact 0
		.amdhsa_exception_int_div_zero 0
	.end_amdhsa_kernel
	.section	.text._Z12wvSplitK_hf_I14__hip_bfloat16Li64ELi1ELi16ELi8ELi4ELi3EEviiiiiiPKT_S3_S3_PS1_ii,"axG",@progbits,_Z12wvSplitK_hf_I14__hip_bfloat16Li64ELi1ELi16ELi8ELi4ELi3EEviiiiiiPKT_S3_S3_PS1_ii,comdat
.Lfunc_end234:
	.size	_Z12wvSplitK_hf_I14__hip_bfloat16Li64ELi1ELi16ELi8ELi4ELi3EEviiiiiiPKT_S3_S3_PS1_ii, .Lfunc_end234-_Z12wvSplitK_hf_I14__hip_bfloat16Li64ELi1ELi16ELi8ELi4ELi3EEviiiiiiPKT_S3_S3_PS1_ii
                                        ; -- End function
	.section	.AMDGPU.csdata,"",@progbits
; Kernel info:
; codeLenInByte = 5360
; NumSgprs: 32
; NumVgprs: 87
; ScratchSize: 0
; MemoryBound: 0
; FloatMode: 240
; IeeeMode: 1
; LDSByteSize: 65536 bytes/workgroup (compile time only)
; SGPRBlocks: 3
; VGPRBlocks: 10
; NumSGPRsForWavesPerEU: 32
; NumVGPRsForWavesPerEU: 87
; Occupancy: 16
; WaveLimiterHint : 0
; COMPUTE_PGM_RSRC2:SCRATCH_EN: 0
; COMPUTE_PGM_RSRC2:USER_SGPR: 15
; COMPUTE_PGM_RSRC2:TRAP_HANDLER: 0
; COMPUTE_PGM_RSRC2:TGID_X_EN: 1
; COMPUTE_PGM_RSRC2:TGID_Y_EN: 0
; COMPUTE_PGM_RSRC2:TGID_Z_EN: 0
; COMPUTE_PGM_RSRC2:TIDIG_COMP_CNT: 1
	.section	.text._Z16wvSplitK_hf_big_I14__hip_bfloat16Li64ELi1ELi16ELi8ELi4ELi3EEviiiiiiPKT_S3_S3_PS1_ii,"axG",@progbits,_Z16wvSplitK_hf_big_I14__hip_bfloat16Li64ELi1ELi16ELi8ELi4ELi3EEviiiiiiPKT_S3_S3_PS1_ii,comdat
	.protected	_Z16wvSplitK_hf_big_I14__hip_bfloat16Li64ELi1ELi16ELi8ELi4ELi3EEviiiiiiPKT_S3_S3_PS1_ii ; -- Begin function _Z16wvSplitK_hf_big_I14__hip_bfloat16Li64ELi1ELi16ELi8ELi4ELi3EEviiiiiiPKT_S3_S3_PS1_ii
	.globl	_Z16wvSplitK_hf_big_I14__hip_bfloat16Li64ELi1ELi16ELi8ELi4ELi3EEviiiiiiPKT_S3_S3_PS1_ii
	.p2align	8
	.type	_Z16wvSplitK_hf_big_I14__hip_bfloat16Li64ELi1ELi16ELi8ELi4ELi3EEviiiiiiPKT_S3_S3_PS1_ii,@function
_Z16wvSplitK_hf_big_I14__hip_bfloat16Li64ELi1ELi16ELi8ELi4ELi3EEviiiiiiPKT_S3_S3_PS1_ii: ; @_Z16wvSplitK_hf_big_I14__hip_bfloat16Li64ELi1ELi16ELi8ELi4ELi3EEviiiiiiPKT_S3_S3_PS1_ii
; %bb.0:
	s_load_b64 s[20:21], s[0:1], 0x38
	v_bfe_u32 v1, v0, 10, 10
	s_mov_b32 s2, exec_lo
	s_waitcnt lgkmcnt(0)
	s_delay_alu instid0(VALU_DEP_1)
	v_cmpx_gt_u32_e64 s20, v1
	s_cbranch_execz .LBB235_50
; %bb.1:
	s_load_b128 s[16:19], s[0:1], 0x0
	v_mad_u64_u32 v[64:65], null, s15, s20, v[1:2]
	s_delay_alu instid0(VALU_DEP_1) | instskip(SKIP_2) | instid1(VALU_DEP_2)
	v_dual_mov_b32 v67, 1 :: v_dual_add_nc_u32 v2, 1, v64
	s_waitcnt lgkmcnt(0)
	v_cmp_gt_u32_e32 vcc_lo, s19, v64
	v_cmp_le_u32_e64 s2, s19, v2
	s_delay_alu instid0(VALU_DEP_1) | instskip(NEXT) | instid1(SALU_CYCLE_1)
	s_and_b32 s3, vcc_lo, s2
	s_and_saveexec_b32 s2, s3
; %bb.2:
	v_subrev_nc_u32_e32 v2, s19, v64
	s_add_i32 s3, s19, -1
	s_delay_alu instid0(SALU_CYCLE_1) | instskip(NEXT) | instid1(VALU_DEP_2)
	v_mov_b32_e32 v64, s3
	v_cmp_eq_u32_e32 vcc_lo, -1, v2
	v_cndmask_b32_e64 v67, 0, 1, vcc_lo
; %bb.3:
	s_or_b32 exec_lo, exec_lo, s2
	s_abs_i32 s2, s20
	s_abs_i32 s5, s19
	v_cvt_f32_u32_e32 v2, s2
	s_sub_i32 s4, 0, s2
	s_mov_b32 s14, 0
	s_delay_alu instid0(VALU_DEP_1) | instskip(SKIP_2) | instid1(VALU_DEP_1)
	v_rcp_iflag_f32_e32 v2, v2
	s_waitcnt_depctr 0xfff
	v_mul_f32_e32 v2, 0x4f7ffffe, v2
	v_cvt_u32_f32_e32 v2, v2
	s_delay_alu instid0(VALU_DEP_1) | instskip(NEXT) | instid1(VALU_DEP_1)
	v_readfirstlane_b32 s3, v2
	s_mul_i32 s4, s4, s3
	s_delay_alu instid0(SALU_CYCLE_1) | instskip(NEXT) | instid1(SALU_CYCLE_1)
	s_mul_hi_u32 s4, s3, s4
	s_add_i32 s3, s3, s4
	s_ashr_i32 s4, s19, 31
	s_mul_hi_u32 s3, s5, s3
	s_delay_alu instid0(SALU_CYCLE_1) | instskip(NEXT) | instid1(SALU_CYCLE_1)
	s_mul_i32 s3, s3, s2
	s_sub_i32 s3, s5, s3
	s_delay_alu instid0(SALU_CYCLE_1) | instskip(SKIP_2) | instid1(SALU_CYCLE_1)
	s_sub_i32 s5, s3, s2
	s_cmp_ge_u32 s3, s2
	s_cselect_b32 s3, s5, s3
	s_sub_i32 s5, s3, s2
	s_cmp_ge_u32 s3, s2
	s_cselect_b32 s2, s5, s3
	s_add_i32 s3, s20, s19
	s_xor_b32 s2, s2, s4
	s_delay_alu instid0(SALU_CYCLE_1) | instskip(NEXT) | instid1(SALU_CYCLE_1)
	s_sub_i32 s2, s2, s4
	s_sub_i32 s3, s3, s2
	s_cmp_eq_u32 s2, 0
	s_cselect_b32 s3, s19, s3
	s_delay_alu instid0(SALU_CYCLE_1)
	v_cmp_gt_u32_e32 vcc_lo, s3, v64
	s_and_b32 exec_lo, exec_lo, vcc_lo
	s_cbranch_execz .LBB235_50
; %bb.4:
	s_load_b256 s[4:11], s[0:1], 0x10
	s_min_u32 s15, s18, 0x2800
	s_cmp_lg_u32 s16, 0
	v_and_b32_e32 v0, 0x3ff, v0
	s_cselect_b32 s22, -1, 0
	s_cmp_lg_u32 s18, 0
	s_load_b64 s[12:13], s[0:1], 0x30
	s_cselect_b32 s23, -1, 0
	s_lshl_b32 s24, s20, 9
	s_add_i32 s25, s16, -8
	s_add_i32 s26, s19, -1
	v_cmp_eq_u32_e64 s0, 63, v0
	v_mbcnt_lo_u32_b32 v68, -1, 0
	v_lshlrev_b32_e32 v69, 3, v0
	v_lshlrev_b32_e32 v0, 4, v0
	s_delay_alu instid0(VALU_DEP_2)
	v_lshl_add_u32 v70, v1, 9, v69
	v_mov_b32_e32 v66, 0
	s_waitcnt lgkmcnt(0)
	s_cmp_lg_u64 s[10:11], 0
	v_cvt_f32_u32_e32 v3, s4
	s_cselect_b32 s27, -1, 0
	v_add_nc_u32_e32 v73, s18, v70
	s_abs_i32 s2, s5
	s_mul_i32 s5, s21, s20
	v_cvt_f32_u32_e32 v2, s2
	v_rcp_iflag_f32_e32 v3, v3
	s_sub_i32 s29, 0, s2
	s_sub_i32 s21, s5, s19
	s_sub_i32 s28, 0, s4
	v_rcp_iflag_f32_e32 v2, v2
	s_add_i32 s21, s21, 2
	s_sub_i32 s30, 1, s2
	v_lshl_add_u32 v71, v1, 10, v0
	v_lshl_add_u32 v72, s18, 1, v70
	s_waitcnt_depctr 0xfff
	v_mul_f32_e32 v2, 0x4f7ffffe, v2
	s_delay_alu instid0(VALU_DEP_1) | instskip(NEXT) | instid1(VALU_DEP_1)
	v_cvt_u32_f32_e32 v2, v2
	v_readfirstlane_b32 s1, v2
	v_mul_f32_e32 v2, 0x4f7ffffe, v3
	s_delay_alu instid0(VALU_DEP_2) | instskip(NEXT) | instid1(VALU_DEP_1)
	s_mul_i32 s29, s29, s1
	v_cvt_u32_f32_e32 v2, v2
	s_mul_hi_u32 s29, s1, s29
	s_delay_alu instid0(SALU_CYCLE_1) | instskip(SKIP_1) | instid1(VALU_DEP_1)
	s_add_i32 s1, s1, s29
	s_cmp_lt_u32 s2, 2
	v_mul_lo_u32 v3, s28, v2
	s_cselect_b32 s28, s30, 1
	s_delay_alu instid0(SALU_CYCLE_1) | instskip(SKIP_3) | instid1(VALU_DEP_1)
	s_sub_i32 s29, s28, s2
	s_cmp_ge_u32 s28, s2
	s_cselect_b32 s28, s29, s28
	s_lshr_b32 s1, s1, 31
	v_mul_hi_u32 v3, v2, v3
	s_mul_i32 s1, s1, s2
	s_mul_i32 s28, s28, s4
	s_sub_i32 s1, 2, s1
	s_delay_alu instid0(SALU_CYCLE_1) | instskip(SKIP_2) | instid1(VALU_DEP_1)
	s_sub_i32 s29, s1, s2
	s_cmp_ge_u32 s1, s2
	s_cselect_b32 s1, s29, s1
	v_add_nc_u32_e32 v74, v2, v3
	s_sub_i32 s29, s1, s2
	s_cmp_ge_u32 s1, s2
	s_cselect_b32 s30, s29, s1
	s_lshl_b32 s29, s15, 2
	s_lshl_b32 s20, s20, 10
	s_mul_i32 s30, s30, s4
	s_lshl_b32 s31, s15, 1
	s_branch .LBB235_7
.LBB235_5:                              ;   in Loop: Header=BB235_7 Depth=1
	s_or_b32 exec_lo, exec_lo, s1
.LBB235_6:                              ;   in Loop: Header=BB235_7 Depth=1
	s_delay_alu instid0(SALU_CYCLE_1) | instskip(NEXT) | instid1(VALU_DEP_1)
	s_or_b32 exec_lo, exec_lo, s2
	v_cmp_le_u32_e32 vcc_lo, s3, v0
	v_mov_b32_e32 v64, v0
	s_or_b32 s14, vcc_lo, s14
	s_delay_alu instid0(SALU_CYCLE_1)
	s_and_not1_b32 exec_lo, exec_lo, s14
	s_cbranch_execz .LBB235_50
.LBB235_7:                              ; =>This Loop Header: Depth=1
                                        ;     Child Loop BB235_14 Depth 2
                                        ;       Child Loop BB235_19 Depth 3
	v_mov_b32_e32 v77, v66
	v_mov_b32_e32 v78, v66
	;; [unrolled: 1-line block ×3, first 2 shown]
	s_and_not1_b32 vcc_lo, exec_lo, s22
	s_mov_b32 s33, 0
	s_cbranch_vccnz .LBB235_28
; %bb.8:                                ;   in Loop: Header=BB235_7 Depth=1
	v_min_u32_e32 v0, s26, v64
	v_cmp_gt_u32_e64 s1, s19, v64
	v_dual_mov_b32 v79, 0 :: v_dual_mov_b32 v78, 0
	v_mov_b32_e32 v77, 0
	s_delay_alu instid0(VALU_DEP_4) | instskip(SKIP_1) | instid1(VALU_DEP_1)
	v_mul_lo_u32 v65, v0, s17
	s_mov_b32 s34, 0
	v_lshlrev_b64 v[0:1], 1, v[65:66]
	s_delay_alu instid0(VALU_DEP_1) | instskip(NEXT) | instid1(VALU_DEP_2)
	v_add_co_u32 v75, vcc_lo, s6, v0
	v_add_co_ci_u32_e32 v76, vcc_lo, s7, v1, vcc_lo
	s_branch .LBB235_14
.LBB235_9:                              ;   in Loop: Header=BB235_14 Depth=2
	s_or_b32 exec_lo, exec_lo, s38
.LBB235_10:                             ;   in Loop: Header=BB235_14 Depth=2
	s_delay_alu instid0(SALU_CYCLE_1)
	s_or_b32 exec_lo, exec_lo, s37
.LBB235_11:                             ;   in Loop: Header=BB235_14 Depth=2
	s_delay_alu instid0(SALU_CYCLE_1)
	s_or_b32 exec_lo, exec_lo, s36
.LBB235_12:                             ;   in Loop: Header=BB235_14 Depth=2
	s_delay_alu instid0(SALU_CYCLE_1)
	s_or_b32 exec_lo, exec_lo, s35
	s_waitcnt lgkmcnt(2)
	v_and_b32_e32 v65, 0xffff0000, v60
	v_lshlrev_b32_e32 v60, 16, v60
	v_and_b32_e32 v81, 0xffff0000, v61
	s_waitcnt vmcnt(3)
	v_and_b32_e32 v82, 0xffff0000, v49
	v_and_b32_e32 v80, 0xffff0000, v48
	v_lshlrev_b32_e32 v61, 16, v61
	s_delay_alu instid0(VALU_DEP_3) | instskip(NEXT) | instid1(VALU_DEP_3)
	v_mul_f32_e32 v81, v81, v82
	v_mul_f32_e32 v65, v65, v80
	v_lshlrev_b32_e32 v49, 16, v49
	s_delay_alu instid0(VALU_DEP_1) | instskip(NEXT) | instid1(VALU_DEP_1)
	v_dual_fmac_f32 v81, v61, v49 :: v_dual_lshlrev_b32 v48, 16, v48
	v_dual_fmac_f32 v65, v60, v48 :: v_dual_and_b32 v60, 0xffff0000, v50
	s_waitcnt lgkmcnt(1)
	v_and_b32_e32 v61, 0xffff0000, v56
	v_lshlrev_b32_e32 v50, 16, v50
	s_delay_alu instid0(VALU_DEP_3) | instskip(SKIP_1) | instid1(VALU_DEP_4)
	v_dual_add_f32 v65, v79, v65 :: v_dual_lshlrev_b32 v56, 16, v56
	v_and_b32_e32 v83, 0xffff0000, v62
	v_dual_mul_f32 v61, v61, v80 :: v_dual_lshlrev_b32 v62, 16, v62
	s_delay_alu instid0(VALU_DEP_2) | instskip(SKIP_1) | instid1(VALU_DEP_3)
	v_mul_f32_e32 v79, v83, v60
	v_and_b32_e32 v83, 0xffff0000, v51
	v_dual_fmac_f32 v61, v56, v48 :: v_dual_lshlrev_b32 v56, 16, v57
	s_delay_alu instid0(VALU_DEP_3) | instskip(SKIP_2) | instid1(VALU_DEP_3)
	v_dual_fmac_f32 v79, v62, v50 :: v_dual_add_f32 v62, v65, v81
	v_and_b32_e32 v81, 0xffff0000, v57
	s_waitcnt lgkmcnt(0)
	v_dual_add_f32 v61, v78, v61 :: v_dual_and_b32 v78, 0xffff0000, v52
	v_lshlrev_b32_e32 v52, 16, v52
	s_delay_alu instid0(VALU_DEP_3) | instskip(SKIP_1) | instid1(VALU_DEP_2)
	v_dual_add_f32 v62, v62, v79 :: v_dual_mul_f32 v57, v81, v82
	v_and_b32_e32 v81, 0xffff0000, v58
	v_dual_fmac_f32 v57, v56, v49 :: v_dual_lshlrev_b32 v56, 16, v58
	s_delay_alu instid0(VALU_DEP_2) | instskip(NEXT) | instid1(VALU_DEP_1)
	v_mul_f32_e32 v58, v81, v60
	v_dual_add_f32 v57, v61, v57 :: v_dual_fmac_f32 v58, v56, v50
	v_dual_mul_f32 v56, v78, v80 :: v_dual_and_b32 v65, 0xffff0000, v63
	s_delay_alu instid0(VALU_DEP_1) | instskip(SKIP_1) | instid1(VALU_DEP_3)
	v_dual_add_f32 v57, v57, v58 :: v_dual_fmac_f32 v56, v52, v48
	v_lshlrev_b32_e32 v63, 16, v63
	v_dual_mul_f32 v65, v65, v83 :: v_dual_lshlrev_b32 v48, 16, v53
	v_and_b32_e32 v58, 0xffff0000, v59
	s_delay_alu instid0(VALU_DEP_4) | instskip(NEXT) | instid1(VALU_DEP_1)
	v_dual_add_f32 v56, v77, v56 :: v_dual_lshlrev_b32 v51, 16, v51
	v_fmac_f32_e32 v65, v63, v51
	s_delay_alu instid0(VALU_DEP_1) | instskip(SKIP_1) | instid1(VALU_DEP_1)
	v_add_f32_e32 v61, v62, v65
	v_and_b32_e32 v62, 0xffff0000, v53
	v_dual_mul_f32 v52, v62, v82 :: v_dual_lshlrev_b32 v53, 16, v59
	s_delay_alu instid0(VALU_DEP_1)
	v_dual_fmac_f32 v52, v48, v49 :: v_dual_and_b32 v59, 0xffff0000, v54
	v_mul_f32_e32 v58, v58, v83
	v_lshlrev_b32_e32 v48, 16, v54
	s_waitcnt vmcnt(2)
	v_and_b32_e32 v54, 0xffff0000, v36
	v_add_f32_e32 v52, v56, v52
	v_dual_fmac_f32 v58, v53, v51 :: v_dual_and_b32 v53, 0xffff0000, v44
	v_dual_mul_f32 v49, v59, v60 :: v_dual_and_b32 v56, 0xffff0000, v37
	v_and_b32_e32 v59, 0xffff0000, v38
	v_lshlrev_b32_e32 v38, 16, v38
	s_delay_alu instid0(VALU_DEP_3) | instskip(SKIP_3) | instid1(VALU_DEP_4)
	v_dual_fmac_f32 v49, v48, v50 :: v_dual_lshlrev_b32 v44, 16, v44
	v_and_b32_e32 v50, 0xffff0000, v55
	v_lshlrev_b32_e32 v55, 16, v55
	v_lshlrev_b32_e32 v37, 16, v37
	v_dual_add_f32 v49, v52, v49 :: v_dual_lshlrev_b32 v36, 16, v36
	s_delay_alu instid0(VALU_DEP_4) | instskip(SKIP_1) | instid1(VALU_DEP_2)
	v_mul_f32_e32 v50, v50, v83
	v_and_b32_e32 v52, 0xffff0000, v41
	v_fmac_f32_e32 v50, v55, v51
	v_dual_mul_f32 v48, v53, v54 :: v_dual_and_b32 v51, 0xffff0000, v39
	s_delay_alu instid0(VALU_DEP_1) | instskip(SKIP_1) | instid1(VALU_DEP_2)
	v_dual_fmac_f32 v48, v44, v36 :: v_dual_and_b32 v53, 0xffff0000, v45
	v_lshlrev_b32_e32 v44, 16, v45
	v_add_f32_e32 v48, v61, v48
	s_delay_alu instid0(VALU_DEP_3) | instskip(NEXT) | instid1(VALU_DEP_1)
	v_mul_f32_e32 v45, v53, v56
	v_dual_fmac_f32 v45, v44, v37 :: v_dual_lshlrev_b32 v44, 16, v46
	s_delay_alu instid0(VALU_DEP_1) | instskip(NEXT) | instid1(VALU_DEP_1)
	v_dual_add_f32 v45, v48, v45 :: v_dual_and_b32 v48, 0xffff0000, v47
	v_dual_mul_f32 v48, v48, v51 :: v_dual_and_b32 v53, 0xffff0000, v46
	s_delay_alu instid0(VALU_DEP_1) | instskip(SKIP_1) | instid1(VALU_DEP_2)
	v_mul_f32_e32 v46, v53, v59
	v_add_f32_e32 v53, v57, v58
	v_dual_fmac_f32 v46, v44, v38 :: v_dual_lshlrev_b32 v39, 16, v39
	v_and_b32_e32 v44, 0xffff0000, v40
	v_lshlrev_b32_e32 v47, 16, v47
	s_delay_alu instid0(VALU_DEP_3) | instskip(NEXT) | instid1(VALU_DEP_3)
	v_add_f32_e32 v45, v45, v46
	v_mul_f32_e32 v44, v44, v54
	s_delay_alu instid0(VALU_DEP_3) | instskip(SKIP_3) | instid1(VALU_DEP_3)
	v_dual_fmac_f32 v48, v47, v39 :: v_dual_and_b32 v47, 0xffff0000, v42
	v_lshlrev_b32_e32 v40, 16, v40
	v_lshlrev_b32_e32 v42, 16, v42
	v_add_f32_e32 v46, v49, v50
	v_dual_fmac_f32 v44, v40, v36 :: v_dual_mul_f32 v47, v47, v59
	v_dual_mul_f32 v41, v52, v56 :: v_dual_lshlrev_b32 v40, 16, v41
	s_delay_alu instid0(VALU_DEP_2) | instskip(SKIP_1) | instid1(VALU_DEP_3)
	v_dual_add_f32 v44, v53, v44 :: v_dual_fmac_f32 v47, v42, v38
	v_and_b32_e32 v42, 0xffff0000, v33
	v_dual_fmac_f32 v41, v40, v37 :: v_dual_add_f32 v40, v45, v48
	s_delay_alu instid0(VALU_DEP_1) | instskip(SKIP_2) | instid1(VALU_DEP_2)
	v_dual_add_f32 v41, v44, v41 :: v_dual_and_b32 v44, 0xffff0000, v43
	v_and_b32_e32 v45, 0xffff0000, v32
	v_lshlrev_b32_e32 v32, 16, v32
	v_dual_mul_f32 v44, v44, v51 :: v_dual_mul_f32 v45, v45, v54
	s_delay_alu instid0(VALU_DEP_1) | instskip(SKIP_3) | instid1(VALU_DEP_4)
	v_fmac_f32_e32 v45, v32, v36
	v_lshlrev_b32_e32 v43, 16, v43
	v_dual_mul_f32 v33, v42, v56 :: v_dual_lshlrev_b32 v32, 16, v33
	v_dual_add_f32 v36, v41, v47 :: v_dual_and_b32 v41, 0xffff0000, v34
	v_add_f32_e32 v42, v46, v45
	s_delay_alu instid0(VALU_DEP_3)
	v_dual_fmac_f32 v44, v43, v39 :: v_dual_fmac_f32 v33, v32, v37
	v_and_b32_e32 v37, 0xffff0000, v28
	s_waitcnt vmcnt(1)
	v_and_b32_e32 v43, 0xffff0000, v18
	v_lshlrev_b32_e32 v18, 16, v18
	v_dual_add_f32 v36, v36, v44 :: v_dual_add_f32 v33, v42, v33
	v_and_b32_e32 v42, 0xffff0000, v17
	v_lshlrev_b32_e32 v17, 16, v17
	v_lshlrev_b32_e32 v32, 16, v34
	v_dual_mul_f32 v34, v41, v59 :: v_dual_and_b32 v41, 0xffff0000, v16
	s_delay_alu instid0(VALU_DEP_1) | instskip(NEXT) | instid1(VALU_DEP_2)
	v_fmac_f32_e32 v34, v32, v38
	v_dual_mul_f32 v32, v37, v41 :: v_dual_and_b32 v37, 0xffff0000, v35
	v_lshlrev_b32_e32 v35, 16, v35
	s_delay_alu instid0(VALU_DEP_3) | instskip(NEXT) | instid1(VALU_DEP_3)
	v_dual_add_f32 v33, v33, v34 :: v_dual_lshlrev_b32 v28, 16, v28
	v_dual_mul_f32 v37, v37, v51 :: v_dual_and_b32 v38, 0xffff0000, v29
	v_lshlrev_b32_e32 v16, 16, v16
	s_delay_alu instid0(VALU_DEP_2) | instskip(NEXT) | instid1(VALU_DEP_2)
	v_dual_fmac_f32 v37, v35, v39 :: v_dual_and_b32 v34, 0xffff0000, v24
	v_fmac_f32_e32 v32, v28, v16
	s_delay_alu instid0(VALU_DEP_4) | instskip(SKIP_2) | instid1(VALU_DEP_4)
	v_dual_mul_f32 v29, v38, v42 :: v_dual_lshlrev_b32 v28, 16, v29
	v_and_b32_e32 v35, 0xffff0000, v19
	v_lshlrev_b32_e32 v24, 16, v24
	v_dual_add_f32 v32, v40, v32 :: v_dual_lshlrev_b32 v19, 16, v19
	s_delay_alu instid0(VALU_DEP_4) | instskip(NEXT) | instid1(VALU_DEP_1)
	v_dual_fmac_f32 v29, v28, v17 :: v_dual_and_b32 v38, 0xffff0000, v30
	v_dual_add_f32 v29, v32, v29 :: v_dual_lshlrev_b32 v28, 16, v30
	s_delay_alu instid0(VALU_DEP_2) | instskip(SKIP_1) | instid1(VALU_DEP_2)
	v_mul_f32_e32 v30, v38, v43
	v_and_b32_e32 v32, 0xffff0000, v31
	v_dual_fmac_f32 v30, v28, v18 :: v_dual_lshlrev_b32 v31, 16, v31
	v_mul_f32_e32 v28, v34, v41
	s_delay_alu instid0(VALU_DEP_2) | instskip(NEXT) | instid1(VALU_DEP_2)
	v_dual_add_f32 v29, v29, v30 :: v_dual_and_b32 v34, 0xffff0000, v25
	v_fmac_f32_e32 v28, v24, v16
	s_delay_alu instid0(VALU_DEP_2) | instskip(SKIP_2) | instid1(VALU_DEP_4)
	v_dual_mul_f32 v25, v34, v42 :: v_dual_lshlrev_b32 v24, 16, v25
	v_and_b32_e32 v34, 0xffff0000, v26
	v_and_b32_e32 v30, 0xffff0000, v20
	v_add_f32_e32 v28, v36, v28
	s_delay_alu instid0(VALU_DEP_4) | instskip(SKIP_1) | instid1(VALU_DEP_2)
	v_dual_fmac_f32 v25, v24, v17 :: v_dual_lshlrev_b32 v20, 16, v20
	v_lshlrev_b32_e32 v24, 16, v26
	v_dual_mul_f32 v26, v34, v43 :: v_dual_add_f32 v25, v28, v25
	v_add_f32_e32 v28, v33, v37
	s_delay_alu instid0(VALU_DEP_2) | instskip(SKIP_2) | instid1(VALU_DEP_2)
	v_fmac_f32_e32 v26, v24, v18
	v_mul_f32_e32 v24, v30, v41
	v_and_b32_e32 v30, 0xffff0000, v21
	v_fmac_f32_e32 v24, v20, v16
	s_delay_alu instid0(VALU_DEP_2) | instskip(NEXT) | instid1(VALU_DEP_2)
	v_mul_f32_e32 v20, v30, v42
	v_add_f32_e32 v24, v28, v24
	s_waitcnt vmcnt(0)
	v_and_b32_e32 v28, 0xffff0000, v2
	v_lshlrev_b32_e32 v16, 16, v21
	v_and_b32_e32 v21, 0xffff0000, v27
	v_lshlrev_b32_e32 v27, 16, v27
	v_add_f32_e32 v25, v25, v26
	v_and_b32_e32 v26, 0xffff0000, v22
	v_fmac_f32_e32 v20, v16, v17
	v_lshlrev_b32_e32 v16, 16, v22
	v_lshlrev_b32_e32 v2, 16, v2
	s_delay_alu instid0(VALU_DEP_4) | instskip(SKIP_3) | instid1(VALU_DEP_4)
	v_dual_mul_f32 v17, v26, v43 :: v_dual_and_b32 v22, 0xffff0000, v12
	v_and_b32_e32 v26, 0xffff0000, v0
	v_add_f32_e32 v20, v24, v20
	v_lshlrev_b32_e32 v12, 16, v12
	v_dual_fmac_f32 v17, v16, v18 :: v_dual_lshlrev_b32 v0, 16, v0
	s_delay_alu instid0(VALU_DEP_4) | instskip(SKIP_3) | instid1(VALU_DEP_4)
	v_mul_f32_e32 v16, v22, v26
	v_and_b32_e32 v22, 0xffff0000, v13
	v_and_b32_e32 v24, 0xffff0000, v1
	v_dual_mul_f32 v32, v32, v35 :: v_dual_lshlrev_b32 v1, 16, v1
	v_fmac_f32_e32 v16, v12, v0
	s_delay_alu instid0(VALU_DEP_3)
	v_dual_mul_f32 v13, v22, v24 :: v_dual_lshlrev_b32 v12, 16, v13
	v_and_b32_e32 v22, 0xffff0000, v14
	v_and_b32_e32 v18, 0xffff0000, v23
	v_mul_f32_e32 v21, v21, v35
	v_lshlrev_b32_e32 v23, 16, v23
	v_dual_fmac_f32 v13, v12, v1 :: v_dual_lshlrev_b32 v12, 16, v14
	v_mul_f32_e32 v14, v22, v28
	v_mul_f32_e32 v18, v18, v35
	s_delay_alu instid0(VALU_DEP_2) | instskip(SKIP_1) | instid1(VALU_DEP_3)
	v_dual_fmac_f32 v21, v27, v19 :: v_dual_fmac_f32 v14, v12, v2
	v_fmac_f32_e32 v32, v31, v19
	v_fmac_f32_e32 v18, v23, v19
	v_and_b32_e32 v19, 0xffff0000, v3
	v_lshlrev_b32_e32 v3, 16, v3
	v_and_b32_e32 v12, 0xffff0000, v4
	v_add_f32_e32 v29, v29, v32
	v_lshlrev_b32_e32 v4, 16, v4
	s_delay_alu instid0(VALU_DEP_3) | instskip(NEXT) | instid1(VALU_DEP_3)
	v_mul_f32_e32 v12, v12, v26
	v_add_f32_e32 v16, v29, v16
	s_delay_alu instid0(VALU_DEP_2) | instskip(NEXT) | instid1(VALU_DEP_2)
	v_fmac_f32_e32 v12, v4, v0
	v_add_f32_e32 v13, v16, v13
	v_lshlrev_b32_e32 v4, 16, v5
	v_add_f32_e32 v16, v25, v21
	s_delay_alu instid0(VALU_DEP_3) | instskip(NEXT) | instid1(VALU_DEP_2)
	v_dual_add_f32 v13, v13, v14 :: v_dual_and_b32 v14, 0xffff0000, v15
	v_dual_add_f32 v12, v16, v12 :: v_dual_lshlrev_b32 v15, 16, v15
	s_delay_alu instid0(VALU_DEP_2) | instskip(NEXT) | instid1(VALU_DEP_1)
	v_mul_f32_e32 v14, v14, v19
	v_fmac_f32_e32 v14, v15, v3
	s_delay_alu instid0(VALU_DEP_1) | instskip(SKIP_1) | instid1(VALU_DEP_1)
	v_add_f32_e32 v79, v13, v14
	v_add_f32_e32 v17, v20, v17
	v_dual_add_f32 v17, v17, v18 :: v_dual_and_b32 v18, 0xffff0000, v5
	s_delay_alu instid0(VALU_DEP_1) | instskip(SKIP_1) | instid1(VALU_DEP_2)
	v_mul_f32_e32 v5, v18, v24
	v_and_b32_e32 v18, 0xffff0000, v8
	v_dual_fmac_f32 v5, v4, v1 :: v_dual_lshlrev_b32 v8, 16, v8
	v_and_b32_e32 v4, 0xffff0000, v6
	s_delay_alu instid0(VALU_DEP_3)
	v_mul_f32_e32 v16, v18, v26
	v_lshlrev_b32_e32 v6, 16, v6
	v_and_b32_e32 v18, 0xffff0000, v9
	v_add_f32_e32 v5, v12, v5
	v_mul_f32_e32 v4, v4, v28
	v_fmac_f32_e32 v16, v8, v0
	v_lshlrev_b32_e32 v0, 16, v9
	v_dual_mul_f32 v8, v18, v24 :: v_dual_and_b32 v9, 0xffff0000, v7
	s_delay_alu instid0(VALU_DEP_4) | instskip(SKIP_2) | instid1(VALU_DEP_4)
	v_fmac_f32_e32 v4, v6, v2
	v_and_b32_e32 v6, 0xffff0000, v10
	v_add_f32_e32 v12, v17, v16
	v_fmac_f32_e32 v8, v0, v1
	v_dual_mul_f32 v9, v9, v19 :: v_dual_lshlrev_b32 v0, 16, v10
	s_delay_alu instid0(VALU_DEP_4) | instskip(NEXT) | instid1(VALU_DEP_3)
	v_dual_mul_f32 v1, v6, v28 :: v_dual_lshlrev_b32 v6, 16, v7
	v_dual_add_f32 v8, v12, v8 :: v_dual_and_b32 v7, 0xffff0000, v11
	s_delay_alu instid0(VALU_DEP_2) | instskip(SKIP_1) | instid1(VALU_DEP_3)
	v_dual_add_f32 v4, v5, v4 :: v_dual_fmac_f32 v1, v0, v2
	v_lshlrev_b32_e32 v0, 16, v11
	v_mul_f32_e32 v2, v7, v19
	v_fmac_f32_e32 v9, v6, v3
	s_delay_alu instid0(VALU_DEP_4) | instskip(NEXT) | instid1(VALU_DEP_3)
	v_add_f32_e32 v1, v8, v1
	v_fmac_f32_e32 v2, v0, v3
	s_delay_alu instid0(VALU_DEP_1)
	v_dual_add_f32 v78, v4, v9 :: v_dual_add_f32 v77, v1, v2
.LBB235_13:                             ;   in Loop: Header=BB235_14 Depth=2
	s_or_b32 exec_lo, exec_lo, s2
	s_addk_i32 s34, 0x800
	s_delay_alu instid0(SALU_CYCLE_1)
	s_cmp_ge_u32 s34, s16
	s_cbranch_scc1 .LBB235_28
.LBB235_14:                             ;   Parent Loop BB235_7 Depth=1
                                        ; =>  This Loop Header: Depth=2
                                        ;       Child Loop BB235_19 Depth 3
	s_cmp_eq_u32 s34, 0
	s_cselect_b32 s35, -1, 0
	s_add_i32 s2, s33, s15
	s_delay_alu instid0(SALU_CYCLE_1) | instskip(SKIP_1) | instid1(SALU_CYCLE_1)
	s_cmp_eq_u32 s34, s2
	s_cselect_b32 s36, -1, 0
	s_or_b32 s36, s35, s36
	s_delay_alu instid0(SALU_CYCLE_1)
	s_and_not1_b32 vcc_lo, exec_lo, s36
	s_cbranch_vccz .LBB235_16
; %bb.15:                               ;   in Loop: Header=BB235_14 Depth=2
	s_and_saveexec_b32 s2, s1
	s_cbranch_execz .LBB235_13
	s_branch .LBB235_23
.LBB235_16:                             ;   in Loop: Header=BB235_14 Depth=2
	s_and_b32 s35, s35, exec_lo
	s_cselect_b32 s33, s33, s2
	s_and_not1_b32 vcc_lo, exec_lo, s23
	s_waitcnt vmcnt(0)
	s_waitcnt_vscnt null, 0x0
	s_barrier
	buffer_gl0_inv
	s_cbranch_vccnz .LBB235_22
; %bb.17:                               ;   in Loop: Header=BB235_14 Depth=2
	v_dual_mov_b32 v3, v71 :: v_dual_add_nc_u32 v0, s33, v72
	v_add_nc_u32_e32 v1, s33, v73
	v_add_nc_u32_e32 v2, s33, v70
	s_mov_b32 s35, 0
	s_mov_b32 s36, 0
                                        ; implicit-def: $sgpr37
	s_branch .LBB235_19
.LBB235_18:                             ;   in Loop: Header=BB235_19 Depth=3
	s_or_b32 exec_lo, exec_lo, s2
	s_delay_alu instid0(SALU_CYCLE_1) | instskip(NEXT) | instid1(SALU_CYCLE_1)
	s_and_b32 s2, exec_lo, s37
	s_or_b32 s35, s2, s35
	s_delay_alu instid0(SALU_CYCLE_1)
	s_and_not1_b32 exec_lo, exec_lo, s35
	s_cbranch_execz .LBB235_21
.LBB235_19:                             ;   Parent Loop BB235_7 Depth=1
                                        ;     Parent Loop BB235_14 Depth=2
                                        ; =>    This Inner Loop Header: Depth=3
	s_delay_alu instid0(VALU_DEP_1) | instskip(SKIP_2) | instid1(VALU_DEP_2)
	v_add_nc_u32_e32 v65, s36, v2
	v_add_nc_u32_e32 v4, s36, v70
	s_or_b32 s37, s37, exec_lo
	v_cmp_gt_u32_e32 vcc_lo, s18, v65
	s_delay_alu instid0(VALU_DEP_2) | instskip(NEXT) | instid1(VALU_DEP_1)
	v_cmp_gt_u32_e64 s2, s15, v4
	s_and_b32 s38, s2, vcc_lo
	s_delay_alu instid0(SALU_CYCLE_1)
	s_and_saveexec_b32 s2, s38
	s_cbranch_execz .LBB235_18
; %bb.20:                               ;   in Loop: Header=BB235_19 Depth=3
	v_lshlrev_b64 v[4:5], 1, v[65:66]
	v_add_nc_u32_e32 v65, s36, v1
	v_add_nc_u32_e32 v16, s31, v3
	;; [unrolled: 1-line block ×3, first 2 shown]
	s_delay_alu instid0(VALU_DEP_3) | instskip(SKIP_3) | instid1(VALU_DEP_3)
	v_lshlrev_b64 v[6:7], 1, v[65:66]
	v_add_nc_u32_e32 v65, s36, v0
	v_add_co_u32 v4, vcc_lo, s8, v4
	v_add_co_ci_u32_e32 v5, vcc_lo, s9, v5, vcc_lo
	v_lshlrev_b64 v[8:9], 1, v[65:66]
	v_add_co_u32 v10, vcc_lo, s8, v6
	v_add_co_ci_u32_e32 v11, vcc_lo, s9, v7, vcc_lo
	s_add_i32 s36, s36, s24
	s_delay_alu instid0(VALU_DEP_3) | instskip(NEXT) | instid1(VALU_DEP_4)
	v_add_co_u32 v12, vcc_lo, s8, v8
	v_add_co_ci_u32_e32 v13, vcc_lo, s9, v9, vcc_lo
	s_clause 0x2
	global_load_b128 v[4:7], v[4:5], off
	global_load_b128 v[8:11], v[10:11], off
	;; [unrolled: 1-line block ×3, first 2 shown]
	s_cmp_ge_u32 s36, s15
	s_cselect_b32 s38, -1, 0
	s_and_not1_b32 s37, s37, exec_lo
	s_and_b32 s38, s38, exec_lo
	s_delay_alu instid0(SALU_CYCLE_1)
	s_or_b32 s37, s37, s38
	s_waitcnt vmcnt(2)
	ds_store_b128 v3, v[4:7]
	v_add_nc_u32_e32 v3, s20, v3
	s_waitcnt vmcnt(1)
	ds_store_2addr_b64 v16, v[8:9], v[10:11] offset1:1
	s_waitcnt vmcnt(0)
	ds_store_2addr_b32 v17, v12, v13 offset1:1
	ds_store_2addr_b32 v17, v14, v15 offset0:2 offset1:3
	s_branch .LBB235_18
.LBB235_21:                             ;   in Loop: Header=BB235_14 Depth=2
	s_or_b32 exec_lo, exec_lo, s35
.LBB235_22:                             ;   in Loop: Header=BB235_14 Depth=2
	s_waitcnt lgkmcnt(0)
	s_barrier
	buffer_gl0_inv
	s_and_saveexec_b32 s2, s1
	s_cbranch_execz .LBB235_13
.LBB235_23:                             ;   in Loop: Header=BB235_14 Depth=2
	v_dual_mov_b32 v11, 0 :: v_dual_add_nc_u32 v82, s34, v69
	v_dual_mov_b32 v15, 0 :: v_dual_mov_b32 v14, 0
	v_dual_mov_b32 v13, 0 :: v_dual_mov_b32 v12, 0
	s_delay_alu instid0(VALU_DEP_3) | instskip(SKIP_3) | instid1(VALU_DEP_3)
	v_min_u32_e32 v65, s25, v82
	v_dual_mov_b32 v10, 0 :: v_dual_add_nc_u32 v83, 0x200, v82
	s_waitcnt vmcnt(2)
	v_dual_mov_b32 v8, 0 :: v_dual_add_nc_u32 v81, 0x400, v82
	v_lshlrev_b64 v[0:1], 1, v[65:66]
	s_delay_alu instid0(VALU_DEP_3) | instskip(SKIP_2) | instid1(VALU_DEP_3)
	v_min_u32_e32 v65, s25, v83
	v_dual_mov_b32 v9, 0 :: v_dual_add_nc_u32 v80, 0x600, v82
	v_dual_mov_b32 v23, 0 :: v_dual_mov_b32 v22, 0
	v_lshlrev_b64 v[2:3], 1, v[65:66]
	v_min_u32_e32 v65, s25, v81
	v_add_co_u32 v0, vcc_lo, v75, v0
	v_add_co_ci_u32_e32 v1, vcc_lo, v76, v1, vcc_lo
	s_waitcnt vmcnt(0)
	s_delay_alu instid0(VALU_DEP_3) | instskip(SKIP_3) | instid1(VALU_DEP_3)
	v_lshlrev_b64 v[4:5], 1, v[65:66]
	v_min_u32_e32 v65, s25, v80
	v_add_co_u32 v2, vcc_lo, v75, v2
	v_add_co_ci_u32_e32 v3, vcc_lo, v76, v3, vcc_lo
	v_lshlrev_b64 v[6:7], 1, v[65:66]
	v_add_co_u32 v4, vcc_lo, v75, v4
	v_add_co_ci_u32_e32 v5, vcc_lo, v76, v5, vcc_lo
	v_dual_mov_b32 v21, 0 :: v_dual_mov_b32 v20, 0
	s_delay_alu instid0(VALU_DEP_4)
	v_add_co_u32 v6, vcc_lo, v75, v6
	v_add_co_ci_u32_e32 v7, vcc_lo, v76, v7, vcc_lo
	s_clause 0x3
	global_load_b128 v[48:51], v[0:1], off slc dlc
	global_load_b128 v[36:39], v[2:3], off slc dlc
	;; [unrolled: 1-line block ×4, first 2 shown]
	v_cmp_gt_u32_e32 vcc_lo, s16, v82
	v_dual_mov_b32 v7, 0 :: v_dual_mov_b32 v6, 0
	v_dual_mov_b32 v5, 0 :: v_dual_mov_b32 v4, 0
	;; [unrolled: 1-line block ×18, first 2 shown]
	s_and_saveexec_b32 s35, vcc_lo
	s_cbranch_execz .LBB235_12
; %bb.24:                               ;   in Loop: Header=BB235_14 Depth=2
	v_subrev_nc_u32_e32 v4, s33, v82
	v_mov_b32_e32 v46, 0
	v_cmp_gt_u32_e32 vcc_lo, s16, v83
	v_dual_mov_b32 v44, 0 :: v_dual_mov_b32 v45, 0
	s_delay_alu instid0(VALU_DEP_4) | instskip(SKIP_2) | instid1(VALU_DEP_3)
	v_lshlrev_b32_e32 v65, 1, v4
	v_dual_mov_b32 v47, 0 :: v_dual_mov_b32 v40, 0
	v_dual_mov_b32 v41, 0 :: v_dual_mov_b32 v42, 0
	v_dual_mov_b32 v43, 0 :: v_dual_add_nc_u32 v82, s31, v65
	v_mov_b32_e32 v34, 0
	v_dual_mov_b32 v32, 0 :: v_dual_mov_b32 v33, 0
	s_delay_alu instid0(VALU_DEP_3)
	v_add_nc_u32_e32 v83, s31, v82
	v_dual_mov_b32 v35, 0 :: v_dual_mov_b32 v28, 0
	ds_load_b128 v[60:63], v65
	ds_load_b128 v[56:59], v82
	;; [unrolled: 1-line block ×3, first 2 shown]
	v_dual_mov_b32 v29, 0 :: v_dual_mov_b32 v30, 0
	v_dual_mov_b32 v31, 0 :: v_dual_mov_b32 v24, 0
	;; [unrolled: 1-line block ×11, first 2 shown]
	v_mov_b32_e32 v11, 0
	s_and_saveexec_b32 s36, vcc_lo
	s_cbranch_execz .LBB235_11
; %bb.25:                               ;   in Loop: Header=BB235_14 Depth=2
	ds_load_b128 v[44:47], v65 offset:1024
	ds_load_b128 v[40:43], v82 offset:1024
	;; [unrolled: 1-line block ×3, first 2 shown]
	v_cmp_gt_u32_e32 vcc_lo, s16, v81
	v_dual_mov_b32 v28, 0 :: v_dual_mov_b32 v29, 0
	v_dual_mov_b32 v30, 0 :: v_dual_mov_b32 v31, 0
	;; [unrolled: 1-line block ×12, first 2 shown]
	s_and_saveexec_b32 s37, vcc_lo
	s_cbranch_execz .LBB235_10
; %bb.26:                               ;   in Loop: Header=BB235_14 Depth=2
	ds_load_b128 v[28:31], v65 offset:2048
	ds_load_b128 v[24:27], v82 offset:2048
	;; [unrolled: 1-line block ×3, first 2 shown]
	v_dual_mov_b32 v12, 0 :: v_dual_mov_b32 v13, 0
	v_dual_mov_b32 v14, 0 :: v_dual_mov_b32 v15, 0
	;; [unrolled: 1-line block ×6, first 2 shown]
	s_mov_b32 s38, exec_lo
	v_cmpx_gt_u32_e64 s16, v80
	s_cbranch_execz .LBB235_9
; %bb.27:                               ;   in Loop: Header=BB235_14 Depth=2
	ds_load_b128 v[12:15], v65 offset:3072
	ds_load_b128 v[4:7], v82 offset:3072
	;; [unrolled: 1-line block ×3, first 2 shown]
	s_branch .LBB235_9
.LBB235_28:                             ;   in Loop: Header=BB235_7 Depth=1
	s_mov_b32 s1, exec_lo
                                        ; implicit-def: $vgpr0
	v_cmpx_le_u32_e64 s19, v64
	s_xor_b32 s1, exec_lo, s1
; %bb.29:                               ;   in Loop: Header=BB235_7 Depth=1
	v_add_nc_u32_e32 v0, s5, v64
                                        ; implicit-def: $vgpr64
                                        ; implicit-def: $vgpr79
                                        ; implicit-def: $vgpr78
                                        ; implicit-def: $vgpr77
; %bb.30:                               ;   in Loop: Header=BB235_7 Depth=1
	s_and_not1_saveexec_b32 s2, s1
	s_cbranch_execz .LBB235_6
; %bb.31:                               ;   in Loop: Header=BB235_7 Depth=1
	v_cvt_i32_f32_e32 v0, v79
	v_cvt_i32_f32_e32 v1, v78
	;; [unrolled: 1-line block ×3, first 2 shown]
	s_delay_alu instid0(VALU_DEP_3) | instskip(NEXT) | instid1(VALU_DEP_3)
	v_cvt_f32_i32_dpp v0, v0 row_shr:8 row_mask:0xf bank_mask:0xf bound_ctrl:1
	v_cvt_f32_i32_dpp v1, v1 row_shr:8 row_mask:0xf bank_mask:0xf bound_ctrl:1
	s_delay_alu instid0(VALU_DEP_3) | instskip(NEXT) | instid1(VALU_DEP_2)
	v_cvt_f32_i32_dpp v2, v2 row_shr:8 row_mask:0xf bank_mask:0xf bound_ctrl:1
	v_dual_add_f32 v0, v79, v0 :: v_dual_add_f32 v1, v78, v1
	s_delay_alu instid0(VALU_DEP_1) | instskip(SKIP_1) | instid1(VALU_DEP_2)
	v_cvt_i32_f32_e32 v3, v0
	s_waitcnt vmcnt(0)
	v_cvt_i32_f32_e32 v4, v1
	s_delay_alu instid0(VALU_DEP_2) | instskip(NEXT) | instid1(VALU_DEP_2)
	v_cvt_f32_i32_dpp v3, v3 row_shr:4 row_mask:0xf bank_mask:0xf bound_ctrl:1
	v_cvt_f32_i32_dpp v4, v4 row_shr:4 row_mask:0xf bank_mask:0xf bound_ctrl:1
	s_delay_alu instid0(VALU_DEP_1) | instskip(NEXT) | instid1(VALU_DEP_1)
	v_dual_add_f32 v0, v0, v3 :: v_dual_add_f32 v1, v1, v4
	v_cvt_i32_f32_e32 v3, v0
	s_delay_alu instid0(VALU_DEP_2) | instskip(NEXT) | instid1(VALU_DEP_2)
	v_cvt_i32_f32_e32 v4, v1
	v_cvt_f32_i32_dpp v3, v3 row_shr:2 row_mask:0xf bank_mask:0xf bound_ctrl:1
	s_delay_alu instid0(VALU_DEP_2) | instskip(NEXT) | instid1(VALU_DEP_1)
	v_cvt_f32_i32_dpp v4, v4 row_shr:2 row_mask:0xf bank_mask:0xf bound_ctrl:1
	v_dual_add_f32 v0, v0, v3 :: v_dual_add_f32 v1, v1, v4
	s_delay_alu instid0(VALU_DEP_1) | instskip(NEXT) | instid1(VALU_DEP_1)
	v_cvt_i32_f32_e32 v4, v0
	v_cvt_f32_i32_dpp v4, v4 row_shr:1 row_mask:0xf bank_mask:0xf bound_ctrl:1
	v_add_f32_e32 v2, v77, v2
	s_delay_alu instid0(VALU_DEP_1) | instskip(NEXT) | instid1(VALU_DEP_1)
	v_cvt_i32_f32_e32 v5, v2
	v_cvt_f32_i32_dpp v5, v5 row_shr:4 row_mask:0xf bank_mask:0xf bound_ctrl:1
	s_delay_alu instid0(VALU_DEP_1) | instskip(NEXT) | instid1(VALU_DEP_1)
	v_add_f32_e32 v2, v2, v5
	v_cvt_i32_f32_e32 v5, v2
	s_delay_alu instid0(VALU_DEP_1) | instskip(NEXT) | instid1(VALU_DEP_1)
	v_cvt_f32_i32_dpp v5, v5 row_shr:2 row_mask:0xf bank_mask:0xf bound_ctrl:1
	v_add_f32_e32 v3, v2, v5
	v_xor_b32_e32 v2, 16, v68
	v_cvt_i32_f32_e32 v5, v1
	s_delay_alu instid0(VALU_DEP_2) | instskip(NEXT) | instid1(VALU_DEP_2)
	v_cmp_gt_i32_e32 vcc_lo, 32, v2
	v_cvt_f32_i32_dpp v7, v5 row_shr:1 row_mask:0xf bank_mask:0xf bound_ctrl:1
	v_add_f32_e32 v5, v0, v4
	v_cndmask_b32_e32 v2, v68, v2, vcc_lo
	v_cvt_i32_f32_e32 v6, v3
	s_delay_alu instid0(VALU_DEP_2) | instskip(NEXT) | instid1(VALU_DEP_2)
	v_lshlrev_b32_e32 v8, 2, v2
	v_cvt_f32_i32_dpp v6, v6 row_shr:1 row_mask:0xf bank_mask:0xf bound_ctrl:1
	v_add_f32_e32 v2, v1, v7
	s_delay_alu instid0(VALU_DEP_2)
	v_add_f32_e32 v0, v3, v6
	ds_bpermute_b32 v6, v8, v5
	ds_bpermute_b32 v3, v8, v2
	;; [unrolled: 1-line block ×3, first 2 shown]
	s_and_saveexec_b32 s1, s0
	s_cbranch_execz .LBB235_48
; %bb.32:                               ;   in Loop: Header=BB235_7 Depth=1
	v_dual_mov_b32 v8, 0 :: v_dual_mov_b32 v7, 0
	v_mov_b32_e32 v4, 0
	s_and_not1_b32 vcc_lo, exec_lo, s27
	s_cbranch_vccnz .LBB235_34
; %bb.33:                               ;   in Loop: Header=BB235_7 Depth=1
	v_mul_hi_u32 v4, v64, v74
	v_mov_b32_e32 v8, v66
	s_delay_alu instid0(VALU_DEP_2) | instskip(NEXT) | instid1(VALU_DEP_1)
	v_mul_lo_u32 v4, v4, s4
	v_sub_nc_u32_e32 v4, v64, v4
	s_delay_alu instid0(VALU_DEP_1) | instskip(SKIP_1) | instid1(VALU_DEP_2)
	v_subrev_nc_u32_e32 v7, s4, v4
	v_cmp_le_u32_e32 vcc_lo, s4, v4
	v_cndmask_b32_e32 v4, v4, v7, vcc_lo
	s_delay_alu instid0(VALU_DEP_1) | instskip(SKIP_1) | instid1(VALU_DEP_2)
	v_subrev_nc_u32_e32 v7, s4, v4
	v_cmp_le_u32_e32 vcc_lo, s4, v4
	v_cndmask_b32_e32 v65, v4, v7, vcc_lo
	s_delay_alu instid0(VALU_DEP_1) | instskip(SKIP_2) | instid1(VALU_DEP_3)
	v_add_nc_u32_e32 v7, s28, v65
	v_lshlrev_b64 v[9:10], 1, v[65:66]
	v_add_nc_u32_e32 v65, s30, v65
	v_lshlrev_b64 v[7:8], 1, v[7:8]
	s_delay_alu instid0(VALU_DEP_2) | instskip(NEXT) | instid1(VALU_DEP_4)
	v_lshlrev_b64 v[11:12], 1, v[65:66]
	v_add_co_u32 v9, vcc_lo, s10, v9
	v_add_co_ci_u32_e32 v10, vcc_lo, s11, v10, vcc_lo
	s_delay_alu instid0(VALU_DEP_4)
	v_add_co_u32 v13, vcc_lo, s10, v7
	v_add_co_ci_u32_e32 v14, vcc_lo, s11, v8, vcc_lo
	v_add_co_u32 v11, vcc_lo, s10, v11
	v_add_co_ci_u32_e32 v12, vcc_lo, s11, v12, vcc_lo
	s_clause 0x2
	global_load_u16 v8, v[9:10], off
	global_load_u16 v7, v[13:14], off
	;; [unrolled: 1-line block ×3, first 2 shown]
.LBB235_34:                             ;   in Loop: Header=BB235_7 Depth=1
	v_cmp_ne_u32_e32 vcc_lo, 0, v67
	s_and_b32 exec_lo, exec_lo, vcc_lo
	s_cbranch_execz .LBB235_48
; %bb.35:                               ;   in Loop: Header=BB235_7 Depth=1
	s_waitcnt vmcnt(2) lgkmcnt(2)
	v_dual_add_f32 v5, v5, v6 :: v_dual_lshlrev_b32 v6, 16, v8
	s_delay_alu instid0(VALU_DEP_1) | instskip(NEXT) | instid1(VALU_DEP_1)
	v_add_f32_e32 v6, v5, v6
	v_and_b32_e32 v5, 0x7f800000, v6
	s_delay_alu instid0(VALU_DEP_1) | instskip(SKIP_1) | instid1(SALU_CYCLE_1)
	v_cmp_ne_u32_e32 vcc_lo, 0x7f800000, v5
                                        ; implicit-def: $vgpr5
	s_and_saveexec_b32 s33, vcc_lo
	s_xor_b32 s33, exec_lo, s33
; %bb.36:                               ;   in Loop: Header=BB235_7 Depth=1
	v_bfe_u32 v5, v6, 16, 1
	s_delay_alu instid0(VALU_DEP_1)
	v_add3_u32 v5, v6, v5, 0x7fff
                                        ; implicit-def: $vgpr6
; %bb.37:                               ;   in Loop: Header=BB235_7 Depth=1
	s_and_not1_saveexec_b32 s33, s33
; %bb.38:                               ;   in Loop: Header=BB235_7 Depth=1
	v_and_b32_e32 v5, 0xffff, v6
	v_or_b32_e32 v8, 0x10000, v6
	s_delay_alu instid0(VALU_DEP_2) | instskip(NEXT) | instid1(VALU_DEP_2)
	v_cmp_eq_u32_e32 vcc_lo, 0, v5
	v_cndmask_b32_e32 v5, v8, v6, vcc_lo
; %bb.39:                               ;   in Loop: Header=BB235_7 Depth=1
	s_or_b32 exec_lo, exec_lo, s33
	s_waitcnt lgkmcnt(1)
	v_add_f32_e32 v2, v2, v3
	s_waitcnt vmcnt(1)
	v_lshlrev_b32_e32 v3, 16, v7
	s_delay_alu instid0(VALU_DEP_1) | instskip(NEXT) | instid1(VALU_DEP_1)
	v_add_f32_e32 v3, v2, v3
	v_dual_mov_b32 v65, v66 :: v_dual_and_b32 v2, 0x7f800000, v3
	s_delay_alu instid0(VALU_DEP_1) | instskip(NEXT) | instid1(VALU_DEP_1)
	v_lshlrev_b64 v[6:7], 1, v[64:65]
	v_add_co_u32 v6, vcc_lo, s12, v6
	s_delay_alu instid0(VALU_DEP_2) | instskip(NEXT) | instid1(VALU_DEP_4)
	v_add_co_ci_u32_e32 v7, vcc_lo, s13, v7, vcc_lo
	v_cmp_ne_u32_e32 vcc_lo, 0x7f800000, v2
                                        ; implicit-def: $vgpr2
	global_store_d16_hi_b16 v[6:7], v5, off
	s_and_saveexec_b32 s33, vcc_lo
	s_delay_alu instid0(SALU_CYCLE_1)
	s_xor_b32 s33, exec_lo, s33
; %bb.40:                               ;   in Loop: Header=BB235_7 Depth=1
	v_bfe_u32 v2, v3, 16, 1
	s_delay_alu instid0(VALU_DEP_1)
	v_add3_u32 v2, v3, v2, 0x7fff
                                        ; implicit-def: $vgpr3
; %bb.41:                               ;   in Loop: Header=BB235_7 Depth=1
	s_and_not1_saveexec_b32 s33, s33
; %bb.42:                               ;   in Loop: Header=BB235_7 Depth=1
	v_and_b32_e32 v2, 0xffff, v3
	v_or_b32_e32 v5, 0x10000, v3
	s_delay_alu instid0(VALU_DEP_2) | instskip(NEXT) | instid1(VALU_DEP_2)
	v_cmp_eq_u32_e32 vcc_lo, 0, v2
	v_cndmask_b32_e32 v2, v5, v3, vcc_lo
; %bb.43:                               ;   in Loop: Header=BB235_7 Depth=1
	s_or_b32 exec_lo, exec_lo, s33
	s_waitcnt vmcnt(0) lgkmcnt(0)
	v_dual_add_f32 v0, v0, v1 :: v_dual_lshlrev_b32 v1, 16, v4
	v_add_nc_u32_e32 v65, s19, v64
	s_delay_alu instid0(VALU_DEP_2) | instskip(NEXT) | instid1(VALU_DEP_2)
	v_add_f32_e32 v1, v0, v1
	v_lshlrev_b64 v[3:4], 1, v[65:66]
	s_delay_alu instid0(VALU_DEP_2) | instskip(NEXT) | instid1(VALU_DEP_2)
	v_and_b32_e32 v0, 0x7f800000, v1
	v_add_co_u32 v3, vcc_lo, s12, v3
	s_delay_alu instid0(VALU_DEP_3) | instskip(NEXT) | instid1(VALU_DEP_3)
	v_add_co_ci_u32_e32 v4, vcc_lo, s13, v4, vcc_lo
	v_cmp_ne_u32_e32 vcc_lo, 0x7f800000, v0
                                        ; implicit-def: $vgpr0
	global_store_d16_hi_b16 v[3:4], v2, off
	s_and_saveexec_b32 s33, vcc_lo
	s_delay_alu instid0(SALU_CYCLE_1)
	s_xor_b32 s33, exec_lo, s33
; %bb.44:                               ;   in Loop: Header=BB235_7 Depth=1
	v_bfe_u32 v0, v1, 16, 1
	s_delay_alu instid0(VALU_DEP_1)
	v_add3_u32 v0, v1, v0, 0x7fff
                                        ; implicit-def: $vgpr1
; %bb.45:                               ;   in Loop: Header=BB235_7 Depth=1
	s_and_not1_saveexec_b32 s33, s33
; %bb.46:                               ;   in Loop: Header=BB235_7 Depth=1
	v_and_b32_e32 v0, 0xffff, v1
	v_or_b32_e32 v2, 0x10000, v1
	s_delay_alu instid0(VALU_DEP_2) | instskip(NEXT) | instid1(VALU_DEP_2)
	v_cmp_eq_u32_e32 vcc_lo, 0, v0
	v_cndmask_b32_e32 v0, v2, v1, vcc_lo
; %bb.47:                               ;   in Loop: Header=BB235_7 Depth=1
	s_or_b32 exec_lo, exec_lo, s33
	v_add_nc_u32_e32 v65, s19, v65
	s_delay_alu instid0(VALU_DEP_1) | instskip(NEXT) | instid1(VALU_DEP_1)
	v_lshlrev_b64 v[1:2], 1, v[65:66]
	v_add_co_u32 v1, vcc_lo, s12, v1
	s_delay_alu instid0(VALU_DEP_2)
	v_add_co_ci_u32_e32 v2, vcc_lo, s13, v2, vcc_lo
	global_store_d16_hi_b16 v[1:2], v0, off
.LBB235_48:                             ;   in Loop: Header=BB235_7 Depth=1
	s_or_b32 exec_lo, exec_lo, s1
	v_add_nc_u32_e32 v0, s5, v64
	s_waitcnt lgkmcnt(0)
	s_delay_alu instid0(VALU_DEP_1) | instskip(SKIP_1) | instid1(VALU_DEP_2)
	v_add_nc_u32_e32 v1, 1, v0
	v_cmp_gt_u32_e32 vcc_lo, s19, v0
	v_cmp_le_u32_e64 s1, s19, v1
	s_delay_alu instid0(VALU_DEP_1) | instskip(NEXT) | instid1(SALU_CYCLE_1)
	s_and_b32 s33, vcc_lo, s1
	s_and_saveexec_b32 s1, s33
	s_cbranch_execz .LBB235_5
; %bb.49:                               ;   in Loop: Header=BB235_7 Depth=1
	v_add_nc_u32_e32 v0, s21, v64
	s_delay_alu instid0(VALU_DEP_1)
	v_cmp_eq_u32_e32 vcc_lo, 1, v0
	v_dual_mov_b32 v0, s26 :: v_dual_cndmask_b32 v67, 0, v67
	s_branch .LBB235_5
.LBB235_50:
	s_nop 0
	s_sendmsg sendmsg(MSG_DEALLOC_VGPRS)
	s_endpgm
	.section	.rodata,"a",@progbits
	.p2align	6, 0x0
	.amdhsa_kernel _Z16wvSplitK_hf_big_I14__hip_bfloat16Li64ELi1ELi16ELi8ELi4ELi3EEviiiiiiPKT_S3_S3_PS1_ii
		.amdhsa_group_segment_fixed_size 65536
		.amdhsa_private_segment_fixed_size 0
		.amdhsa_kernarg_size 64
		.amdhsa_user_sgpr_count 15
		.amdhsa_user_sgpr_dispatch_ptr 0
		.amdhsa_user_sgpr_queue_ptr 0
		.amdhsa_user_sgpr_kernarg_segment_ptr 1
		.amdhsa_user_sgpr_dispatch_id 0
		.amdhsa_user_sgpr_private_segment_size 0
		.amdhsa_wavefront_size32 1
		.amdhsa_uses_dynamic_stack 0
		.amdhsa_enable_private_segment 0
		.amdhsa_system_sgpr_workgroup_id_x 1
		.amdhsa_system_sgpr_workgroup_id_y 0
		.amdhsa_system_sgpr_workgroup_id_z 0
		.amdhsa_system_sgpr_workgroup_info 0
		.amdhsa_system_vgpr_workitem_id 1
		.amdhsa_next_free_vgpr 84
		.amdhsa_next_free_sgpr 39
		.amdhsa_reserve_vcc 1
		.amdhsa_float_round_mode_32 0
		.amdhsa_float_round_mode_16_64 0
		.amdhsa_float_denorm_mode_32 3
		.amdhsa_float_denorm_mode_16_64 3
		.amdhsa_dx10_clamp 1
		.amdhsa_ieee_mode 1
		.amdhsa_fp16_overflow 0
		.amdhsa_workgroup_processor_mode 1
		.amdhsa_memory_ordered 1
		.amdhsa_forward_progress 0
		.amdhsa_shared_vgpr_count 0
		.amdhsa_exception_fp_ieee_invalid_op 0
		.amdhsa_exception_fp_denorm_src 0
		.amdhsa_exception_fp_ieee_div_zero 0
		.amdhsa_exception_fp_ieee_overflow 0
		.amdhsa_exception_fp_ieee_underflow 0
		.amdhsa_exception_fp_ieee_inexact 0
		.amdhsa_exception_int_div_zero 0
	.end_amdhsa_kernel
	.section	.text._Z16wvSplitK_hf_big_I14__hip_bfloat16Li64ELi1ELi16ELi8ELi4ELi3EEviiiiiiPKT_S3_S3_PS1_ii,"axG",@progbits,_Z16wvSplitK_hf_big_I14__hip_bfloat16Li64ELi1ELi16ELi8ELi4ELi3EEviiiiiiPKT_S3_S3_PS1_ii,comdat
.Lfunc_end235:
	.size	_Z16wvSplitK_hf_big_I14__hip_bfloat16Li64ELi1ELi16ELi8ELi4ELi3EEviiiiiiPKT_S3_S3_PS1_ii, .Lfunc_end235-_Z16wvSplitK_hf_big_I14__hip_bfloat16Li64ELi1ELi16ELi8ELi4ELi3EEviiiiiiPKT_S3_S3_PS1_ii
                                        ; -- End function
	.section	.AMDGPU.csdata,"",@progbits
; Kernel info:
; codeLenInByte = 4688
; NumSgprs: 41
; NumVgprs: 84
; ScratchSize: 0
; MemoryBound: 0
; FloatMode: 240
; IeeeMode: 1
; LDSByteSize: 65536 bytes/workgroup (compile time only)
; SGPRBlocks: 5
; VGPRBlocks: 10
; NumSGPRsForWavesPerEU: 41
; NumVGPRsForWavesPerEU: 84
; Occupancy: 16
; WaveLimiterHint : 0
; COMPUTE_PGM_RSRC2:SCRATCH_EN: 0
; COMPUTE_PGM_RSRC2:USER_SGPR: 15
; COMPUTE_PGM_RSRC2:TRAP_HANDLER: 0
; COMPUTE_PGM_RSRC2:TGID_X_EN: 1
; COMPUTE_PGM_RSRC2:TGID_Y_EN: 0
; COMPUTE_PGM_RSRC2:TGID_Z_EN: 0
; COMPUTE_PGM_RSRC2:TIDIG_COMP_CNT: 1
	.section	.text._Z16wvSplitK_hf_sml_I14__hip_bfloat16Li64ELi2ELi16ELi8ELi2ELi3EEviiiiiiPKT_S3_S3_PS1_ii,"axG",@progbits,_Z16wvSplitK_hf_sml_I14__hip_bfloat16Li64ELi2ELi16ELi8ELi2ELi3EEviiiiiiPKT_S3_S3_PS1_ii,comdat
	.protected	_Z16wvSplitK_hf_sml_I14__hip_bfloat16Li64ELi2ELi16ELi8ELi2ELi3EEviiiiiiPKT_S3_S3_PS1_ii ; -- Begin function _Z16wvSplitK_hf_sml_I14__hip_bfloat16Li64ELi2ELi16ELi8ELi2ELi3EEviiiiiiPKT_S3_S3_PS1_ii
	.globl	_Z16wvSplitK_hf_sml_I14__hip_bfloat16Li64ELi2ELi16ELi8ELi2ELi3EEviiiiiiPKT_S3_S3_PS1_ii
	.p2align	8
	.type	_Z16wvSplitK_hf_sml_I14__hip_bfloat16Li64ELi2ELi16ELi8ELi2ELi3EEviiiiiiPKT_S3_S3_PS1_ii,@function
_Z16wvSplitK_hf_sml_I14__hip_bfloat16Li64ELi2ELi16ELi8ELi2ELi3EEviiiiiiPKT_S3_S3_PS1_ii: ; @_Z16wvSplitK_hf_sml_I14__hip_bfloat16Li64ELi2ELi16ELi8ELi2ELi3EEviiiiiiPKT_S3_S3_PS1_ii
; %bb.0:
	s_clause 0x2
	s_load_b128 s[4:7], s[0:1], 0x0
	s_load_b64 s[8:9], s[0:1], 0x10
	s_load_b64 s[10:11], s[0:1], 0x28
	v_and_b32_e32 v2, 0x3ff, v0
	v_bfe_u32 v3, v0, 10, 10
	s_mov_b32 s12, exec_lo
	s_delay_alu instid0(VALU_DEP_2) | instskip(NEXT) | instid1(VALU_DEP_1)
	v_lshlrev_b32_e32 v47, 3, v2
	v_lshl_add_u32 v4, v3, 9, v47
	s_waitcnt lgkmcnt(0)
	s_mul_i32 s2, s6, 3
	s_delay_alu instid0(SALU_CYCLE_1)
	s_min_u32 s3, s2, 0x8000
	s_delay_alu instid0(VALU_DEP_1) | instid1(SALU_CYCLE_1)
	v_cmpx_gt_u32_e64 s3, v4
	s_cbranch_execz .LBB236_3
; %bb.1:
	s_load_b64 s[16:17], s[0:1], 0x20
	v_lshlrev_b32_e32 v5, 10, v3
	v_lshlrev_b32_e32 v6, 4, v2
	s_mov_b32 s13, 0
	s_delay_alu instid0(VALU_DEP_1) | instskip(NEXT) | instid1(VALU_DEP_1)
	v_add_co_u32 v0, s2, v5, v6
	v_add_co_ci_u32_e64 v1, null, 0, 0, s2
	v_add_nc_u32_e32 v5, v5, v6
	s_waitcnt lgkmcnt(0)
	s_delay_alu instid0(VALU_DEP_3) | instskip(NEXT) | instid1(VALU_DEP_3)
	v_add_co_u32 v0, vcc_lo, s16, v0
	v_add_co_ci_u32_e32 v1, vcc_lo, s17, v1, vcc_lo
	.p2align	6
.LBB236_2:                              ; =>This Inner Loop Header: Depth=1
	global_load_b128 v[6:9], v[0:1], off
	v_add_nc_u32_e32 v4, 0x2000, v4
	v_add_co_u32 v0, vcc_lo, 0x4000, v0
	v_add_co_ci_u32_e32 v1, vcc_lo, 0, v1, vcc_lo
	s_delay_alu instid0(VALU_DEP_3) | instskip(NEXT) | instid1(VALU_DEP_1)
	v_cmp_le_u32_e64 s2, s3, v4
	s_or_b32 s13, s2, s13
	s_waitcnt vmcnt(0)
	ds_store_b128 v5, v[6:9]
	v_add_nc_u32_e32 v5, 0x4000, v5
	s_and_not1_b32 exec_lo, exec_lo, s13
	s_cbranch_execnz .LBB236_2
.LBB236_3:
	s_or_b32 exec_lo, exec_lo, s12
	s_load_b64 s[16:17], s[0:1], 0x38
	s_waitcnt lgkmcnt(0)
	s_barrier
	buffer_gl0_inv
	s_mov_b32 s2, exec_lo
	v_cmpx_gt_u32_e64 s16, v3
	s_cbranch_execz .LBB236_42
; %bb.4:
	s_mul_i32 s15, s15, s16
	s_delay_alu instid0(SALU_CYCLE_1) | instskip(NEXT) | instid1(VALU_DEP_1)
	v_add_lshl_u32 v32, s15, v3, 1
	v_cmp_gt_u32_e32 vcc_lo, s7, v32
	s_and_b32 exec_lo, exec_lo, vcc_lo
	s_cbranch_execz .LBB236_42
; %bb.5:
	s_cmp_lg_u32 s4, 0
	v_mbcnt_lo_u32_b32 v3, -1, 0
	s_cselect_b32 s14, -1, 0
	s_add_i32 s15, s4, -8
	s_add_i32 s18, s7, -1
	s_cmp_lg_u64 s[10:11], 0
	s_clause 0x1
	s_load_b64 s[2:3], s[0:1], 0x18
	s_load_b64 s[12:13], s[0:1], 0x30
	s_cselect_b32 s19, -1, 0
	s_abs_i32 s20, s9
	v_cmp_eq_u32_e64 s0, 63, v2
	v_cvt_f32_u32_e32 v0, s20
	v_lshlrev_b32_e32 v48, 4, v2
	v_xor_b32_e32 v2, 16, v3
	v_cvt_f32_u32_e32 v1, s8
	s_mul_i32 s9, s16, s17
	v_rcp_iflag_f32_e32 v0, v0
	s_sub_i32 s17, 0, s20
	v_cmp_gt_i32_e32 vcc_lo, 32, v2
	v_rcp_iflag_f32_e32 v1, v1
	s_lshl_b32 s9, s9, 1
	s_sub_i32 s21, 0, s8
	s_sub_i32 s22, 1, s20
	v_cndmask_b32_e32 v2, v3, v2, vcc_lo
	v_mov_b32_e32 v34, 0
	s_mov_b32 s1, 0
	s_waitcnt_depctr 0xfff
	v_dual_mul_f32 v0, 0x4f7ffffe, v0 :: v_dual_lshlrev_b32 v49, 2, v2
	s_delay_alu instid0(VALU_DEP_1) | instskip(NEXT) | instid1(VALU_DEP_1)
	v_cvt_u32_f32_e32 v0, v0
	v_readfirstlane_b32 s16, v0
	v_mul_f32_e32 v0, 0x4f7ffffe, v1
	s_delay_alu instid0(VALU_DEP_2) | instskip(NEXT) | instid1(VALU_DEP_1)
	s_mul_i32 s17, s17, s16
	v_cvt_u32_f32_e32 v0, v0
	s_mul_hi_u32 s17, s16, s17
	s_delay_alu instid0(SALU_CYCLE_1) | instskip(SKIP_1) | instid1(VALU_DEP_1)
	s_add_i32 s16, s16, s17
	s_cmp_lt_u32 s20, 2
	v_mul_lo_u32 v1, s21, v0
	s_cselect_b32 s17, s22, 1
	s_delay_alu instid0(SALU_CYCLE_1) | instskip(SKIP_3) | instid1(VALU_DEP_1)
	s_sub_i32 s21, s17, s20
	s_cmp_ge_u32 s17, s20
	s_cselect_b32 s17, s21, s17
	s_lshr_b32 s16, s16, 31
	v_mul_hi_u32 v1, v0, v1
	s_mul_i32 s16, s16, s20
	s_delay_alu instid0(SALU_CYCLE_1) | instskip(NEXT) | instid1(SALU_CYCLE_1)
	s_sub_i32 s16, 2, s16
	s_sub_i32 s21, s16, s20
	s_cmp_ge_u32 s16, s20
	s_cselect_b32 s21, s21, s16
	s_delay_alu instid0(VALU_DEP_1)
	v_add_nc_u32_e32 v50, v0, v1
	s_sub_i32 s22, s21, s20
	s_cmp_ge_u32 s21, s20
	s_mul_i32 s16, s17, s8
	s_cselect_b32 s20, s22, s21
	s_lshl_b32 s17, s6, 2
	s_mul_i32 s20, s20, s8
	s_lshl_b32 s6, s6, 1
	s_branch .LBB236_8
.LBB236_6:                              ;   in Loop: Header=BB236_8 Depth=1
	s_or_b32 exec_lo, exec_lo, s22
	global_store_d16_hi_b16 v[0:1], v3, off offset:2
.LBB236_7:                              ;   in Loop: Header=BB236_8 Depth=1
	s_or_b32 exec_lo, exec_lo, s21
	v_add_nc_u32_e32 v32, s9, v32
	s_delay_alu instid0(VALU_DEP_1) | instskip(SKIP_1) | instid1(SALU_CYCLE_1)
	v_cmp_le_u32_e32 vcc_lo, s7, v32
	s_or_b32 s1, vcc_lo, s1
	s_and_not1_b32 exec_lo, exec_lo, s1
	s_cbranch_execz .LBB236_42
.LBB236_8:                              ; =>This Loop Header: Depth=1
                                        ;     Child Loop BB236_12 Depth 2
	v_mov_b32_e32 v52, v34
	v_mov_b32_e32 v53, v34
	;; [unrolled: 1-line block ×6, first 2 shown]
	s_and_not1_b32 vcc_lo, exec_lo, s14
	s_cbranch_vccnz .LBB236_15
; %bb.9:                                ;   in Loop: Header=BB236_8 Depth=1
	v_or_b32_e32 v0, 1, v32
	s_waitcnt lgkmcnt(0)
	v_min_u32_e32 v1, s18, v32
	v_dual_mov_b32 v51, v48 :: v_dual_mov_b32 v56, 0
	v_dual_mov_b32 v57, 0 :: v_dual_mov_b32 v52, 0
	v_min_u32_e32 v0, s18, v0
	s_delay_alu instid0(VALU_DEP_4) | instskip(SKIP_2) | instid1(VALU_DEP_4)
	v_mul_lo_u32 v33, v1, s5
	v_dual_mov_b32 v1, v34 :: v_dual_mov_b32 v54, 0
	v_mov_b32_e32 v55, 0
	v_mul_lo_u32 v0, v0, s5
	v_mov_b32_e32 v53, 0
	s_mov_b32 s21, 0
	v_lshlrev_b64 v[35:36], 1, v[33:34]
	s_delay_alu instid0(VALU_DEP_3)
	v_lshlrev_b64 v[37:38], 1, v[0:1]
	s_branch .LBB236_12
.LBB236_10:                             ;   in Loop: Header=BB236_12 Depth=2
	s_or_b32 exec_lo, exec_lo, s23
.LBB236_11:                             ;   in Loop: Header=BB236_12 Depth=2
	s_delay_alu instid0(SALU_CYCLE_1)
	s_or_b32 exec_lo, exec_lo, s22
	s_waitcnt lgkmcnt(1)
	v_and_b32_e32 v63, 0xffff0000, v30
	s_waitcnt vmcnt(3)
	v_and_b32_e32 v64, 0xffff0000, v26
	v_and_b32_e32 v59, 0xffff0000, v29
	v_lshlrev_b32_e32 v30, 16, v30
	v_lshlrev_b32_e32 v26, 16, v26
	s_delay_alu instid0(VALU_DEP_4)
	v_dual_mul_f32 v65, v63, v64 :: v_dual_and_b32 v66, 0xffff0000, v27
	v_and_b32_e32 v58, 0xffff0000, v24
	v_lshlrev_b32_e32 v24, 16, v24
	v_and_b32_e32 v60, 0xffff0000, v25
	v_lshlrev_b32_e32 v29, 16, v29
	v_lshlrev_b32_e32 v25, 16, v25
	v_fmac_f32_e32 v65, v30, v26
	s_waitcnt vmcnt(2)
	v_dual_mul_f32 v62, v59, v60 :: v_dual_and_b32 v67, 0xffff0000, v21
	v_and_b32_e32 v33, 0xffff0000, v28
	s_addk_i32 s21, 0x400
	v_add_nc_u32_e32 v51, 0x800, v51
	s_cmp_ge_u32 s21, s4
	v_fmac_f32_e32 v62, v29, v25
	v_dual_mul_f32 v61, v33, v58 :: v_dual_lshlrev_b32 v28, 16, v28
	s_delay_alu instid0(VALU_DEP_1) | instskip(NEXT) | instid1(VALU_DEP_1)
	v_fmac_f32_e32 v61, v28, v24
	v_add_f32_e32 v54, v54, v61
	s_delay_alu instid0(VALU_DEP_1) | instskip(SKIP_2) | instid1(VALU_DEP_3)
	v_dual_add_f32 v54, v54, v62 :: v_dual_and_b32 v61, 0xffff0000, v20
	v_lshlrev_b32_e32 v20, 16, v20
	v_lshlrev_b32_e32 v21, 16, v21
	v_add_f32_e32 v54, v54, v65
	s_delay_alu instid0(VALU_DEP_4) | instskip(NEXT) | instid1(VALU_DEP_1)
	v_dual_mul_f32 v33, v33, v61 :: v_dual_and_b32 v62, 0xffff0000, v31
	v_dual_fmac_f32 v33, v28, v20 :: v_dual_mul_f32 v28, v59, v67
	v_lshlrev_b32_e32 v31, 16, v31
	s_delay_alu instid0(VALU_DEP_2) | instskip(NEXT) | instid1(VALU_DEP_3)
	v_add_f32_e32 v33, v57, v33
	v_dual_fmac_f32 v28, v29, v21 :: v_dual_lshlrev_b32 v27, 16, v27
	s_delay_alu instid0(VALU_DEP_1) | instskip(SKIP_1) | instid1(VALU_DEP_1)
	v_dual_add_f32 v28, v33, v28 :: v_dual_and_b32 v33, 0xffff0000, v23
	v_and_b32_e32 v57, 0xffff0000, v22
	v_dual_mul_f32 v59, v63, v57 :: v_dual_mul_f32 v68, v62, v66
	s_delay_alu instid0(VALU_DEP_1) | instskip(NEXT) | instid1(VALU_DEP_1)
	v_fmac_f32_e32 v68, v31, v27
	v_add_f32_e32 v29, v54, v68
	v_mul_f32_e32 v62, v62, v33
	v_and_b32_e32 v54, 0xffff0000, v16
	s_delay_alu instid0(VALU_DEP_1) | instskip(NEXT) | instid1(VALU_DEP_1)
	v_dual_mul_f32 v63, v54, v58 :: v_dual_lshlrev_b32 v16, 16, v16
	v_dual_fmac_f32 v63, v16, v24 :: v_dual_lshlrev_b32 v22, 16, v22
	s_delay_alu instid0(VALU_DEP_1) | instskip(SKIP_1) | instid1(VALU_DEP_2)
	v_fmac_f32_e32 v59, v30, v22
	v_dual_mul_f32 v54, v54, v61 :: v_dual_lshlrev_b32 v23, 16, v23
	v_dual_add_f32 v28, v28, v59 :: v_dual_and_b32 v59, 0xffff0000, v18
	s_delay_alu instid0(VALU_DEP_2) | instskip(SKIP_1) | instid1(VALU_DEP_4)
	v_fmac_f32_e32 v62, v31, v23
	v_dual_add_f32 v31, v56, v63 :: v_dual_lshlrev_b32 v18, 16, v18
	v_fmac_f32_e32 v54, v16, v20
	s_delay_alu instid0(VALU_DEP_4) | instskip(NEXT) | instid1(VALU_DEP_4)
	v_mul_f32_e32 v56, v59, v64
	v_add_f32_e32 v28, v28, v62
	v_and_b32_e32 v62, 0xffff0000, v19
	s_delay_alu instid0(VALU_DEP_4) | instskip(NEXT) | instid1(VALU_DEP_4)
	v_add_f32_e32 v54, v55, v54
	v_dual_fmac_f32 v56, v18, v26 :: v_dual_and_b32 v55, 0xffff0000, v45
	v_and_b32_e32 v30, 0xffff0000, v17
	v_lshlrev_b32_e32 v17, 16, v17
	v_lshlrev_b32_e32 v16, 16, v19
	;; [unrolled: 1-line block ×3, first 2 shown]
	s_delay_alu instid0(VALU_DEP_4) | instskip(NEXT) | instid1(VALU_DEP_1)
	v_mul_f32_e32 v65, v30, v60
	v_fmac_f32_e32 v65, v17, v25
	s_delay_alu instid0(VALU_DEP_1) | instskip(NEXT) | instid1(VALU_DEP_1)
	v_add_f32_e32 v31, v31, v65
	v_add_f32_e32 v31, v31, v56
	v_mul_f32_e32 v19, v30, v67
	s_delay_alu instid0(VALU_DEP_1) | instskip(NEXT) | instid1(VALU_DEP_1)
	v_dual_mul_f32 v30, v62, v66 :: v_dual_fmac_f32 v19, v17, v21
	v_dual_mul_f32 v17, v59, v57 :: v_dual_fmac_f32 v30, v16, v27
	s_delay_alu instid0(VALU_DEP_2) | instskip(NEXT) | instid1(VALU_DEP_2)
	v_dual_mul_f32 v56, v55, v58 :: v_dual_add_f32 v19, v54, v19
	v_fmac_f32_e32 v17, v18, v22
	v_and_b32_e32 v54, 0xffff0000, v46
	s_delay_alu instid0(VALU_DEP_4) | instskip(SKIP_4) | instid1(VALU_DEP_3)
	v_add_f32_e32 v18, v31, v30
	s_waitcnt lgkmcnt(0)
	v_dual_fmac_f32 v56, v45, v24 :: v_dual_and_b32 v31, 0xffff0000, v43
	v_dual_add_f32 v17, v19, v17 :: v_dual_lshlrev_b32 v24, 16, v46
	v_dual_mul_f32 v30, v54, v60 :: v_dual_lshlrev_b32 v43, 16, v43
	v_dual_mul_f32 v19, v62, v33 :: v_dual_add_f32 v46, v53, v56
	s_delay_alu instid0(VALU_DEP_2) | instskip(SKIP_1) | instid1(VALU_DEP_3)
	v_dual_mul_f32 v53, v31, v64 :: v_dual_fmac_f32 v30, v24, v25
	v_mul_f32_e32 v25, v55, v61
	v_fmac_f32_e32 v19, v16, v23
	s_delay_alu instid0(VALU_DEP_3) | instskip(NEXT) | instid1(VALU_DEP_3)
	v_fmac_f32_e32 v53, v43, v26
	v_dual_add_f32 v16, v46, v30 :: v_dual_fmac_f32 v25, v45, v20
	v_mul_f32_e32 v20, v54, v67
	s_delay_alu instid0(VALU_DEP_4) | instskip(NEXT) | instid1(VALU_DEP_3)
	v_add_f32_e32 v17, v17, v19
	v_dual_add_f32 v16, v16, v53 :: v_dual_and_b32 v19, 0xffff0000, v44
	s_delay_alu instid0(VALU_DEP_4) | instskip(NEXT) | instid1(VALU_DEP_4)
	v_add_f32_e32 v25, v52, v25
	v_dual_fmac_f32 v20, v24, v21 :: v_dual_lshlrev_b32 v21, 16, v44
	v_mul_f32_e32 v24, v31, v57
	s_delay_alu instid0(VALU_DEP_4)
	v_mul_f32_e32 v26, v19, v66
	s_waitcnt vmcnt(1)
	v_dual_mul_f32 v19, v19, v33 :: v_dual_and_b32 v30, 0xffff0000, v8
	v_add_f32_e32 v20, v25, v20
	v_dual_fmac_f32 v24, v43, v22 :: v_dual_and_b32 v25, 0xffff0000, v12
	v_fmac_f32_e32 v26, v21, v27
	s_delay_alu instid0(VALU_DEP_4) | instskip(NEXT) | instid1(VALU_DEP_3)
	v_dual_fmac_f32 v19, v21, v23 :: v_dual_lshlrev_b32 v8, 16, v8
	v_dual_mul_f32 v22, v25, v30 :: v_dual_and_b32 v27, 0xffff0000, v9
	s_delay_alu instid0(VALU_DEP_4)
	v_dual_add_f32 v20, v20, v24 :: v_dual_lshlrev_b32 v9, 16, v9
	v_and_b32_e32 v21, 0xffff0000, v14
	v_and_b32_e32 v23, 0xffff0000, v10
	;; [unrolled: 1-line block ×3, first 2 shown]
	v_lshlrev_b32_e32 v12, 16, v12
	v_dual_add_f32 v16, v16, v26 :: v_dual_lshlrev_b32 v13, 16, v13
	v_add_f32_e32 v19, v20, v19
	s_delay_alu instid0(VALU_DEP_4) | instskip(NEXT) | instid1(VALU_DEP_4)
	v_mul_f32_e32 v31, v24, v27
	v_fmac_f32_e32 v22, v12, v8
	v_and_b32_e32 v26, 0xffff0000, v15
	s_waitcnt vmcnt(0)
	v_and_b32_e32 v33, 0xffff0000, v1
	v_dual_fmac_f32 v31, v13, v9 :: v_dual_and_b32 v44, 0xffff0000, v3
	v_add_f32_e32 v22, v29, v22
	s_delay_alu instid0(VALU_DEP_1) | instskip(SKIP_4) | instid1(VALU_DEP_4)
	v_add_f32_e32 v20, v22, v31
	v_and_b32_e32 v31, 0xffff0000, v11
	v_dual_mul_f32 v29, v21, v23 :: v_dual_lshlrev_b32 v14, 16, v14
	v_lshlrev_b32_e32 v15, 16, v15
	v_lshlrev_b32_e32 v11, 16, v11
	v_dual_mul_f32 v43, v26, v31 :: v_dual_and_b32 v22, 0xffff0000, v0
	s_delay_alu instid0(VALU_DEP_1) | instskip(NEXT) | instid1(VALU_DEP_2)
	v_dual_fmac_f32 v43, v15, v11 :: v_dual_lshlrev_b32 v0, 16, v0
	v_mul_f32_e32 v25, v25, v22
	v_lshlrev_b32_e32 v10, 16, v10
	v_dual_mul_f32 v26, v26, v44 :: v_dual_lshlrev_b32 v3, 16, v3
	s_delay_alu instid0(VALU_DEP_3) | instskip(SKIP_1) | instid1(VALU_DEP_4)
	v_fmac_f32_e32 v25, v12, v0
	v_mul_f32_e32 v12, v24, v33
	v_dual_fmac_f32 v29, v14, v10 :: v_dual_and_b32 v24, 0xffff0000, v4
	s_delay_alu instid0(VALU_DEP_3) | instskip(NEXT) | instid1(VALU_DEP_2)
	v_dual_fmac_f32 v26, v15, v3 :: v_dual_add_f32 v25, v28, v25
	v_dual_mul_f32 v28, v24, v30 :: v_dual_lshlrev_b32 v1, 16, v1
	s_delay_alu instid0(VALU_DEP_3) | instskip(NEXT) | instid1(VALU_DEP_2)
	v_add_f32_e32 v20, v20, v29
	v_dual_mul_f32 v15, v24, v22 :: v_dual_fmac_f32 v12, v13, v1
	v_and_b32_e32 v13, 0xffff0000, v2
	v_lshlrev_b32_e32 v4, 16, v4
	s_delay_alu instid0(VALU_DEP_4) | instskip(NEXT) | instid1(VALU_DEP_4)
	v_add_f32_e32 v54, v20, v43
	v_add_f32_e32 v12, v25, v12
	s_delay_alu instid0(VALU_DEP_4) | instskip(NEXT) | instid1(VALU_DEP_4)
	v_mul_f32_e32 v21, v21, v13
	v_dual_fmac_f32 v28, v4, v8 :: v_dual_and_b32 v29, 0xffff0000, v5
	v_lshlrev_b32_e32 v2, 16, v2
	v_lshlrev_b32_e32 v5, 16, v5
	v_fmac_f32_e32 v15, v4, v0
	s_delay_alu instid0(VALU_DEP_4) | instskip(NEXT) | instid1(VALU_DEP_4)
	v_dual_mul_f32 v25, v29, v27 :: v_dual_add_f32 v18, v18, v28
	v_fmac_f32_e32 v21, v14, v2
	v_and_b32_e32 v14, 0xffff0000, v6
	s_delay_alu instid0(VALU_DEP_3) | instskip(SKIP_1) | instid1(VALU_DEP_4)
	v_dual_fmac_f32 v25, v5, v9 :: v_dual_lshlrev_b32 v6, 16, v6
	v_mul_f32_e32 v24, v29, v33
	v_dual_add_f32 v12, v12, v21 :: v_dual_add_f32 v15, v17, v15
	s_delay_alu instid0(VALU_DEP_4) | instskip(NEXT) | instid1(VALU_DEP_4)
	v_mul_f32_e32 v28, v14, v23
	v_add_f32_e32 v18, v18, v25
	v_and_b32_e32 v20, 0xffff0000, v7
	v_and_b32_e32 v21, 0xffff0000, v41
	v_fmac_f32_e32 v24, v5, v1
	v_dual_fmac_f32 v28, v6, v10 :: v_dual_lshlrev_b32 v25, 16, v41
	v_mul_f32_e32 v5, v14, v13
	v_lshlrev_b32_e32 v7, 16, v7
	s_delay_alu instid0(VALU_DEP_4) | instskip(NEXT) | instid1(VALU_DEP_4)
	v_dual_mul_f32 v4, v20, v31 :: v_dual_add_f32 v15, v15, v24
	v_dual_add_f32 v18, v18, v28 :: v_dual_and_b32 v17, 0xffff0000, v42
	s_delay_alu instid0(VALU_DEP_4) | instskip(SKIP_1) | instid1(VALU_DEP_3)
	v_fmac_f32_e32 v5, v6, v2
	v_mul_f32_e32 v28, v21, v30
	v_dual_add_f32 v57, v12, v26 :: v_dual_mul_f32 v14, v17, v27
	s_delay_alu instid0(VALU_DEP_2) | instskip(SKIP_2) | instid1(VALU_DEP_3)
	v_dual_add_f32 v5, v15, v5 :: v_dual_fmac_f32 v28, v25, v8
	v_dual_mul_f32 v15, v20, v44 :: v_dual_lshlrev_b32 v8, 16, v42
	v_and_b32_e32 v20, 0xffff0000, v40
	v_add_f32_e32 v6, v16, v28
	s_delay_alu instid0(VALU_DEP_3) | instskip(SKIP_1) | instid1(VALU_DEP_2)
	v_dual_fmac_f32 v14, v8, v9 :: v_dual_fmac_f32 v15, v7, v3
	v_mul_f32_e32 v9, v21, v22
	v_dual_add_f32 v6, v6, v14 :: v_dual_add_f32 v55, v5, v15
	s_delay_alu instid0(VALU_DEP_2)
	v_fmac_f32_e32 v9, v25, v0
	v_mul_f32_e32 v0, v17, v33
	v_lshlrev_b32_e32 v14, 16, v39
	v_and_b32_e32 v16, 0xffff0000, v39
	v_fmac_f32_e32 v4, v7, v11
	v_add_f32_e32 v9, v19, v9
	v_fmac_f32_e32 v0, v8, v1
	s_delay_alu instid0(VALU_DEP_4) | instskip(NEXT) | instid1(VALU_DEP_4)
	v_dual_mul_f32 v1, v16, v13 :: v_dual_lshlrev_b32 v8, 16, v40
	v_add_f32_e32 v56, v18, v4
	s_delay_alu instid0(VALU_DEP_2) | instskip(SKIP_2) | instid1(VALU_DEP_2)
	v_dual_add_f32 v0, v9, v0 :: v_dual_fmac_f32 v1, v14, v2
	v_mul_f32_e32 v17, v16, v23
	v_mul_f32_e32 v2, v20, v44
	v_dual_add_f32 v0, v0, v1 :: v_dual_fmac_f32 v17, v14, v10
	v_mul_f32_e32 v10, v20, v31
	s_delay_alu instid0(VALU_DEP_3) | instskip(NEXT) | instid1(VALU_DEP_3)
	v_fmac_f32_e32 v2, v8, v3
	v_add_f32_e32 v6, v6, v17
	s_delay_alu instid0(VALU_DEP_3) | instskip(NEXT) | instid1(VALU_DEP_3)
	v_fmac_f32_e32 v10, v8, v11
	v_add_f32_e32 v52, v0, v2
	s_delay_alu instid0(VALU_DEP_2)
	v_add_f32_e32 v53, v6, v10
	s_cbranch_scc1 .LBB236_15
.LBB236_12:                             ;   Parent Loop BB236_8 Depth=1
                                        ; =>  This Inner Loop Header: Depth=2
	v_dual_mov_b32 v39, 0 :: v_dual_add_nc_u32 v12, s21, v47
	v_mov_b32_e32 v40, 0
	v_mov_b32_e32 v42, 0
	v_dual_mov_b32 v14, 0 :: v_dual_mov_b32 v43, 0
	s_delay_alu instid0(VALU_DEP_4) | instskip(SKIP_2) | instid1(VALU_DEP_3)
	v_min_u32_e32 v33, s15, v12
	v_dual_mov_b32 v41, 0 :: v_dual_add_nc_u32 v58, 0x200, v12
	v_dual_mov_b32 v44, 0 :: v_dual_mov_b32 v19, 0
	v_lshlrev_b64 v[0:1], 1, v[33:34]
	s_delay_alu instid0(VALU_DEP_3) | instskip(SKIP_3) | instid1(VALU_DEP_4)
	v_min_u32_e32 v33, s15, v58
	v_dual_mov_b32 v46, 0 :: v_dual_mov_b32 v17, 0
	v_dual_mov_b32 v18, 0 :: v_dual_mov_b32 v31, 0
	s_waitcnt lgkmcnt(0)
	v_add_co_u32 v4, vcc_lo, s2, v0
	v_add_co_ci_u32_e32 v5, vcc_lo, s3, v1, vcc_lo
	v_lshlrev_b64 v[0:1], 1, v[33:34]
	s_delay_alu instid0(VALU_DEP_3) | instskip(NEXT) | instid1(VALU_DEP_3)
	v_add_co_u32 v2, vcc_lo, v4, v35
	v_add_co_ci_u32_e32 v3, vcc_lo, v5, v36, vcc_lo
	v_dual_mov_b32 v16, 0 :: v_dual_mov_b32 v29, 0
	s_delay_alu instid0(VALU_DEP_4) | instskip(SKIP_3) | instid1(VALU_DEP_4)
	v_add_co_u32 v6, vcc_lo, s2, v0
	v_add_co_ci_u32_e32 v7, vcc_lo, s3, v1, vcc_lo
	v_add_co_u32 v0, vcc_lo, v4, v37
	v_add_co_ci_u32_e32 v1, vcc_lo, v5, v38, vcc_lo
	v_add_co_u32 v4, vcc_lo, v6, v35
	s_delay_alu instid0(VALU_DEP_4)
	v_add_co_ci_u32_e32 v5, vcc_lo, v7, v36, vcc_lo
	v_add_co_u32 v6, vcc_lo, v6, v37
	v_add_co_ci_u32_e32 v7, vcc_lo, v7, v38, vcc_lo
	s_clause 0x3
	global_load_b128 v[24:27], v[2:3], off slc dlc
	global_load_b128 v[20:23], v[0:1], off slc dlc
	;; [unrolled: 1-line block ×4, first 2 shown]
	v_cmp_gt_u32_e32 vcc_lo, s4, v12
	v_dual_mov_b32 v7, 0 :: v_dual_mov_b32 v6, 0
	v_mov_b32_e32 v15, 0
	v_dual_mov_b32 v5, 0 :: v_dual_mov_b32 v4, 0
	v_dual_mov_b32 v13, 0 :: v_dual_mov_b32 v12, 0
	;; [unrolled: 1-line block ×3, first 2 shown]
	v_mov_b32_e32 v28, 0
	s_and_saveexec_b32 s22, vcc_lo
	s_cbranch_execz .LBB236_11
; %bb.13:                               ;   in Loop: Header=BB236_12 Depth=2
	v_dual_mov_b32 v12, 0 :: v_dual_add_nc_u32 v33, s6, v51
	v_dual_mov_b32 v14, 0 :: v_dual_add_nc_u32 v59, s17, v51
	v_dual_mov_b32 v13, 0 :: v_dual_mov_b32 v4, 0
	ds_load_b128 v[16:19], v33
	ds_load_2addr_b32 v[45:46], v59 offset1:1
	ds_load_b128 v[28:31], v51
	ds_load_2addr_b32 v[43:44], v59 offset0:2 offset1:3
	v_dual_mov_b32 v15, 0 :: v_dual_mov_b32 v6, 0
	v_dual_mov_b32 v5, 0 :: v_dual_mov_b32 v42, 0
	;; [unrolled: 1-line block ×3, first 2 shown]
	v_mov_b32_e32 v41, 0
	v_mov_b32_e32 v39, 0
	s_mov_b32 s23, exec_lo
	v_cmpx_gt_u32_e64 s4, v58
	s_cbranch_execz .LBB236_10
; %bb.14:                               ;   in Loop: Header=BB236_12 Depth=2
	v_add_nc_u32_e32 v12, 0x400, v59
	v_add_nc_u32_e32 v39, 0x408, v59
	ds_load_b128 v[4:7], v33 offset:1024
	ds_load_2addr_b32 v[41:42], v12 offset1:1
	ds_load_b128 v[12:15], v51 offset:1024
	ds_load_2addr_b32 v[39:40], v39 offset1:1
	s_branch .LBB236_10
.LBB236_15:                             ;   in Loop: Header=BB236_8 Depth=1
	; sched_barrier mask(0x00000000)
	s_delay_alu instid0(VALU_DEP_1)
	v_cvt_i32_f32_e32 v0, v54
	s_waitcnt lgkmcnt(0)
	v_cvt_i32_f32_e32 v1, v57
	v_cvt_i32_f32_e32 v2, v56
	;; [unrolled: 1-line block ×4, first 2 shown]
	v_cvt_f32_i32_dpp v0, v0 row_shr:8 row_mask:0xf bank_mask:0xf bound_ctrl:1
	v_cvt_i32_f32_e32 v5, v52
	v_cvt_f32_i32_dpp v1, v1 row_shr:8 row_mask:0xf bank_mask:0xf bound_ctrl:1
	v_cvt_f32_i32_dpp v2, v2 row_shr:8 row_mask:0xf bank_mask:0xf bound_ctrl:1
	;; [unrolled: 1-line block ×3, first 2 shown]
	v_add_f32_e32 v0, v54, v0
	v_cvt_f32_i32_dpp v4, v4 row_shr:8 row_mask:0xf bank_mask:0xf bound_ctrl:1
	v_add_f32_e32 v1, v57, v1
	v_cvt_f32_i32_dpp v5, v5 row_shr:8 row_mask:0xf bank_mask:0xf bound_ctrl:1
	v_dual_add_f32 v2, v56, v2 :: v_dual_add_f32 v3, v55, v3
	v_cvt_i32_f32_e32 v6, v0
	s_delay_alu instid0(VALU_DEP_3) | instskip(SKIP_1) | instid1(VALU_DEP_4)
	v_dual_add_f32 v4, v53, v4 :: v_dual_add_f32 v5, v52, v5
	v_cvt_i32_f32_e32 v7, v1
	v_cvt_i32_f32_e32 v8, v2
	s_delay_alu instid0(VALU_DEP_4) | instskip(SKIP_3) | instid1(VALU_DEP_4)
	v_cvt_f32_i32_dpp v6, v6 row_shr:4 row_mask:0xf bank_mask:0xf bound_ctrl:1
	v_cvt_i32_f32_e32 v9, v3
	v_cvt_i32_f32_e32 v10, v4
	;; [unrolled: 1-line block ×3, first 2 shown]
	v_add_f32_e32 v0, v0, v6
	v_cvt_f32_i32_dpp v6, v7 row_shr:4 row_mask:0xf bank_mask:0xf bound_ctrl:1
	v_cvt_f32_i32_dpp v7, v8 row_shr:4 row_mask:0xf bank_mask:0xf bound_ctrl:1
	;; [unrolled: 1-line block ×5, first 2 shown]
	s_delay_alu instid0(VALU_DEP_4) | instskip(NEXT) | instid1(VALU_DEP_4)
	v_dual_add_f32 v1, v1, v6 :: v_dual_add_f32 v2, v2, v7
	v_add_f32_e32 v3, v3, v8
	v_cvt_i32_f32_e32 v10, v0
	s_delay_alu instid0(VALU_DEP_4) | instskip(NEXT) | instid1(VALU_DEP_4)
	v_dual_add_f32 v4, v4, v9 :: v_dual_add_f32 v5, v5, v11
	v_cvt_i32_f32_e32 v7, v1
	v_cvt_i32_f32_e32 v8, v2
	s_delay_alu instid0(VALU_DEP_4) | instskip(NEXT) | instid1(VALU_DEP_4)
	v_cvt_f32_i32_dpp v6, v10 row_shr:2 row_mask:0xf bank_mask:0xf bound_ctrl:1
	v_cvt_i32_f32_e32 v9, v4
	v_cvt_i32_f32_e32 v10, v5
	v_cvt_f32_i32_dpp v7, v7 row_shr:2 row_mask:0xf bank_mask:0xf bound_ctrl:1
	v_cvt_f32_i32_dpp v8, v8 row_shr:2 row_mask:0xf bank_mask:0xf bound_ctrl:1
	v_add_f32_e32 v0, v0, v6
	v_cvt_i32_f32_e32 v6, v3
	v_cvt_f32_i32_dpp v9, v9 row_shr:2 row_mask:0xf bank_mask:0xf bound_ctrl:1
	v_add_f32_e32 v1, v1, v7
	v_cvt_f32_i32_dpp v10, v10 row_shr:2 row_mask:0xf bank_mask:0xf bound_ctrl:1
	v_cvt_i32_f32_e32 v11, v0
	v_cvt_f32_i32_dpp v6, v6 row_shr:2 row_mask:0xf bank_mask:0xf bound_ctrl:1
	v_add_f32_e32 v2, v2, v8
	s_delay_alu instid0(VALU_DEP_4) | instskip(NEXT) | instid1(VALU_DEP_4)
	v_dual_add_f32 v4, v4, v9 :: v_dual_add_f32 v5, v5, v10
	v_cvt_f32_i32_dpp v11, v11 row_shr:1 row_mask:0xf bank_mask:0xf bound_ctrl:1
	s_delay_alu instid0(VALU_DEP_4) | instskip(NEXT) | instid1(VALU_DEP_4)
	v_add_f32_e32 v3, v3, v6
	v_cvt_i32_f32_e32 v6, v2
	s_delay_alu instid0(VALU_DEP_4) | instskip(SKIP_1) | instid1(VALU_DEP_4)
	v_cvt_i32_f32_e32 v8, v4
	v_cvt_i32_f32_e32 v9, v5
	;; [unrolled: 1-line block ×3, first 2 shown]
	s_delay_alu instid0(VALU_DEP_4)
	v_cvt_f32_i32_dpp v6, v6 row_shr:1 row_mask:0xf bank_mask:0xf bound_ctrl:1
	v_add_f32_e32 v12, v0, v11
	v_cvt_i32_f32_e32 v0, v1
	v_cvt_f32_i32_dpp v8, v8 row_shr:1 row_mask:0xf bank_mask:0xf bound_ctrl:1
	v_cvt_f32_i32_dpp v7, v7 row_shr:1 row_mask:0xf bank_mask:0xf bound_ctrl:1
	;; [unrolled: 1-line block ×3, first 2 shown]
	v_add_f32_e32 v9, v2, v6
	v_cvt_f32_i32_dpp v0, v0 row_shr:1 row_mask:0xf bank_mask:0xf bound_ctrl:1
	v_add_f32_e32 v4, v4, v8
	v_add_f32_e32 v6, v3, v7
	;; [unrolled: 1-line block ×3, first 2 shown]
	ds_bpermute_b32 v14, v49, v12
	v_add_f32_e32 v0, v1, v0
	ds_bpermute_b32 v10, v49, v9
	ds_bpermute_b32 v7, v49, v6
	;; [unrolled: 1-line block ×5, first 2 shown]
	s_and_saveexec_b32 s21, s0
	s_cbranch_execz .LBB236_7
; %bb.16:                               ;   in Loop: Header=BB236_8 Depth=1
	v_dual_mov_b32 v17, 0 :: v_dual_mov_b32 v16, 0
	v_dual_mov_b32 v15, 0 :: v_dual_mov_b32 v8, 0
	v_mov_b32_e32 v13, 0
	v_mov_b32_e32 v11, 0
	s_and_not1_b32 vcc_lo, exec_lo, s19
	s_cbranch_vccnz .LBB236_18
; %bb.17:                               ;   in Loop: Header=BB236_8 Depth=1
	v_or_b32_e32 v8, 1, v32
	v_mul_hi_u32 v11, v32, v50
	v_mov_b32_e32 v16, v34
	v_mov_b32_e32 v22, v34
	s_delay_alu instid0(VALU_DEP_4) | instskip(NEXT) | instid1(VALU_DEP_4)
	v_mul_hi_u32 v13, v8, v50
	v_mul_lo_u32 v11, v11, s8
	s_delay_alu instid0(VALU_DEP_2) | instskip(NEXT) | instid1(VALU_DEP_2)
	v_mul_lo_u32 v13, v13, s8
	v_sub_nc_u32_e32 v11, v32, v11
	s_delay_alu instid0(VALU_DEP_2) | instskip(NEXT) | instid1(VALU_DEP_2)
	v_sub_nc_u32_e32 v8, v8, v13
	v_subrev_nc_u32_e32 v13, s8, v11
	v_cmp_le_u32_e32 vcc_lo, s8, v11
	s_delay_alu instid0(VALU_DEP_3) | instskip(NEXT) | instid1(VALU_DEP_3)
	v_subrev_nc_u32_e32 v15, s8, v8
	v_cndmask_b32_e32 v11, v11, v13, vcc_lo
	v_cmp_le_u32_e32 vcc_lo, s8, v8
	s_delay_alu instid0(VALU_DEP_3) | instskip(NEXT) | instid1(VALU_DEP_3)
	v_cndmask_b32_e32 v8, v8, v15, vcc_lo
	v_subrev_nc_u32_e32 v13, s8, v11
	v_cmp_le_u32_e32 vcc_lo, s8, v11
	s_delay_alu instid0(VALU_DEP_3) | instskip(NEXT) | instid1(VALU_DEP_3)
	v_subrev_nc_u32_e32 v15, s8, v8
	v_cndmask_b32_e32 v33, v11, v13, vcc_lo
	v_cmp_le_u32_e32 vcc_lo, s8, v8
	v_mov_b32_e32 v18, v34
	s_delay_alu instid0(VALU_DEP_3) | instskip(SKIP_3) | instid1(VALU_DEP_3)
	v_lshlrev_b64 v[19:20], 1, v[33:34]
	v_cndmask_b32_e32 v15, v8, v15, vcc_lo
	v_add_nc_u32_e32 v17, s16, v33
	v_add_nc_u32_e32 v33, s20, v33
	v_lshlrev_b64 v[23:24], 1, v[15:16]
	v_add_nc_u32_e32 v21, s16, v15
	s_delay_alu instid0(VALU_DEP_4)
	v_lshlrev_b64 v[16:17], 1, v[17:18]
	v_add_co_u32 v18, vcc_lo, s10, v19
	v_add_co_ci_u32_e32 v19, vcc_lo, s11, v20, vcc_lo
	v_lshlrev_b64 v[25:26], 1, v[33:34]
	v_lshlrev_b64 v[20:21], 1, v[21:22]
	v_add_co_u32 v22, vcc_lo, s10, v23
	v_add_nc_u32_e32 v33, s20, v15
	v_add_co_ci_u32_e32 v23, vcc_lo, s11, v24, vcc_lo
	v_add_co_u32 v29, vcc_lo, s10, v16
	v_add_co_ci_u32_e32 v30, vcc_lo, s11, v17, vcc_lo
	s_delay_alu instid0(VALU_DEP_4)
	v_lshlrev_b64 v[27:28], 1, v[33:34]
	v_add_co_u32 v24, vcc_lo, s10, v25
	v_add_co_ci_u32_e32 v25, vcc_lo, s11, v26, vcc_lo
	v_add_co_u32 v20, vcc_lo, s10, v20
	v_add_co_ci_u32_e32 v21, vcc_lo, s11, v21, vcc_lo
	;; [unrolled: 2-line block ×3, first 2 shown]
	s_clause 0x5
	global_load_u16 v17, v[18:19], off
	global_load_u16 v16, v[22:23], off
	;; [unrolled: 1-line block ×6, first 2 shown]
.LBB236_18:                             ;   in Loop: Header=BB236_8 Depth=1
	s_waitcnt lgkmcnt(0)
	v_add_f32_e32 v12, v12, v14
	s_waitcnt vmcnt(5)
	v_lshlrev_b32_e32 v14, 16, v17
	s_delay_alu instid0(VALU_DEP_1) | instskip(NEXT) | instid1(VALU_DEP_1)
	v_add_f32_e32 v14, v12, v14
	v_and_b32_e32 v12, 0x7f800000, v14
	s_delay_alu instid0(VALU_DEP_1) | instskip(SKIP_1) | instid1(SALU_CYCLE_1)
	v_cmp_ne_u32_e32 vcc_lo, 0x7f800000, v12
                                        ; implicit-def: $vgpr12
	s_and_saveexec_b32 s22, vcc_lo
	s_xor_b32 s22, exec_lo, s22
; %bb.19:                               ;   in Loop: Header=BB236_8 Depth=1
	v_bfe_u32 v12, v14, 16, 1
	s_delay_alu instid0(VALU_DEP_1)
	v_add3_u32 v12, v14, v12, 0x7fff
                                        ; implicit-def: $vgpr14
; %bb.20:                               ;   in Loop: Header=BB236_8 Depth=1
	s_and_not1_saveexec_b32 s22, s22
; %bb.21:                               ;   in Loop: Header=BB236_8 Depth=1
	v_and_b32_e32 v12, 0xffff, v14
	v_or_b32_e32 v17, 0x10000, v14
	s_delay_alu instid0(VALU_DEP_2) | instskip(NEXT) | instid1(VALU_DEP_2)
	v_cmp_eq_u32_e32 vcc_lo, 0, v12
	v_cndmask_b32_e32 v12, v17, v14, vcc_lo
; %bb.22:                               ;   in Loop: Header=BB236_8 Depth=1
	s_or_b32 exec_lo, exec_lo, s22
	s_waitcnt vmcnt(4)
	v_dual_add_f32 v0, v0, v1 :: v_dual_lshlrev_b32 v1, 16, v16
	v_mov_b32_e32 v33, v34
	s_mov_b32 s22, exec_lo
	s_delay_alu instid0(VALU_DEP_2) | instskip(NEXT) | instid1(VALU_DEP_2)
	v_add_f32_e32 v14, v0, v1
	v_lshlrev_b64 v[0:1], 1, v[32:33]
	s_delay_alu instid0(VALU_DEP_2) | instskip(NEXT) | instid1(VALU_DEP_2)
	v_and_b32_e32 v16, 0x7f800000, v14
	v_add_co_u32 v0, vcc_lo, s12, v0
	s_delay_alu instid0(VALU_DEP_3)
	v_add_co_ci_u32_e32 v1, vcc_lo, s13, v1, vcc_lo
	global_store_d16_hi_b16 v[0:1], v12, off
                                        ; implicit-def: $vgpr12
	v_cmpx_ne_u32_e32 0x7f800000, v16
	s_xor_b32 s22, exec_lo, s22
; %bb.23:                               ;   in Loop: Header=BB236_8 Depth=1
	v_bfe_u32 v12, v14, 16, 1
	s_delay_alu instid0(VALU_DEP_1)
	v_add3_u32 v12, v14, v12, 0x7fff
                                        ; implicit-def: $vgpr14
; %bb.24:                               ;   in Loop: Header=BB236_8 Depth=1
	s_and_not1_saveexec_b32 s22, s22
; %bb.25:                               ;   in Loop: Header=BB236_8 Depth=1
	v_and_b32_e32 v12, 0xffff, v14
	v_or_b32_e32 v16, 0x10000, v14
	s_delay_alu instid0(VALU_DEP_2) | instskip(NEXT) | instid1(VALU_DEP_2)
	v_cmp_eq_u32_e32 vcc_lo, 0, v12
	v_cndmask_b32_e32 v12, v16, v14, vcc_lo
; %bb.26:                               ;   in Loop: Header=BB236_8 Depth=1
	s_or_b32 exec_lo, exec_lo, s22
	s_waitcnt vmcnt(3)
	v_dual_add_f32 v9, v9, v10 :: v_dual_lshlrev_b32 v10, 16, v15
	s_mov_b32 s22, exec_lo
	global_store_d16_hi_b16 v[0:1], v12, off offset:2
                                        ; implicit-def: $vgpr0
	v_add_f32_e32 v9, v9, v10
	s_delay_alu instid0(VALU_DEP_1) | instskip(NEXT) | instid1(VALU_DEP_1)
	v_and_b32_e32 v10, 0x7f800000, v9
	v_cmpx_ne_u32_e32 0x7f800000, v10
	s_xor_b32 s22, exec_lo, s22
; %bb.27:                               ;   in Loop: Header=BB236_8 Depth=1
	v_bfe_u32 v0, v9, 16, 1
	s_delay_alu instid0(VALU_DEP_1)
	v_add3_u32 v0, v9, v0, 0x7fff
                                        ; implicit-def: $vgpr9
; %bb.28:                               ;   in Loop: Header=BB236_8 Depth=1
	s_and_not1_saveexec_b32 s22, s22
; %bb.29:                               ;   in Loop: Header=BB236_8 Depth=1
	v_and_b32_e32 v0, 0xffff, v9
	v_or_b32_e32 v1, 0x10000, v9
	s_delay_alu instid0(VALU_DEP_2) | instskip(NEXT) | instid1(VALU_DEP_2)
	v_cmp_eq_u32_e32 vcc_lo, 0, v0
	v_cndmask_b32_e32 v0, v1, v9, vcc_lo
; %bb.30:                               ;   in Loop: Header=BB236_8 Depth=1
	s_or_b32 exec_lo, exec_lo, s22
	s_waitcnt vmcnt(2)
	v_dual_add_f32 v1, v6, v7 :: v_dual_lshlrev_b32 v6, 16, v13
	v_add_nc_u32_e32 v33, s7, v32
	s_mov_b32 s22, exec_lo
	s_delay_alu instid0(VALU_DEP_2) | instskip(NEXT) | instid1(VALU_DEP_2)
	v_add_f32_e32 v1, v1, v6
	v_lshlrev_b64 v[6:7], 1, v[33:34]
	s_delay_alu instid0(VALU_DEP_2) | instskip(NEXT) | instid1(VALU_DEP_2)
	v_and_b32_e32 v9, 0x7f800000, v1
	v_add_co_u32 v6, vcc_lo, s12, v6
	s_delay_alu instid0(VALU_DEP_3)
	v_add_co_ci_u32_e32 v7, vcc_lo, s13, v7, vcc_lo
	global_store_d16_hi_b16 v[6:7], v0, off
                                        ; implicit-def: $vgpr0
	v_cmpx_ne_u32_e32 0x7f800000, v9
	s_xor_b32 s22, exec_lo, s22
; %bb.31:                               ;   in Loop: Header=BB236_8 Depth=1
	v_bfe_u32 v0, v1, 16, 1
	s_delay_alu instid0(VALU_DEP_1)
	v_add3_u32 v0, v1, v0, 0x7fff
                                        ; implicit-def: $vgpr1
; %bb.32:                               ;   in Loop: Header=BB236_8 Depth=1
	s_and_not1_saveexec_b32 s22, s22
; %bb.33:                               ;   in Loop: Header=BB236_8 Depth=1
	v_and_b32_e32 v0, 0xffff, v1
	v_or_b32_e32 v6, 0x10000, v1
	s_delay_alu instid0(VALU_DEP_2) | instskip(NEXT) | instid1(VALU_DEP_2)
	v_cmp_eq_u32_e32 vcc_lo, 0, v0
	v_cndmask_b32_e32 v0, v6, v1, vcc_lo
; %bb.34:                               ;   in Loop: Header=BB236_8 Depth=1
	s_or_b32 exec_lo, exec_lo, s22
	s_waitcnt vmcnt(1)
	v_dual_add_f32 v1, v4, v5 :: v_dual_lshlrev_b32 v6, 16, v11
	v_dual_mov_b32 v5, v34 :: v_dual_add_nc_u32 v4, 1, v33
	s_mov_b32 s22, exec_lo
	s_delay_alu instid0(VALU_DEP_2) | instskip(NEXT) | instid1(VALU_DEP_2)
	v_add_f32_e32 v1, v1, v6
	v_lshlrev_b64 v[4:5], 1, v[4:5]
	s_delay_alu instid0(VALU_DEP_2) | instskip(NEXT) | instid1(VALU_DEP_2)
	v_and_b32_e32 v6, 0x7f800000, v1
	v_add_co_u32 v4, vcc_lo, s12, v4
	s_delay_alu instid0(VALU_DEP_3)
	v_add_co_ci_u32_e32 v5, vcc_lo, s13, v5, vcc_lo
	global_store_d16_hi_b16 v[4:5], v0, off
                                        ; implicit-def: $vgpr4
	v_cmpx_ne_u32_e32 0x7f800000, v6
	s_xor_b32 s22, exec_lo, s22
; %bb.35:                               ;   in Loop: Header=BB236_8 Depth=1
	v_bfe_u32 v0, v1, 16, 1
	s_delay_alu instid0(VALU_DEP_1)
	v_add3_u32 v4, v1, v0, 0x7fff
                                        ; implicit-def: $vgpr1
; %bb.36:                               ;   in Loop: Header=BB236_8 Depth=1
	s_and_not1_saveexec_b32 s22, s22
; %bb.37:                               ;   in Loop: Header=BB236_8 Depth=1
	v_and_b32_e32 v0, 0xffff, v1
	v_or_b32_e32 v4, 0x10000, v1
	s_delay_alu instid0(VALU_DEP_2) | instskip(NEXT) | instid1(VALU_DEP_2)
	v_cmp_eq_u32_e32 vcc_lo, 0, v0
	v_cndmask_b32_e32 v4, v4, v1, vcc_lo
; %bb.38:                               ;   in Loop: Header=BB236_8 Depth=1
	s_or_b32 exec_lo, exec_lo, s22
	s_waitcnt vmcnt(0)
	v_dual_add_f32 v0, v2, v3 :: v_dual_lshlrev_b32 v1, 16, v8
	v_add_nc_u32_e32 v33, s7, v33
	s_delay_alu instid0(VALU_DEP_2) | instskip(NEXT) | instid1(VALU_DEP_2)
	v_add_f32_e32 v2, v0, v1
	v_lshlrev_b64 v[0:1], 1, v[33:34]
	s_delay_alu instid0(VALU_DEP_2) | instskip(NEXT) | instid1(VALU_DEP_2)
	v_and_b32_e32 v3, 0x7f800000, v2
	v_add_co_u32 v0, vcc_lo, s12, v0
	s_delay_alu instid0(VALU_DEP_3) | instskip(NEXT) | instid1(VALU_DEP_3)
	v_add_co_ci_u32_e32 v1, vcc_lo, s13, v1, vcc_lo
	v_cmp_ne_u32_e32 vcc_lo, 0x7f800000, v3
                                        ; implicit-def: $vgpr3
	global_store_d16_hi_b16 v[0:1], v4, off
	s_and_saveexec_b32 s22, vcc_lo
	s_delay_alu instid0(SALU_CYCLE_1)
	s_xor_b32 s22, exec_lo, s22
; %bb.39:                               ;   in Loop: Header=BB236_8 Depth=1
	v_bfe_u32 v3, v2, 16, 1
	s_delay_alu instid0(VALU_DEP_1)
	v_add3_u32 v3, v2, v3, 0x7fff
                                        ; implicit-def: $vgpr2
; %bb.40:                               ;   in Loop: Header=BB236_8 Depth=1
	s_and_not1_saveexec_b32 s22, s22
	s_cbranch_execz .LBB236_6
; %bb.41:                               ;   in Loop: Header=BB236_8 Depth=1
	v_and_b32_e32 v3, 0xffff, v2
	v_or_b32_e32 v4, 0x10000, v2
	s_delay_alu instid0(VALU_DEP_2) | instskip(NEXT) | instid1(VALU_DEP_2)
	v_cmp_eq_u32_e32 vcc_lo, 0, v3
	v_cndmask_b32_e32 v3, v4, v2, vcc_lo
	s_branch .LBB236_6
.LBB236_42:
	s_nop 0
	s_sendmsg sendmsg(MSG_DEALLOC_VGPRS)
	s_endpgm
	.section	.rodata,"a",@progbits
	.p2align	6, 0x0
	.amdhsa_kernel _Z16wvSplitK_hf_sml_I14__hip_bfloat16Li64ELi2ELi16ELi8ELi2ELi3EEviiiiiiPKT_S3_S3_PS1_ii
		.amdhsa_group_segment_fixed_size 65536
		.amdhsa_private_segment_fixed_size 0
		.amdhsa_kernarg_size 64
		.amdhsa_user_sgpr_count 15
		.amdhsa_user_sgpr_dispatch_ptr 0
		.amdhsa_user_sgpr_queue_ptr 0
		.amdhsa_user_sgpr_kernarg_segment_ptr 1
		.amdhsa_user_sgpr_dispatch_id 0
		.amdhsa_user_sgpr_private_segment_size 0
		.amdhsa_wavefront_size32 1
		.amdhsa_uses_dynamic_stack 0
		.amdhsa_enable_private_segment 0
		.amdhsa_system_sgpr_workgroup_id_x 1
		.amdhsa_system_sgpr_workgroup_id_y 0
		.amdhsa_system_sgpr_workgroup_id_z 0
		.amdhsa_system_sgpr_workgroup_info 0
		.amdhsa_system_vgpr_workitem_id 1
		.amdhsa_next_free_vgpr 69
		.amdhsa_next_free_sgpr 24
		.amdhsa_reserve_vcc 1
		.amdhsa_float_round_mode_32 0
		.amdhsa_float_round_mode_16_64 0
		.amdhsa_float_denorm_mode_32 3
		.amdhsa_float_denorm_mode_16_64 3
		.amdhsa_dx10_clamp 1
		.amdhsa_ieee_mode 1
		.amdhsa_fp16_overflow 0
		.amdhsa_workgroup_processor_mode 1
		.amdhsa_memory_ordered 1
		.amdhsa_forward_progress 0
		.amdhsa_shared_vgpr_count 0
		.amdhsa_exception_fp_ieee_invalid_op 0
		.amdhsa_exception_fp_denorm_src 0
		.amdhsa_exception_fp_ieee_div_zero 0
		.amdhsa_exception_fp_ieee_overflow 0
		.amdhsa_exception_fp_ieee_underflow 0
		.amdhsa_exception_fp_ieee_inexact 0
		.amdhsa_exception_int_div_zero 0
	.end_amdhsa_kernel
	.section	.text._Z16wvSplitK_hf_sml_I14__hip_bfloat16Li64ELi2ELi16ELi8ELi2ELi3EEviiiiiiPKT_S3_S3_PS1_ii,"axG",@progbits,_Z16wvSplitK_hf_sml_I14__hip_bfloat16Li64ELi2ELi16ELi8ELi2ELi3EEviiiiiiPKT_S3_S3_PS1_ii,comdat
.Lfunc_end236:
	.size	_Z16wvSplitK_hf_sml_I14__hip_bfloat16Li64ELi2ELi16ELi8ELi2ELi3EEviiiiiiPKT_S3_S3_PS1_ii, .Lfunc_end236-_Z16wvSplitK_hf_sml_I14__hip_bfloat16Li64ELi2ELi16ELi8ELi2ELi3EEviiiiiiPKT_S3_S3_PS1_ii
                                        ; -- End function
	.section	.AMDGPU.csdata,"",@progbits
; Kernel info:
; codeLenInByte = 4164
; NumSgprs: 26
; NumVgprs: 69
; ScratchSize: 0
; MemoryBound: 0
; FloatMode: 240
; IeeeMode: 1
; LDSByteSize: 65536 bytes/workgroup (compile time only)
; SGPRBlocks: 3
; VGPRBlocks: 8
; NumSGPRsForWavesPerEU: 26
; NumVGPRsForWavesPerEU: 69
; Occupancy: 16
; WaveLimiterHint : 0
; COMPUTE_PGM_RSRC2:SCRATCH_EN: 0
; COMPUTE_PGM_RSRC2:USER_SGPR: 15
; COMPUTE_PGM_RSRC2:TRAP_HANDLER: 0
; COMPUTE_PGM_RSRC2:TGID_X_EN: 1
; COMPUTE_PGM_RSRC2:TGID_Y_EN: 0
; COMPUTE_PGM_RSRC2:TGID_Z_EN: 0
; COMPUTE_PGM_RSRC2:TIDIG_COMP_CNT: 1
	.section	.text._Z12wvSplitK_hf_I14__hip_bfloat16Li64ELi2ELi16ELi8ELi2ELi3EEviiiiiiPKT_S3_S3_PS1_ii,"axG",@progbits,_Z12wvSplitK_hf_I14__hip_bfloat16Li64ELi2ELi16ELi8ELi2ELi3EEviiiiiiPKT_S3_S3_PS1_ii,comdat
	.protected	_Z12wvSplitK_hf_I14__hip_bfloat16Li64ELi2ELi16ELi8ELi2ELi3EEviiiiiiPKT_S3_S3_PS1_ii ; -- Begin function _Z12wvSplitK_hf_I14__hip_bfloat16Li64ELi2ELi16ELi8ELi2ELi3EEviiiiiiPKT_S3_S3_PS1_ii
	.globl	_Z12wvSplitK_hf_I14__hip_bfloat16Li64ELi2ELi16ELi8ELi2ELi3EEviiiiiiPKT_S3_S3_PS1_ii
	.p2align	8
	.type	_Z12wvSplitK_hf_I14__hip_bfloat16Li64ELi2ELi16ELi8ELi2ELi3EEviiiiiiPKT_S3_S3_PS1_ii,@function
_Z12wvSplitK_hf_I14__hip_bfloat16Li64ELi2ELi16ELi8ELi2ELi3EEviiiiiiPKT_S3_S3_PS1_ii: ; @_Z12wvSplitK_hf_I14__hip_bfloat16Li64ELi2ELi16ELi8ELi2ELi3EEviiiiiiPKT_S3_S3_PS1_ii
; %bb.0:
	s_clause 0x1
	s_load_b64 s[18:19], s[0:1], 0x38
	s_load_b128 s[4:7], s[0:1], 0x0
	v_bfe_u32 v2, v0, 10, 10
	s_clause 0x1
	s_load_b64 s[8:9], s[0:1], 0x20
	s_load_b64 s[10:11], s[0:1], 0x10
	s_mov_b32 s12, 1
	s_delay_alu instid0(SALU_CYCLE_1) | instskip(NEXT) | instid1(SALU_CYCLE_1)
	s_mov_b32 s13, s12
	v_dual_mov_b32 v41, s13 :: v_dual_mov_b32 v40, s12
	s_waitcnt lgkmcnt(0)
	s_mul_i32 s15, s15, s18
	s_delay_alu instid0(SALU_CYCLE_1) | instskip(NEXT) | instid1(VALU_DEP_1)
	v_add_lshl_u32 v42, s15, v2, 1
	v_add_nc_u32_e32 v1, 2, v42
	v_cmp_gt_u32_e32 vcc_lo, s7, v42
	s_delay_alu instid0(VALU_DEP_2) | instskip(NEXT) | instid1(VALU_DEP_1)
	v_cmp_le_u32_e64 s2, s7, v1
	s_and_b32 s2, vcc_lo, s2
	s_delay_alu instid0(SALU_CYCLE_1)
	s_and_saveexec_b32 s14, s2
	s_cbranch_execz .LBB237_6
; %bb.1:
	v_dual_mov_b32 v41, s13 :: v_dual_mov_b32 v40, s12
	s_add_i32 s15, s7, -2
	s_mov_b32 s16, exec_lo
	v_cmpx_ne_u32_e64 s15, v42
	s_cbranch_execz .LBB237_5
; %bb.2:
	v_subrev_nc_u32_e32 v1, s15, v42
	s_mov_b32 s2, 1
	s_mov_b32 s17, 0
	s_mov_b64 s[12:13], 0
	s_mov_b32 s3, s2
	v_cmp_lt_u32_e32 vcc_lo, 1, v1
	v_cndmask_b32_e32 v1, 1, v1, vcc_lo
.LBB237_3:                              ; =>This Inner Loop Header: Depth=1
	s_cmp_lg_u32 s12, 1
	s_cselect_b32 s3, s3, 0
	s_cmp_lg_u32 s12, 0
	s_cselect_b32 s2, s2, 0
	s_add_u32 s12, s12, 1
	v_dual_mov_b32 v41, s3 :: v_dual_mov_b32 v40, s2
	v_cmp_eq_u32_e32 vcc_lo, s12, v1
	s_addc_u32 s13, s13, 0
	s_or_b32 s17, vcc_lo, s17
	s_delay_alu instid0(SALU_CYCLE_1)
	s_and_not1_b32 exec_lo, exec_lo, s17
	s_cbranch_execnz .LBB237_3
; %bb.4:
	s_or_b32 exec_lo, exec_lo, s17
	v_mov_b32_e32 v42, s15
.LBB237_5:
	s_or_b32 exec_lo, exec_lo, s16
.LBB237_6:
	s_delay_alu instid0(SALU_CYCLE_1)
	s_or_b32 exec_lo, exec_lo, s14
	s_load_b64 s[12:13], s[0:1], 0x28
	v_and_b32_e32 v3, 0x3ff, v0
	s_mul_i32 s2, s6, 3
	s_mov_b32 s14, exec_lo
	s_min_u32 s3, s2, 0x8000
	s_delay_alu instid0(VALU_DEP_1) | instskip(NEXT) | instid1(VALU_DEP_1)
	v_lshlrev_b32_e32 v54, 3, v3
	v_lshl_add_u32 v4, v2, 9, v54
	s_delay_alu instid0(VALU_DEP_1)
	v_cmpx_gt_u32_e64 s3, v4
	s_cbranch_execz .LBB237_9
; %bb.7:
	v_lshlrev_b32_e32 v5, 10, v2
	v_lshlrev_b32_e32 v6, 4, v3
	s_mov_b32 s15, 0
	s_delay_alu instid0(VALU_DEP_1) | instskip(NEXT) | instid1(VALU_DEP_1)
	v_add_co_u32 v0, s2, v5, v6
	v_add_co_ci_u32_e64 v1, null, 0, 0, s2
	v_add_nc_u32_e32 v5, v5, v6
	s_delay_alu instid0(VALU_DEP_3) | instskip(NEXT) | instid1(VALU_DEP_3)
	v_add_co_u32 v0, vcc_lo, s8, v0
	v_add_co_ci_u32_e32 v1, vcc_lo, s9, v1, vcc_lo
	.p2align	6
.LBB237_8:                              ; =>This Inner Loop Header: Depth=1
	global_load_b128 v[6:9], v[0:1], off
	v_add_nc_u32_e32 v4, 0x2000, v4
	v_add_co_u32 v0, vcc_lo, 0x4000, v0
	v_add_co_ci_u32_e32 v1, vcc_lo, 0, v1, vcc_lo
	s_delay_alu instid0(VALU_DEP_3) | instskip(NEXT) | instid1(VALU_DEP_1)
	v_cmp_le_u32_e64 s2, s3, v4
	s_or_b32 s15, s2, s15
	s_waitcnt vmcnt(0)
	ds_store_b128 v5, v[6:9]
	v_add_nc_u32_e32 v5, 0x4000, v5
	s_and_not1_b32 exec_lo, exec_lo, s15
	s_cbranch_execnz .LBB237_8
.LBB237_9:
	s_or_b32 exec_lo, exec_lo, s14
	v_cmp_gt_u32_e32 vcc_lo, s18, v2
	v_cmp_gt_u32_e64 s2, s7, v42
	s_waitcnt lgkmcnt(0)
	s_barrier
	buffer_gl0_inv
	s_and_b32 s2, vcc_lo, s2
	s_delay_alu instid0(SALU_CYCLE_1)
	s_and_saveexec_b32 s3, s2
	s_cbranch_execz .LBB237_88
; %bb.10:
	s_cmp_lg_u32 s4, 0
	s_clause 0x1
	s_load_b64 s[14:15], s[0:1], 0x18
	s_load_b64 s[16:17], s[0:1], 0x30
	s_cselect_b32 s3, -1, 0
	s_add_i32 s20, s4, -8
	s_add_i32 s21, s7, -1
	s_cmp_lg_u64 s[12:13], 0
	s_mul_i32 s1, s18, s19
	s_cselect_b32 s22, -1, 0
	s_abs_i32 s2, s11
	s_lshl_b32 s23, s1, 1
	v_cvt_f32_u32_e32 v0, s2
	s_sub_i32 s1, 0, s2
	s_add_i32 s24, s7, -2
	s_sub_i32 s19, 0, s10
	s_sub_i32 s25, 1, s2
	v_rcp_iflag_f32_e32 v0, v0
	v_cvt_f32_u32_e32 v1, s10
	v_mbcnt_lo_u32_b32 v2, -1, 0
	v_cmp_eq_u32_e64 s0, 63, v3
	v_add_nc_u32_e32 v56, s6, v54
	s_mov_b32 s11, 0
	v_rcp_iflag_f32_e32 v1, v1
	s_waitcnt_depctr 0xfff
	v_dual_mul_f32 v0, 0x4f7ffffe, v0 :: v_dual_lshlrev_b32 v55, 4, v3
	s_delay_alu instid0(VALU_DEP_1) | instskip(NEXT) | instid1(VALU_DEP_1)
	v_cvt_u32_f32_e32 v0, v0
	v_readfirstlane_b32 s18, v0
	s_delay_alu instid0(VALU_DEP_1) | instskip(NEXT) | instid1(SALU_CYCLE_1)
	s_mul_i32 s1, s1, s18
	s_mul_hi_u32 s1, s18, s1
	s_delay_alu instid0(SALU_CYCLE_1) | instskip(SKIP_2) | instid1(SALU_CYCLE_1)
	s_add_i32 s18, s18, s1
	s_cmp_lt_u32 s2, 2
	s_cselect_b32 s1, s25, 1
	s_sub_i32 s25, s1, s2
	s_cmp_ge_u32 s1, s2
	s_cselect_b32 s26, s25, s1
	s_lshr_b32 s1, s18, 31
	s_mul_i32 s26, s26, s10
	s_mul_i32 s1, s1, s2
	s_delay_alu instid0(SALU_CYCLE_1) | instskip(NEXT) | instid1(SALU_CYCLE_1)
	s_sub_i32 s1, 2, s1
	s_sub_i32 s18, s1, s2
	s_cmp_ge_u32 s1, s2
	s_cselect_b32 s1, s18, s1
	s_delay_alu instid0(SALU_CYCLE_1) | instskip(SKIP_3) | instid1(SALU_CYCLE_1)
	s_sub_i32 s18, s1, s2
	s_cmp_ge_u32 s1, s2
	s_cselect_b32 s27, s18, s1
	s_lshl_b32 s25, s6, 1
	v_dual_mul_f32 v0, 0x4f7ffffe, v1 :: v_dual_add_nc_u32 v59, s25, v54
	v_xor_b32_e32 v1, 16, v2
	s_mul_i32 s27, s27, s10
	s_lshl_b32 s6, s6, 2
	s_delay_alu instid0(VALU_DEP_2) | instskip(NEXT) | instid1(VALU_DEP_2)
	v_cvt_u32_f32_e32 v0, v0
	v_cmp_gt_i32_e32 vcc_lo, 32, v1
	v_mov_b32_e32 v44, 0
	s_delay_alu instid0(VALU_DEP_3) | instskip(SKIP_1) | instid1(VALU_DEP_1)
	v_mul_lo_u32 v4, s19, v0
	v_cndmask_b32_e32 v1, v2, v1, vcc_lo
	v_lshlrev_b32_e32 v57, 2, v1
	s_delay_alu instid0(VALU_DEP_3) | instskip(NEXT) | instid1(VALU_DEP_1)
	v_mul_hi_u32 v2, v0, v4
	v_add_nc_u32_e32 v58, v0, v2
	s_branch .LBB237_13
.LBB237_11:                             ;   in Loop: Header=BB237_13 Depth=1
	s_or_b32 exec_lo, exec_lo, s29
	v_mov_b32_e32 v42, s24
.LBB237_12:                             ;   in Loop: Header=BB237_13 Depth=1
	s_or_b32 exec_lo, exec_lo, s28
	s_delay_alu instid0(VALU_DEP_1) | instskip(SKIP_1) | instid1(SALU_CYCLE_1)
	v_cmp_le_u32_e32 vcc_lo, s7, v42
	s_or_b32 s11, vcc_lo, s11
	s_and_not1_b32 exec_lo, exec_lo, s11
	s_cbranch_execz .LBB237_88
.LBB237_13:                             ; =>This Loop Header: Depth=1
                                        ;     Child Loop BB237_18 Depth 2
                                        ;     Child Loop BB237_86 Depth 2
	v_dual_mov_b32 v60, v44 :: v_dual_add_nc_u32 v45, 1, v42
	v_mov_b32_e32 v62, v44
	v_mov_b32_e32 v64, v44
	v_mov_b32_e32 v65, v44
	v_mov_b32_e32 v66, v44
	v_mov_b32_e32 v63, v44
	s_and_not1_b32 vcc_lo, exec_lo, s3
	s_cbranch_vccnz .LBB237_44
; %bb.14:                               ;   in Loop: Header=BB237_13 Depth=1
	v_min_u32_e32 v0, s21, v42
	s_waitcnt lgkmcnt(0)
	v_min_u32_e32 v1, s21, v45
	v_dual_mov_b32 v63, 0 :: v_dual_mov_b32 v64, 0
	v_dual_mov_b32 v61, v55 :: v_dual_mov_b32 v62, 0
	v_mul_lo_u32 v43, v0, s5
	s_delay_alu instid0(VALU_DEP_4) | instskip(SKIP_3) | instid1(VALU_DEP_4)
	v_mul_lo_u32 v0, v1, s5
	v_dual_mov_b32 v1, v44 :: v_dual_mov_b32 v66, 0
	v_dual_mov_b32 v65, 0 :: v_dual_mov_b32 v60, 0
	s_mov_b32 s1, 0
	v_lshlrev_b64 v[46:47], 1, v[43:44]
	s_delay_alu instid0(VALU_DEP_3)
	v_lshlrev_b64 v[48:49], 1, v[0:1]
	s_branch .LBB237_18
.LBB237_15:                             ;   in Loop: Header=BB237_18 Depth=2
	s_or_b32 exec_lo, exec_lo, s19
.LBB237_16:                             ;   in Loop: Header=BB237_18 Depth=2
	s_delay_alu instid0(SALU_CYCLE_1)
	s_or_b32 exec_lo, exec_lo, s18
.LBB237_17:                             ;   in Loop: Header=BB237_18 Depth=2
	s_delay_alu instid0(SALU_CYCLE_1)
	s_or_b32 exec_lo, exec_lo, s2
	s_waitcnt vmcnt(0) lgkmcnt(0)
	v_and_b32_e32 v51, 0xffff0000, v29
	v_and_b32_e32 v53, 0xffff0000, v25
	;; [unrolled: 1-line block ×3, first 2 shown]
	v_lshlrev_b32_e32 v29, 16, v29
	v_and_b32_e32 v71, 0xffff0000, v17
	v_lshlrev_b32_e32 v25, 16, v25
	v_dual_mul_f32 v69, v51, v53 :: v_dual_lshlrev_b32 v24, 16, v24
	v_and_b32_e32 v70, 0xffff0000, v16
	v_lshlrev_b32_e32 v17, 16, v17
	v_and_b32_e32 v67, 0xffff0000, v30
	s_delay_alu instid0(VALU_DEP_4)
	v_fmac_f32_e32 v69, v29, v25
	v_and_b32_e32 v43, 0xffff0000, v28
	v_lshlrev_b32_e32 v16, 16, v16
	v_and_b32_e32 v68, 0xffff0000, v26
	v_lshlrev_b32_e32 v30, 16, v30
	v_and_b32_e32 v72, 0xffff0000, v27
	v_mul_f32_e32 v52, v43, v50
	v_lshlrev_b32_e32 v26, 16, v26
	v_lshlrev_b32_e32 v28, 16, v28
	v_and_b32_e32 v75, 0xffff0000, v0
	s_addk_i32 s1, 0x400
	v_and_b32_e32 v74, 0xffff0000, v10
	v_lshlrev_b32_e32 v10, 16, v10
	v_fmac_f32_e32 v52, v28, v24
	s_cmp_ge_u32 s1, s4
	v_and_b32_e32 v76, 0xffff0000, v11
	s_delay_alu instid0(VALU_DEP_2) | instskip(NEXT) | instid1(VALU_DEP_1)
	v_dual_add_f32 v52, v63, v52 :: v_dual_add_nc_u32 v61, 0x800, v61
	v_dual_mul_f32 v63, v67, v68 :: v_dual_add_f32 v52, v52, v69
	v_and_b32_e32 v69, 0xffff0000, v31
	v_mul_f32_e32 v43, v43, v70
	s_delay_alu instid0(VALU_DEP_2) | instskip(NEXT) | instid1(VALU_DEP_4)
	v_mul_f32_e32 v73, v69, v72
	v_fmac_f32_e32 v63, v30, v26
	s_delay_alu instid0(VALU_DEP_3) | instskip(NEXT) | instid1(VALU_DEP_2)
	v_fmac_f32_e32 v43, v28, v16
	v_add_f32_e32 v52, v52, v63
	v_dual_mul_f32 v28, v51, v71 :: v_dual_and_b32 v51, 0xffff0000, v18
	s_delay_alu instid0(VALU_DEP_3) | instskip(NEXT) | instid1(VALU_DEP_2)
	v_dual_add_f32 v43, v66, v43 :: v_dual_lshlrev_b32 v18, 16, v18
	v_dual_fmac_f32 v28, v29, v17 :: v_dual_lshlrev_b32 v31, 16, v31
	s_delay_alu instid0(VALU_DEP_3) | instskip(SKIP_1) | instid1(VALU_DEP_3)
	v_dual_mul_f32 v29, v67, v51 :: v_dual_and_b32 v66, 0xffff0000, v37
	v_and_b32_e32 v67, 0xffff0000, v9
	v_dual_add_f32 v28, v43, v28 :: v_dual_lshlrev_b32 v37, 16, v37
	s_delay_alu instid0(VALU_DEP_3) | instskip(SKIP_2) | instid1(VALU_DEP_2)
	v_fmac_f32_e32 v29, v30, v18
	v_lshlrev_b32_e32 v27, 16, v27
	v_lshlrev_b32_e32 v9, 16, v9
	v_dual_add_f32 v28, v28, v29 :: v_dual_fmac_f32 v73, v31, v27
	s_delay_alu instid0(VALU_DEP_1) | instskip(SKIP_2) | instid1(VALU_DEP_1)
	v_add_f32_e32 v30, v52, v73
	v_and_b32_e32 v52, 0xffff0000, v8
	v_dual_mul_f32 v73, v66, v67 :: v_dual_lshlrev_b32 v8, 16, v8
	v_fmac_f32_e32 v73, v37, v9
	v_and_b32_e32 v43, 0xffff0000, v36
	v_lshlrev_b32_e32 v36, 16, v36
	s_delay_alu instid0(VALU_DEP_2) | instskip(NEXT) | instid1(VALU_DEP_1)
	v_mul_f32_e32 v63, v43, v52
	v_fmac_f32_e32 v63, v36, v8
	s_delay_alu instid0(VALU_DEP_1) | instskip(NEXT) | instid1(VALU_DEP_1)
	v_add_f32_e32 v30, v30, v63
	v_add_f32_e32 v30, v30, v73
	v_dual_mul_f32 v43, v43, v75 :: v_dual_lshlrev_b32 v0, 16, v0
	v_and_b32_e32 v73, 0xffff0000, v1
	v_and_b32_e32 v29, 0xffff0000, v19
	v_lshlrev_b32_e32 v1, 16, v1
	s_delay_alu instid0(VALU_DEP_3) | instskip(SKIP_3) | instid1(VALU_DEP_4)
	v_dual_fmac_f32 v43, v36, v0 :: v_dual_mul_f32 v36, v66, v73
	v_and_b32_e32 v66, 0xffff0000, v2
	v_lshlrev_b32_e32 v19, 16, v19
	v_dual_mul_f32 v69, v69, v29 :: v_dual_lshlrev_b32 v2, 16, v2
	v_dual_fmac_f32 v36, v37, v1 :: v_dual_and_b32 v37, 0xffff0000, v12
	s_delay_alu instid0(VALU_DEP_2) | instskip(SKIP_2) | instid1(VALU_DEP_3)
	v_dual_fmac_f32 v69, v31, v19 :: v_dual_lshlrev_b32 v12, 16, v12
	v_and_b32_e32 v31, 0xffff0000, v38
	v_lshlrev_b32_e32 v38, 16, v38
	v_add_f32_e32 v28, v28, v69
	s_delay_alu instid0(VALU_DEP_1) | instskip(SKIP_1) | instid1(VALU_DEP_2)
	v_dual_add_f32 v28, v28, v43 :: v_dual_and_b32 v43, 0xffff0000, v14
	v_lshlrev_b32_e32 v14, 16, v14
	v_add_f32_e32 v28, v28, v36
	v_mul_f32_e32 v36, v37, v50
	s_delay_alu instid0(VALU_DEP_1) | instskip(NEXT) | instid1(VALU_DEP_1)
	v_dual_fmac_f32 v36, v12, v24 :: v_dual_mul_f32 v63, v31, v74
	v_dual_mul_f32 v31, v31, v66 :: v_dual_add_f32 v36, v65, v36
	s_delay_alu instid0(VALU_DEP_2) | instskip(NEXT) | instid1(VALU_DEP_2)
	v_fmac_f32_e32 v63, v38, v10
	v_dual_fmac_f32 v31, v38, v2 :: v_dual_and_b32 v38, 0xffff0000, v13
	v_and_b32_e32 v69, 0xffff0000, v39
	v_lshlrev_b32_e32 v39, 16, v39
	v_lshlrev_b32_e32 v13, 16, v13
	;; [unrolled: 1-line block ×3, first 2 shown]
	s_delay_alu instid0(VALU_DEP_4) | instskip(SKIP_1) | instid1(VALU_DEP_2)
	v_dual_add_f32 v30, v30, v63 :: v_dual_mul_f32 v77, v69, v76
	v_mul_f32_e32 v65, v43, v68
	v_fmac_f32_e32 v77, v39, v11
	s_delay_alu instid0(VALU_DEP_2) | instskip(NEXT) | instid1(VALU_DEP_2)
	v_fmac_f32_e32 v65, v14, v26
	v_add_f32_e32 v63, v30, v77
	v_mul_f32_e32 v30, v38, v53
	s_delay_alu instid0(VALU_DEP_1) | instskip(NEXT) | instid1(VALU_DEP_1)
	v_fmac_f32_e32 v30, v13, v25
	v_add_f32_e32 v30, v36, v30
	v_and_b32_e32 v36, 0xffff0000, v15
	s_delay_alu instid0(VALU_DEP_2) | instskip(NEXT) | instid1(VALU_DEP_1)
	v_dual_add_f32 v30, v30, v65 :: v_dual_mul_f32 v37, v37, v70
	v_dual_fmac_f32 v37, v12, v16 :: v_dual_lshlrev_b32 v12, 16, v15
	s_delay_alu instid0(VALU_DEP_3) | instskip(SKIP_1) | instid1(VALU_DEP_3)
	v_dual_mul_f32 v15, v38, v71 :: v_dual_mul_f32 v38, v36, v72
	v_add_f32_e32 v28, v28, v31
	v_dual_add_f32 v37, v64, v37 :: v_dual_and_b32 v64, 0xffff0000, v32
	s_delay_alu instid0(VALU_DEP_3) | instskip(SKIP_2) | instid1(VALU_DEP_3)
	v_dual_fmac_f32 v15, v13, v17 :: v_dual_fmac_f32 v38, v12, v27
	v_mul_f32_e32 v13, v43, v51
	v_and_b32_e32 v31, 0xffff0000, v3
	v_dual_add_f32 v15, v37, v15 :: v_dual_lshlrev_b32 v32, 16, v32
	v_dual_mul_f32 v36, v36, v29 :: v_dual_lshlrev_b32 v3, 16, v3
	s_delay_alu instid0(VALU_DEP_4) | instskip(NEXT) | instid1(VALU_DEP_4)
	v_fmac_f32_e32 v13, v14, v18
	v_dual_add_f32 v14, v30, v38 :: v_dual_mul_f32 v69, v69, v31
	v_lshlrev_b32_e32 v30, 16, v33
	s_delay_alu instid0(VALU_DEP_3) | instskip(SKIP_2) | instid1(VALU_DEP_2)
	v_dual_fmac_f32 v36, v12, v19 :: v_dual_add_f32 v13, v15, v13
	v_and_b32_e32 v15, 0xffff0000, v34
	v_lshlrev_b32_e32 v34, 16, v34
	v_dual_mul_f32 v38, v15, v74 :: v_dual_mul_f32 v43, v64, v52
	s_delay_alu instid0(VALU_DEP_1) | instskip(NEXT) | instid1(VALU_DEP_2)
	v_dual_fmac_f32 v38, v34, v10 :: v_dual_and_b32 v37, 0xffff0000, v33
	v_fmac_f32_e32 v43, v32, v8
	s_delay_alu instid0(VALU_DEP_2) | instskip(NEXT) | instid1(VALU_DEP_2)
	v_mul_f32_e32 v33, v37, v67
	v_dual_add_f32 v14, v14, v43 :: v_dual_and_b32 v43, 0xffff0000, v5
	v_lshlrev_b32_e32 v5, 16, v5
	s_delay_alu instid0(VALU_DEP_3) | instskip(NEXT) | instid1(VALU_DEP_1)
	v_fmac_f32_e32 v33, v30, v9
	v_add_f32_e32 v12, v14, v33
	v_and_b32_e32 v14, 0xffff0000, v35
	v_lshlrev_b32_e32 v33, 16, v35
	v_and_b32_e32 v35, 0xffff0000, v4
	v_lshlrev_b32_e32 v4, 16, v4
	v_add_f32_e32 v12, v12, v38
	v_mul_f32_e32 v38, v64, v75
	s_delay_alu instid0(VALU_DEP_1) | instskip(SKIP_4) | instid1(VALU_DEP_3)
	v_fmac_f32_e32 v38, v32, v0
	v_dual_mul_f32 v32, v37, v73 :: v_dual_fmac_f32 v69, v39, v3
	v_mul_f32_e32 v39, v35, v50
	v_add_f32_e32 v13, v13, v36
	v_mul_f32_e32 v36, v14, v76
	v_dual_fmac_f32 v32, v30, v1 :: v_dual_fmac_f32 v39, v4, v24
	v_mul_f32_e32 v24, v43, v53
	s_delay_alu instid0(VALU_DEP_2) | instskip(NEXT) | instid1(VALU_DEP_2)
	v_add_f32_e32 v30, v62, v39
	v_fmac_f32_e32 v24, v5, v25
	v_fmac_f32_e32 v36, v33, v11
	s_delay_alu instid0(VALU_DEP_2) | instskip(SKIP_4) | instid1(VALU_DEP_4)
	v_add_f32_e32 v24, v30, v24
	v_mul_f32_e32 v30, v35, v70
	v_add_f32_e32 v13, v13, v38
	v_and_b32_e32 v37, 0xffff0000, v6
	v_dual_add_f32 v65, v12, v36 :: v_dual_lshlrev_b32 v6, 16, v6
	v_fmac_f32_e32 v30, v4, v16
	s_delay_alu instid0(VALU_DEP_4) | instskip(NEXT) | instid1(VALU_DEP_4)
	v_add_f32_e32 v13, v13, v32
	v_dual_mul_f32 v25, v37, v68 :: v_dual_mul_f32 v16, v43, v71
	v_and_b32_e32 v32, 0xffff0000, v7
	v_lshlrev_b32_e32 v7, 16, v7
	s_delay_alu instid0(VALU_DEP_2) | instskip(NEXT) | instid1(VALU_DEP_4)
	v_dual_fmac_f32 v25, v6, v26 :: v_dual_mul_f32 v26, v32, v72
	v_dual_fmac_f32 v16, v5, v17 :: v_dual_lshlrev_b32 v17, 16, v20
	s_delay_alu instid0(VALU_DEP_2) | instskip(SKIP_1) | instid1(VALU_DEP_4)
	v_add_f32_e32 v4, v24, v25
	v_add_f32_e32 v24, v60, v30
	v_dual_fmac_f32 v26, v7, v27 :: v_dual_and_b32 v25, 0xffff0000, v20
	s_delay_alu instid0(VALU_DEP_2) | instskip(SKIP_1) | instid1(VALU_DEP_3)
	v_dual_mul_f32 v5, v37, v51 :: v_dual_add_f32 v16, v24, v16
	v_and_b32_e32 v24, 0xffff0000, v21
	v_add_f32_e32 v4, v4, v26
	s_delay_alu instid0(VALU_DEP_4) | instskip(NEXT) | instid1(VALU_DEP_4)
	v_dual_mul_f32 v15, v15, v66 :: v_dual_mul_f32 v20, v25, v52
	v_dual_fmac_f32 v5, v6, v18 :: v_dual_mul_f32 v6, v32, v29
	s_delay_alu instid0(VALU_DEP_2) | instskip(SKIP_1) | instid1(VALU_DEP_3)
	v_dual_fmac_f32 v15, v34, v2 :: v_dual_fmac_f32 v20, v17, v8
	v_lshlrev_b32_e32 v8, 16, v21
	v_dual_add_f32 v5, v16, v5 :: v_dual_fmac_f32 v6, v7, v19
	v_mul_f32_e32 v18, v24, v67
	s_delay_alu instid0(VALU_DEP_4) | instskip(SKIP_1) | instid1(VALU_DEP_3)
	v_dual_add_f32 v4, v4, v20 :: v_dual_mul_f32 v7, v25, v75
	v_add_f32_e32 v13, v13, v15
	v_dual_add_f32 v5, v5, v6 :: v_dual_fmac_f32 v18, v8, v9
	v_dual_mul_f32 v9, v14, v31 :: v_dual_and_b32 v6, 0xffff0000, v22
	s_delay_alu instid0(VALU_DEP_4) | instskip(NEXT) | instid1(VALU_DEP_3)
	v_dual_fmac_f32 v7, v17, v0 :: v_dual_mul_f32 v0, v24, v73
	v_add_f32_e32 v4, v4, v18
	s_delay_alu instid0(VALU_DEP_3) | instskip(NEXT) | instid1(VALU_DEP_3)
	v_dual_mul_f32 v15, v6, v74 :: v_dual_and_b32 v16, 0xffff0000, v23
	v_dual_add_f32 v5, v5, v7 :: v_dual_fmac_f32 v0, v8, v1
	v_mul_f32_e32 v1, v6, v66
	s_delay_alu instid0(VALU_DEP_3) | instskip(SKIP_1) | instid1(VALU_DEP_2)
	v_dual_mul_f32 v7, v16, v76 :: v_dual_lshlrev_b32 v14, 16, v22
	v_lshlrev_b32_e32 v6, 16, v23
	v_dual_add_f32 v66, v28, v69 :: v_dual_fmac_f32 v1, v14, v2
	v_dual_fmac_f32 v15, v14, v10 :: v_dual_add_f32 v0, v5, v0
	s_delay_alu instid0(VALU_DEP_3) | instskip(SKIP_2) | instid1(VALU_DEP_4)
	v_fmac_f32_e32 v7, v6, v11
	v_mul_f32_e32 v2, v16, v31
	v_fmac_f32_e32 v9, v33, v3
	v_add_f32_e32 v4, v4, v15
	v_add_f32_e32 v0, v0, v1
	s_delay_alu instid0(VALU_DEP_4) | instskip(NEXT) | instid1(VALU_DEP_4)
	v_fmac_f32_e32 v2, v6, v3
	v_add_f32_e32 v64, v13, v9
	s_delay_alu instid0(VALU_DEP_4) | instskip(NEXT) | instid1(VALU_DEP_3)
	v_add_f32_e32 v62, v4, v7
	v_add_f32_e32 v60, v0, v2
	s_cbranch_scc1 .LBB237_44
.LBB237_18:                             ;   Parent Loop BB237_13 Depth=1
                                        ; =>  This Inner Loop Header: Depth=2
	v_dual_mov_b32 v22, 0 :: v_dual_add_nc_u32 v51, s1, v54
	v_dual_mov_b32 v21, 0 :: v_dual_mov_b32 v20, 0
	v_dual_mov_b32 v35, 0 :: v_dual_mov_b32 v34, 0
	s_delay_alu instid0(VALU_DEP_3) | instskip(SKIP_2) | instid1(VALU_DEP_3)
	v_min_u32_e32 v43, s20, v51
	v_dual_mov_b32 v23, 0 :: v_dual_add_nc_u32 v50, 0x200, v51
	v_dual_mov_b32 v33, 0 :: v_dual_mov_b32 v32, 0
	v_lshlrev_b64 v[0:1], 1, v[43:44]
	s_delay_alu instid0(VALU_DEP_3) | instskip(SKIP_3) | instid1(VALU_DEP_4)
	v_min_u32_e32 v43, s20, v50
	v_dual_mov_b32 v39, 0 :: v_dual_mov_b32 v38, 0
	v_dual_mov_b32 v37, 0 :: v_dual_mov_b32 v36, 0
	s_waitcnt lgkmcnt(0)
	v_add_co_u32 v4, vcc_lo, s14, v0
	v_add_co_ci_u32_e32 v5, vcc_lo, s15, v1, vcc_lo
	v_lshlrev_b64 v[0:1], 1, v[43:44]
	s_delay_alu instid0(VALU_DEP_3) | instskip(NEXT) | instid1(VALU_DEP_3)
	v_add_co_u32 v2, vcc_lo, v4, v46
	v_add_co_ci_u32_e32 v3, vcc_lo, v5, v47, vcc_lo
	s_waitcnt vmcnt(3)
	v_dual_mov_b32 v15, 0 :: v_dual_mov_b32 v14, 0
	s_waitcnt vmcnt(0)
	v_add_co_u32 v6, vcc_lo, s14, v0
	v_add_co_ci_u32_e32 v7, vcc_lo, s15, v1, vcc_lo
	v_add_co_u32 v0, vcc_lo, v4, v48
	v_add_co_ci_u32_e32 v1, vcc_lo, v5, v49, vcc_lo
	s_delay_alu instid0(VALU_DEP_4) | instskip(NEXT) | instid1(VALU_DEP_4)
	v_add_co_u32 v4, vcc_lo, v6, v46
	v_add_co_ci_u32_e32 v5, vcc_lo, v7, v47, vcc_lo
	v_add_co_u32 v6, vcc_lo, v6, v48
	v_add_co_ci_u32_e32 v7, vcc_lo, v7, v49, vcc_lo
	s_clause 0x3
	global_load_b128 v[24:27], v[2:3], off slc dlc
	global_load_b128 v[16:19], v[0:1], off slc dlc
	;; [unrolled: 1-line block ×4, first 2 shown]
	v_cmp_gt_u32_e32 vcc_lo, s4, v51
	v_dual_mov_b32 v7, 0 :: v_dual_mov_b32 v6, 0
	v_dual_mov_b32 v5, 0 :: v_dual_mov_b32 v4, 0
	;; [unrolled: 1-line block ×5, first 2 shown]
	s_and_saveexec_b32 s2, vcc_lo
	s_cbranch_execz .LBB237_17
; %bb.19:                               ;   in Loop: Header=BB237_18 Depth=2
	s_mov_b32 s18, exec_lo
                                        ; implicit-def: $vgpr31
	v_cmpx_lt_u32_e32 0x7fff, v51
	s_xor_b32 s18, exec_lo, s18
	s_cbranch_execz .LBB237_21
; %bb.20:                               ;   in Loop: Header=BB237_18 Depth=2
	v_mov_b32_e32 v52, v44
	s_delay_alu instid0(VALU_DEP_1) | instskip(NEXT) | instid1(VALU_DEP_1)
	v_lshlrev_b64 v[4:5], 1, v[51:52]
	v_add_co_u32 v4, vcc_lo, s8, v4
	s_delay_alu instid0(VALU_DEP_2)
	v_add_co_ci_u32_e32 v5, vcc_lo, s9, v5, vcc_lo
	global_load_b128 v[28:31], v[4:5], off
.LBB237_21:                             ;   in Loop: Header=BB237_18 Depth=2
	s_and_not1_saveexec_b32 s18, s18
	s_cbranch_execz .LBB237_23
; %bb.22:                               ;   in Loop: Header=BB237_18 Depth=2
	s_waitcnt vmcnt(0)
	ds_load_b128 v[28:31], v61
.LBB237_23:                             ;   in Loop: Header=BB237_18 Depth=2
	s_or_b32 exec_lo, exec_lo, s18
	v_add_nc_u32_e32 v43, s1, v56
	s_mov_b32 s18, exec_lo
                                        ; implicit-def: $vgpr15
	s_delay_alu instid0(VALU_DEP_1)
	v_cmpx_lt_u32_e32 0x7fff, v43
	s_xor_b32 s18, exec_lo, s18
	s_cbranch_execz .LBB237_25
; %bb.24:                               ;   in Loop: Header=BB237_18 Depth=2
	v_lshlrev_b64 v[4:5], 1, v[43:44]
	s_delay_alu instid0(VALU_DEP_1) | instskip(NEXT) | instid1(VALU_DEP_2)
	v_add_co_u32 v4, vcc_lo, s8, v4
	v_add_co_ci_u32_e32 v5, vcc_lo, s9, v5, vcc_lo
	global_load_b128 v[12:15], v[4:5], off
.LBB237_25:                             ;   in Loop: Header=BB237_18 Depth=2
	s_and_not1_saveexec_b32 s18, s18
	s_cbranch_execz .LBB237_27
; %bb.26:                               ;   in Loop: Header=BB237_18 Depth=2
	v_add_nc_u32_e32 v4, s25, v61
	s_waitcnt vmcnt(0)
	ds_load_b128 v[12:15], v4
.LBB237_27:                             ;   in Loop: Header=BB237_18 Depth=2
	s_or_b32 exec_lo, exec_lo, s18
	v_add_nc_u32_e32 v52, s1, v59
	s_mov_b32 s18, exec_lo
                                        ; implicit-def: $vgpr7
	s_delay_alu instid0(VALU_DEP_1)
	v_cmpx_lt_u32_e32 0x7fff, v52
	s_xor_b32 s18, exec_lo, s18
	s_cbranch_execz .LBB237_29
; %bb.28:                               ;   in Loop: Header=BB237_18 Depth=2
	v_mov_b32_e32 v53, v44
	s_delay_alu instid0(VALU_DEP_1) | instskip(NEXT) | instid1(VALU_DEP_1)
	v_lshlrev_b64 v[4:5], 1, v[52:53]
	v_add_co_u32 v4, vcc_lo, s8, v4
	s_delay_alu instid0(VALU_DEP_2)
	v_add_co_ci_u32_e32 v5, vcc_lo, s9, v5, vcc_lo
	global_load_b128 v[4:7], v[4:5], off
.LBB237_29:                             ;   in Loop: Header=BB237_18 Depth=2
	s_and_not1_saveexec_b32 s18, s18
	s_cbranch_execz .LBB237_31
; %bb.30:                               ;   in Loop: Header=BB237_18 Depth=2
	s_waitcnt vmcnt(0)
	v_add_nc_u32_e32 v6, s6, v61
	ds_load_2addr_b32 v[4:5], v6 offset1:1
	ds_load_2addr_b32 v[6:7], v6 offset0:2 offset1:3
.LBB237_31:                             ;   in Loop: Header=BB237_18 Depth=2
	s_or_b32 exec_lo, exec_lo, s18
	v_dual_mov_b32 v23, 0 :: v_dual_mov_b32 v22, 0
	v_dual_mov_b32 v21, 0 :: v_dual_mov_b32 v20, 0
	;; [unrolled: 1-line block ×6, first 2 shown]
	s_mov_b32 s18, exec_lo
	v_cmpx_gt_u32_e64 s4, v50
	s_cbranch_execz .LBB237_16
; %bb.32:                               ;   in Loop: Header=BB237_18 Depth=2
	s_mov_b32 s19, exec_lo
                                        ; implicit-def: $vgpr39
	v_cmpx_lt_u32_e32 0x7fff, v50
	s_xor_b32 s19, exec_lo, s19
	s_cbranch_execz .LBB237_34
; %bb.33:                               ;   in Loop: Header=BB237_18 Depth=2
	v_mov_b32_e32 v51, v44
	s_delay_alu instid0(VALU_DEP_1) | instskip(NEXT) | instid1(VALU_DEP_1)
	v_lshlrev_b64 v[20:21], 1, v[50:51]
	v_add_co_u32 v20, vcc_lo, s8, v20
	s_delay_alu instid0(VALU_DEP_2)
	v_add_co_ci_u32_e32 v21, vcc_lo, s9, v21, vcc_lo
	global_load_b128 v[36:39], v[20:21], off
.LBB237_34:                             ;   in Loop: Header=BB237_18 Depth=2
	s_and_not1_saveexec_b32 s19, s19
	s_cbranch_execz .LBB237_36
; %bb.35:                               ;   in Loop: Header=BB237_18 Depth=2
	s_waitcnt vmcnt(0)
	ds_load_b128 v[36:39], v61 offset:1024
.LBB237_36:                             ;   in Loop: Header=BB237_18 Depth=2
	s_or_b32 exec_lo, exec_lo, s19
	v_add_nc_u32_e32 v43, 0x200, v43
	s_mov_b32 s19, exec_lo
                                        ; implicit-def: $vgpr35
	s_delay_alu instid0(VALU_DEP_1)
	v_cmpx_lt_u32_e32 0x7fff, v43
	s_xor_b32 s19, exec_lo, s19
	s_cbranch_execz .LBB237_38
; %bb.37:                               ;   in Loop: Header=BB237_18 Depth=2
	v_lshlrev_b64 v[20:21], 1, v[43:44]
	s_delay_alu instid0(VALU_DEP_1) | instskip(NEXT) | instid1(VALU_DEP_2)
	v_add_co_u32 v20, vcc_lo, s8, v20
	v_add_co_ci_u32_e32 v21, vcc_lo, s9, v21, vcc_lo
	global_load_b128 v[32:35], v[20:21], off
.LBB237_38:                             ;   in Loop: Header=BB237_18 Depth=2
	s_and_not1_saveexec_b32 s19, s19
	s_cbranch_execz .LBB237_40
; %bb.39:                               ;   in Loop: Header=BB237_18 Depth=2
	v_add_nc_u32_e32 v20, s25, v61
	s_waitcnt vmcnt(0)
	ds_load_b128 v[32:35], v20 offset:1024
.LBB237_40:                             ;   in Loop: Header=BB237_18 Depth=2
	s_or_b32 exec_lo, exec_lo, s19
	v_add_nc_u32_e32 v43, 0x200, v52
	s_mov_b32 s19, exec_lo
                                        ; implicit-def: $vgpr23
	s_delay_alu instid0(VALU_DEP_1)
	v_cmpx_lt_u32_e32 0x7fff, v43
	s_xor_b32 s19, exec_lo, s19
	s_cbranch_execz .LBB237_42
; %bb.41:                               ;   in Loop: Header=BB237_18 Depth=2
	v_lshlrev_b64 v[20:21], 1, v[43:44]
	s_delay_alu instid0(VALU_DEP_1) | instskip(NEXT) | instid1(VALU_DEP_2)
	v_add_co_u32 v20, vcc_lo, s8, v20
	v_add_co_ci_u32_e32 v21, vcc_lo, s9, v21, vcc_lo
	global_load_b128 v[20:23], v[20:21], off
.LBB237_42:                             ;   in Loop: Header=BB237_18 Depth=2
	s_and_not1_saveexec_b32 s19, s19
	s_cbranch_execz .LBB237_15
; %bb.43:                               ;   in Loop: Header=BB237_18 Depth=2
	s_waitcnt vmcnt(0)
	v_add_nc_u32_e32 v20, s6, v61
	s_delay_alu instid0(VALU_DEP_1)
	v_add_nc_u32_e32 v21, 0x400, v20
	v_add_nc_u32_e32 v22, 0x408, v20
	ds_load_2addr_b32 v[20:21], v21 offset1:1
	ds_load_2addr_b32 v[22:23], v22 offset1:1
	s_branch .LBB237_15
.LBB237_44:                             ;   in Loop: Header=BB237_13 Depth=1
	s_delay_alu instid0(VALU_DEP_1)
	v_cvt_i32_f32_e32 v0, v63
	s_waitcnt lgkmcnt(0)
	v_cvt_i32_f32_e32 v1, v66
	v_cvt_i32_f32_e32 v2, v65
	;; [unrolled: 1-line block ×4, first 2 shown]
	v_cvt_f32_i32_dpp v0, v0 row_shr:8 row_mask:0xf bank_mask:0xf bound_ctrl:1
	v_cvt_f32_i32_dpp v1, v1 row_shr:8 row_mask:0xf bank_mask:0xf bound_ctrl:1
	;; [unrolled: 1-line block ×4, first 2 shown]
	v_cvt_i32_f32_e32 v5, v60
	s_delay_alu instid0(VALU_DEP_4) | instskip(SKIP_1) | instid1(VALU_DEP_4)
	v_dual_add_f32 v0, v63, v0 :: v_dual_add_f32 v1, v66, v1
	v_cvt_f32_i32_dpp v4, v4 row_shr:8 row_mask:0xf bank_mask:0xf bound_ctrl:1
	v_dual_add_f32 v2, v65, v2 :: v_dual_add_f32 v3, v64, v3
	s_waitcnt vmcnt(0)
	s_delay_alu instid0(VALU_DEP_3)
	v_cvt_i32_f32_e32 v6, v0
	v_cvt_f32_i32_dpp v5, v5 row_shr:8 row_mask:0xf bank_mask:0xf bound_ctrl:1
	v_add_f32_e32 v4, v62, v4
	v_cvt_i32_f32_e32 v7, v1
	v_cvt_i32_f32_e32 v8, v2
	v_cvt_f32_i32_dpp v6, v6 row_shr:4 row_mask:0xf bank_mask:0xf bound_ctrl:1
	v_add_f32_e32 v5, v60, v5
	v_cvt_i32_f32_e32 v9, v3
	v_cvt_i32_f32_e32 v10, v4
	s_delay_alu instid0(VALU_DEP_4)
	v_add_f32_e32 v0, v0, v6
	v_cvt_f32_i32_dpp v6, v7 row_shr:4 row_mask:0xf bank_mask:0xf bound_ctrl:1
	v_cvt_f32_i32_dpp v7, v8 row_shr:4 row_mask:0xf bank_mask:0xf bound_ctrl:1
	;; [unrolled: 1-line block ×3, first 2 shown]
	v_cvt_i32_f32_e32 v11, v5
	v_cvt_f32_i32_dpp v9, v10 row_shr:4 row_mask:0xf bank_mask:0xf bound_ctrl:1
	s_delay_alu instid0(VALU_DEP_4) | instskip(NEXT) | instid1(VALU_DEP_4)
	v_dual_add_f32 v1, v1, v6 :: v_dual_add_f32 v2, v2, v7
	v_add_f32_e32 v3, v3, v8
	v_cvt_i32_f32_e32 v10, v0
	v_cvt_f32_i32_dpp v11, v11 row_shr:4 row_mask:0xf bank_mask:0xf bound_ctrl:1
	s_delay_alu instid0(VALU_DEP_4)
	v_cvt_i32_f32_e32 v7, v1
	v_add_f32_e32 v4, v4, v9
	v_cvt_i32_f32_e32 v8, v2
	v_cvt_f32_i32_dpp v6, v10 row_shr:2 row_mask:0xf bank_mask:0xf bound_ctrl:1
	v_add_f32_e32 v5, v5, v11
	v_cvt_f32_i32_dpp v7, v7 row_shr:2 row_mask:0xf bank_mask:0xf bound_ctrl:1
	v_cvt_i32_f32_e32 v9, v4
	v_cvt_f32_i32_dpp v8, v8 row_shr:2 row_mask:0xf bank_mask:0xf bound_ctrl:1
	v_add_f32_e32 v0, v0, v6
	v_cvt_i32_f32_e32 v6, v3
	v_add_f32_e32 v1, v1, v7
	v_cvt_i32_f32_e32 v10, v5
	v_cvt_f32_i32_dpp v9, v9 row_shr:2 row_mask:0xf bank_mask:0xf bound_ctrl:1
	v_cvt_i32_f32_e32 v11, v0
	v_cvt_f32_i32_dpp v6, v6 row_shr:2 row_mask:0xf bank_mask:0xf bound_ctrl:1
	v_add_f32_e32 v2, v2, v8
	v_cvt_f32_i32_dpp v10, v10 row_shr:2 row_mask:0xf bank_mask:0xf bound_ctrl:1
	s_delay_alu instid0(VALU_DEP_4) | instskip(NEXT) | instid1(VALU_DEP_4)
	v_cvt_f32_i32_dpp v11, v11 row_shr:1 row_mask:0xf bank_mask:0xf bound_ctrl:1
	v_dual_add_f32 v3, v3, v6 :: v_dual_add_f32 v6, v4, v9
	v_cvt_i32_f32_e32 v4, v1
	s_delay_alu instid0(VALU_DEP_3) | instskip(SKIP_1) | instid1(VALU_DEP_4)
	v_dual_add_f32 v13, v0, v11 :: v_dual_add_f32 v0, v5, v10
	v_cvt_i32_f32_e32 v5, v2
	v_cvt_i32_f32_e32 v7, v3
	v_cvt_i32_f32_e32 v8, v6
	v_cvt_f32_i32_dpp v4, v4 row_shr:1 row_mask:0xf bank_mask:0xf bound_ctrl:1
	v_cvt_i32_f32_e32 v9, v0
	v_cvt_f32_i32_dpp v5, v5 row_shr:1 row_mask:0xf bank_mask:0xf bound_ctrl:1
	v_cvt_f32_i32_dpp v11, v7 row_shr:1 row_mask:0xf bank_mask:0xf bound_ctrl:1
	;; [unrolled: 1-line block ×3, first 2 shown]
	v_add_f32_e32 v10, v1, v4
	v_cvt_f32_i32_dpp v9, v9 row_shr:1 row_mask:0xf bank_mask:0xf bound_ctrl:1
	s_delay_alu instid0(VALU_DEP_4) | instskip(NEXT) | instid1(VALU_DEP_4)
	v_dual_add_f32 v7, v2, v5 :: v_dual_add_f32 v4, v3, v11
	v_add_f32_e32 v2, v6, v8
	ds_bpermute_b32 v14, v57, v13
	v_add_f32_e32 v0, v0, v9
	ds_bpermute_b32 v11, v57, v10
	ds_bpermute_b32 v8, v57, v7
	ds_bpermute_b32 v5, v57, v4
	ds_bpermute_b32 v3, v57, v2
	ds_bpermute_b32 v1, v57, v0
	s_and_saveexec_b32 s18, s0
	s_cbranch_execz .LBB237_83
; %bb.45:                               ;   in Loop: Header=BB237_13 Depth=1
	v_dual_mov_b32 v17, 0 :: v_dual_mov_b32 v16, 0
	v_dual_mov_b32 v15, 0 :: v_dual_mov_b32 v12, 0
	;; [unrolled: 1-line block ×3, first 2 shown]
	s_and_not1_b32 vcc_lo, exec_lo, s22
	s_cbranch_vccnz .LBB237_47
; %bb.46:                               ;   in Loop: Header=BB237_13 Depth=1
	v_mul_hi_u32 v6, v42, v58
	v_mul_hi_u32 v9, v45, v58
	v_mov_b32_e32 v18, v44
	s_delay_alu instid0(VALU_DEP_3) | instskip(NEXT) | instid1(VALU_DEP_3)
	v_mul_lo_u32 v6, v6, s10
	v_mul_lo_u32 v9, v9, s10
	s_delay_alu instid0(VALU_DEP_2) | instskip(NEXT) | instid1(VALU_DEP_2)
	v_sub_nc_u32_e32 v6, v42, v6
	v_sub_nc_u32_e32 v9, v45, v9
	s_delay_alu instid0(VALU_DEP_2) | instskip(SKIP_1) | instid1(VALU_DEP_3)
	v_subrev_nc_u32_e32 v12, s10, v6
	v_cmp_le_u32_e32 vcc_lo, s10, v6
	v_subrev_nc_u32_e32 v15, s10, v9
	s_delay_alu instid0(VALU_DEP_3) | instskip(SKIP_1) | instid1(VALU_DEP_3)
	v_cndmask_b32_e32 v6, v6, v12, vcc_lo
	v_cmp_le_u32_e32 vcc_lo, s10, v9
	v_cndmask_b32_e32 v9, v9, v15, vcc_lo
	s_delay_alu instid0(VALU_DEP_3) | instskip(SKIP_2) | instid1(VALU_DEP_4)
	v_subrev_nc_u32_e32 v12, s10, v6
	v_cmp_le_u32_e32 vcc_lo, s10, v6
	v_mov_b32_e32 v16, v44
	v_subrev_nc_u32_e32 v15, s10, v9
	s_delay_alu instid0(VALU_DEP_4) | instskip(SKIP_1) | instid1(VALU_DEP_2)
	v_cndmask_b32_e32 v43, v6, v12, vcc_lo
	v_cmp_le_u32_e32 vcc_lo, s10, v9
	v_dual_mov_b32 v20, v44 :: v_dual_add_nc_u32 v17, s26, v43
	s_delay_alu instid0(VALU_DEP_4) | instskip(SKIP_2) | instid1(VALU_DEP_3)
	v_cndmask_b32_e32 v15, v9, v15, vcc_lo
	v_lshlrev_b64 v[21:22], 1, v[43:44]
	v_add_nc_u32_e32 v43, s27, v43
	v_add_nc_u32_e32 v19, s26, v15
	v_lshlrev_b64 v[23:24], 1, v[15:16]
	v_lshlrev_b64 v[16:17], 1, v[17:18]
	s_delay_alu instid0(VALU_DEP_4)
	v_lshlrev_b64 v[25:26], 1, v[43:44]
	v_add_nc_u32_e32 v43, s27, v15
	v_lshlrev_b64 v[18:19], 1, v[19:20]
	v_add_co_u32 v20, vcc_lo, s12, v21
	v_add_co_ci_u32_e32 v21, vcc_lo, s13, v22, vcc_lo
	v_add_co_u32 v22, vcc_lo, s12, v23
	v_add_co_ci_u32_e32 v23, vcc_lo, s13, v24, vcc_lo
	v_add_co_u32 v29, vcc_lo, s12, v16
	v_add_co_ci_u32_e32 v30, vcc_lo, s13, v17, vcc_lo
	v_lshlrev_b64 v[27:28], 1, v[43:44]
	v_add_co_u32 v18, vcc_lo, s12, v18
	v_add_co_ci_u32_e32 v19, vcc_lo, s13, v19, vcc_lo
	v_add_co_u32 v24, vcc_lo, s12, v25
	v_add_co_ci_u32_e32 v25, vcc_lo, s13, v26, vcc_lo
	;; [unrolled: 2-line block ×3, first 2 shown]
	s_clause 0x5
	global_load_u16 v17, v[20:21], off
	global_load_u16 v16, v[22:23], off
	global_load_u16 v15, v[29:30], off
	global_load_u16 v12, v[18:19], off
	global_load_u16 v9, v[24:25], off
	global_load_u16 v6, v[26:27], off
.LBB237_47:                             ;   in Loop: Header=BB237_13 Depth=1
	v_cmp_ne_u32_e32 vcc_lo, 0, v40
	s_and_saveexec_b32 s2, vcc_lo
	s_cbranch_execnz .LBB237_53
; %bb.48:                               ;   in Loop: Header=BB237_13 Depth=1
	s_or_b32 exec_lo, exec_lo, s2
	v_cmp_ne_u32_e64 s1, 0, v41
	s_delay_alu instid0(VALU_DEP_1)
	s_and_saveexec_b32 s19, s1
	s_cbranch_execnz .LBB237_58
.LBB237_49:                             ;   in Loop: Header=BB237_13 Depth=1
	s_or_b32 exec_lo, exec_lo, s19
	v_add_nc_u32_e32 v43, s7, v42
	s_and_saveexec_b32 s19, vcc_lo
	s_cbranch_execnz .LBB237_63
.LBB237_50:                             ;   in Loop: Header=BB237_13 Depth=1
	s_or_b32 exec_lo, exec_lo, s19
	s_and_saveexec_b32 s19, s1
	s_cbranch_execnz .LBB237_68
.LBB237_51:                             ;   in Loop: Header=BB237_13 Depth=1
	s_or_b32 exec_lo, exec_lo, s19
	v_add_nc_u32_e32 v43, s7, v43
	s_and_saveexec_b32 s2, vcc_lo
	s_cbranch_execnz .LBB237_73
.LBB237_52:                             ;   in Loop: Header=BB237_13 Depth=1
	s_or_b32 exec_lo, exec_lo, s2
	s_delay_alu instid0(SALU_CYCLE_1)
	s_and_b32 exec_lo, exec_lo, s1
	s_cbranch_execnz .LBB237_78
	s_branch .LBB237_83
.LBB237_53:                             ;   in Loop: Header=BB237_13 Depth=1
	s_waitcnt vmcnt(5) lgkmcnt(0)
	v_dual_add_f32 v13, v13, v14 :: v_dual_lshlrev_b32 v14, 16, v17
	s_delay_alu instid0(VALU_DEP_1) | instskip(NEXT) | instid1(VALU_DEP_1)
	v_add_f32_e32 v14, v13, v14
	v_and_b32_e32 v13, 0x7f800000, v14
	s_delay_alu instid0(VALU_DEP_1) | instskip(NEXT) | instid1(VALU_DEP_1)
	v_cmp_ne_u32_e64 s1, 0x7f800000, v13
                                        ; implicit-def: $vgpr13
	s_and_saveexec_b32 s19, s1
	s_delay_alu instid0(SALU_CYCLE_1)
	s_xor_b32 s1, exec_lo, s19
; %bb.54:                               ;   in Loop: Header=BB237_13 Depth=1
	v_bfe_u32 v13, v14, 16, 1
	s_delay_alu instid0(VALU_DEP_1)
	v_add3_u32 v13, v14, v13, 0x7fff
                                        ; implicit-def: $vgpr14
; %bb.55:                               ;   in Loop: Header=BB237_13 Depth=1
	s_and_not1_saveexec_b32 s19, s1
; %bb.56:                               ;   in Loop: Header=BB237_13 Depth=1
	v_and_b32_e32 v13, 0xffff, v14
	v_or_b32_e32 v17, 0x10000, v14
	s_delay_alu instid0(VALU_DEP_2) | instskip(NEXT) | instid1(VALU_DEP_1)
	v_cmp_eq_u32_e64 s1, 0, v13
	v_cndmask_b32_e64 v13, v17, v14, s1
; %bb.57:                               ;   in Loop: Header=BB237_13 Depth=1
	s_or_b32 exec_lo, exec_lo, s19
	v_mov_b32_e32 v43, v44
	s_delay_alu instid0(VALU_DEP_1) | instskip(NEXT) | instid1(VALU_DEP_1)
	v_lshlrev_b64 v[17:18], 1, v[42:43]
	v_add_co_u32 v17, s1, s16, v17
	s_delay_alu instid0(VALU_DEP_1) | instskip(SKIP_3) | instid1(VALU_DEP_1)
	v_add_co_ci_u32_e64 v18, s1, s17, v18, s1
	global_store_d16_hi_b16 v[17:18], v13, off
	s_or_b32 exec_lo, exec_lo, s2
	v_cmp_ne_u32_e64 s1, 0, v41
	s_and_saveexec_b32 s19, s1
	s_cbranch_execz .LBB237_49
.LBB237_58:                             ;   in Loop: Header=BB237_13 Depth=1
	s_waitcnt vmcnt(4) lgkmcnt(0)
	v_dual_add_f32 v10, v10, v11 :: v_dual_lshlrev_b32 v11, 16, v16
	s_delay_alu instid0(VALU_DEP_1) | instskip(NEXT) | instid1(VALU_DEP_1)
	v_add_f32_e32 v11, v10, v11
	v_and_b32_e32 v10, 0x7f800000, v11
	s_delay_alu instid0(VALU_DEP_1) | instskip(NEXT) | instid1(VALU_DEP_1)
	v_cmp_ne_u32_e64 s2, 0x7f800000, v10
                                        ; implicit-def: $vgpr10
	s_and_saveexec_b32 s28, s2
	s_delay_alu instid0(SALU_CYCLE_1)
	s_xor_b32 s2, exec_lo, s28
; %bb.59:                               ;   in Loop: Header=BB237_13 Depth=1
	v_bfe_u32 v10, v11, 16, 1
	s_delay_alu instid0(VALU_DEP_1)
	v_add3_u32 v10, v11, v10, 0x7fff
                                        ; implicit-def: $vgpr11
; %bb.60:                               ;   in Loop: Header=BB237_13 Depth=1
	s_and_not1_saveexec_b32 s28, s2
; %bb.61:                               ;   in Loop: Header=BB237_13 Depth=1
	v_and_b32_e32 v10, 0xffff, v11
	v_or_b32_e32 v13, 0x10000, v11
	s_delay_alu instid0(VALU_DEP_2) | instskip(NEXT) | instid1(VALU_DEP_1)
	v_cmp_eq_u32_e64 s2, 0, v10
	v_cndmask_b32_e64 v10, v13, v11, s2
; %bb.62:                               ;   in Loop: Header=BB237_13 Depth=1
	s_or_b32 exec_lo, exec_lo, s28
	v_mov_b32_e32 v46, v44
	s_delay_alu instid0(VALU_DEP_1) | instskip(NEXT) | instid1(VALU_DEP_1)
	v_lshlrev_b64 v[13:14], 1, v[45:46]
	v_add_co_u32 v13, s2, s16, v13
	s_delay_alu instid0(VALU_DEP_1)
	v_add_co_ci_u32_e64 v14, s2, s17, v14, s2
	global_store_d16_hi_b16 v[13:14], v10, off
	s_or_b32 exec_lo, exec_lo, s19
	v_add_nc_u32_e32 v43, s7, v42
	s_and_saveexec_b32 s19, vcc_lo
	s_cbranch_execz .LBB237_50
.LBB237_63:                             ;   in Loop: Header=BB237_13 Depth=1
	s_waitcnt vmcnt(3) lgkmcnt(0)
	v_dual_add_f32 v7, v7, v8 :: v_dual_lshlrev_b32 v8, 16, v15
	s_delay_alu instid0(VALU_DEP_1) | instskip(NEXT) | instid1(VALU_DEP_1)
	v_add_f32_e32 v8, v7, v8
	v_and_b32_e32 v7, 0x7f800000, v8
	s_delay_alu instid0(VALU_DEP_1) | instskip(NEXT) | instid1(VALU_DEP_1)
	v_cmp_ne_u32_e64 s2, 0x7f800000, v7
                                        ; implicit-def: $vgpr7
	s_and_saveexec_b32 s28, s2
	s_delay_alu instid0(SALU_CYCLE_1)
	s_xor_b32 s2, exec_lo, s28
; %bb.64:                               ;   in Loop: Header=BB237_13 Depth=1
	v_bfe_u32 v7, v8, 16, 1
	s_delay_alu instid0(VALU_DEP_1)
	v_add3_u32 v7, v8, v7, 0x7fff
                                        ; implicit-def: $vgpr8
; %bb.65:                               ;   in Loop: Header=BB237_13 Depth=1
	s_and_not1_saveexec_b32 s28, s2
; %bb.66:                               ;   in Loop: Header=BB237_13 Depth=1
	v_and_b32_e32 v7, 0xffff, v8
	v_or_b32_e32 v10, 0x10000, v8
	s_delay_alu instid0(VALU_DEP_2) | instskip(NEXT) | instid1(VALU_DEP_1)
	v_cmp_eq_u32_e64 s2, 0, v7
	v_cndmask_b32_e64 v7, v10, v8, s2
; %bb.67:                               ;   in Loop: Header=BB237_13 Depth=1
	s_or_b32 exec_lo, exec_lo, s28
	v_lshlrev_b64 v[10:11], 1, v[43:44]
	s_delay_alu instid0(VALU_DEP_1) | instskip(NEXT) | instid1(VALU_DEP_1)
	v_add_co_u32 v10, s2, s16, v10
	v_add_co_ci_u32_e64 v11, s2, s17, v11, s2
	global_store_d16_hi_b16 v[10:11], v7, off
	s_or_b32 exec_lo, exec_lo, s19
	s_and_saveexec_b32 s19, s1
	s_cbranch_execz .LBB237_51
.LBB237_68:                             ;   in Loop: Header=BB237_13 Depth=1
	s_waitcnt vmcnt(2) lgkmcnt(0)
	v_dual_add_f32 v4, v4, v5 :: v_dual_lshlrev_b32 v5, 16, v12
	s_delay_alu instid0(VALU_DEP_1) | instskip(NEXT) | instid1(VALU_DEP_1)
	v_add_f32_e32 v5, v4, v5
	v_and_b32_e32 v4, 0x7f800000, v5
	s_delay_alu instid0(VALU_DEP_1) | instskip(NEXT) | instid1(VALU_DEP_1)
	v_cmp_ne_u32_e64 s2, 0x7f800000, v4
                                        ; implicit-def: $vgpr4
	s_and_saveexec_b32 s28, s2
	s_delay_alu instid0(SALU_CYCLE_1)
	s_xor_b32 s2, exec_lo, s28
; %bb.69:                               ;   in Loop: Header=BB237_13 Depth=1
	v_bfe_u32 v4, v5, 16, 1
	s_delay_alu instid0(VALU_DEP_1)
	v_add3_u32 v4, v5, v4, 0x7fff
                                        ; implicit-def: $vgpr5
; %bb.70:                               ;   in Loop: Header=BB237_13 Depth=1
	s_and_not1_saveexec_b32 s28, s2
; %bb.71:                               ;   in Loop: Header=BB237_13 Depth=1
	v_and_b32_e32 v4, 0xffff, v5
	v_or_b32_e32 v7, 0x10000, v5
	s_delay_alu instid0(VALU_DEP_2) | instskip(NEXT) | instid1(VALU_DEP_1)
	v_cmp_eq_u32_e64 s2, 0, v4
	v_cndmask_b32_e64 v4, v7, v5, s2
; %bb.72:                               ;   in Loop: Header=BB237_13 Depth=1
	s_or_b32 exec_lo, exec_lo, s28
	v_dual_mov_b32 v8, v44 :: v_dual_add_nc_u32 v7, 1, v43
	s_delay_alu instid0(VALU_DEP_1) | instskip(NEXT) | instid1(VALU_DEP_1)
	v_lshlrev_b64 v[7:8], 1, v[7:8]
	v_add_co_u32 v7, s2, s16, v7
	s_delay_alu instid0(VALU_DEP_1)
	v_add_co_ci_u32_e64 v8, s2, s17, v8, s2
	global_store_d16_hi_b16 v[7:8], v4, off
	s_or_b32 exec_lo, exec_lo, s19
	v_add_nc_u32_e32 v43, s7, v43
	s_and_saveexec_b32 s2, vcc_lo
	s_cbranch_execz .LBB237_52
.LBB237_73:                             ;   in Loop: Header=BB237_13 Depth=1
	s_waitcnt vmcnt(1) lgkmcnt(0)
	v_dual_add_f32 v2, v2, v3 :: v_dual_lshlrev_b32 v3, 16, v9
	s_delay_alu instid0(VALU_DEP_1) | instskip(NEXT) | instid1(VALU_DEP_1)
	v_add_f32_e32 v3, v2, v3
	v_and_b32_e32 v2, 0x7f800000, v3
	s_delay_alu instid0(VALU_DEP_1) | instskip(SKIP_1) | instid1(SALU_CYCLE_1)
	v_cmp_ne_u32_e32 vcc_lo, 0x7f800000, v2
                                        ; implicit-def: $vgpr2
	s_and_saveexec_b32 s19, vcc_lo
	s_xor_b32 s19, exec_lo, s19
; %bb.74:                               ;   in Loop: Header=BB237_13 Depth=1
	v_bfe_u32 v2, v3, 16, 1
	s_delay_alu instid0(VALU_DEP_1)
	v_add3_u32 v2, v3, v2, 0x7fff
                                        ; implicit-def: $vgpr3
; %bb.75:                               ;   in Loop: Header=BB237_13 Depth=1
	s_and_not1_saveexec_b32 s19, s19
; %bb.76:                               ;   in Loop: Header=BB237_13 Depth=1
	v_and_b32_e32 v2, 0xffff, v3
	v_or_b32_e32 v4, 0x10000, v3
	s_delay_alu instid0(VALU_DEP_2) | instskip(NEXT) | instid1(VALU_DEP_2)
	v_cmp_eq_u32_e32 vcc_lo, 0, v2
	v_cndmask_b32_e32 v2, v4, v3, vcc_lo
; %bb.77:                               ;   in Loop: Header=BB237_13 Depth=1
	s_or_b32 exec_lo, exec_lo, s19
	v_lshlrev_b64 v[3:4], 1, v[43:44]
	s_delay_alu instid0(VALU_DEP_1) | instskip(NEXT) | instid1(VALU_DEP_2)
	v_add_co_u32 v3, vcc_lo, s16, v3
	v_add_co_ci_u32_e32 v4, vcc_lo, s17, v4, vcc_lo
	global_store_d16_hi_b16 v[3:4], v2, off
	s_or_b32 exec_lo, exec_lo, s2
	s_delay_alu instid0(SALU_CYCLE_1)
	s_and_b32 exec_lo, exec_lo, s1
	s_cbranch_execz .LBB237_83
.LBB237_78:                             ;   in Loop: Header=BB237_13 Depth=1
	s_waitcnt vmcnt(0) lgkmcnt(0)
	v_dual_add_f32 v0, v0, v1 :: v_dual_lshlrev_b32 v1, 16, v6
	s_delay_alu instid0(VALU_DEP_1) | instskip(NEXT) | instid1(VALU_DEP_1)
	v_add_f32_e32 v1, v0, v1
	v_and_b32_e32 v0, 0x7f800000, v1
	s_delay_alu instid0(VALU_DEP_1) | instskip(SKIP_1) | instid1(SALU_CYCLE_1)
	v_cmp_ne_u32_e32 vcc_lo, 0x7f800000, v0
                                        ; implicit-def: $vgpr0
	s_and_saveexec_b32 s1, vcc_lo
	s_xor_b32 s1, exec_lo, s1
; %bb.79:                               ;   in Loop: Header=BB237_13 Depth=1
	v_bfe_u32 v0, v1, 16, 1
	s_delay_alu instid0(VALU_DEP_1)
	v_add3_u32 v0, v1, v0, 0x7fff
                                        ; implicit-def: $vgpr1
; %bb.80:                               ;   in Loop: Header=BB237_13 Depth=1
	s_and_not1_saveexec_b32 s1, s1
; %bb.81:                               ;   in Loop: Header=BB237_13 Depth=1
	v_and_b32_e32 v0, 0xffff, v1
	v_or_b32_e32 v2, 0x10000, v1
	s_delay_alu instid0(VALU_DEP_2) | instskip(NEXT) | instid1(VALU_DEP_2)
	v_cmp_eq_u32_e32 vcc_lo, 0, v0
	v_cndmask_b32_e32 v0, v2, v1, vcc_lo
; %bb.82:                               ;   in Loop: Header=BB237_13 Depth=1
	s_or_b32 exec_lo, exec_lo, s1
	v_add_nc_u32_e32 v43, 1, v43
	s_delay_alu instid0(VALU_DEP_1) | instskip(NEXT) | instid1(VALU_DEP_1)
	v_lshlrev_b64 v[1:2], 1, v[43:44]
	v_add_co_u32 v1, vcc_lo, s16, v1
	s_delay_alu instid0(VALU_DEP_2)
	v_add_co_ci_u32_e32 v2, vcc_lo, s17, v2, vcc_lo
	global_store_d16_hi_b16 v[1:2], v0, off
.LBB237_83:                             ;   in Loop: Header=BB237_13 Depth=1
	s_or_b32 exec_lo, exec_lo, s18
	v_add_nc_u32_e32 v42, s23, v42
	s_delay_alu instid0(VALU_DEP_1) | instskip(SKIP_1) | instid1(VALU_DEP_2)
	v_add_nc_u32_e32 v0, 2, v42
	v_cmp_gt_u32_e32 vcc_lo, s7, v42
	v_cmp_le_u32_e64 s1, s7, v0
	s_delay_alu instid0(VALU_DEP_1) | instskip(NEXT) | instid1(SALU_CYCLE_1)
	s_and_b32 s1, vcc_lo, s1
	s_and_saveexec_b32 s28, s1
	s_cbranch_execz .LBB237_12
; %bb.84:                               ;   in Loop: Header=BB237_13 Depth=1
	s_mov_b32 s29, exec_lo
	v_cmpx_ne_u32_e64 s24, v42
	s_cbranch_execz .LBB237_11
; %bb.85:                               ;   in Loop: Header=BB237_13 Depth=1
	v_subrev_nc_u32_e32 v0, s24, v42
	s_mov_b32 s30, 0
	s_mov_b64 s[18:19], 0
	s_delay_alu instid0(VALU_DEP_1)
	v_cmp_lt_u32_e32 vcc_lo, 1, v0
	v_cndmask_b32_e32 v0, 1, v0, vcc_lo
.LBB237_86:                             ;   Parent Loop BB237_13 Depth=1
                                        ; =>  This Inner Loop Header: Depth=2
	s_cmp_lg_u32 s18, 1
	s_cselect_b32 vcc_lo, -1, 0
	s_cmp_lg_u32 s18, 0
	v_cndmask_b32_e32 v41, 0, v41, vcc_lo
	s_cselect_b32 s1, -1, 0
	s_add_u32 s18, s18, 1
	v_cndmask_b32_e64 v40, 0, v40, s1
	v_cmp_eq_u32_e64 s2, s18, v0
	s_addc_u32 s19, s19, 0
	s_delay_alu instid0(VALU_DEP_1) | instskip(NEXT) | instid1(SALU_CYCLE_1)
	s_or_b32 s30, s2, s30
	s_and_not1_b32 exec_lo, exec_lo, s30
	s_cbranch_execnz .LBB237_86
; %bb.87:                               ;   in Loop: Header=BB237_13 Depth=1
	s_or_b32 exec_lo, exec_lo, s30
	s_branch .LBB237_11
.LBB237_88:
	s_nop 0
	s_sendmsg sendmsg(MSG_DEALLOC_VGPRS)
	s_endpgm
	.section	.rodata,"a",@progbits
	.p2align	6, 0x0
	.amdhsa_kernel _Z12wvSplitK_hf_I14__hip_bfloat16Li64ELi2ELi16ELi8ELi2ELi3EEviiiiiiPKT_S3_S3_PS1_ii
		.amdhsa_group_segment_fixed_size 65536
		.amdhsa_private_segment_fixed_size 0
		.amdhsa_kernarg_size 64
		.amdhsa_user_sgpr_count 15
		.amdhsa_user_sgpr_dispatch_ptr 0
		.amdhsa_user_sgpr_queue_ptr 0
		.amdhsa_user_sgpr_kernarg_segment_ptr 1
		.amdhsa_user_sgpr_dispatch_id 0
		.amdhsa_user_sgpr_private_segment_size 0
		.amdhsa_wavefront_size32 1
		.amdhsa_uses_dynamic_stack 0
		.amdhsa_enable_private_segment 0
		.amdhsa_system_sgpr_workgroup_id_x 1
		.amdhsa_system_sgpr_workgroup_id_y 0
		.amdhsa_system_sgpr_workgroup_id_z 0
		.amdhsa_system_sgpr_workgroup_info 0
		.amdhsa_system_vgpr_workitem_id 1
		.amdhsa_next_free_vgpr 78
		.amdhsa_next_free_sgpr 31
		.amdhsa_reserve_vcc 1
		.amdhsa_float_round_mode_32 0
		.amdhsa_float_round_mode_16_64 0
		.amdhsa_float_denorm_mode_32 3
		.amdhsa_float_denorm_mode_16_64 3
		.amdhsa_dx10_clamp 1
		.amdhsa_ieee_mode 1
		.amdhsa_fp16_overflow 0
		.amdhsa_workgroup_processor_mode 1
		.amdhsa_memory_ordered 1
		.amdhsa_forward_progress 0
		.amdhsa_shared_vgpr_count 0
		.amdhsa_exception_fp_ieee_invalid_op 0
		.amdhsa_exception_fp_denorm_src 0
		.amdhsa_exception_fp_ieee_div_zero 0
		.amdhsa_exception_fp_ieee_overflow 0
		.amdhsa_exception_fp_ieee_underflow 0
		.amdhsa_exception_fp_ieee_inexact 0
		.amdhsa_exception_int_div_zero 0
	.end_amdhsa_kernel
	.section	.text._Z12wvSplitK_hf_I14__hip_bfloat16Li64ELi2ELi16ELi8ELi2ELi3EEviiiiiiPKT_S3_S3_PS1_ii,"axG",@progbits,_Z12wvSplitK_hf_I14__hip_bfloat16Li64ELi2ELi16ELi8ELi2ELi3EEviiiiiiPKT_S3_S3_PS1_ii,comdat
.Lfunc_end237:
	.size	_Z12wvSplitK_hf_I14__hip_bfloat16Li64ELi2ELi16ELi8ELi2ELi3EEviiiiiiPKT_S3_S3_PS1_ii, .Lfunc_end237-_Z12wvSplitK_hf_I14__hip_bfloat16Li64ELi2ELi16ELi8ELi2ELi3EEviiiiiiPKT_S3_S3_PS1_ii
                                        ; -- End function
	.section	.AMDGPU.csdata,"",@progbits
; Kernel info:
; codeLenInByte = 5284
; NumSgprs: 33
; NumVgprs: 78
; ScratchSize: 0
; MemoryBound: 0
; FloatMode: 240
; IeeeMode: 1
; LDSByteSize: 65536 bytes/workgroup (compile time only)
; SGPRBlocks: 4
; VGPRBlocks: 9
; NumSGPRsForWavesPerEU: 33
; NumVGPRsForWavesPerEU: 78
; Occupancy: 16
; WaveLimiterHint : 0
; COMPUTE_PGM_RSRC2:SCRATCH_EN: 0
; COMPUTE_PGM_RSRC2:USER_SGPR: 15
; COMPUTE_PGM_RSRC2:TRAP_HANDLER: 0
; COMPUTE_PGM_RSRC2:TGID_X_EN: 1
; COMPUTE_PGM_RSRC2:TGID_Y_EN: 0
; COMPUTE_PGM_RSRC2:TGID_Z_EN: 0
; COMPUTE_PGM_RSRC2:TIDIG_COMP_CNT: 1
	.section	.text._Z16wvSplitK_hf_big_I14__hip_bfloat16Li64ELi2ELi16ELi8ELi2ELi3EEviiiiiiPKT_S3_S3_PS1_ii,"axG",@progbits,_Z16wvSplitK_hf_big_I14__hip_bfloat16Li64ELi2ELi16ELi8ELi2ELi3EEviiiiiiPKT_S3_S3_PS1_ii,comdat
	.protected	_Z16wvSplitK_hf_big_I14__hip_bfloat16Li64ELi2ELi16ELi8ELi2ELi3EEviiiiiiPKT_S3_S3_PS1_ii ; -- Begin function _Z16wvSplitK_hf_big_I14__hip_bfloat16Li64ELi2ELi16ELi8ELi2ELi3EEviiiiiiPKT_S3_S3_PS1_ii
	.globl	_Z16wvSplitK_hf_big_I14__hip_bfloat16Li64ELi2ELi16ELi8ELi2ELi3EEviiiiiiPKT_S3_S3_PS1_ii
	.p2align	8
	.type	_Z16wvSplitK_hf_big_I14__hip_bfloat16Li64ELi2ELi16ELi8ELi2ELi3EEviiiiiiPKT_S3_S3_PS1_ii,@function
_Z16wvSplitK_hf_big_I14__hip_bfloat16Li64ELi2ELi16ELi8ELi2ELi3EEviiiiiiPKT_S3_S3_PS1_ii: ; @_Z16wvSplitK_hf_big_I14__hip_bfloat16Li64ELi2ELi16ELi8ELi2ELi3EEviiiiiiPKT_S3_S3_PS1_ii
; %bb.0:
	s_load_b64 s[20:21], s[0:1], 0x38
	v_bfe_u32 v1, v0, 10, 10
	s_mov_b32 s2, exec_lo
	s_waitcnt lgkmcnt(0)
	s_delay_alu instid0(VALU_DEP_1)
	v_cmpx_gt_u32_e64 s20, v1
	s_cbranch_execz .LBB238_76
; %bb.1:
	s_load_b128 s[16:19], s[0:1], 0x0
	s_mul_i32 s15, s15, s20
	s_mov_b32 s4, 1
	v_add_lshl_u32 v42, s15, v1, 1
	s_mov_b32 s5, s4
	s_delay_alu instid0(SALU_CYCLE_1) | instskip(NEXT) | instid1(VALU_DEP_2)
	v_dual_mov_b32 v41, s5 :: v_dual_mov_b32 v40, s4
	v_add_nc_u32_e32 v2, 2, v42
	s_waitcnt lgkmcnt(0)
	v_cmp_gt_u32_e32 vcc_lo, s19, v42
	s_delay_alu instid0(VALU_DEP_2) | instskip(NEXT) | instid1(VALU_DEP_1)
	v_cmp_le_u32_e64 s2, s19, v2
	s_and_b32 s2, vcc_lo, s2
	s_delay_alu instid0(SALU_CYCLE_1)
	s_and_saveexec_b32 s6, s2
	s_cbranch_execz .LBB238_7
; %bb.2:
	v_dual_mov_b32 v41, s5 :: v_dual_mov_b32 v40, s4
	s_add_i32 s7, s19, -2
	s_mov_b32 s8, exec_lo
	v_cmpx_ne_u32_e64 s7, v42
	s_cbranch_execz .LBB238_6
; %bb.3:
	v_subrev_nc_u32_e32 v2, s7, v42
	s_mov_b32 s2, 1
	s_mov_b32 s9, 0
	s_mov_b64 s[4:5], 0
	s_mov_b32 s3, s2
	v_cmp_lt_u32_e32 vcc_lo, 1, v2
	v_cndmask_b32_e32 v2, 1, v2, vcc_lo
.LBB238_4:                              ; =>This Inner Loop Header: Depth=1
	s_cmp_lg_u32 s4, 1
	s_cselect_b32 s3, s3, 0
	s_cmp_lg_u32 s4, 0
	s_cselect_b32 s2, s2, 0
	s_add_u32 s4, s4, 1
	v_dual_mov_b32 v41, s3 :: v_dual_mov_b32 v40, s2
	v_cmp_eq_u32_e32 vcc_lo, s4, v2
	s_addc_u32 s5, s5, 0
	s_or_b32 s9, vcc_lo, s9
	s_delay_alu instid0(SALU_CYCLE_1)
	s_and_not1_b32 exec_lo, exec_lo, s9
	s_cbranch_execnz .LBB238_4
; %bb.5:
	s_or_b32 exec_lo, exec_lo, s9
	v_mov_b32_e32 v42, s7
.LBB238_6:
	s_or_b32 exec_lo, exec_lo, s8
.LBB238_7:
	s_delay_alu instid0(SALU_CYCLE_1)
	s_or_b32 exec_lo, exec_lo, s6
	s_lshl_b32 s2, s20, 1
	s_abs_i32 s6, s19
	s_abs_i32 s3, s2
	s_mov_b32 s22, 0
	v_cvt_f32_u32_e32 v2, s3
	s_sub_i32 s5, 0, s3
	s_delay_alu instid0(VALU_DEP_1) | instskip(SKIP_2) | instid1(VALU_DEP_1)
	v_rcp_iflag_f32_e32 v2, v2
	s_waitcnt_depctr 0xfff
	v_mul_f32_e32 v2, 0x4f7ffffe, v2
	v_cvt_u32_f32_e32 v2, v2
	s_delay_alu instid0(VALU_DEP_1) | instskip(NEXT) | instid1(VALU_DEP_1)
	v_readfirstlane_b32 s4, v2
	s_mul_i32 s5, s5, s4
	s_delay_alu instid0(SALU_CYCLE_1) | instskip(NEXT) | instid1(SALU_CYCLE_1)
	s_mul_hi_u32 s5, s4, s5
	s_add_i32 s4, s4, s5
	s_ashr_i32 s5, s19, 31
	s_mul_hi_u32 s4, s6, s4
	s_delay_alu instid0(SALU_CYCLE_1) | instskip(NEXT) | instid1(SALU_CYCLE_1)
	s_mul_i32 s4, s4, s3
	s_sub_i32 s4, s6, s4
	s_delay_alu instid0(SALU_CYCLE_1) | instskip(SKIP_2) | instid1(SALU_CYCLE_1)
	s_sub_i32 s6, s4, s3
	s_cmp_ge_u32 s4, s3
	s_cselect_b32 s4, s6, s4
	s_sub_i32 s6, s4, s3
	s_cmp_ge_u32 s4, s3
	s_cselect_b32 s3, s6, s4
	s_add_i32 s2, s2, s19
	s_xor_b32 s3, s3, s5
	s_delay_alu instid0(SALU_CYCLE_1) | instskip(NEXT) | instid1(SALU_CYCLE_1)
	s_sub_i32 s3, s3, s5
	s_sub_i32 s2, s2, s3
	s_cmp_eq_u32 s3, 0
	s_cselect_b32 s3, s19, s2
	s_delay_alu instid0(SALU_CYCLE_1)
	v_cmp_gt_u32_e32 vcc_lo, s3, v42
	s_and_b32 exec_lo, exec_lo, vcc_lo
	s_cbranch_execz .LBB238_76
; %bb.8:
	s_load_b256 s[4:11], s[0:1], 0x10
	s_min_u32 s23, s18, 0x2800
	s_cmp_lg_u32 s16, 0
	s_mul_i32 s2, s21, s20
	s_cselect_b32 s24, -1, 0
	s_cmp_lg_u32 s18, 0
	s_load_b64 s[12:13], s[0:1], 0x30
	s_cselect_b32 s21, -1, 0
	s_lshl_b32 s25, s20, 9
	s_add_i32 s26, s16, -8
	s_add_i32 s27, s19, -1
	s_lshl_b32 s28, s2, 1
	v_and_b32_e32 v0, 0x3ff, v0
	v_mbcnt_lo_u32_b32 v49, -1, 0
	s_delay_alu instid0(VALU_DEP_2)
	v_lshlrev_b32_e32 v50, 3, v0
	v_cmp_eq_u32_e64 s0, 63, v0
	v_lshlrev_b32_e32 v0, 4, v0
	s_waitcnt lgkmcnt(0)
	s_cmp_lg_u64 s[10:11], 0
	v_cvt_f32_u32_e32 v3, s4
	s_cselect_b32 s29, -1, 0
	s_abs_i32 s2, s5
	s_add_i32 s5, s19, -2
	v_cvt_f32_u32_e32 v2, s2
	v_rcp_iflag_f32_e32 v3, v3
	s_sub_i32 s14, 0, s2
	s_sub_i32 s15, 0, s4
	;; [unrolled: 1-line block ×3, first 2 shown]
	v_rcp_iflag_f32_e32 v2, v2
	v_lshl_add_u32 v51, v1, 9, v50
	v_lshl_add_u32 v52, v1, 10, v0
	s_delay_alu instid0(VALU_DEP_2) | instskip(SKIP_3) | instid1(VALU_DEP_1)
	v_lshl_add_u32 v53, s18, 1, v51
	v_add_nc_u32_e32 v54, s18, v51
	s_waitcnt_depctr 0xfff
	v_mul_f32_e32 v2, 0x4f7ffffe, v2
	v_cvt_u32_f32_e32 v2, v2
	s_delay_alu instid0(VALU_DEP_1) | instskip(SKIP_1) | instid1(VALU_DEP_2)
	v_readfirstlane_b32 s1, v2
	v_mul_f32_e32 v2, 0x4f7ffffe, v3
	s_mul_i32 s14, s14, s1
	s_delay_alu instid0(VALU_DEP_1) | instskip(SKIP_1) | instid1(SALU_CYCLE_1)
	v_cvt_u32_f32_e32 v2, v2
	s_mul_hi_u32 s14, s1, s14
	s_add_i32 s1, s1, s14
	s_cmp_lt_u32 s2, 2
	s_delay_alu instid0(VALU_DEP_1) | instskip(SKIP_1) | instid1(SALU_CYCLE_1)
	v_mul_lo_u32 v3, s15, v2
	s_cselect_b32 s14, s30, 1
	s_sub_i32 s15, s14, s2
	s_cmp_ge_u32 s14, s2
	s_cselect_b32 s30, s15, s14
	s_lshr_b32 s1, s1, 31
	s_delay_alu instid0(VALU_DEP_1)
	v_mul_hi_u32 v3, v2, v3
	s_mul_i32 s1, s1, s2
	v_mov_b32_e32 v44, 0
	s_sub_i32 s1, 2, s1
	s_mul_i32 s30, s30, s4
	s_sub_i32 s14, s1, s2
	s_cmp_ge_u32 s1, s2
	s_delay_alu instid0(VALU_DEP_2) | instskip(SKIP_1) | instid1(SALU_CYCLE_1)
	v_add_nc_u32_e32 v55, v2, v3
	s_cselect_b32 s1, s14, s1
	s_sub_i32 s14, s1, s2
	s_cmp_ge_u32 s1, s2
	s_cselect_b32 s35, s14, s1
	s_add_u32 s31, s12, 2
	s_addc_u32 s33, s13, 0
	s_lshl_b32 s34, s23, 2
	s_lshl_b32 s20, s20, 10
	s_mul_i32 s35, s35, s4
	s_lshl_b32 s36, s23, 1
	s_branch .LBB238_12
.LBB238_9:                              ;   in Loop: Header=BB238_12 Depth=1
	s_or_b32 exec_lo, exec_lo, s39
	v_mov_b32_e32 v42, s5
.LBB238_10:                             ;   in Loop: Header=BB238_12 Depth=1
	s_or_b32 exec_lo, exec_lo, s38
.LBB238_11:                             ;   in Loop: Header=BB238_12 Depth=1
	s_delay_alu instid0(SALU_CYCLE_1) | instskip(NEXT) | instid1(VALU_DEP_1)
	s_or_b32 exec_lo, exec_lo, s37
	v_cmp_le_u32_e32 vcc_lo, s3, v42
	s_or_b32 s22, vcc_lo, s22
	s_delay_alu instid0(SALU_CYCLE_1)
	s_and_not1_b32 exec_lo, exec_lo, s22
	s_cbranch_execz .LBB238_76
.LBB238_12:                             ; =>This Loop Header: Depth=1
                                        ;     Child Loop BB238_17 Depth 2
                                        ;       Child Loop BB238_22 Depth 3
                                        ;     Child Loop BB238_74 Depth 2
	v_mov_b32_e32 v56, v44
	v_mov_b32_e32 v57, v44
	;; [unrolled: 1-line block ×6, first 2 shown]
	s_and_not1_b32 vcc_lo, exec_lo, s24
	s_mov_b32 s14, 0
	s_cbranch_vccnz .LBB238_29
; %bb.13:                               ;   in Loop: Header=BB238_12 Depth=1
	v_add_nc_u32_e32 v0, 1, v42
	s_waitcnt lgkmcnt(0)
	v_min_u32_e32 v1, s27, v42
	v_cmp_gt_u32_e64 s1, s19, v42
	v_dual_mov_b32 v59, 0 :: v_dual_mov_b32 v60, 0
	v_dual_mov_b32 v61, 0 :: v_dual_mov_b32 v58, 0
	s_delay_alu instid0(VALU_DEP_4) | instskip(SKIP_4) | instid1(VALU_DEP_2)
	v_mul_lo_u32 v43, v1, s17
	v_mov_b32_e32 v1, v44
	v_min_u32_e32 v0, s27, v0
	v_dual_mov_b32 v57, 0 :: v_dual_mov_b32 v56, 0
	s_mov_b32 s15, 0
	v_mul_lo_u32 v0, v0, s17
	v_lshlrev_b64 v[45:46], 1, v[43:44]
	s_delay_alu instid0(VALU_DEP_2)
	v_lshlrev_b64 v[47:48], 1, v[0:1]
	s_branch .LBB238_17
.LBB238_14:                             ;   in Loop: Header=BB238_17 Depth=2
	s_or_b32 exec_lo, exec_lo, s38
.LBB238_15:                             ;   in Loop: Header=BB238_17 Depth=2
	s_delay_alu instid0(SALU_CYCLE_1)
	s_or_b32 exec_lo, exec_lo, s37
	s_waitcnt vmcnt(3)
	v_and_b32_e32 v68, 0xffff0000, v34
	v_and_b32_e32 v70, 0xffff0000, v35
	v_lshlrev_b32_e32 v35, 16, v35
	s_waitcnt lgkmcnt(2)
	v_and_b32_e32 v67, 0xffff0000, v38
	v_lshlrev_b32_e32 v38, 16, v38
	v_lshlrev_b32_e32 v34, 16, v34
	v_and_b32_e32 v62, 0xffff0000, v32
	v_and_b32_e32 v63, 0xffff0000, v37
	v_mul_f32_e32 v69, v67, v68
	v_lshlrev_b32_e32 v32, 16, v32
	s_waitcnt vmcnt(2)
	v_and_b32_e32 v71, 0xffff0000, v25
	v_lshlrev_b32_e32 v25, 16, v25
	v_dual_fmac_f32 v69, v38, v34 :: v_dual_and_b32 v64, 0xffff0000, v33
	v_lshlrev_b32_e32 v37, 16, v37
	s_delay_alu instid0(VALU_DEP_2) | instskip(NEXT) | instid1(VALU_DEP_1)
	v_dual_mul_f32 v66, v63, v64 :: v_dual_lshlrev_b32 v33, 16, v33
	v_dual_fmac_f32 v66, v37, v33 :: v_dual_and_b32 v43, 0xffff0000, v36
	s_delay_alu instid0(VALU_DEP_1) | instskip(NEXT) | instid1(VALU_DEP_1)
	v_dual_mul_f32 v65, v43, v62 :: v_dual_lshlrev_b32 v36, 16, v36
	v_fmac_f32_e32 v65, v36, v32
	s_delay_alu instid0(VALU_DEP_1) | instskip(SKIP_1) | instid1(VALU_DEP_2)
	v_add_f32_e32 v59, v59, v65
	v_and_b32_e32 v65, 0xffff0000, v24
	v_dual_add_f32 v59, v59, v66 :: v_dual_lshlrev_b32 v24, 16, v24
	s_delay_alu instid0(VALU_DEP_2) | instskip(NEXT) | instid1(VALU_DEP_2)
	v_dual_mul_f32 v43, v43, v65 :: v_dual_and_b32 v66, 0xffff0000, v39
	v_add_f32_e32 v59, v59, v69
	s_delay_alu instid0(VALU_DEP_2) | instskip(SKIP_1) | instid1(VALU_DEP_2)
	v_dual_fmac_f32 v43, v36, v24 :: v_dual_mul_f32 v72, v66, v70
	v_mul_f32_e32 v36, v63, v71
	v_add_f32_e32 v43, v61, v43
	s_delay_alu instid0(VALU_DEP_2) | instskip(NEXT) | instid1(VALU_DEP_1)
	v_dual_fmac_f32 v36, v37, v25 :: v_dual_lshlrev_b32 v39, 16, v39
	v_dual_add_f32 v36, v43, v36 :: v_dual_and_b32 v43, 0xffff0000, v27
	s_delay_alu instid0(VALU_DEP_2) | instskip(SKIP_1) | instid1(VALU_DEP_3)
	v_fmac_f32_e32 v72, v39, v35
	v_lshlrev_b32_e32 v27, 16, v27
	v_dual_mul_f32 v66, v66, v43 :: v_dual_and_b32 v61, 0xffff0000, v26
	s_delay_alu instid0(VALU_DEP_3) | instskip(NEXT) | instid1(VALU_DEP_2)
	v_dual_add_f32 v37, v59, v72 :: v_dual_lshlrev_b32 v26, 16, v26
	v_fmac_f32_e32 v66, v39, v27
	s_delay_alu instid0(VALU_DEP_3) | instskip(SKIP_1) | instid1(VALU_DEP_1)
	v_mul_f32_e32 v63, v67, v61
	s_waitcnt lgkmcnt(1)
	v_dual_fmac_f32 v63, v38, v26 :: v_dual_and_b32 v38, 0xffff0000, v29
	s_delay_alu instid0(VALU_DEP_1) | instskip(SKIP_1) | instid1(VALU_DEP_2)
	v_dual_add_f32 v36, v36, v63 :: v_dual_and_b32 v59, 0xffff0000, v28
	v_lshlrev_b32_e32 v28, 16, v28
	v_dual_mul_f32 v69, v38, v64 :: v_dual_add_f32 v36, v36, v66
	s_delay_alu instid0(VALU_DEP_3) | instskip(SKIP_1) | instid1(VALU_DEP_2)
	v_mul_f32_e32 v67, v59, v62
	v_dual_mul_f32 v59, v59, v65 :: v_dual_and_b32 v66, 0xffff0000, v31
	v_fmac_f32_e32 v67, v28, v32
	s_delay_alu instid0(VALU_DEP_2)
	v_fmac_f32_e32 v59, v28, v24
	v_lshlrev_b32_e32 v29, 16, v29
	v_lshlrev_b32_e32 v28, 16, v31
	v_mul_f32_e32 v31, v38, v71
	v_mul_f32_e32 v38, v66, v70
	v_dual_add_f32 v58, v58, v59 :: v_dual_and_b32 v63, 0xffff0000, v30
	s_delay_alu instid0(VALU_DEP_3) | instskip(NEXT) | instid1(VALU_DEP_2)
	v_dual_fmac_f32 v31, v29, v25 :: v_dual_lshlrev_b32 v30, 16, v30
	v_dual_add_f32 v39, v60, v67 :: v_dual_mul_f32 v60, v63, v68
	s_delay_alu instid0(VALU_DEP_4) | instskip(SKIP_1) | instid1(VALU_DEP_3)
	v_fmac_f32_e32 v38, v28, v35
	s_waitcnt lgkmcnt(0)
	v_dual_add_f32 v31, v58, v31 :: v_dual_and_b32 v58, 0xffff0000, v21
	v_lshlrev_b32_e32 v21, 16, v21
	v_and_b32_e32 v59, 0xffff0000, v20
	v_dual_fmac_f32 v69, v29, v33 :: v_dual_fmac_f32 v60, v30, v34
	v_dual_mul_f32 v29, v63, v61 :: v_dual_lshlrev_b32 v20, 16, v20
	s_delay_alu instid0(VALU_DEP_2) | instskip(NEXT) | instid1(VALU_DEP_1)
	v_add_f32_e32 v39, v39, v69
	v_add_f32_e32 v39, v39, v60
	v_mul_f32_e32 v60, v59, v62
	s_delay_alu instid0(VALU_DEP_1) | instskip(SKIP_1) | instid1(VALU_DEP_1)
	v_fmac_f32_e32 v60, v20, v32
	v_mul_f32_e32 v32, v58, v64
	v_fmac_f32_e32 v32, v21, v33
	v_mul_f32_e32 v33, v59, v65
	s_delay_alu instid0(VALU_DEP_1) | instskip(SKIP_3) | instid1(VALU_DEP_4)
	v_dual_fmac_f32 v33, v20, v24 :: v_dual_mul_f32 v20, v58, v71
	v_fmac_f32_e32 v29, v30, v26
	v_add_f32_e32 v30, v39, v38
	v_dual_add_f32 v39, v57, v60 :: v_dual_and_b32 v38, 0xffff0000, v22
	v_fmac_f32_e32 v20, v21, v25
	s_delay_alu instid0(VALU_DEP_4) | instskip(SKIP_1) | instid1(VALU_DEP_4)
	v_add_f32_e32 v29, v31, v29
	v_dual_mul_f32 v31, v66, v43 :: v_dual_lshlrev_b32 v22, 16, v22
	v_mul_f32_e32 v25, v38, v61
	s_delay_alu instid0(VALU_DEP_2) | instskip(SKIP_2) | instid1(VALU_DEP_3)
	v_dual_fmac_f32 v31, v28, v27 :: v_dual_add_f32 v28, v39, v32
	s_waitcnt vmcnt(1)
	v_and_b32_e32 v32, 0xffff0000, v12
	v_dual_fmac_f32 v25, v22, v26 :: v_dual_lshlrev_b32 v12, 16, v12
	s_delay_alu instid0(VALU_DEP_3) | instskip(SKIP_2) | instid1(VALU_DEP_1)
	v_add_f32_e32 v24, v29, v31
	v_and_b32_e32 v26, 0xffff0000, v13
	v_add_f32_e32 v31, v56, v33
	v_dual_add_f32 v20, v31, v20 :: v_dual_and_b32 v29, 0xffff0000, v23
	v_mul_f32_e32 v57, v38, v68
	v_and_b32_e32 v31, 0xffff0000, v16
	v_lshlrev_b32_e32 v16, 16, v16
	s_waitcnt vmcnt(0)
	v_and_b32_e32 v38, 0xffff0000, v7
	v_dual_add_f32 v20, v20, v25 :: v_dual_fmac_f32 v57, v22, v34
	v_dual_mul_f32 v22, v31, v32 :: v_dual_lshlrev_b32 v23, 16, v23
	s_delay_alu instid0(VALU_DEP_2) | instskip(NEXT) | instid1(VALU_DEP_2)
	v_add_f32_e32 v21, v28, v57
	v_fmac_f32_e32 v22, v16, v12
	v_mul_f32_e32 v28, v29, v70
	s_delay_alu instid0(VALU_DEP_2) | instskip(SKIP_1) | instid1(VALU_DEP_3)
	v_add_f32_e32 v22, v37, v22
	v_mul_f32_e32 v29, v29, v43
	v_fmac_f32_e32 v28, v23, v35
	s_delay_alu instid0(VALU_DEP_2)
	v_fmac_f32_e32 v29, v23, v27
	v_and_b32_e32 v27, 0xffff0000, v14
	v_and_b32_e32 v35, 0xffff0000, v5
	v_lshlrev_b32_e32 v5, 16, v5
	v_and_b32_e32 v23, 0xffff0000, v18
	v_lshlrev_b32_e32 v18, 16, v18
	v_dual_add_f32 v21, v21, v28 :: v_dual_lshlrev_b32 v14, 16, v14
	v_and_b32_e32 v28, 0xffff0000, v4
	s_delay_alu instid0(VALU_DEP_4) | instskip(SKIP_1) | instid1(VALU_DEP_3)
	v_dual_mul_f32 v34, v23, v27 :: v_dual_and_b32 v25, 0xffff0000, v17
	v_lshlrev_b32_e32 v4, 16, v4
	v_dual_add_f32 v20, v20, v29 :: v_dual_mul_f32 v31, v31, v28
	s_delay_alu instid0(VALU_DEP_3) | instskip(NEXT) | instid1(VALU_DEP_4)
	v_fmac_f32_e32 v34, v18, v14
	v_mul_f32_e32 v33, v25, v26
	v_lshlrev_b32_e32 v17, 16, v17
	v_lshlrev_b32_e32 v13, 16, v13
	v_dual_fmac_f32 v31, v16, v4 :: v_dual_mul_f32 v16, v25, v35
	v_lshlrev_b32_e32 v7, 16, v7
	s_delay_alu instid0(VALU_DEP_3) | instskip(NEXT) | instid1(VALU_DEP_3)
	v_fmac_f32_e32 v33, v17, v13
	v_dual_add_f32 v31, v36, v31 :: v_dual_fmac_f32 v16, v17, v5
	v_and_b32_e32 v17, 0xffff0000, v6
	v_lshlrev_b32_e32 v6, 16, v6
	v_and_b32_e32 v36, 0xffff0000, v9
	s_delay_alu instid0(VALU_DEP_4) | instskip(NEXT) | instid1(VALU_DEP_4)
	v_dual_add_f32 v16, v31, v16 :: v_dual_and_b32 v29, 0xffff0000, v19
	v_mul_f32_e32 v23, v23, v17
	s_delay_alu instid0(VALU_DEP_3) | instskip(NEXT) | instid1(VALU_DEP_2)
	v_mul_f32_e32 v31, v36, v26
	v_fmac_f32_e32 v23, v18, v6
	v_and_b32_e32 v25, 0xffff0000, v8
	v_lshlrev_b32_e32 v8, 16, v8
	v_add_f32_e32 v22, v22, v33
	v_and_b32_e32 v18, 0xffff0000, v10
	v_add_f32_e32 v16, v16, v23
	v_lshlrev_b32_e32 v10, 16, v10
	s_delay_alu instid0(VALU_DEP_4) | instskip(SKIP_1) | instid1(VALU_DEP_1)
	v_dual_add_f32 v22, v22, v34 :: v_dual_and_b32 v23, 0xffff0000, v11
	v_dual_mul_f32 v34, v25, v32 :: v_dual_and_b32 v33, 0xffff0000, v15
	v_dual_fmac_f32 v34, v8, v12 :: v_dual_lshlrev_b32 v11, 16, v11
	s_delay_alu instid0(VALU_DEP_2) | instskip(NEXT) | instid1(VALU_DEP_2)
	v_mul_f32_e32 v37, v29, v33
	v_dual_add_f32 v30, v30, v34 :: v_dual_lshlrev_b32 v19, 16, v19
	v_mul_f32_e32 v34, v18, v27
	s_delay_alu instid0(VALU_DEP_1) | instskip(SKIP_1) | instid1(VALU_DEP_2)
	v_dual_fmac_f32 v34, v10, v14 :: v_dual_lshlrev_b32 v15, 16, v15
	v_mul_f32_e32 v29, v29, v38
	v_fmac_f32_e32 v37, v19, v15
	s_delay_alu instid0(VALU_DEP_2) | instskip(SKIP_1) | instid1(VALU_DEP_3)
	v_fmac_f32_e32 v29, v19, v7
	v_mul_f32_e32 v19, v25, v28
	v_add_f32_e32 v59, v22, v37
	s_delay_alu instid0(VALU_DEP_2) | instskip(NEXT) | instid1(VALU_DEP_1)
	v_dual_fmac_f32 v19, v8, v4 :: v_dual_mul_f32 v8, v23, v33
	v_dual_add_f32 v19, v24, v19 :: v_dual_and_b32 v24, 0xffff0000, v1
	v_lshlrev_b32_e32 v9, 16, v9
	v_and_b32_e32 v25, 0xffff0000, v0
	v_lshlrev_b32_e32 v0, 16, v0
	v_lshlrev_b32_e32 v1, 16, v1
	s_delay_alu instid0(VALU_DEP_4) | instskip(NEXT) | instid1(VALU_DEP_1)
	v_fmac_f32_e32 v31, v9, v13
	v_dual_add_f32 v22, v30, v31 :: v_dual_mul_f32 v31, v25, v32
	v_mul_f32_e32 v30, v36, v35
	s_delay_alu instid0(VALU_DEP_2) | instskip(SKIP_1) | instid1(VALU_DEP_3)
	v_dual_add_f32 v22, v22, v34 :: v_dual_fmac_f32 v31, v0, v12
	v_mul_f32_e32 v12, v24, v26
	v_fmac_f32_e32 v30, v9, v5
	v_mul_f32_e32 v9, v18, v17
	s_delay_alu instid0(VALU_DEP_3) | instskip(NEXT) | instid1(VALU_DEP_3)
	v_fmac_f32_e32 v12, v1, v13
	v_dual_mul_f32 v13, v25, v28 :: v_dual_add_f32 v18, v19, v30
	v_and_b32_e32 v19, 0xffff0000, v2
	v_dual_add_f32 v61, v16, v29 :: v_dual_lshlrev_b32 v2, 16, v2
	s_delay_alu instid0(VALU_DEP_3) | instskip(SKIP_1) | instid1(VALU_DEP_4)
	v_fmac_f32_e32 v13, v0, v4
	v_mul_f32_e32 v0, v24, v35
	v_mul_f32_e32 v4, v19, v27
	s_delay_alu instid0(VALU_DEP_2) | instskip(NEXT) | instid1(VALU_DEP_4)
	v_fmac_f32_e32 v0, v1, v5
	v_dual_fmac_f32 v8, v11, v15 :: v_dual_add_f32 v13, v20, v13
	s_delay_alu instid0(VALU_DEP_3) | instskip(NEXT) | instid1(VALU_DEP_2)
	v_dual_mul_f32 v1, v19, v17 :: v_dual_fmac_f32 v4, v2, v14
	v_add_f32_e32 v60, v22, v8
	s_delay_alu instid0(VALU_DEP_2) | instskip(SKIP_1) | instid1(VALU_DEP_2)
	v_dual_add_f32 v0, v13, v0 :: v_dual_fmac_f32 v1, v2, v6
	v_dual_fmac_f32 v9, v10, v6 :: v_dual_add_f32 v10, v21, v31
	v_add_f32_e32 v0, v0, v1
	s_delay_alu instid0(VALU_DEP_2) | instskip(SKIP_1) | instid1(VALU_DEP_2)
	v_add_f32_e32 v10, v10, v12
	v_and_b32_e32 v12, 0xffff0000, v3
	v_dual_add_f32 v4, v10, v4 :: v_dual_lshlrev_b32 v3, 16, v3
	s_delay_alu instid0(VALU_DEP_2) | instskip(SKIP_2) | instid1(VALU_DEP_3)
	v_mul_f32_e32 v5, v12, v33
	v_dual_mul_f32 v2, v12, v38 :: v_dual_add_f32 v9, v18, v9
	v_mul_f32_e32 v18, v23, v38
	v_fmac_f32_e32 v5, v3, v15
	s_delay_alu instid0(VALU_DEP_3) | instskip(NEXT) | instid1(VALU_DEP_2)
	v_fmac_f32_e32 v2, v3, v7
	v_dual_fmac_f32 v18, v11, v7 :: v_dual_add_f32 v57, v4, v5
	s_delay_alu instid0(VALU_DEP_2) | instskip(NEXT) | instid1(VALU_DEP_2)
	v_add_f32_e32 v56, v0, v2
	v_add_f32_e32 v58, v9, v18
.LBB238_16:                             ;   in Loop: Header=BB238_17 Depth=2
	s_or_b32 exec_lo, exec_lo, s2
	s_addk_i32 s15, 0x400
	s_delay_alu instid0(SALU_CYCLE_1)
	s_cmp_ge_u32 s15, s16
	s_cbranch_scc1 .LBB238_29
.LBB238_17:                             ;   Parent Loop BB238_12 Depth=1
                                        ; =>  This Loop Header: Depth=2
                                        ;       Child Loop BB238_22 Depth 3
	s_cmp_eq_u32 s15, 0
	s_cselect_b32 s37, -1, 0
	s_add_i32 s2, s14, s23
	s_delay_alu instid0(SALU_CYCLE_1) | instskip(SKIP_1) | instid1(SALU_CYCLE_1)
	s_cmp_eq_u32 s15, s2
	s_cselect_b32 s38, -1, 0
	s_or_b32 s38, s37, s38
	s_delay_alu instid0(SALU_CYCLE_1)
	s_and_not1_b32 vcc_lo, exec_lo, s38
	s_cbranch_vccz .LBB238_19
; %bb.18:                               ;   in Loop: Header=BB238_17 Depth=2
	s_and_saveexec_b32 s2, s1
	s_cbranch_execz .LBB238_16
	s_branch .LBB238_26
.LBB238_19:                             ;   in Loop: Header=BB238_17 Depth=2
	s_and_b32 s37, s37, exec_lo
	s_cselect_b32 s14, s14, s2
	s_and_not1_b32 vcc_lo, exec_lo, s21
	s_waitcnt vmcnt(0)
	s_waitcnt_vscnt null, 0x0
	s_barrier
	buffer_gl0_inv
	s_cbranch_vccnz .LBB238_25
; %bb.20:                               ;   in Loop: Header=BB238_17 Depth=2
	v_dual_mov_b32 v3, v52 :: v_dual_add_nc_u32 v0, s14, v53
	v_add_nc_u32_e32 v1, s14, v54
	v_add_nc_u32_e32 v2, s14, v51
	s_mov_b32 s37, 0
	s_mov_b32 s38, 0
                                        ; implicit-def: $sgpr39
	s_branch .LBB238_22
.LBB238_21:                             ;   in Loop: Header=BB238_22 Depth=3
	s_or_b32 exec_lo, exec_lo, s2
	s_delay_alu instid0(SALU_CYCLE_1) | instskip(NEXT) | instid1(SALU_CYCLE_1)
	s_and_b32 s2, exec_lo, s39
	s_or_b32 s37, s2, s37
	s_delay_alu instid0(SALU_CYCLE_1)
	s_and_not1_b32 exec_lo, exec_lo, s37
	s_cbranch_execz .LBB238_24
.LBB238_22:                             ;   Parent Loop BB238_12 Depth=1
                                        ;     Parent Loop BB238_17 Depth=2
                                        ; =>    This Inner Loop Header: Depth=3
	s_delay_alu instid0(VALU_DEP_1) | instskip(SKIP_2) | instid1(VALU_DEP_2)
	v_add_nc_u32_e32 v43, s38, v2
	v_add_nc_u32_e32 v4, s38, v51
	s_or_b32 s39, s39, exec_lo
	v_cmp_gt_u32_e32 vcc_lo, s18, v43
	s_delay_alu instid0(VALU_DEP_2) | instskip(NEXT) | instid1(VALU_DEP_1)
	v_cmp_gt_u32_e64 s2, s23, v4
	s_and_b32 s40, s2, vcc_lo
	s_delay_alu instid0(SALU_CYCLE_1)
	s_and_saveexec_b32 s2, s40
	s_cbranch_execz .LBB238_21
; %bb.23:                               ;   in Loop: Header=BB238_22 Depth=3
	v_lshlrev_b64 v[4:5], 1, v[43:44]
	v_add_nc_u32_e32 v43, s38, v1
	v_add_nc_u32_e32 v16, s36, v3
	;; [unrolled: 1-line block ×3, first 2 shown]
	s_delay_alu instid0(VALU_DEP_3) | instskip(SKIP_3) | instid1(VALU_DEP_3)
	v_lshlrev_b64 v[6:7], 1, v[43:44]
	v_add_nc_u32_e32 v43, s38, v0
	v_add_co_u32 v4, vcc_lo, s8, v4
	v_add_co_ci_u32_e32 v5, vcc_lo, s9, v5, vcc_lo
	v_lshlrev_b64 v[8:9], 1, v[43:44]
	v_add_co_u32 v10, vcc_lo, s8, v6
	v_add_co_ci_u32_e32 v11, vcc_lo, s9, v7, vcc_lo
	s_add_i32 s38, s38, s25
	s_delay_alu instid0(VALU_DEP_3) | instskip(NEXT) | instid1(VALU_DEP_4)
	v_add_co_u32 v12, vcc_lo, s8, v8
	v_add_co_ci_u32_e32 v13, vcc_lo, s9, v9, vcc_lo
	s_clause 0x2
	global_load_b128 v[4:7], v[4:5], off
	global_load_b128 v[8:11], v[10:11], off
	;; [unrolled: 1-line block ×3, first 2 shown]
	s_cmp_ge_u32 s38, s23
	s_cselect_b32 s40, -1, 0
	s_and_not1_b32 s39, s39, exec_lo
	s_and_b32 s40, s40, exec_lo
	s_delay_alu instid0(SALU_CYCLE_1)
	s_or_b32 s39, s39, s40
	s_waitcnt vmcnt(2)
	ds_store_b128 v3, v[4:7]
	v_add_nc_u32_e32 v3, s20, v3
	s_waitcnt vmcnt(1)
	ds_store_2addr_b64 v16, v[8:9], v[10:11] offset1:1
	s_waitcnt vmcnt(0)
	ds_store_2addr_b32 v17, v12, v13 offset1:1
	ds_store_2addr_b32 v17, v14, v15 offset0:2 offset1:3
	s_branch .LBB238_21
.LBB238_24:                             ;   in Loop: Header=BB238_17 Depth=2
	s_or_b32 exec_lo, exec_lo, s37
.LBB238_25:                             ;   in Loop: Header=BB238_17 Depth=2
	s_waitcnt lgkmcnt(0)
	s_barrier
	buffer_gl0_inv
	s_and_saveexec_b32 s2, s1
	s_cbranch_execz .LBB238_16
.LBB238_26:                             ;   in Loop: Header=BB238_17 Depth=2
	v_dual_mov_b32 v11, 0 :: v_dual_add_nc_u32 v62, s15, v50
	s_waitcnt vmcnt(1)
	v_dual_mov_b32 v10, 0 :: v_dual_mov_b32 v9, 0
	v_mov_b32_e32 v8, 0
	s_delay_alu instid0(VALU_DEP_3) | instskip(SKIP_3) | instid1(VALU_DEP_4)
	v_min_u32_e32 v43, s26, v62
	v_add_nc_u32_e32 v63, 0x200, v62
	v_dual_mov_b32 v19, 0 :: v_dual_mov_b32 v18, 0
	v_dual_mov_b32 v17, 0 :: v_dual_mov_b32 v16, 0
	v_lshlrev_b64 v[0:1], 1, v[43:44]
	s_delay_alu instid0(VALU_DEP_4) | instskip(SKIP_2) | instid1(VALU_DEP_4)
	v_min_u32_e32 v43, s26, v63
	v_dual_mov_b32 v23, 0 :: v_dual_mov_b32 v22, 0
	v_dual_mov_b32 v21, 0 :: v_dual_mov_b32 v20, 0
	v_add_co_u32 v4, vcc_lo, s6, v0
	v_add_co_ci_u32_e32 v5, vcc_lo, s7, v1, vcc_lo
	v_lshlrev_b64 v[0:1], 1, v[43:44]
	s_delay_alu instid0(VALU_DEP_3) | instskip(NEXT) | instid1(VALU_DEP_3)
	v_add_co_u32 v2, vcc_lo, v4, v45
	v_add_co_ci_u32_e32 v3, vcc_lo, v5, v46, vcc_lo
	v_dual_mov_b32 v31, 0 :: v_dual_mov_b32 v30, 0
	s_waitcnt vmcnt(0)
	s_delay_alu instid0(VALU_DEP_4) | instskip(SKIP_3) | instid1(VALU_DEP_4)
	v_add_co_u32 v6, vcc_lo, s6, v0
	v_add_co_ci_u32_e32 v7, vcc_lo, s7, v1, vcc_lo
	v_add_co_u32 v0, vcc_lo, v4, v47
	v_add_co_ci_u32_e32 v1, vcc_lo, v5, v48, vcc_lo
	v_add_co_u32 v4, vcc_lo, v6, v45
	s_delay_alu instid0(VALU_DEP_4)
	v_add_co_ci_u32_e32 v5, vcc_lo, v7, v46, vcc_lo
	v_add_co_u32 v6, vcc_lo, v6, v47
	v_add_co_ci_u32_e32 v7, vcc_lo, v7, v48, vcc_lo
	s_clause 0x3
	global_load_b128 v[32:35], v[2:3], off slc dlc
	global_load_b128 v[24:27], v[0:1], off slc dlc
	;; [unrolled: 1-line block ×4, first 2 shown]
	v_mov_b32_e32 v3, 0
	v_cmp_gt_u32_e32 vcc_lo, s16, v62
	v_dual_mov_b32 v2, 0 :: v_dual_mov_b32 v1, 0
	v_dual_mov_b32 v0, 0 :: v_dual_mov_b32 v29, 0
	;; [unrolled: 1-line block ×4, first 2 shown]
	v_mov_b32_e32 v36, 0
	s_and_saveexec_b32 s37, vcc_lo
	s_cbranch_execz .LBB238_15
; %bb.27:                               ;   in Loop: Header=BB238_17 Depth=2
	v_subrev_nc_u32_e32 v0, s14, v62
	v_dual_mov_b32 v18, 0 :: v_dual_mov_b32 v9, 0
	v_dual_mov_b32 v8, 0 :: v_dual_mov_b32 v11, 0
	s_delay_alu instid0(VALU_DEP_3) | instskip(SKIP_2) | instid1(VALU_DEP_3)
	v_dual_mov_b32 v17, 0 :: v_dual_lshlrev_b32 v64, 1, v0
	v_dual_mov_b32 v10, 0 :: v_dual_mov_b32 v1, 0
	v_dual_mov_b32 v0, 0 :: v_dual_mov_b32 v3, 0
	v_dual_mov_b32 v19, 0 :: v_dual_add_nc_u32 v62, s36, v64
	v_mov_b32_e32 v2, 0
	s_mov_b32 s38, exec_lo
	s_delay_alu instid0(VALU_DEP_2)
	v_dual_mov_b32 v16, 0 :: v_dual_add_nc_u32 v43, s36, v62
	ds_load_b128 v[36:39], v64
	ds_load_b128 v[28:31], v62
	ds_load_b128 v[20:23], v43
	v_cmpx_gt_u32_e64 s16, v63
	s_cbranch_execz .LBB238_14
; %bb.28:                               ;   in Loop: Header=BB238_17 Depth=2
	ds_load_b128 v[16:19], v64 offset:1024
	ds_load_b128 v[8:11], v62 offset:1024
	;; [unrolled: 1-line block ×3, first 2 shown]
	s_branch .LBB238_14
.LBB238_29:                             ;   in Loop: Header=BB238_12 Depth=1
	s_mov_b32 s1, exec_lo
	v_cmpx_le_u32_e64 s19, v42
	s_xor_b32 s1, exec_lo, s1
; %bb.30:                               ;   in Loop: Header=BB238_12 Depth=1
	v_add_nc_u32_e32 v42, s28, v42
                                        ; implicit-def: $vgpr59
                                        ; implicit-def: $vgpr61
                                        ; implicit-def: $vgpr60
                                        ; implicit-def: $vgpr58
                                        ; implicit-def: $vgpr57
                                        ; implicit-def: $vgpr56
; %bb.31:                               ;   in Loop: Header=BB238_12 Depth=1
	s_and_not1_saveexec_b32 s37, s1
	s_cbranch_execz .LBB238_11
; %bb.32:                               ;   in Loop: Header=BB238_12 Depth=1
	v_cvt_i32_f32_e32 v0, v59
	s_waitcnt lgkmcnt(0)
	v_xor_b32_e32 v1, 16, v49
	v_cvt_i32_f32_e32 v5, v57
	s_waitcnt vmcnt(0)
	v_cvt_i32_f32_e32 v6, v56
	v_cvt_i32_f32_e32 v3, v60
	v_cvt_f32_i32_dpp v0, v0 row_shr:8 row_mask:0xf bank_mask:0xf bound_ctrl:1
	v_cmp_gt_i32_e32 vcc_lo, 32, v1
	v_cvt_f32_i32_dpp v5, v5 row_shr:8 row_mask:0xf bank_mask:0xf bound_ctrl:1
	v_cvt_f32_i32_dpp v6, v6 row_shr:8 row_mask:0xf bank_mask:0xf bound_ctrl:1
	v_cvt_i32_f32_e32 v4, v58
	v_dual_add_f32 v0, v59, v0 :: v_dual_cndmask_b32 v1, v49, v1
	s_delay_alu instid0(VALU_DEP_3) | instskip(SKIP_1) | instid1(VALU_DEP_3)
	v_dual_add_f32 v5, v57, v5 :: v_dual_add_f32 v6, v56, v6
	v_cvt_i32_f32_e32 v2, v61
	v_cvt_i32_f32_e32 v7, v0
	v_cvt_f32_i32_dpp v3, v3 row_shr:8 row_mask:0xf bank_mask:0xf bound_ctrl:1
	s_delay_alu instid0(VALU_DEP_4)
	v_cvt_i32_f32_e32 v10, v5
	v_cvt_f32_i32_dpp v4, v4 row_shr:8 row_mask:0xf bank_mask:0xf bound_ctrl:1
	v_cvt_f32_i32_dpp v2, v2 row_shr:8 row_mask:0xf bank_mask:0xf bound_ctrl:1
	;; [unrolled: 1-line block ×3, first 2 shown]
	v_add_f32_e32 v3, v60, v3
	v_cvt_f32_i32_dpp v10, v10 row_shr:4 row_mask:0xf bank_mask:0xf bound_ctrl:1
	v_add_f32_e32 v4, v58, v4
	v_cvt_i32_f32_e32 v11, v6
	v_dual_add_f32 v0, v0, v7 :: v_dual_lshlrev_b32 v1, 2, v1
	v_add_f32_e32 v2, v61, v2
	v_add_f32_e32 v5, v5, v10
	v_cvt_i32_f32_e32 v9, v4
	s_delay_alu instid0(VALU_DEP_4)
	v_cvt_i32_f32_e32 v12, v0
	v_cvt_f32_i32_dpp v11, v11 row_shr:4 row_mask:0xf bank_mask:0xf bound_ctrl:1
	v_cvt_i32_f32_e32 v8, v2
	v_cvt_i32_f32_e32 v7, v3
	v_cvt_f32_i32_dpp v9, v9 row_shr:4 row_mask:0xf bank_mask:0xf bound_ctrl:1
	v_cvt_f32_i32_dpp v12, v12 row_shr:2 row_mask:0xf bank_mask:0xf bound_ctrl:1
	s_delay_alu instid0(VALU_DEP_4) | instskip(NEXT) | instid1(VALU_DEP_4)
	v_cvt_f32_i32_dpp v8, v8 row_shr:4 row_mask:0xf bank_mask:0xf bound_ctrl:1
	v_cvt_f32_i32_dpp v7, v7 row_shr:4 row_mask:0xf bank_mask:0xf bound_ctrl:1
	s_delay_alu instid0(VALU_DEP_3) | instskip(SKIP_2) | instid1(VALU_DEP_4)
	v_add_f32_e32 v0, v0, v12
	v_add_f32_e32 v6, v6, v11
	v_cvt_i32_f32_e32 v11, v5
	v_dual_add_f32 v2, v2, v8 :: v_dual_add_f32 v3, v3, v7
	s_delay_alu instid0(VALU_DEP_2) | instskip(SKIP_2) | instid1(VALU_DEP_4)
	v_cvt_f32_i32_dpp v11, v11 row_shr:2 row_mask:0xf bank_mask:0xf bound_ctrl:1
	v_add_f32_e32 v4, v4, v9
	v_cvt_i32_f32_e32 v9, v0
	v_cvt_i32_f32_e32 v7, v2
	;; [unrolled: 1-line block ×3, first 2 shown]
	v_add_f32_e32 v5, v5, v11
	v_cvt_i32_f32_e32 v10, v4
	v_cvt_f32_i32_dpp v9, v9 row_shr:1 row_mask:0xf bank_mask:0xf bound_ctrl:1
	v_cvt_f32_i32_dpp v7, v7 row_shr:2 row_mask:0xf bank_mask:0xf bound_ctrl:1
	;; [unrolled: 1-line block ×3, first 2 shown]
	s_delay_alu instid0(VALU_DEP_4) | instskip(NEXT) | instid1(VALU_DEP_4)
	v_cvt_f32_i32_dpp v10, v10 row_shr:2 row_mask:0xf bank_mask:0xf bound_ctrl:1
	v_add_f32_e32 v13, v0, v9
	v_cvt_i32_f32_e32 v12, v6
	v_add_f32_e32 v0, v2, v7
	s_delay_alu instid0(VALU_DEP_4) | instskip(SKIP_1) | instid1(VALU_DEP_4)
	v_dual_add_f32 v2, v3, v8 :: v_dual_add_f32 v3, v4, v10
	v_cvt_i32_f32_e32 v9, v5
	v_cvt_f32_i32_dpp v12, v12 row_shr:2 row_mask:0xf bank_mask:0xf bound_ctrl:1
	s_delay_alu instid0(VALU_DEP_4) | instskip(NEXT) | instid1(VALU_DEP_4)
	v_cvt_i32_f32_e32 v4, v0
	v_cvt_i32_f32_e32 v7, v2
	v_cvt_i32_f32_e32 v8, v3
	v_cvt_f32_i32_dpp v9, v9 row_shr:1 row_mask:0xf bank_mask:0xf bound_ctrl:1
	v_add_f32_e32 v6, v6, v12
	v_cvt_f32_i32_dpp v4, v4 row_shr:1 row_mask:0xf bank_mask:0xf bound_ctrl:1
	v_cvt_f32_i32_dpp v7, v7 row_shr:1 row_mask:0xf bank_mask:0xf bound_ctrl:1
	;; [unrolled: 1-line block ×3, first 2 shown]
	ds_bpermute_b32 v14, v1, v13
	v_cvt_i32_f32_e32 v10, v6
	v_dual_add_f32 v7, v2, v7 :: v_dual_add_f32 v2, v5, v9
	s_delay_alu instid0(VALU_DEP_2)
	v_cvt_f32_i32_dpp v11, v10 row_shr:1 row_mask:0xf bank_mask:0xf bound_ctrl:1
	v_add_f32_e32 v10, v0, v4
	v_add_f32_e32 v4, v3, v8
	ds_bpermute_b32 v8, v1, v7
	ds_bpermute_b32 v3, v1, v2
	v_add_f32_e32 v0, v6, v11
	ds_bpermute_b32 v11, v1, v10
	ds_bpermute_b32 v5, v1, v4
	;; [unrolled: 1-line block ×3, first 2 shown]
	s_and_saveexec_b32 s14, s0
	s_cbranch_execz .LBB238_71
; %bb.33:                               ;   in Loop: Header=BB238_12 Depth=1
	v_dual_mov_b32 v17, 0 :: v_dual_mov_b32 v16, 0
	v_dual_mov_b32 v15, 0 :: v_dual_mov_b32 v12, 0
	;; [unrolled: 1-line block ×3, first 2 shown]
	s_and_not1_b32 vcc_lo, exec_lo, s29
	s_cbranch_vccnz .LBB238_35
; %bb.34:                               ;   in Loop: Header=BB238_12 Depth=1
	v_mul_hi_u32 v9, v42, v55
	v_mov_b32_e32 v22, v44
	s_delay_alu instid0(VALU_DEP_2) | instskip(NEXT) | instid1(VALU_DEP_1)
	v_mul_lo_u32 v9, v9, s4
	v_sub_nc_u32_e32 v9, v42, v9
	s_delay_alu instid0(VALU_DEP_1) | instskip(SKIP_1) | instid1(VALU_DEP_1)
	v_cmp_le_u32_e32 vcc_lo, s4, v9
	v_add_nc_u32_e32 v6, 1, v42
	v_mul_hi_u32 v12, v6, v55
	s_delay_alu instid0(VALU_DEP_1) | instskip(NEXT) | instid1(VALU_DEP_1)
	v_mul_lo_u32 v12, v12, s4
	v_sub_nc_u32_e32 v6, v6, v12
	v_subrev_nc_u32_e32 v12, s4, v9
	s_delay_alu instid0(VALU_DEP_2) | instskip(NEXT) | instid1(VALU_DEP_2)
	v_subrev_nc_u32_e32 v15, s4, v6
	v_cndmask_b32_e32 v9, v9, v12, vcc_lo
	v_cmp_le_u32_e32 vcc_lo, s4, v6
	s_delay_alu instid0(VALU_DEP_2) | instskip(NEXT) | instid1(VALU_DEP_4)
	v_subrev_nc_u32_e32 v12, s4, v9
	v_cndmask_b32_e32 v6, v6, v15, vcc_lo
	v_cmp_le_u32_e32 vcc_lo, s4, v9
	s_delay_alu instid0(VALU_DEP_3) | instskip(NEXT) | instid1(VALU_DEP_3)
	v_cndmask_b32_e32 v43, v9, v12, vcc_lo
	v_subrev_nc_u32_e32 v15, s4, v6
	v_cmp_le_u32_e32 vcc_lo, s4, v6
	v_mov_b32_e32 v16, v44
	s_delay_alu instid0(VALU_DEP_4) | instskip(SKIP_3) | instid1(VALU_DEP_2)
	v_dual_mov_b32 v18, v44 :: v_dual_add_nc_u32 v17, s30, v43
	v_lshlrev_b64 v[19:20], 1, v[43:44]
	v_cndmask_b32_e32 v15, v6, v15, vcc_lo
	v_add_nc_u32_e32 v43, s35, v43
	v_lshlrev_b64 v[23:24], 1, v[15:16]
	v_add_nc_u32_e32 v21, s30, v15
	v_lshlrev_b64 v[16:17], 1, v[17:18]
	v_add_co_u32 v18, vcc_lo, s10, v19
	v_add_co_ci_u32_e32 v19, vcc_lo, s11, v20, vcc_lo
	v_lshlrev_b64 v[25:26], 1, v[43:44]
	v_lshlrev_b64 v[20:21], 1, v[21:22]
	v_add_co_u32 v22, vcc_lo, s10, v23
	v_add_nc_u32_e32 v43, s35, v15
	v_add_co_ci_u32_e32 v23, vcc_lo, s11, v24, vcc_lo
	v_add_co_u32 v29, vcc_lo, s10, v16
	v_add_co_ci_u32_e32 v30, vcc_lo, s11, v17, vcc_lo
	s_delay_alu instid0(VALU_DEP_4)
	v_lshlrev_b64 v[27:28], 1, v[43:44]
	v_add_co_u32 v24, vcc_lo, s10, v25
	v_add_co_ci_u32_e32 v25, vcc_lo, s11, v26, vcc_lo
	v_add_co_u32 v20, vcc_lo, s10, v20
	v_add_co_ci_u32_e32 v21, vcc_lo, s11, v21, vcc_lo
	;; [unrolled: 2-line block ×3, first 2 shown]
	s_clause 0x5
	global_load_u16 v17, v[18:19], off
	global_load_u16 v16, v[22:23], off
	;; [unrolled: 1-line block ×6, first 2 shown]
.LBB238_35:                             ;   in Loop: Header=BB238_12 Depth=1
	v_cmp_ne_u32_e32 vcc_lo, 0, v40
	s_and_saveexec_b32 s2, vcc_lo
	s_cbranch_execnz .LBB238_41
; %bb.36:                               ;   in Loop: Header=BB238_12 Depth=1
	s_or_b32 exec_lo, exec_lo, s2
	v_cmp_ne_u32_e64 s1, 0, v41
	s_delay_alu instid0(VALU_DEP_1)
	s_and_saveexec_b32 s15, s1
	s_cbranch_execnz .LBB238_46
.LBB238_37:                             ;   in Loop: Header=BB238_12 Depth=1
	s_or_b32 exec_lo, exec_lo, s15
	v_add_nc_u32_e32 v43, s19, v42
	s_and_saveexec_b32 s15, vcc_lo
	s_cbranch_execnz .LBB238_51
.LBB238_38:                             ;   in Loop: Header=BB238_12 Depth=1
	s_or_b32 exec_lo, exec_lo, s15
	s_and_saveexec_b32 s15, s1
	s_cbranch_execnz .LBB238_56
.LBB238_39:                             ;   in Loop: Header=BB238_12 Depth=1
	s_or_b32 exec_lo, exec_lo, s15
	v_add_nc_u32_e32 v43, s19, v43
	s_and_saveexec_b32 s2, vcc_lo
	s_cbranch_execnz .LBB238_61
.LBB238_40:                             ;   in Loop: Header=BB238_12 Depth=1
	s_or_b32 exec_lo, exec_lo, s2
	s_delay_alu instid0(SALU_CYCLE_1)
	s_and_b32 exec_lo, exec_lo, s1
	s_cbranch_execnz .LBB238_66
	s_branch .LBB238_71
.LBB238_41:                             ;   in Loop: Header=BB238_12 Depth=1
	s_waitcnt vmcnt(5) lgkmcnt(5)
	v_dual_add_f32 v13, v13, v14 :: v_dual_lshlrev_b32 v14, 16, v17
	s_delay_alu instid0(VALU_DEP_1) | instskip(NEXT) | instid1(VALU_DEP_1)
	v_add_f32_e32 v14, v13, v14
	v_and_b32_e32 v13, 0x7f800000, v14
	s_delay_alu instid0(VALU_DEP_1) | instskip(NEXT) | instid1(VALU_DEP_1)
	v_cmp_ne_u32_e64 s1, 0x7f800000, v13
                                        ; implicit-def: $vgpr13
	s_and_saveexec_b32 s15, s1
	s_delay_alu instid0(SALU_CYCLE_1)
	s_xor_b32 s1, exec_lo, s15
; %bb.42:                               ;   in Loop: Header=BB238_12 Depth=1
	v_bfe_u32 v13, v14, 16, 1
	s_delay_alu instid0(VALU_DEP_1)
	v_add3_u32 v13, v14, v13, 0x7fff
                                        ; implicit-def: $vgpr14
; %bb.43:                               ;   in Loop: Header=BB238_12 Depth=1
	s_and_not1_saveexec_b32 s15, s1
; %bb.44:                               ;   in Loop: Header=BB238_12 Depth=1
	v_and_b32_e32 v13, 0xffff, v14
	v_or_b32_e32 v17, 0x10000, v14
	s_delay_alu instid0(VALU_DEP_2) | instskip(NEXT) | instid1(VALU_DEP_1)
	v_cmp_eq_u32_e64 s1, 0, v13
	v_cndmask_b32_e64 v13, v17, v14, s1
; %bb.45:                               ;   in Loop: Header=BB238_12 Depth=1
	s_or_b32 exec_lo, exec_lo, s15
	v_mov_b32_e32 v43, v44
	s_delay_alu instid0(VALU_DEP_1) | instskip(NEXT) | instid1(VALU_DEP_1)
	v_lshlrev_b64 v[17:18], 1, v[42:43]
	v_add_co_u32 v17, s1, s12, v17
	s_delay_alu instid0(VALU_DEP_1) | instskip(SKIP_3) | instid1(VALU_DEP_1)
	v_add_co_ci_u32_e64 v18, s1, s13, v18, s1
	global_store_d16_hi_b16 v[17:18], v13, off
	s_or_b32 exec_lo, exec_lo, s2
	v_cmp_ne_u32_e64 s1, 0, v41
	s_and_saveexec_b32 s15, s1
	s_cbranch_execz .LBB238_37
.LBB238_46:                             ;   in Loop: Header=BB238_12 Depth=1
	s_waitcnt vmcnt(4) lgkmcnt(2)
	v_dual_add_f32 v10, v10, v11 :: v_dual_lshlrev_b32 v11, 16, v16
	s_delay_alu instid0(VALU_DEP_1) | instskip(NEXT) | instid1(VALU_DEP_1)
	v_add_f32_e32 v11, v10, v11
	v_and_b32_e32 v10, 0x7f800000, v11
	s_delay_alu instid0(VALU_DEP_1) | instskip(NEXT) | instid1(VALU_DEP_1)
	v_cmp_ne_u32_e64 s2, 0x7f800000, v10
                                        ; implicit-def: $vgpr10
	s_and_saveexec_b32 s38, s2
	s_delay_alu instid0(SALU_CYCLE_1)
	s_xor_b32 s2, exec_lo, s38
; %bb.47:                               ;   in Loop: Header=BB238_12 Depth=1
	v_bfe_u32 v10, v11, 16, 1
	s_delay_alu instid0(VALU_DEP_1)
	v_add3_u32 v10, v11, v10, 0x7fff
                                        ; implicit-def: $vgpr11
; %bb.48:                               ;   in Loop: Header=BB238_12 Depth=1
	s_and_not1_saveexec_b32 s38, s2
; %bb.49:                               ;   in Loop: Header=BB238_12 Depth=1
	v_and_b32_e32 v10, 0xffff, v11
	v_or_b32_e32 v13, 0x10000, v11
	s_delay_alu instid0(VALU_DEP_2) | instskip(NEXT) | instid1(VALU_DEP_1)
	v_cmp_eq_u32_e64 s2, 0, v10
	v_cndmask_b32_e64 v10, v13, v11, s2
; %bb.50:                               ;   in Loop: Header=BB238_12 Depth=1
	s_or_b32 exec_lo, exec_lo, s38
	v_mov_b32_e32 v43, v44
	s_delay_alu instid0(VALU_DEP_1) | instskip(NEXT) | instid1(VALU_DEP_1)
	v_lshlrev_b64 v[13:14], 1, v[42:43]
	v_add_co_u32 v13, s2, s31, v13
	s_delay_alu instid0(VALU_DEP_1)
	v_add_co_ci_u32_e64 v14, s2, s33, v14, s2
	global_store_d16_hi_b16 v[13:14], v10, off
	s_or_b32 exec_lo, exec_lo, s15
	v_add_nc_u32_e32 v43, s19, v42
	s_and_saveexec_b32 s15, vcc_lo
	s_cbranch_execz .LBB238_38
.LBB238_51:                             ;   in Loop: Header=BB238_12 Depth=1
	s_waitcnt vmcnt(3) lgkmcnt(4)
	v_dual_add_f32 v7, v7, v8 :: v_dual_lshlrev_b32 v8, 16, v15
	s_delay_alu instid0(VALU_DEP_1) | instskip(NEXT) | instid1(VALU_DEP_1)
	v_add_f32_e32 v8, v7, v8
	v_and_b32_e32 v7, 0x7f800000, v8
	s_delay_alu instid0(VALU_DEP_1) | instskip(NEXT) | instid1(VALU_DEP_1)
	v_cmp_ne_u32_e64 s2, 0x7f800000, v7
                                        ; implicit-def: $vgpr7
	s_and_saveexec_b32 s38, s2
	s_delay_alu instid0(SALU_CYCLE_1)
	s_xor_b32 s2, exec_lo, s38
; %bb.52:                               ;   in Loop: Header=BB238_12 Depth=1
	v_bfe_u32 v7, v8, 16, 1
	s_delay_alu instid0(VALU_DEP_1)
	v_add3_u32 v7, v8, v7, 0x7fff
                                        ; implicit-def: $vgpr8
; %bb.53:                               ;   in Loop: Header=BB238_12 Depth=1
	s_and_not1_saveexec_b32 s38, s2
; %bb.54:                               ;   in Loop: Header=BB238_12 Depth=1
	v_and_b32_e32 v7, 0xffff, v8
	v_or_b32_e32 v10, 0x10000, v8
	s_delay_alu instid0(VALU_DEP_2) | instskip(NEXT) | instid1(VALU_DEP_1)
	v_cmp_eq_u32_e64 s2, 0, v7
	v_cndmask_b32_e64 v7, v10, v8, s2
; %bb.55:                               ;   in Loop: Header=BB238_12 Depth=1
	s_or_b32 exec_lo, exec_lo, s38
	s_waitcnt lgkmcnt(2)
	v_lshlrev_b64 v[10:11], 1, v[43:44]
	s_delay_alu instid0(VALU_DEP_1) | instskip(NEXT) | instid1(VALU_DEP_1)
	v_add_co_u32 v10, s2, s12, v10
	v_add_co_ci_u32_e64 v11, s2, s13, v11, s2
	global_store_d16_hi_b16 v[10:11], v7, off
	s_or_b32 exec_lo, exec_lo, s15
	s_and_saveexec_b32 s15, s1
	s_cbranch_execz .LBB238_39
.LBB238_56:                             ;   in Loop: Header=BB238_12 Depth=1
	s_waitcnt vmcnt(2) lgkmcnt(1)
	v_dual_add_f32 v4, v4, v5 :: v_dual_lshlrev_b32 v5, 16, v12
	s_delay_alu instid0(VALU_DEP_1) | instskip(NEXT) | instid1(VALU_DEP_1)
	v_add_f32_e32 v5, v4, v5
	v_and_b32_e32 v4, 0x7f800000, v5
	s_delay_alu instid0(VALU_DEP_1) | instskip(NEXT) | instid1(VALU_DEP_1)
	v_cmp_ne_u32_e64 s2, 0x7f800000, v4
                                        ; implicit-def: $vgpr4
	s_and_saveexec_b32 s38, s2
	s_delay_alu instid0(SALU_CYCLE_1)
	s_xor_b32 s2, exec_lo, s38
; %bb.57:                               ;   in Loop: Header=BB238_12 Depth=1
	v_bfe_u32 v4, v5, 16, 1
	s_delay_alu instid0(VALU_DEP_1)
	v_add3_u32 v4, v5, v4, 0x7fff
                                        ; implicit-def: $vgpr5
; %bb.58:                               ;   in Loop: Header=BB238_12 Depth=1
	s_and_not1_saveexec_b32 s38, s2
; %bb.59:                               ;   in Loop: Header=BB238_12 Depth=1
	v_and_b32_e32 v4, 0xffff, v5
	v_or_b32_e32 v7, 0x10000, v5
	s_delay_alu instid0(VALU_DEP_2) | instskip(NEXT) | instid1(VALU_DEP_1)
	v_cmp_eq_u32_e64 s2, 0, v4
	v_cndmask_b32_e64 v4, v7, v5, s2
; %bb.60:                               ;   in Loop: Header=BB238_12 Depth=1
	s_or_b32 exec_lo, exec_lo, s38
	v_dual_mov_b32 v8, v44 :: v_dual_add_nc_u32 v7, 1, v43
	s_delay_alu instid0(VALU_DEP_1) | instskip(NEXT) | instid1(VALU_DEP_1)
	v_lshlrev_b64 v[7:8], 1, v[7:8]
	v_add_co_u32 v7, s2, s12, v7
	s_delay_alu instid0(VALU_DEP_1)
	v_add_co_ci_u32_e64 v8, s2, s13, v8, s2
	global_store_d16_hi_b16 v[7:8], v4, off
	s_or_b32 exec_lo, exec_lo, s15
	v_add_nc_u32_e32 v43, s19, v43
	s_and_saveexec_b32 s2, vcc_lo
	s_cbranch_execz .LBB238_40
.LBB238_61:                             ;   in Loop: Header=BB238_12 Depth=1
	s_waitcnt vmcnt(1) lgkmcnt(3)
	v_dual_add_f32 v2, v2, v3 :: v_dual_lshlrev_b32 v3, 16, v9
	s_delay_alu instid0(VALU_DEP_1) | instskip(NEXT) | instid1(VALU_DEP_1)
	v_add_f32_e32 v3, v2, v3
	v_and_b32_e32 v2, 0x7f800000, v3
	s_delay_alu instid0(VALU_DEP_1) | instskip(SKIP_1) | instid1(SALU_CYCLE_1)
	v_cmp_ne_u32_e32 vcc_lo, 0x7f800000, v2
                                        ; implicit-def: $vgpr2
	s_and_saveexec_b32 s15, vcc_lo
	s_xor_b32 s15, exec_lo, s15
; %bb.62:                               ;   in Loop: Header=BB238_12 Depth=1
	v_bfe_u32 v2, v3, 16, 1
	s_delay_alu instid0(VALU_DEP_1)
	v_add3_u32 v2, v3, v2, 0x7fff
                                        ; implicit-def: $vgpr3
; %bb.63:                               ;   in Loop: Header=BB238_12 Depth=1
	s_and_not1_saveexec_b32 s15, s15
; %bb.64:                               ;   in Loop: Header=BB238_12 Depth=1
	v_and_b32_e32 v2, 0xffff, v3
	v_or_b32_e32 v4, 0x10000, v3
	s_delay_alu instid0(VALU_DEP_2) | instskip(NEXT) | instid1(VALU_DEP_2)
	v_cmp_eq_u32_e32 vcc_lo, 0, v2
	v_cndmask_b32_e32 v2, v4, v3, vcc_lo
; %bb.65:                               ;   in Loop: Header=BB238_12 Depth=1
	s_or_b32 exec_lo, exec_lo, s15
	v_lshlrev_b64 v[3:4], 1, v[43:44]
	s_delay_alu instid0(VALU_DEP_1) | instskip(NEXT) | instid1(VALU_DEP_2)
	v_add_co_u32 v3, vcc_lo, s12, v3
	v_add_co_ci_u32_e32 v4, vcc_lo, s13, v4, vcc_lo
	global_store_d16_hi_b16 v[3:4], v2, off
	s_or_b32 exec_lo, exec_lo, s2
	s_delay_alu instid0(SALU_CYCLE_1)
	s_and_b32 exec_lo, exec_lo, s1
	s_cbranch_execz .LBB238_71
.LBB238_66:                             ;   in Loop: Header=BB238_12 Depth=1
	s_waitcnt vmcnt(0) lgkmcnt(0)
	v_dual_add_f32 v0, v0, v1 :: v_dual_lshlrev_b32 v1, 16, v6
	s_delay_alu instid0(VALU_DEP_1) | instskip(NEXT) | instid1(VALU_DEP_1)
	v_add_f32_e32 v1, v0, v1
	v_and_b32_e32 v0, 0x7f800000, v1
	s_delay_alu instid0(VALU_DEP_1) | instskip(SKIP_1) | instid1(SALU_CYCLE_1)
	v_cmp_ne_u32_e32 vcc_lo, 0x7f800000, v0
                                        ; implicit-def: $vgpr0
	s_and_saveexec_b32 s1, vcc_lo
	s_xor_b32 s1, exec_lo, s1
; %bb.67:                               ;   in Loop: Header=BB238_12 Depth=1
	v_bfe_u32 v0, v1, 16, 1
	s_delay_alu instid0(VALU_DEP_1)
	v_add3_u32 v0, v1, v0, 0x7fff
                                        ; implicit-def: $vgpr1
; %bb.68:                               ;   in Loop: Header=BB238_12 Depth=1
	s_and_not1_saveexec_b32 s1, s1
; %bb.69:                               ;   in Loop: Header=BB238_12 Depth=1
	v_and_b32_e32 v0, 0xffff, v1
	v_or_b32_e32 v2, 0x10000, v1
	s_delay_alu instid0(VALU_DEP_2) | instskip(NEXT) | instid1(VALU_DEP_2)
	v_cmp_eq_u32_e32 vcc_lo, 0, v0
	v_cndmask_b32_e32 v0, v2, v1, vcc_lo
; %bb.70:                               ;   in Loop: Header=BB238_12 Depth=1
	s_or_b32 exec_lo, exec_lo, s1
	v_add_nc_u32_e32 v43, 1, v43
	s_delay_alu instid0(VALU_DEP_1) | instskip(NEXT) | instid1(VALU_DEP_1)
	v_lshlrev_b64 v[1:2], 1, v[43:44]
	v_add_co_u32 v1, vcc_lo, s12, v1
	s_delay_alu instid0(VALU_DEP_2)
	v_add_co_ci_u32_e32 v2, vcc_lo, s13, v2, vcc_lo
	global_store_d16_hi_b16 v[1:2], v0, off
.LBB238_71:                             ;   in Loop: Header=BB238_12 Depth=1
	s_or_b32 exec_lo, exec_lo, s14
	v_add_nc_u32_e32 v42, s28, v42
	s_delay_alu instid0(VALU_DEP_1) | instskip(SKIP_1) | instid1(VALU_DEP_2)
	v_add_nc_u32_e32 v0, 2, v42
	v_cmp_gt_u32_e32 vcc_lo, s19, v42
	v_cmp_le_u32_e64 s1, s19, v0
	s_delay_alu instid0(VALU_DEP_1) | instskip(NEXT) | instid1(SALU_CYCLE_1)
	s_and_b32 s1, vcc_lo, s1
	s_and_saveexec_b32 s38, s1
	s_cbranch_execz .LBB238_10
; %bb.72:                               ;   in Loop: Header=BB238_12 Depth=1
	s_mov_b32 s39, exec_lo
	v_cmpx_ne_u32_e64 s5, v42
	s_cbranch_execz .LBB238_9
; %bb.73:                               ;   in Loop: Header=BB238_12 Depth=1
	v_subrev_nc_u32_e32 v0, s5, v42
	s_mov_b32 s40, 0
	s_mov_b64 s[14:15], 0
	s_delay_alu instid0(VALU_DEP_1)
	v_cmp_lt_u32_e32 vcc_lo, 1, v0
	v_cndmask_b32_e32 v0, 1, v0, vcc_lo
.LBB238_74:                             ;   Parent Loop BB238_12 Depth=1
                                        ; =>  This Inner Loop Header: Depth=2
	s_cmp_lg_u32 s14, 1
	s_cselect_b32 vcc_lo, -1, 0
	s_cmp_lg_u32 s14, 0
	v_cndmask_b32_e32 v41, 0, v41, vcc_lo
	s_cselect_b32 s1, -1, 0
	s_add_u32 s14, s14, 1
	v_cndmask_b32_e64 v40, 0, v40, s1
	v_cmp_eq_u32_e64 s2, s14, v0
	s_addc_u32 s15, s15, 0
	s_delay_alu instid0(VALU_DEP_1) | instskip(NEXT) | instid1(SALU_CYCLE_1)
	s_or_b32 s40, s2, s40
	s_and_not1_b32 exec_lo, exec_lo, s40
	s_cbranch_execnz .LBB238_74
; %bb.75:                               ;   in Loop: Header=BB238_12 Depth=1
	s_or_b32 exec_lo, exec_lo, s40
	s_branch .LBB238_9
.LBB238_76:
	s_nop 0
	s_sendmsg sendmsg(MSG_DEALLOC_VGPRS)
	s_endpgm
	.section	.rodata,"a",@progbits
	.p2align	6, 0x0
	.amdhsa_kernel _Z16wvSplitK_hf_big_I14__hip_bfloat16Li64ELi2ELi16ELi8ELi2ELi3EEviiiiiiPKT_S3_S3_PS1_ii
		.amdhsa_group_segment_fixed_size 65536
		.amdhsa_private_segment_fixed_size 0
		.amdhsa_kernarg_size 64
		.amdhsa_user_sgpr_count 15
		.amdhsa_user_sgpr_dispatch_ptr 0
		.amdhsa_user_sgpr_queue_ptr 0
		.amdhsa_user_sgpr_kernarg_segment_ptr 1
		.amdhsa_user_sgpr_dispatch_id 0
		.amdhsa_user_sgpr_private_segment_size 0
		.amdhsa_wavefront_size32 1
		.amdhsa_uses_dynamic_stack 0
		.amdhsa_enable_private_segment 0
		.amdhsa_system_sgpr_workgroup_id_x 1
		.amdhsa_system_sgpr_workgroup_id_y 0
		.amdhsa_system_sgpr_workgroup_id_z 0
		.amdhsa_system_sgpr_workgroup_info 0
		.amdhsa_system_vgpr_workitem_id 1
		.amdhsa_next_free_vgpr 73
		.amdhsa_next_free_sgpr 41
		.amdhsa_reserve_vcc 1
		.amdhsa_float_round_mode_32 0
		.amdhsa_float_round_mode_16_64 0
		.amdhsa_float_denorm_mode_32 3
		.amdhsa_float_denorm_mode_16_64 3
		.amdhsa_dx10_clamp 1
		.amdhsa_ieee_mode 1
		.amdhsa_fp16_overflow 0
		.amdhsa_workgroup_processor_mode 1
		.amdhsa_memory_ordered 1
		.amdhsa_forward_progress 0
		.amdhsa_shared_vgpr_count 0
		.amdhsa_exception_fp_ieee_invalid_op 0
		.amdhsa_exception_fp_denorm_src 0
		.amdhsa_exception_fp_ieee_div_zero 0
		.amdhsa_exception_fp_ieee_overflow 0
		.amdhsa_exception_fp_ieee_underflow 0
		.amdhsa_exception_fp_ieee_inexact 0
		.amdhsa_exception_int_div_zero 0
	.end_amdhsa_kernel
	.section	.text._Z16wvSplitK_hf_big_I14__hip_bfloat16Li64ELi2ELi16ELi8ELi2ELi3EEviiiiiiPKT_S3_S3_PS1_ii,"axG",@progbits,_Z16wvSplitK_hf_big_I14__hip_bfloat16Li64ELi2ELi16ELi8ELi2ELi3EEviiiiiiPKT_S3_S3_PS1_ii,comdat
.Lfunc_end238:
	.size	_Z16wvSplitK_hf_big_I14__hip_bfloat16Li64ELi2ELi16ELi8ELi2ELi3EEviiiiiiPKT_S3_S3_PS1_ii, .Lfunc_end238-_Z16wvSplitK_hf_big_I14__hip_bfloat16Li64ELi2ELi16ELi8ELi2ELi3EEviiiiiiPKT_S3_S3_PS1_ii
                                        ; -- End function
	.section	.AMDGPU.csdata,"",@progbits
; Kernel info:
; codeLenInByte = 5256
; NumSgprs: 43
; NumVgprs: 73
; ScratchSize: 0
; MemoryBound: 0
; FloatMode: 240
; IeeeMode: 1
; LDSByteSize: 65536 bytes/workgroup (compile time only)
; SGPRBlocks: 5
; VGPRBlocks: 9
; NumSGPRsForWavesPerEU: 43
; NumVGPRsForWavesPerEU: 73
; Occupancy: 16
; WaveLimiterHint : 0
; COMPUTE_PGM_RSRC2:SCRATCH_EN: 0
; COMPUTE_PGM_RSRC2:USER_SGPR: 15
; COMPUTE_PGM_RSRC2:TRAP_HANDLER: 0
; COMPUTE_PGM_RSRC2:TGID_X_EN: 1
; COMPUTE_PGM_RSRC2:TGID_Y_EN: 0
; COMPUTE_PGM_RSRC2:TGID_Z_EN: 0
; COMPUTE_PGM_RSRC2:TIDIG_COMP_CNT: 1
	.section	.text._Z16wvSplitK_hf_sml_I14__hip_bfloat16Li64ELi3ELi16ELi8ELi2ELi3EEviiiiiiPKT_S3_S3_PS1_ii,"axG",@progbits,_Z16wvSplitK_hf_sml_I14__hip_bfloat16Li64ELi3ELi16ELi8ELi2ELi3EEviiiiiiPKT_S3_S3_PS1_ii,comdat
	.protected	_Z16wvSplitK_hf_sml_I14__hip_bfloat16Li64ELi3ELi16ELi8ELi2ELi3EEviiiiiiPKT_S3_S3_PS1_ii ; -- Begin function _Z16wvSplitK_hf_sml_I14__hip_bfloat16Li64ELi3ELi16ELi8ELi2ELi3EEviiiiiiPKT_S3_S3_PS1_ii
	.globl	_Z16wvSplitK_hf_sml_I14__hip_bfloat16Li64ELi3ELi16ELi8ELi2ELi3EEviiiiiiPKT_S3_S3_PS1_ii
	.p2align	8
	.type	_Z16wvSplitK_hf_sml_I14__hip_bfloat16Li64ELi3ELi16ELi8ELi2ELi3EEviiiiiiPKT_S3_S3_PS1_ii,@function
_Z16wvSplitK_hf_sml_I14__hip_bfloat16Li64ELi3ELi16ELi8ELi2ELi3EEviiiiiiPKT_S3_S3_PS1_ii: ; @_Z16wvSplitK_hf_sml_I14__hip_bfloat16Li64ELi3ELi16ELi8ELi2ELi3EEviiiiiiPKT_S3_S3_PS1_ii
; %bb.0:
	s_clause 0x2
	s_load_b128 s[4:7], s[0:1], 0x0
	s_load_b64 s[8:9], s[0:1], 0x10
	s_load_b64 s[10:11], s[0:1], 0x28
	v_and_b32_e32 v3, 0x3ff, v0
	v_bfe_u32 v0, v0, 10, 10
	s_mov_b32 s12, exec_lo
	s_delay_alu instid0(VALU_DEP_2) | instskip(NEXT) | instid1(VALU_DEP_1)
	v_lshlrev_b32_e32 v58, 3, v3
	v_lshl_add_u32 v4, v0, 9, v58
	s_waitcnt lgkmcnt(0)
	s_mul_i32 s2, s6, 3
	s_delay_alu instid0(SALU_CYCLE_1)
	s_min_u32 s3, s2, 0x8000
	s_delay_alu instid0(VALU_DEP_1) | instid1(SALU_CYCLE_1)
	v_cmpx_gt_u32_e64 s3, v4
	s_cbranch_execz .LBB239_3
; %bb.1:
	s_load_b64 s[16:17], s[0:1], 0x20
	v_lshlrev_b32_e32 v5, 10, v0
	v_lshlrev_b32_e32 v6, 4, v3
	s_mov_b32 s13, 0
	s_delay_alu instid0(VALU_DEP_1) | instskip(NEXT) | instid1(VALU_DEP_1)
	v_add_co_u32 v1, s2, v5, v6
	v_add_co_ci_u32_e64 v2, null, 0, 0, s2
	v_add_nc_u32_e32 v5, v5, v6
	s_waitcnt lgkmcnt(0)
	s_delay_alu instid0(VALU_DEP_3) | instskip(NEXT) | instid1(VALU_DEP_3)
	v_add_co_u32 v1, vcc_lo, s16, v1
	v_add_co_ci_u32_e32 v2, vcc_lo, s17, v2, vcc_lo
	.p2align	6
.LBB239_2:                              ; =>This Inner Loop Header: Depth=1
	global_load_b128 v[6:9], v[1:2], off
	v_add_nc_u32_e32 v4, 0x2000, v4
	v_add_co_u32 v1, vcc_lo, 0x4000, v1
	v_add_co_ci_u32_e32 v2, vcc_lo, 0, v2, vcc_lo
	s_delay_alu instid0(VALU_DEP_3) | instskip(NEXT) | instid1(VALU_DEP_1)
	v_cmp_le_u32_e64 s2, s3, v4
	s_or_b32 s13, s2, s13
	s_waitcnt vmcnt(0)
	ds_store_b128 v5, v[6:9]
	v_add_nc_u32_e32 v5, 0x4000, v5
	s_and_not1_b32 exec_lo, exec_lo, s13
	s_cbranch_execnz .LBB239_2
.LBB239_3:
	s_or_b32 exec_lo, exec_lo, s12
	s_load_b64 s[16:17], s[0:1], 0x38
	s_waitcnt lgkmcnt(0)
	s_barrier
	buffer_gl0_inv
	s_mov_b32 s2, exec_lo
	v_cmpx_gt_u32_e64 s16, v0
	s_cbranch_execz .LBB239_54
; %bb.4:
	v_mad_u64_u32 v[1:2], null, s15, s16, v[0:1]
	s_delay_alu instid0(VALU_DEP_1) | instskip(NEXT) | instid1(VALU_DEP_1)
	v_lshl_add_u32 v40, v1, 1, v1
	v_cmp_gt_u32_e32 vcc_lo, s7, v40
	s_and_b32 exec_lo, exec_lo, vcc_lo
	s_cbranch_execz .LBB239_54
; %bb.5:
	s_cmp_lg_u32 s4, 0
	v_cvt_f32_u32_e32 v1, s8
	s_cselect_b32 s14, -1, 0
	s_add_i32 s15, s4, -8
	s_add_i32 s18, s7, -1
	s_cmp_lg_u64 s[10:11], 0
	v_rcp_iflag_f32_e32 v1, v1
	s_cselect_b32 s19, -1, 0
	s_abs_i32 s20, s9
	s_mul_i32 s9, s16, s17
	v_cvt_f32_u32_e32 v0, s20
	s_sub_i32 s17, 0, s20
	s_sub_i32 s21, 0, s8
	;; [unrolled: 1-line block ×3, first 2 shown]
	v_mbcnt_lo_u32_b32 v2, -1, 0
	v_rcp_iflag_f32_e32 v0, v0
	s_clause 0x1
	s_load_b64 s[2:3], s[0:1], 0x18
	s_load_b64 s[12:13], s[0:1], 0x30
	v_cmp_eq_u32_e64 s0, 63, v3
	s_mov_b32 s1, 0
	s_mul_i32 s9, s9, 3
	v_lshlrev_b32_e32 v59, 4, v3
	v_xor_b32_e32 v3, 16, v2
	s_waitcnt_depctr 0xfff
	v_mul_f32_e32 v0, 0x4f7ffffe, v0
	v_cmp_gt_i32_e32 vcc_lo, 32, v3
	s_delay_alu instid0(VALU_DEP_2) | instskip(SKIP_1) | instid1(VALU_DEP_2)
	v_cvt_u32_f32_e32 v0, v0
	v_cndmask_b32_e32 v2, v2, v3, vcc_lo
	v_readfirstlane_b32 s16, v0
	v_mul_f32_e32 v0, 0x4f7ffffe, v1
	s_delay_alu instid0(VALU_DEP_3) | instskip(NEXT) | instid1(VALU_DEP_3)
	v_lshlrev_b32_e32 v60, 2, v2
	s_mul_i32 s17, s17, s16
	s_delay_alu instid0(VALU_DEP_2) | instskip(SKIP_1) | instid1(SALU_CYCLE_1)
	v_cvt_u32_f32_e32 v0, v0
	s_mul_hi_u32 s17, s16, s17
	s_add_i32 s16, s16, s17
	s_cmp_lt_u32 s20, 2
	s_delay_alu instid0(VALU_DEP_1) | instskip(SKIP_1) | instid1(SALU_CYCLE_1)
	v_mul_lo_u32 v1, s21, v0
	s_cselect_b32 s17, s22, 1
	s_sub_i32 s21, s17, s20
	s_cmp_ge_u32 s17, s20
	s_cselect_b32 s17, s21, s17
	s_lshr_b32 s16, s16, 31
	s_delay_alu instid0(VALU_DEP_1) | instskip(SKIP_3) | instid1(SALU_CYCLE_1)
	v_mul_hi_u32 v1, v0, v1
	s_mul_i32 s16, s16, s20
	v_mov_b32_e32 v42, 0
	s_sub_i32 s16, 2, s16
	s_sub_i32 s21, s16, s20
	s_cmp_ge_u32 s16, s20
	s_delay_alu instid0(VALU_DEP_2)
	v_add_nc_u32_e32 v61, v0, v1
	s_cselect_b32 s21, s21, s16
	s_mul_i32 s16, s17, s8
	s_sub_i32 s22, s21, s20
	s_cmp_ge_u32 s21, s20
	s_cselect_b32 s20, s22, s21
	s_lshl_b32 s17, s6, 2
	s_mul_i32 s20, s20, s8
	s_lshl_b32 s6, s6, 1
	s_branch .LBB239_8
.LBB239_6:                              ;   in Loop: Header=BB239_8 Depth=1
	s_or_b32 exec_lo, exec_lo, s22
	v_add_nc_u32_e32 v41, 2, v41
	s_delay_alu instid0(VALU_DEP_1) | instskip(NEXT) | instid1(VALU_DEP_1)
	v_lshlrev_b64 v[1:2], 1, v[41:42]
	v_add_co_u32 v1, vcc_lo, s12, v1
	s_delay_alu instid0(VALU_DEP_2)
	v_add_co_ci_u32_e32 v2, vcc_lo, s13, v2, vcc_lo
	global_store_d16_hi_b16 v[1:2], v0, off
.LBB239_7:                              ;   in Loop: Header=BB239_8 Depth=1
	s_or_b32 exec_lo, exec_lo, s21
	v_add_nc_u32_e32 v40, s9, v40
	s_delay_alu instid0(VALU_DEP_1) | instskip(SKIP_1) | instid1(SALU_CYCLE_1)
	v_cmp_le_u32_e32 vcc_lo, s7, v40
	s_or_b32 s1, vcc_lo, s1
	s_and_not1_b32 exec_lo, exec_lo, s1
	s_cbranch_execz .LBB239_54
.LBB239_8:                              ; =>This Loop Header: Depth=1
                                        ;     Child Loop BB239_12 Depth 2
	v_dual_mov_b32 v64, v42 :: v_dual_add_nc_u32 v43, 2, v40
	v_mov_b32_e32 v63, v42
	v_mov_b32_e32 v65, v42
	;; [unrolled: 1-line block ×8, first 2 shown]
	s_and_not1_b32 vcc_lo, exec_lo, s14
	s_cbranch_vccnz .LBB239_15
; %bb.9:                                ;   in Loop: Header=BB239_8 Depth=1
	s_waitcnt lgkmcnt(0)
	v_dual_mov_b32 v1, v42 :: v_dual_add_nc_u32 v0, 1, v40
	v_min_u32_e32 v2, s18, v40
	v_min_u32_e32 v4, s18, v43
	v_dual_mov_b32 v3, v42 :: v_dual_mov_b32 v62, v59
	s_delay_alu instid0(VALU_DEP_4) | instskip(NEXT) | instid1(VALU_DEP_4)
	v_min_u32_e32 v0, s18, v0
	v_mul_lo_u32 v41, v2, s5
	s_delay_alu instid0(VALU_DEP_4) | instskip(SKIP_1) | instid1(VALU_DEP_4)
	v_mul_lo_u32 v2, v4, s5
	v_dual_mov_b32 v71, 0 :: v_dual_mov_b32 v70, 0
	v_mul_lo_u32 v0, v0, s5
	v_dual_mov_b32 v69, 0 :: v_dual_mov_b32 v68, 0
	v_dual_mov_b32 v67, 0 :: v_dual_mov_b32 v66, 0
	v_lshlrev_b64 v[44:45], 1, v[41:42]
	v_lshlrev_b64 v[46:47], 1, v[2:3]
	v_dual_mov_b32 v65, 0 :: v_dual_mov_b32 v64, 0
	v_lshlrev_b64 v[48:49], 1, v[0:1]
	v_mov_b32_e32 v63, 0
	s_mov_b32 s21, 0
	s_branch .LBB239_12
.LBB239_10:                             ;   in Loop: Header=BB239_12 Depth=2
	s_or_b32 exec_lo, exec_lo, s23
.LBB239_11:                             ;   in Loop: Header=BB239_12 Depth=2
	s_delay_alu instid0(SALU_CYCLE_1)
	s_or_b32 exec_lo, exec_lo, s22
	s_waitcnt lgkmcnt(1)
	v_and_b32_e32 v73, 0xffff0000, v37
	s_waitcnt vmcnt(4)
	v_and_b32_e32 v82, 0xffff0000, v29
	v_lshlrev_b32_e32 v37, 16, v37
	v_and_b32_e32 v78, 0xffff0000, v34
	v_lshlrev_b32_e32 v29, 16, v29
	s_waitcnt vmcnt(3)
	v_dual_mul_f32 v84, v73, v82 :: v_dual_and_b32 v85, 0xffff0000, v21
	v_and_b32_e32 v77, 0xffff0000, v38
	v_and_b32_e32 v72, 0xffff0000, v32
	v_lshlrev_b32_e32 v38, 16, v38
	v_add_nc_u32_e32 v62, 0x800, v62
	s_addk_i32 s21, 0x400
	v_dual_mul_f32 v79, v77, v78 :: v_dual_and_b32 v74, 0xffff0000, v33
	v_and_b32_e32 v41, 0xffff0000, v36
	v_lshlrev_b32_e32 v36, 16, v36
	s_cmp_ge_u32 s21, s4
	v_fmac_f32_e32 v84, v37, v29
	v_mul_f32_e32 v76, v73, v74
	v_dual_mul_f32 v75, v41, v72 :: v_dual_lshlrev_b32 v34, 16, v34
	s_delay_alu instid0(VALU_DEP_1) | instskip(NEXT) | instid1(VALU_DEP_1)
	v_dual_fmac_f32 v79, v38, v34 :: v_dual_lshlrev_b32 v32, 16, v32
	v_fmac_f32_e32 v75, v36, v32
	s_delay_alu instid0(VALU_DEP_1) | instskip(SKIP_1) | instid1(VALU_DEP_1)
	v_add_f32_e32 v71, v71, v75
	v_and_b32_e32 v75, 0xffff0000, v28
	v_dual_mul_f32 v81, v41, v75 :: v_dual_lshlrev_b32 v28, 16, v28
	s_delay_alu instid0(VALU_DEP_1) | instskip(NEXT) | instid1(VALU_DEP_1)
	v_dual_fmac_f32 v81, v36, v28 :: v_dual_and_b32 v80, 0xffff0000, v35
	v_add_f32_e32 v69, v69, v81
	s_delay_alu instid0(VALU_DEP_1) | instskip(SKIP_2) | instid1(VALU_DEP_1)
	v_dual_add_f32 v69, v69, v84 :: v_dual_and_b32 v84, 0xffff0000, v31
	v_lshlrev_b32_e32 v31, 16, v31
	v_lshlrev_b32_e32 v33, 16, v33
	v_fmac_f32_e32 v76, v37, v33
	s_delay_alu instid0(VALU_DEP_1) | instskip(NEXT) | instid1(VALU_DEP_1)
	v_add_f32_e32 v71, v71, v76
	v_add_f32_e32 v71, v71, v79
	v_and_b32_e32 v79, 0xffff0000, v30
	s_delay_alu instid0(VALU_DEP_1) | instskip(NEXT) | instid1(VALU_DEP_1)
	v_dual_mul_f32 v81, v77, v79 :: v_dual_lshlrev_b32 v30, 16, v30
	v_dual_fmac_f32 v81, v38, v30 :: v_dual_and_b32 v76, 0xffff0000, v39
	s_delay_alu instid0(VALU_DEP_1)
	v_mul_f32_e32 v83, v76, v80
	v_dual_mul_f32 v86, v76, v84 :: v_dual_lshlrev_b32 v39, 16, v39
	v_lshlrev_b32_e32 v21, 16, v21
	v_lshlrev_b32_e32 v35, 16, v35
	v_add_f32_e32 v69, v69, v81
	v_and_b32_e32 v81, 0xffff0000, v25
	s_delay_alu instid0(VALU_DEP_3) | instskip(NEXT) | instid1(VALU_DEP_1)
	v_fmac_f32_e32 v83, v39, v35
	v_add_f32_e32 v71, v71, v83
	v_and_b32_e32 v83, 0xffff0000, v20
	s_delay_alu instid0(VALU_DEP_1) | instskip(NEXT) | instid1(VALU_DEP_1)
	v_dual_mul_f32 v41, v41, v83 :: v_dual_lshlrev_b32 v20, 16, v20
	v_dual_fmac_f32 v41, v36, v20 :: v_dual_mul_f32 v36, v73, v85
	v_fmac_f32_e32 v86, v39, v31
	s_delay_alu instid0(VALU_DEP_2) | instskip(NEXT) | instid1(VALU_DEP_2)
	v_fmac_f32_e32 v36, v37, v21
	v_add_f32_e32 v69, v69, v86
	v_and_b32_e32 v86, 0xffff0000, v26
	v_dual_add_f32 v41, v70, v41 :: v_dual_lshlrev_b32 v26, 16, v26
	v_and_b32_e32 v70, 0xffff0000, v24
	v_lshlrev_b32_e32 v24, 16, v24
	s_delay_alu instid0(VALU_DEP_3) | instskip(SKIP_3) | instid1(VALU_DEP_3)
	v_dual_add_f32 v36, v41, v36 :: v_dual_lshlrev_b32 v25, 16, v25
	v_and_b32_e32 v41, 0xffff0000, v23
	v_and_b32_e32 v73, 0xffff0000, v22
	v_lshlrev_b32_e32 v22, 16, v22
	v_dual_mul_f32 v76, v76, v41 :: v_dual_lshlrev_b32 v23, 16, v23
	s_delay_alu instid0(VALU_DEP_1) | instskip(NEXT) | instid1(VALU_DEP_1)
	v_dual_mul_f32 v37, v77, v73 :: v_dual_fmac_f32 v76, v39, v23
	v_fmac_f32_e32 v37, v38, v22
	s_delay_alu instid0(VALU_DEP_1) | instskip(NEXT) | instid1(VALU_DEP_1)
	v_dual_mul_f32 v77, v70, v72 :: v_dual_add_f32 v36, v36, v37
	v_dual_mul_f32 v37, v70, v75 :: v_dual_add_f32 v36, v36, v76
	s_delay_alu instid0(VALU_DEP_2) | instskip(SKIP_1) | instid1(VALU_DEP_2)
	v_dual_fmac_f32 v77, v24, v32 :: v_dual_mul_f32 v38, v81, v74
	v_mul_f32_e32 v70, v70, v83
	v_add_f32_e32 v68, v68, v77
	s_delay_alu instid0(VALU_DEP_2) | instskip(NEXT) | instid1(VALU_DEP_4)
	v_fmac_f32_e32 v70, v24, v20
	v_dual_fmac_f32 v38, v25, v33 :: v_dual_and_b32 v39, 0xffff0000, v27
	v_mul_f32_e32 v77, v86, v78
	s_delay_alu instid0(VALU_DEP_3) | instskip(NEXT) | instid1(VALU_DEP_3)
	v_add_f32_e32 v66, v66, v70
	v_add_f32_e32 v38, v68, v38
	v_dual_fmac_f32 v37, v24, v28 :: v_dual_mul_f32 v68, v81, v82
	s_delay_alu instid0(VALU_DEP_1) | instskip(NEXT) | instid1(VALU_DEP_2)
	v_add_f32_e32 v37, v67, v37
	v_dual_fmac_f32 v68, v25, v29 :: v_dual_mul_f32 v67, v86, v79
	s_delay_alu instid0(VALU_DEP_1) | instskip(NEXT) | instid1(VALU_DEP_2)
	v_add_f32_e32 v37, v37, v68
	v_dual_mul_f32 v68, v39, v84 :: v_dual_fmac_f32 v67, v26, v30
	s_delay_alu instid0(VALU_DEP_1) | instskip(SKIP_3) | instid1(VALU_DEP_3)
	v_add_f32_e32 v37, v37, v67
	v_and_b32_e32 v67, 0xffff0000, v56
	v_lshlrev_b32_e32 v27, 16, v27
	v_lshlrev_b32_e32 v56, 16, v56
	v_dual_mul_f32 v70, v67, v72 :: v_dual_fmac_f32 v77, v26, v34
	s_delay_alu instid0(VALU_DEP_3) | instskip(NEXT) | instid1(VALU_DEP_2)
	v_fmac_f32_e32 v68, v27, v31
	v_fmac_f32_e32 v70, v56, v32
	s_delay_alu instid0(VALU_DEP_3) | instskip(NEXT) | instid1(VALU_DEP_1)
	v_dual_add_f32 v38, v38, v77 :: v_dual_mul_f32 v77, v39, v80
	v_dual_fmac_f32 v77, v27, v35 :: v_dual_lshlrev_b32 v32, 16, v57
	s_delay_alu instid0(VALU_DEP_1) | instskip(SKIP_1) | instid1(VALU_DEP_1)
	v_add_f32_e32 v24, v38, v77
	v_mul_f32_e32 v38, v81, v85
	v_fmac_f32_e32 v38, v25, v21
	v_mul_f32_e32 v25, v86, v73
	s_delay_alu instid0(VALU_DEP_2) | instskip(NEXT) | instid1(VALU_DEP_2)
	v_add_f32_e32 v38, v66, v38
	v_dual_fmac_f32 v25, v26, v22 :: v_dual_and_b32 v66, 0xffff0000, v57
	s_delay_alu instid0(VALU_DEP_1) | instskip(NEXT) | instid1(VALU_DEP_1)
	v_dual_mul_f32 v26, v39, v41 :: v_dual_mul_f32 v39, v66, v74
	v_dual_add_f32 v25, v38, v25 :: v_dual_fmac_f32 v26, v27, v23
	v_add_f32_e32 v27, v65, v70
	s_waitcnt lgkmcnt(0)
	s_delay_alu instid0(VALU_DEP_3) | instskip(NEXT) | instid1(VALU_DEP_1)
	v_dual_fmac_f32 v39, v32, v33 :: v_dual_and_b32 v38, 0xffff0000, v54
	v_dual_add_f32 v25, v25, v26 :: v_dual_add_f32 v26, v27, v39
	v_mul_f32_e32 v39, v67, v83
	v_mul_f32_e32 v27, v66, v82
	s_delay_alu instid0(VALU_DEP_2) | instskip(SKIP_1) | instid1(VALU_DEP_3)
	v_dual_fmac_f32 v39, v56, v20 :: v_dual_mul_f32 v20, v66, v85
	v_lshlrev_b32_e32 v33, 16, v54
	v_dual_mul_f32 v54, v38, v78 :: v_dual_fmac_f32 v27, v32, v29
	s_delay_alu instid0(VALU_DEP_3) | instskip(SKIP_2) | instid1(VALU_DEP_3)
	v_dual_mul_f32 v29, v38, v79 :: v_dual_fmac_f32 v20, v32, v21
	s_waitcnt vmcnt(2)
	v_and_b32_e32 v32, 0xffff0000, v12
	v_fmac_f32_e32 v54, v33, v34
	v_lshlrev_b32_e32 v34, 16, v55
	v_lshlrev_b32_e32 v12, 16, v12
	s_delay_alu instid0(VALU_DEP_3)
	v_add_f32_e32 v26, v26, v54
	v_dual_fmac_f32 v29, v33, v30 :: v_dual_add_f32 v30, v63, v39
	v_mul_f32_e32 v57, v67, v75
	s_waitcnt vmcnt(1)
	v_and_b32_e32 v39, 0xffff0000, v9
	v_lshlrev_b32_e32 v9, 16, v9
	v_and_b32_e32 v54, 0xffff0000, v10
	v_add_f32_e32 v20, v30, v20
	v_dual_fmac_f32 v57, v56, v28 :: v_dual_and_b32 v28, 0xffff0000, v55
	v_and_b32_e32 v30, 0xffff0000, v16
	v_lshlrev_b32_e32 v16, 16, v16
	s_delay_alu instid0(VALU_DEP_3) | instskip(NEXT) | instid1(VALU_DEP_4)
	v_dual_add_f32 v55, v64, v57 :: v_dual_lshlrev_b32 v10, 16, v10
	v_mul_f32_e32 v57, v28, v80
	s_delay_alu instid0(VALU_DEP_2) | instskip(NEXT) | instid1(VALU_DEP_2)
	v_add_f32_e32 v27, v55, v27
	v_fmac_f32_e32 v57, v34, v35
	s_waitcnt vmcnt(0)
	v_and_b32_e32 v55, 0xffff0000, v0
	v_lshlrev_b32_e32 v0, 16, v0
	s_delay_alu instid0(VALU_DEP_3) | instskip(SKIP_2) | instid1(VALU_DEP_1)
	v_add_f32_e32 v26, v26, v57
	v_add_f32_e32 v21, v27, v29
	v_mul_f32_e32 v29, v28, v84
	v_dual_mul_f32 v28, v28, v41 :: v_dual_fmac_f32 v29, v34, v31
	s_delay_alu instid0(VALU_DEP_1)
	v_fmac_f32_e32 v28, v34, v23
	v_mul_f32_e32 v27, v38, v73
	v_and_b32_e32 v23, 0xffff0000, v18
	v_and_b32_e32 v34, 0xffff0000, v14
	v_lshlrev_b32_e32 v18, 16, v18
	v_lshlrev_b32_e32 v14, 16, v14
	v_fmac_f32_e32 v27, v33, v22
	v_add_f32_e32 v37, v37, v68
	v_mul_f32_e32 v22, v30, v32
	s_delay_alu instid0(VALU_DEP_3) | instskip(NEXT) | instid1(VALU_DEP_2)
	v_add_f32_e32 v20, v20, v27
	v_fmac_f32_e32 v22, v16, v12
	s_delay_alu instid0(VALU_DEP_2) | instskip(SKIP_4) | instid1(VALU_DEP_4)
	v_add_f32_e32 v20, v20, v28
	v_and_b32_e32 v28, 0xffff0000, v8
	v_and_b32_e32 v27, 0xffff0000, v17
	v_lshlrev_b32_e32 v8, 16, v8
	v_add_f32_e32 v22, v71, v22
	v_mul_f32_e32 v38, v30, v28
	v_dual_mul_f32 v30, v30, v55 :: v_dual_mul_f32 v35, v23, v34
	v_lshlrev_b32_e32 v17, 16, v17
	v_dual_add_f32 v21, v21, v29 :: v_dual_mul_f32 v56, v23, v54
	s_delay_alu instid0(VALU_DEP_3) | instskip(SKIP_2) | instid1(VALU_DEP_4)
	v_dual_fmac_f32 v38, v16, v8 :: v_dual_fmac_f32 v35, v18, v14
	v_and_b32_e32 v31, 0xffff0000, v13
	v_lshlrev_b32_e32 v13, 16, v13
	v_dual_fmac_f32 v56, v18, v10 :: v_dual_and_b32 v29, 0xffff0000, v19
	s_delay_alu instid0(VALU_DEP_3) | instskip(SKIP_1) | instid1(VALU_DEP_1)
	v_dual_add_f32 v38, v69, v38 :: v_dual_mul_f32 v33, v27, v31
	v_dual_fmac_f32 v30, v16, v0 :: v_dual_lshlrev_b32 v19, 16, v19
	v_dual_fmac_f32 v33, v17, v13 :: v_dual_add_f32 v30, v36, v30
	s_delay_alu instid0(VALU_DEP_1) | instskip(NEXT) | instid1(VALU_DEP_1)
	v_add_f32_e32 v22, v22, v33
	v_add_f32_e32 v22, v22, v35
	v_mul_f32_e32 v35, v27, v39
	s_delay_alu instid0(VALU_DEP_1) | instskip(NEXT) | instid1(VALU_DEP_1)
	v_fmac_f32_e32 v35, v17, v9
	v_dual_add_f32 v35, v38, v35 :: v_dual_and_b32 v38, 0xffff0000, v1
	v_and_b32_e32 v33, 0xffff0000, v15
	v_lshlrev_b32_e32 v1, 16, v1
	s_delay_alu instid0(VALU_DEP_3) | instskip(SKIP_1) | instid1(VALU_DEP_4)
	v_dual_mul_f32 v16, v27, v38 :: v_dual_lshlrev_b32 v15, 16, v15
	v_and_b32_e32 v27, 0xffff0000, v2
	v_dual_mul_f32 v41, v29, v33 :: v_dual_lshlrev_b32 v2, 16, v2
	s_delay_alu instid0(VALU_DEP_2) | instskip(SKIP_2) | instid1(VALU_DEP_4)
	v_dual_fmac_f32 v16, v17, v1 :: v_dual_mul_f32 v17, v23, v27
	v_add_f32_e32 v23, v35, v56
	v_and_b32_e32 v35, 0xffff0000, v4
	v_dual_fmac_f32 v41, v19, v15 :: v_dual_lshlrev_b32 v4, 16, v4
	s_delay_alu instid0(VALU_DEP_4) | instskip(SKIP_1) | instid1(VALU_DEP_4)
	v_fmac_f32_e32 v17, v18, v2
	v_add_f32_e32 v16, v30, v16
	v_mul_f32_e32 v18, v35, v32
	s_delay_alu instid0(VALU_DEP_2) | instskip(NEXT) | instid1(VALU_DEP_2)
	v_add_f32_e32 v16, v16, v17
	v_dual_fmac_f32 v18, v4, v12 :: v_dual_and_b32 v57, 0xffff0000, v11
	s_delay_alu instid0(VALU_DEP_1) | instskip(SKIP_3) | instid1(VALU_DEP_3)
	v_dual_add_f32 v18, v24, v18 :: v_dual_mul_f32 v63, v29, v57
	v_and_b32_e32 v24, 0xffff0000, v6
	v_lshlrev_b32_e32 v11, 16, v11
	v_lshlrev_b32_e32 v6, 16, v6
	v_mul_f32_e32 v36, v24, v34
	s_delay_alu instid0(VALU_DEP_1) | instskip(SKIP_1) | instid1(VALU_DEP_1)
	v_fmac_f32_e32 v36, v6, v14
	v_mul_f32_e32 v30, v35, v28
	v_dual_fmac_f32 v30, v4, v8 :: v_dual_add_f32 v71, v22, v41
	v_and_b32_e32 v22, 0xffff0000, v5
	s_delay_alu instid0(VALU_DEP_2) | instskip(NEXT) | instid1(VALU_DEP_2)
	v_dual_add_f32 v30, v37, v30 :: v_dual_lshlrev_b32 v5, 16, v5
	v_mul_f32_e32 v17, v22, v31
	v_mul_f32_e32 v41, v22, v39
	;; [unrolled: 1-line block ×4, first 2 shown]
	s_delay_alu instid0(VALU_DEP_4) | instskip(NEXT) | instid1(VALU_DEP_1)
	v_dual_mul_f32 v24, v24, v27 :: v_dual_fmac_f32 v17, v5, v13
	v_dual_fmac_f32 v41, v5, v9 :: v_dual_fmac_f32 v24, v6, v2
	s_delay_alu instid0(VALU_DEP_2) | instskip(SKIP_2) | instid1(VALU_DEP_3)
	v_dual_add_f32 v17, v18, v17 :: v_dual_and_b32 v18, 0xffff0000, v7
	v_fmac_f32_e32 v63, v19, v11
	v_lshlrev_b32_e32 v7, 16, v7
	v_dual_add_f32 v17, v17, v36 :: v_dual_mul_f32 v56, v18, v33
	s_delay_alu instid0(VALU_DEP_3) | instskip(NEXT) | instid1(VALU_DEP_2)
	v_add_f32_e32 v69, v23, v63
	v_fmac_f32_e32 v56, v7, v15
	v_and_b32_e32 v23, 0xffff0000, v3
	s_delay_alu instid0(VALU_DEP_2) | instskip(NEXT) | instid1(VALU_DEP_2)
	v_dual_add_f32 v68, v17, v56 :: v_dual_lshlrev_b32 v3, 16, v3
	v_mul_f32_e32 v29, v29, v23
	s_delay_alu instid0(VALU_DEP_1) | instskip(SKIP_2) | instid1(VALU_DEP_3)
	v_fmac_f32_e32 v29, v19, v3
	v_dual_add_f32 v19, v30, v41 :: v_dual_mul_f32 v30, v35, v55
	v_fmac_f32_e32 v22, v5, v1
	v_add_f32_e32 v70, v16, v29
	v_and_b32_e32 v16, 0xffff0000, v52
	s_delay_alu instid0(VALU_DEP_4) | instskip(SKIP_1) | instid1(VALU_DEP_2)
	v_dual_fmac_f32 v30, v4, v0 :: v_dual_fmac_f32 v37, v6, v10
	v_mul_f32_e32 v6, v18, v23
	v_dual_add_f32 v25, v25, v30 :: v_dual_lshlrev_b32 v4, 16, v52
	s_delay_alu instid0(VALU_DEP_2) | instskip(NEXT) | instid1(VALU_DEP_4)
	v_fmac_f32_e32 v6, v7, v3
	v_add_f32_e32 v17, v19, v37
	v_dual_mul_f32 v19, v16, v32 :: v_dual_and_b32 v32, 0xffff0000, v53
	s_delay_alu instid0(VALU_DEP_4) | instskip(SKIP_1) | instid1(VALU_DEP_3)
	v_add_f32_e32 v22, v25, v22
	v_and_b32_e32 v5, 0xffff0000, v50
	v_dual_fmac_f32 v19, v4, v12 :: v_dual_lshlrev_b32 v12, 16, v53
	s_delay_alu instid0(VALU_DEP_4) | instskip(NEXT) | instid1(VALU_DEP_2)
	v_mul_f32_e32 v30, v32, v31
	v_dual_add_f32 v19, v26, v19 :: v_dual_mul_f32 v26, v5, v34
	s_delay_alu instid0(VALU_DEP_2) | instskip(SKIP_2) | instid1(VALU_DEP_3)
	v_fmac_f32_e32 v30, v12, v13
	v_mul_f32_e32 v29, v18, v57
	v_lshlrev_b32_e32 v13, 16, v50
	v_add_f32_e32 v18, v19, v30
	s_delay_alu instid0(VALU_DEP_3) | instskip(SKIP_4) | instid1(VALU_DEP_4)
	v_fmac_f32_e32 v29, v7, v11
	v_mul_f32_e32 v7, v16, v28
	v_mul_f32_e32 v16, v16, v55
	v_fmac_f32_e32 v26, v13, v14
	v_add_f32_e32 v14, v22, v24
	v_dual_fmac_f32 v7, v4, v8 :: v_dual_lshlrev_b32 v22, 16, v51
	v_mul_f32_e32 v8, v32, v39
	v_dual_fmac_f32 v16, v4, v0 :: v_dual_and_b32 v19, 0xffff0000, v51
	v_mul_f32_e32 v0, v32, v38
	v_add_f32_e32 v18, v18, v26
	s_delay_alu instid0(VALU_DEP_4) | instskip(NEXT) | instid1(VALU_DEP_4)
	v_fmac_f32_e32 v8, v12, v9
	v_mul_f32_e32 v24, v19, v33
	v_dual_add_f32 v4, v21, v7 :: v_dual_add_f32 v9, v20, v16
	v_dual_mul_f32 v7, v5, v54 :: v_dual_fmac_f32 v0, v12, v1
	s_delay_alu instid0(VALU_DEP_2) | instskip(SKIP_1) | instid1(VALU_DEP_3)
	v_dual_mul_f32 v1, v5, v27 :: v_dual_add_f32 v4, v4, v8
	v_mul_f32_e32 v5, v19, v57
	v_fmac_f32_e32 v7, v13, v10
	s_delay_alu instid0(VALU_DEP_4) | instskip(NEXT) | instid1(VALU_DEP_4)
	v_add_f32_e32 v0, v9, v0
	v_dual_fmac_f32 v1, v13, v2 :: v_dual_mul_f32 v2, v19, v23
	v_dual_fmac_f32 v24, v22, v15 :: v_dual_add_f32 v67, v17, v29
	s_delay_alu instid0(VALU_DEP_4) | instskip(NEXT) | instid1(VALU_DEP_3)
	v_add_f32_e32 v4, v4, v7
	v_dual_fmac_f32 v5, v22, v11 :: v_dual_add_f32 v0, v0, v1
	s_delay_alu instid0(VALU_DEP_4) | instskip(SKIP_1) | instid1(VALU_DEP_3)
	v_fmac_f32_e32 v2, v22, v3
	v_add_f32_e32 v66, v14, v6
	v_dual_add_f32 v65, v18, v24 :: v_dual_add_f32 v64, v4, v5
	s_delay_alu instid0(VALU_DEP_3)
	v_add_f32_e32 v63, v0, v2
	s_cbranch_scc1 .LBB239_15
.LBB239_12:                             ;   Parent Loop BB239_8 Depth=1
                                        ; =>  This Inner Loop Header: Depth=2
	v_dual_mov_b32 v51, 0 :: v_dual_add_nc_u32 v18, s21, v58
	v_mov_b32_e32 v50, 0
	v_mov_b32_e32 v52, 0
	v_dual_mov_b32 v54, 0 :: v_dual_mov_b32 v27, 0
	s_delay_alu instid0(VALU_DEP_4) | instskip(SKIP_2) | instid1(VALU_DEP_3)
	v_min_u32_e32 v41, s15, v18
	v_dual_mov_b32 v53, 0 :: v_dual_add_nc_u32 v72, 0x200, v18
	v_dual_mov_b32 v56, 0 :: v_dual_mov_b32 v25, 0
	v_lshlrev_b64 v[0:1], 1, v[41:42]
	s_delay_alu instid0(VALU_DEP_3) | instskip(SKIP_3) | instid1(VALU_DEP_4)
	v_min_u32_e32 v41, s15, v72
	v_dual_mov_b32 v26, 0 :: v_dual_mov_b32 v39, 0
	v_dual_mov_b32 v24, 0 :: v_dual_mov_b32 v37, 0
	s_waitcnt lgkmcnt(0)
	v_add_co_u32 v6, vcc_lo, s2, v0
	v_add_co_ci_u32_e32 v7, vcc_lo, s3, v1, vcc_lo
	v_lshlrev_b64 v[0:1], 1, v[41:42]
	s_delay_alu instid0(VALU_DEP_3) | instskip(NEXT) | instid1(VALU_DEP_3)
	v_add_co_u32 v2, vcc_lo, v6, v44
	v_add_co_ci_u32_e32 v3, vcc_lo, v7, v45, vcc_lo
	v_add_co_u32 v4, vcc_lo, v6, v48
	v_add_co_ci_u32_e32 v5, vcc_lo, v7, v49, vcc_lo
	;; [unrolled: 2-line block ×4, first 2 shown]
	s_delay_alu instid0(VALU_DEP_4) | instskip(NEXT) | instid1(VALU_DEP_4)
	v_add_co_u32 v6, vcc_lo, v10, v44
	v_add_co_ci_u32_e32 v7, vcc_lo, v11, v45, vcc_lo
	v_add_co_u32 v8, vcc_lo, v10, v48
	v_add_co_ci_u32_e32 v9, vcc_lo, v11, v49, vcc_lo
	;; [unrolled: 2-line block ×3, first 2 shown]
	s_clause 0x5
	global_load_b128 v[32:35], v[2:3], off slc dlc
	global_load_b128 v[28:31], v[4:5], off slc dlc
	;; [unrolled: 1-line block ×6, first 2 shown]
	v_cmp_gt_u32_e32 vcc_lo, s4, v18
	v_dual_mov_b32 v7, 0 :: v_dual_mov_b32 v6, 0
	v_mov_b32_e32 v19, 0
	v_dual_mov_b32 v5, 0 :: v_dual_mov_b32 v4, 0
	v_dual_mov_b32 v17, 0 :: v_dual_mov_b32 v18, 0
	;; [unrolled: 1-line block ×4, first 2 shown]
	v_mov_b32_e32 v36, 0
	s_and_saveexec_b32 s22, vcc_lo
	s_cbranch_execz .LBB239_11
; %bb.13:                               ;   in Loop: Header=BB239_12 Depth=2
	v_dual_mov_b32 v16, 0 :: v_dual_add_nc_u32 v41, s6, v62
	v_dual_mov_b32 v18, 0 :: v_dual_add_nc_u32 v73, s17, v62
	v_dual_mov_b32 v17, 0 :: v_dual_mov_b32 v4, 0
	ds_load_b128 v[24:27], v41
	ds_load_2addr_b32 v[56:57], v73 offset1:1
	ds_load_b128 v[36:39], v62
	ds_load_2addr_b32 v[54:55], v73 offset0:2 offset1:3
	v_dual_mov_b32 v19, 0 :: v_dual_mov_b32 v6, 0
	v_dual_mov_b32 v5, 0 :: v_dual_mov_b32 v52, 0
	;; [unrolled: 1-line block ×3, first 2 shown]
	v_mov_b32_e32 v53, 0
	v_mov_b32_e32 v51, 0
	s_mov_b32 s23, exec_lo
	v_cmpx_gt_u32_e64 s4, v72
	s_cbranch_execz .LBB239_10
; %bb.14:                               ;   in Loop: Header=BB239_12 Depth=2
	v_add_nc_u32_e32 v16, 0x400, v73
	v_add_nc_u32_e32 v50, 0x408, v73
	ds_load_b128 v[4:7], v41 offset:1024
	ds_load_2addr_b32 v[52:53], v16 offset1:1
	ds_load_b128 v[16:19], v62 offset:1024
	ds_load_2addr_b32 v[50:51], v50 offset1:1
	s_branch .LBB239_10
.LBB239_15:                             ;   in Loop: Header=BB239_8 Depth=1
	; sched_barrier mask(0x00000000)
	v_cvt_i32_f32_e32 v2, v70
	s_waitcnt lgkmcnt(0)
	v_cvt_i32_f32_e32 v3, v68
	v_cvt_i32_f32_e32 v0, v71
	v_cvt_i32_f32_e32 v1, v69
	v_cvt_i32_f32_e32 v8, v67
	v_cvt_f32_i32_dpp v2, v2 row_shr:8 row_mask:0xf bank_mask:0xf bound_ctrl:1
	v_cvt_f32_i32_dpp v3, v3 row_shr:8 row_mask:0xf bank_mask:0xf bound_ctrl:1
	;; [unrolled: 1-line block ×4, first 2 shown]
	v_cvt_i32_f32_e32 v9, v66
	s_delay_alu instid0(VALU_DEP_4) | instskip(NEXT) | instid1(VALU_DEP_3)
	v_dual_add_f32 v2, v70, v2 :: v_dual_add_f32 v3, v68, v3
	v_dual_add_f32 v0, v71, v0 :: v_dual_add_f32 v1, v69, v1
	v_cvt_i32_f32_e32 v14, v63
	s_delay_alu instid0(VALU_DEP_3) | instskip(NEXT) | instid1(VALU_DEP_4)
	v_cvt_i32_f32_e32 v6, v2
	v_cvt_i32_f32_e32 v7, v3
	s_delay_alu instid0(VALU_DEP_4)
	v_cvt_i32_f32_e32 v4, v0
	v_cvt_i32_f32_e32 v5, v1
	v_cvt_f32_i32_dpp v9, v9 row_shr:8 row_mask:0xf bank_mask:0xf bound_ctrl:1
	v_cvt_f32_i32_dpp v6, v6 row_shr:4 row_mask:0xf bank_mask:0xf bound_ctrl:1
	;; [unrolled: 1-line block ×5, first 2 shown]
	v_cvt_i32_f32_e32 v12, v64
	s_delay_alu instid0(VALU_DEP_4) | instskip(NEXT) | instid1(VALU_DEP_3)
	v_dual_add_f32 v2, v2, v6 :: v_dual_add_f32 v3, v3, v7
	v_dual_add_f32 v0, v0, v4 :: v_dual_add_f32 v1, v1, v5
	v_cvt_i32_f32_e32 v4, v65
	s_delay_alu instid0(VALU_DEP_3) | instskip(NEXT) | instid1(VALU_DEP_4)
	v_cvt_i32_f32_e32 v7, v2
	v_cvt_i32_f32_e32 v10, v3
	s_delay_alu instid0(VALU_DEP_4)
	v_cvt_i32_f32_e32 v5, v0
	v_cvt_i32_f32_e32 v6, v1
	v_cvt_f32_i32_dpp v4, v4 row_shr:8 row_mask:0xf bank_mask:0xf bound_ctrl:1
	v_cvt_f32_i32_dpp v7, v7 row_shr:2 row_mask:0xf bank_mask:0xf bound_ctrl:1
	v_cvt_f32_i32_dpp v10, v10 row_shr:2 row_mask:0xf bank_mask:0xf bound_ctrl:1
	v_cvt_f32_i32_dpp v5, v5 row_shr:2 row_mask:0xf bank_mask:0xf bound_ctrl:1
	v_cvt_f32_i32_dpp v6, v6 row_shr:2 row_mask:0xf bank_mask:0xf bound_ctrl:1
	v_add_f32_e32 v4, v65, v4
	s_delay_alu instid0(VALU_DEP_4) | instskip(NEXT) | instid1(VALU_DEP_3)
	v_dual_add_f32 v2, v2, v7 :: v_dual_add_f32 v3, v3, v10
	v_dual_add_f32 v0, v0, v5 :: v_dual_add_f32 v1, v1, v6
	v_cvt_f32_i32_dpp v5, v8 row_shr:8 row_mask:0xf bank_mask:0xf bound_ctrl:1
	s_delay_alu instid0(VALU_DEP_3) | instskip(NEXT) | instid1(VALU_DEP_4)
	v_cvt_i32_f32_e32 v8, v2
	v_cvt_i32_f32_e32 v10, v3
	s_delay_alu instid0(VALU_DEP_4)
	v_cvt_i32_f32_e32 v6, v0
	v_cvt_i32_f32_e32 v7, v1
	v_add_f32_e32 v5, v67, v5
	v_cvt_f32_i32_dpp v8, v8 row_shr:1 row_mask:0xf bank_mask:0xf bound_ctrl:1
	v_cvt_f32_i32_dpp v10, v10 row_shr:1 row_mask:0xf bank_mask:0xf bound_ctrl:1
	;; [unrolled: 1-line block ×4, first 2 shown]
	s_delay_alu instid0(VALU_DEP_3) | instskip(SKIP_1) | instid1(VALU_DEP_3)
	v_dual_add_f32 v16, v2, v8 :: v_dual_add_f32 v11, v3, v10
	v_cvt_f32_i32_dpp v3, v14 row_shr:8 row_mask:0xf bank_mask:0xf bound_ctrl:1
	v_dual_add_f32 v19, v0, v6 :: v_dual_add_f32 v0, v1, v7
	v_add_f32_e32 v6, v66, v9
	v_cvt_f32_i32_dpp v2, v12 row_shr:8 row_mask:0xf bank_mask:0xf bound_ctrl:1
	s_delay_alu instid0(VALU_DEP_4)
	v_add_f32_e32 v3, v63, v3
	v_cvt_i32_f32_e32 v7, v5
	v_cvt_i32_f32_e32 v9, v4
	;; [unrolled: 1-line block ×3, first 2 shown]
	ds_bpermute_b32 v21, v60, v19
	v_cvt_i32_f32_e32 v12, v3
	v_cvt_f32_i32_dpp v7, v7 row_shr:4 row_mask:0xf bank_mask:0xf bound_ctrl:1
	v_add_f32_e32 v2, v64, v2
	v_cvt_f32_i32_dpp v9, v9 row_shr:4 row_mask:0xf bank_mask:0xf bound_ctrl:1
	v_cvt_f32_i32_dpp v8, v8 row_shr:4 row_mask:0xf bank_mask:0xf bound_ctrl:1
	;; [unrolled: 1-line block ×3, first 2 shown]
	v_add_f32_e32 v5, v5, v7
	v_cvt_i32_f32_e32 v10, v2
	v_add_f32_e32 v4, v4, v9
	ds_bpermute_b32 v1, v60, v0
	v_add_f32_e32 v3, v3, v12
	v_cvt_i32_f32_e32 v7, v5
	v_cvt_f32_i32_dpp v10, v10 row_shr:4 row_mask:0xf bank_mask:0xf bound_ctrl:1
	v_cvt_i32_f32_e32 v9, v4
	ds_bpermute_b32 v17, v60, v16
	v_cvt_i32_f32_e32 v12, v3
	v_cvt_f32_i32_dpp v7, v7 row_shr:2 row_mask:0xf bank_mask:0xf bound_ctrl:1
	v_add_f32_e32 v6, v6, v8
	v_cvt_f32_i32_dpp v9, v9 row_shr:2 row_mask:0xf bank_mask:0xf bound_ctrl:1
	ds_bpermute_b32 v13, v60, v11
	v_cvt_f32_i32_dpp v12, v12 row_shr:2 row_mask:0xf bank_mask:0xf bound_ctrl:1
	v_dual_add_f32 v5, v5, v7 :: v_dual_add_f32 v2, v2, v10
	v_cvt_i32_f32_e32 v8, v6
	s_delay_alu instid0(VALU_DEP_3) | instskip(NEXT) | instid1(VALU_DEP_3)
	v_dual_add_f32 v4, v4, v9 :: v_dual_add_f32 v3, v3, v12
	v_cvt_i32_f32_e32 v7, v5
	s_delay_alu instid0(VALU_DEP_4) | instskip(NEXT) | instid1(VALU_DEP_4)
	v_cvt_i32_f32_e32 v10, v2
	v_cvt_f32_i32_dpp v8, v8 row_shr:2 row_mask:0xf bank_mask:0xf bound_ctrl:1
	s_delay_alu instid0(VALU_DEP_4)
	v_cvt_i32_f32_e32 v9, v4
	v_cvt_i32_f32_e32 v12, v3
	v_cvt_f32_i32_dpp v7, v7 row_shr:1 row_mask:0xf bank_mask:0xf bound_ctrl:1
	v_cvt_f32_i32_dpp v10, v10 row_shr:2 row_mask:0xf bank_mask:0xf bound_ctrl:1
	v_add_f32_e32 v6, v6, v8
	v_cvt_f32_i32_dpp v9, v9 row_shr:1 row_mask:0xf bank_mask:0xf bound_ctrl:1
	v_cvt_f32_i32_dpp v14, v12 row_shr:1 row_mask:0xf bank_mask:0xf bound_ctrl:1
	v_add_f32_e32 v12, v5, v7
	v_add_f32_e32 v2, v2, v10
	v_cvt_i32_f32_e32 v8, v6
	s_delay_alu instid0(VALU_DEP_2) | instskip(NEXT) | instid1(VALU_DEP_2)
	v_cvt_i32_f32_e32 v10, v2
	v_cvt_f32_i32_dpp v8, v8 row_shr:1 row_mask:0xf bank_mask:0xf bound_ctrl:1
	s_delay_alu instid0(VALU_DEP_2) | instskip(NEXT) | instid1(VALU_DEP_2)
	v_cvt_f32_i32_dpp v10, v10 row_shr:1 row_mask:0xf bank_mask:0xf bound_ctrl:1
	v_add_f32_e32 v8, v6, v8
	v_add_f32_e32 v6, v4, v9
	s_delay_alu instid0(VALU_DEP_3)
	v_add_f32_e32 v4, v2, v10
	v_add_f32_e32 v2, v3, v14
	ds_bpermute_b32 v14, v60, v12
	ds_bpermute_b32 v9, v60, v8
	;; [unrolled: 1-line block ×5, first 2 shown]
	s_and_saveexec_b32 s21, s0
	s_cbranch_execz .LBB239_7
; %bb.16:                               ;   in Loop: Header=BB239_8 Depth=1
	v_dual_mov_b32 v26, 0 :: v_dual_mov_b32 v25, 0
	v_dual_mov_b32 v24, 0 :: v_dual_mov_b32 v23, 0
	;; [unrolled: 1-line block ×3, first 2 shown]
	v_mov_b32_e32 v20, 0
	v_mov_b32_e32 v18, 0
	v_mov_b32_e32 v10, 0
	s_and_not1_b32 vcc_lo, exec_lo, s19
	s_cbranch_vccnz .LBB239_18
; %bb.17:                               ;   in Loop: Header=BB239_8 Depth=1
	v_dual_mov_b32 v23, v42 :: v_dual_add_nc_u32 v10, 1, v40
	v_mul_hi_u32 v15, v40, v61
	v_mul_hi_u32 v18, v43, v61
	v_mov_b32_e32 v27, v42
	s_delay_alu instid0(VALU_DEP_4) | instskip(NEXT) | instid1(VALU_DEP_4)
	v_mul_hi_u32 v20, v10, v61
	v_mul_lo_u32 v15, v15, s8
	s_delay_alu instid0(VALU_DEP_4) | instskip(NEXT) | instid1(VALU_DEP_3)
	v_mul_lo_u32 v18, v18, s8
	v_mul_lo_u32 v20, v20, s8
	s_delay_alu instid0(VALU_DEP_3) | instskip(NEXT) | instid1(VALU_DEP_3)
	v_sub_nc_u32_e32 v15, v40, v15
	v_sub_nc_u32_e32 v18, v43, v18
	s_delay_alu instid0(VALU_DEP_3) | instskip(NEXT) | instid1(VALU_DEP_3)
	v_sub_nc_u32_e32 v10, v10, v20
	v_subrev_nc_u32_e32 v20, s8, v15
	v_cmp_le_u32_e32 vcc_lo, s8, v15
	s_delay_alu instid0(VALU_DEP_4) | instskip(NEXT) | instid1(VALU_DEP_4)
	v_subrev_nc_u32_e32 v22, s8, v18
	v_subrev_nc_u32_e32 v24, s8, v10
	s_delay_alu instid0(VALU_DEP_4) | instskip(SKIP_1) | instid1(VALU_DEP_4)
	v_cndmask_b32_e32 v15, v15, v20, vcc_lo
	v_cmp_le_u32_e32 vcc_lo, s8, v18
	v_cndmask_b32_e32 v18, v18, v22, vcc_lo
	v_cmp_le_u32_e32 vcc_lo, s8, v10
	s_delay_alu instid0(VALU_DEP_4) | instskip(NEXT) | instid1(VALU_DEP_3)
	v_subrev_nc_u32_e32 v20, s8, v15
	v_subrev_nc_u32_e32 v22, s8, v18
	v_cndmask_b32_e32 v10, v10, v24, vcc_lo
	v_cmp_le_u32_e32 vcc_lo, s8, v15
	v_mov_b32_e32 v28, v42
	s_delay_alu instid0(VALU_DEP_3) | instskip(SKIP_3) | instid1(VALU_DEP_3)
	v_subrev_nc_u32_e32 v26, s8, v10
	v_cndmask_b32_e32 v41, v15, v20, vcc_lo
	v_cmp_le_u32_e32 vcc_lo, s8, v18
	v_mov_b32_e32 v25, v42
	v_lshlrev_b64 v[31:32], 1, v[41:42]
	v_cndmask_b32_e32 v24, v18, v22, vcc_lo
	v_cmp_le_u32_e32 vcc_lo, s8, v10
	v_cndmask_b32_e32 v22, v10, v26, vcc_lo
	v_add_nc_u32_e32 v26, s16, v41
	v_add_nc_u32_e32 v41, s20, v41
	v_lshlrev_b64 v[33:34], 1, v[24:25]
	v_add_co_u32 v31, vcc_lo, s10, v31
	v_lshlrev_b64 v[35:36], 1, v[22:23]
	v_add_co_ci_u32_e32 v32, vcc_lo, s11, v32, vcc_lo
	v_lshlrev_b64 v[25:26], 1, v[26:27]
	v_add_co_u32 v33, vcc_lo, s10, v33
	v_add_nc_u32_e32 v27, s16, v22
	v_add_co_ci_u32_e32 v34, vcc_lo, s11, v34, vcc_lo
	v_dual_mov_b32 v30, v42 :: v_dual_add_nc_u32 v29, s16, v24
	v_add_co_u32 v35, vcc_lo, s10, v35
	v_add_co_ci_u32_e32 v36, vcc_lo, s11, v36, vcc_lo
	v_lshlrev_b64 v[27:28], 1, v[27:28]
	v_add_co_u32 v37, vcc_lo, s10, v25
	v_add_co_ci_u32_e32 v38, vcc_lo, s11, v26, vcc_lo
	v_lshlrev_b64 v[25:26], 1, v[29:30]
	v_lshlrev_b64 v[29:30], 1, v[41:42]
	v_add_nc_u32_e32 v41, s20, v22
	v_add_co_u32 v27, vcc_lo, s10, v27
	v_add_co_ci_u32_e32 v28, vcc_lo, s11, v28, vcc_lo
	s_delay_alu instid0(VALU_DEP_3) | instskip(SKIP_4) | instid1(VALU_DEP_4)
	v_lshlrev_b64 v[22:23], 1, v[41:42]
	v_add_nc_u32_e32 v41, s20, v24
	v_add_co_u32 v44, vcc_lo, s10, v25
	v_add_co_ci_u32_e32 v45, vcc_lo, s11, v26, vcc_lo
	v_add_co_u32 v29, vcc_lo, s10, v29
	v_lshlrev_b64 v[24:25], 1, v[41:42]
	v_add_co_ci_u32_e32 v30, vcc_lo, s11, v30, vcc_lo
	v_add_co_u32 v46, vcc_lo, s10, v22
	v_add_co_ci_u32_e32 v47, vcc_lo, s11, v23, vcc_lo
	s_delay_alu instid0(VALU_DEP_4)
	v_add_co_u32 v48, vcc_lo, s10, v24
	v_add_co_ci_u32_e32 v49, vcc_lo, s11, v25, vcc_lo
	s_clause 0x8
	global_load_u16 v26, v[31:32], off
	global_load_u16 v25, v[35:36], off
	;; [unrolled: 1-line block ×9, first 2 shown]
.LBB239_18:                             ;   in Loop: Header=BB239_8 Depth=1
	s_waitcnt lgkmcnt(0)
	v_add_f32_e32 v19, v19, v21
	s_waitcnt vmcnt(8)
	v_lshlrev_b32_e32 v21, 16, v26
	s_delay_alu instid0(VALU_DEP_1) | instskip(NEXT) | instid1(VALU_DEP_1)
	v_add_f32_e32 v21, v19, v21
	v_and_b32_e32 v19, 0x7f800000, v21
	s_delay_alu instid0(VALU_DEP_1) | instskip(SKIP_1) | instid1(SALU_CYCLE_1)
	v_cmp_ne_u32_e32 vcc_lo, 0x7f800000, v19
                                        ; implicit-def: $vgpr19
	s_and_saveexec_b32 s22, vcc_lo
	s_xor_b32 s22, exec_lo, s22
; %bb.19:                               ;   in Loop: Header=BB239_8 Depth=1
	v_bfe_u32 v19, v21, 16, 1
	s_delay_alu instid0(VALU_DEP_1)
	v_add3_u32 v19, v21, v19, 0x7fff
                                        ; implicit-def: $vgpr21
; %bb.20:                               ;   in Loop: Header=BB239_8 Depth=1
	s_and_not1_saveexec_b32 s22, s22
; %bb.21:                               ;   in Loop: Header=BB239_8 Depth=1
	v_and_b32_e32 v19, 0xffff, v21
	v_or_b32_e32 v26, 0x10000, v21
	s_delay_alu instid0(VALU_DEP_2) | instskip(NEXT) | instid1(VALU_DEP_2)
	v_cmp_eq_u32_e32 vcc_lo, 0, v19
	v_cndmask_b32_e32 v19, v26, v21, vcc_lo
; %bb.22:                               ;   in Loop: Header=BB239_8 Depth=1
	s_or_b32 exec_lo, exec_lo, s22
	v_dual_add_f32 v0, v0, v1 :: v_dual_mov_b32 v41, v42
	s_waitcnt vmcnt(7)
	v_lshlrev_b32_e32 v1, 16, v25
	s_mov_b32 s22, exec_lo
	s_delay_alu instid0(VALU_DEP_1) | instskip(SKIP_1) | instid1(VALU_DEP_2)
	v_add_f32_e32 v21, v0, v1
	v_lshlrev_b64 v[0:1], 1, v[40:41]
	v_and_b32_e32 v25, 0x7f800000, v21
	s_delay_alu instid0(VALU_DEP_2) | instskip(NEXT) | instid1(VALU_DEP_3)
	v_add_co_u32 v0, vcc_lo, s12, v0
	v_add_co_ci_u32_e32 v1, vcc_lo, s13, v1, vcc_lo
	global_store_d16_hi_b16 v[0:1], v19, off
                                        ; implicit-def: $vgpr19
	v_cmpx_ne_u32_e32 0x7f800000, v25
	s_xor_b32 s22, exec_lo, s22
; %bb.23:                               ;   in Loop: Header=BB239_8 Depth=1
	v_bfe_u32 v19, v21, 16, 1
	s_delay_alu instid0(VALU_DEP_1)
	v_add3_u32 v19, v21, v19, 0x7fff
                                        ; implicit-def: $vgpr21
; %bb.24:                               ;   in Loop: Header=BB239_8 Depth=1
	s_and_not1_saveexec_b32 s22, s22
; %bb.25:                               ;   in Loop: Header=BB239_8 Depth=1
	v_and_b32_e32 v19, 0xffff, v21
	v_or_b32_e32 v25, 0x10000, v21
	s_delay_alu instid0(VALU_DEP_2) | instskip(NEXT) | instid1(VALU_DEP_2)
	v_cmp_eq_u32_e32 vcc_lo, 0, v19
	v_cndmask_b32_e32 v19, v25, v21, vcc_lo
; %bb.26:                               ;   in Loop: Header=BB239_8 Depth=1
	s_or_b32 exec_lo, exec_lo, s22
	s_waitcnt vmcnt(6)
	v_dual_add_f32 v16, v16, v17 :: v_dual_lshlrev_b32 v17, 16, v24
	s_mov_b32 s22, exec_lo
	global_store_d16_hi_b16 v[0:1], v19, off offset:2
                                        ; implicit-def: $vgpr0
	v_add_f32_e32 v16, v16, v17
	s_delay_alu instid0(VALU_DEP_1) | instskip(NEXT) | instid1(VALU_DEP_1)
	v_and_b32_e32 v17, 0x7f800000, v16
	v_cmpx_ne_u32_e32 0x7f800000, v17
	s_xor_b32 s22, exec_lo, s22
; %bb.27:                               ;   in Loop: Header=BB239_8 Depth=1
	v_bfe_u32 v0, v16, 16, 1
	s_delay_alu instid0(VALU_DEP_1)
	v_add3_u32 v0, v16, v0, 0x7fff
                                        ; implicit-def: $vgpr16
; %bb.28:                               ;   in Loop: Header=BB239_8 Depth=1
	s_and_not1_saveexec_b32 s22, s22
; %bb.29:                               ;   in Loop: Header=BB239_8 Depth=1
	v_and_b32_e32 v0, 0xffff, v16
	v_or_b32_e32 v1, 0x10000, v16
	s_delay_alu instid0(VALU_DEP_2) | instskip(NEXT) | instid1(VALU_DEP_2)
	v_cmp_eq_u32_e32 vcc_lo, 0, v0
	v_cndmask_b32_e32 v0, v1, v16, vcc_lo
; %bb.30:                               ;   in Loop: Header=BB239_8 Depth=1
	s_or_b32 exec_lo, exec_lo, s22
	v_dual_add_f32 v1, v11, v13 :: v_dual_mov_b32 v44, v42
	s_waitcnt vmcnt(5)
	v_lshlrev_b32_e32 v11, 16, v23
	s_mov_b32 s22, exec_lo
	s_delay_alu instid0(VALU_DEP_2) | instskip(NEXT) | instid1(VALU_DEP_2)
	v_lshlrev_b64 v[16:17], 1, v[43:44]
	v_add_f32_e32 v1, v1, v11
	s_delay_alu instid0(VALU_DEP_1) | instskip(NEXT) | instid1(VALU_DEP_3)
	v_and_b32_e32 v11, 0x7f800000, v1
	v_add_co_u32 v16, vcc_lo, s12, v16
	s_delay_alu instid0(VALU_DEP_4)
	v_add_co_ci_u32_e32 v17, vcc_lo, s13, v17, vcc_lo
	global_store_d16_hi_b16 v[16:17], v0, off
                                        ; implicit-def: $vgpr0
	v_cmpx_ne_u32_e32 0x7f800000, v11
	s_xor_b32 s22, exec_lo, s22
; %bb.31:                               ;   in Loop: Header=BB239_8 Depth=1
	v_bfe_u32 v0, v1, 16, 1
	s_delay_alu instid0(VALU_DEP_1)
	v_add3_u32 v0, v1, v0, 0x7fff
                                        ; implicit-def: $vgpr1
; %bb.32:                               ;   in Loop: Header=BB239_8 Depth=1
	s_and_not1_saveexec_b32 s22, s22
; %bb.33:                               ;   in Loop: Header=BB239_8 Depth=1
	v_and_b32_e32 v0, 0xffff, v1
	v_or_b32_e32 v11, 0x10000, v1
	s_delay_alu instid0(VALU_DEP_2) | instskip(NEXT) | instid1(VALU_DEP_2)
	v_cmp_eq_u32_e32 vcc_lo, 0, v0
	v_cndmask_b32_e32 v0, v11, v1, vcc_lo
; %bb.34:                               ;   in Loop: Header=BB239_8 Depth=1
	s_or_b32 exec_lo, exec_lo, s22
	v_add_f32_e32 v1, v12, v14
	s_waitcnt vmcnt(4)
	v_lshlrev_b32_e32 v11, 16, v22
	v_add_nc_u32_e32 v41, s7, v40
	s_mov_b32 s22, exec_lo
	s_delay_alu instid0(VALU_DEP_2) | instskip(NEXT) | instid1(VALU_DEP_2)
	v_add_f32_e32 v1, v1, v11
	v_lshlrev_b64 v[11:12], 1, v[41:42]
	s_delay_alu instid0(VALU_DEP_2) | instskip(NEXT) | instid1(VALU_DEP_2)
	v_and_b32_e32 v13, 0x7f800000, v1
	v_add_co_u32 v11, vcc_lo, s12, v11
	s_delay_alu instid0(VALU_DEP_3)
	v_add_co_ci_u32_e32 v12, vcc_lo, s13, v12, vcc_lo
	global_store_d16_hi_b16 v[11:12], v0, off
                                        ; implicit-def: $vgpr0
	v_cmpx_ne_u32_e32 0x7f800000, v13
	s_xor_b32 s22, exec_lo, s22
; %bb.35:                               ;   in Loop: Header=BB239_8 Depth=1
	v_bfe_u32 v0, v1, 16, 1
	s_delay_alu instid0(VALU_DEP_1)
	v_add3_u32 v0, v1, v0, 0x7fff
                                        ; implicit-def: $vgpr1
; %bb.36:                               ;   in Loop: Header=BB239_8 Depth=1
	s_and_not1_saveexec_b32 s22, s22
; %bb.37:                               ;   in Loop: Header=BB239_8 Depth=1
	v_and_b32_e32 v0, 0xffff, v1
	v_or_b32_e32 v11, 0x10000, v1
	s_delay_alu instid0(VALU_DEP_2) | instskip(NEXT) | instid1(VALU_DEP_2)
	v_cmp_eq_u32_e32 vcc_lo, 0, v0
	v_cndmask_b32_e32 v0, v11, v1, vcc_lo
; %bb.38:                               ;   in Loop: Header=BB239_8 Depth=1
	s_or_b32 exec_lo, exec_lo, s22
	v_add_f32_e32 v1, v8, v9
	v_dual_mov_b32 v9, v42 :: v_dual_add_nc_u32 v8, 1, v41
	s_waitcnt vmcnt(3)
	v_lshlrev_b32_e32 v11, 16, v20
	s_mov_b32 s22, exec_lo
	s_delay_alu instid0(VALU_DEP_2) | instskip(NEXT) | instid1(VALU_DEP_2)
	v_lshlrev_b64 v[8:9], 1, v[8:9]
	v_add_f32_e32 v1, v1, v11
	s_delay_alu instid0(VALU_DEP_1) | instskip(NEXT) | instid1(VALU_DEP_3)
	v_and_b32_e32 v11, 0x7f800000, v1
	v_add_co_u32 v8, vcc_lo, s12, v8
	s_delay_alu instid0(VALU_DEP_4)
	v_add_co_ci_u32_e32 v9, vcc_lo, s13, v9, vcc_lo
	global_store_d16_hi_b16 v[8:9], v0, off
                                        ; implicit-def: $vgpr0
	v_cmpx_ne_u32_e32 0x7f800000, v11
	s_xor_b32 s22, exec_lo, s22
; %bb.39:                               ;   in Loop: Header=BB239_8 Depth=1
	v_bfe_u32 v0, v1, 16, 1
	s_delay_alu instid0(VALU_DEP_1)
	v_add3_u32 v0, v1, v0, 0x7fff
                                        ; implicit-def: $vgpr1
; %bb.40:                               ;   in Loop: Header=BB239_8 Depth=1
	s_and_not1_saveexec_b32 s22, s22
; %bb.41:                               ;   in Loop: Header=BB239_8 Depth=1
	v_and_b32_e32 v0, 0xffff, v1
	v_or_b32_e32 v8, 0x10000, v1
	s_delay_alu instid0(VALU_DEP_2) | instskip(NEXT) | instid1(VALU_DEP_2)
	v_cmp_eq_u32_e32 vcc_lo, 0, v0
	v_cndmask_b32_e32 v0, v8, v1, vcc_lo
; %bb.42:                               ;   in Loop: Header=BB239_8 Depth=1
	s_or_b32 exec_lo, exec_lo, s22
	v_dual_add_f32 v1, v6, v7 :: v_dual_add_nc_u32 v6, 2, v41
	s_waitcnt vmcnt(2)
	v_dual_mov_b32 v7, v42 :: v_dual_lshlrev_b32 v8, 16, v18
	s_mov_b32 s22, exec_lo
	s_delay_alu instid0(VALU_DEP_1) | instskip(NEXT) | instid1(VALU_DEP_2)
	v_add_f32_e32 v1, v1, v8
	v_lshlrev_b64 v[6:7], 1, v[6:7]
	s_delay_alu instid0(VALU_DEP_2) | instskip(NEXT) | instid1(VALU_DEP_2)
	v_and_b32_e32 v8, 0x7f800000, v1
	v_add_co_u32 v6, vcc_lo, s12, v6
	s_delay_alu instid0(VALU_DEP_3)
	v_add_co_ci_u32_e32 v7, vcc_lo, s13, v7, vcc_lo
	global_store_d16_hi_b16 v[6:7], v0, off
                                        ; implicit-def: $vgpr0
	v_cmpx_ne_u32_e32 0x7f800000, v8
	s_xor_b32 s22, exec_lo, s22
; %bb.43:                               ;   in Loop: Header=BB239_8 Depth=1
	v_bfe_u32 v0, v1, 16, 1
	s_delay_alu instid0(VALU_DEP_1)
	v_add3_u32 v0, v1, v0, 0x7fff
                                        ; implicit-def: $vgpr1
; %bb.44:                               ;   in Loop: Header=BB239_8 Depth=1
	s_and_not1_saveexec_b32 s22, s22
; %bb.45:                               ;   in Loop: Header=BB239_8 Depth=1
	v_and_b32_e32 v0, 0xffff, v1
	v_or_b32_e32 v6, 0x10000, v1
	s_delay_alu instid0(VALU_DEP_2) | instskip(NEXT) | instid1(VALU_DEP_2)
	v_cmp_eq_u32_e32 vcc_lo, 0, v0
	v_cndmask_b32_e32 v0, v6, v1, vcc_lo
; %bb.46:                               ;   in Loop: Header=BB239_8 Depth=1
	s_or_b32 exec_lo, exec_lo, s22
	s_waitcnt vmcnt(1)
	v_dual_add_f32 v1, v4, v5 :: v_dual_lshlrev_b32 v4, 16, v15
	v_add_nc_u32_e32 v41, s7, v41
	s_mov_b32 s22, exec_lo
	s_delay_alu instid0(VALU_DEP_2) | instskip(NEXT) | instid1(VALU_DEP_2)
	v_add_f32_e32 v1, v1, v4
	v_lshlrev_b64 v[4:5], 1, v[41:42]
	s_delay_alu instid0(VALU_DEP_2) | instskip(NEXT) | instid1(VALU_DEP_2)
	v_and_b32_e32 v6, 0x7f800000, v1
	v_add_co_u32 v4, vcc_lo, s12, v4
	s_delay_alu instid0(VALU_DEP_3)
	v_add_co_ci_u32_e32 v5, vcc_lo, s13, v5, vcc_lo
	global_store_d16_hi_b16 v[4:5], v0, off
                                        ; implicit-def: $vgpr0
	v_cmpx_ne_u32_e32 0x7f800000, v6
	s_xor_b32 s22, exec_lo, s22
; %bb.47:                               ;   in Loop: Header=BB239_8 Depth=1
	v_bfe_u32 v0, v1, 16, 1
	s_delay_alu instid0(VALU_DEP_1)
	v_add3_u32 v0, v1, v0, 0x7fff
                                        ; implicit-def: $vgpr1
; %bb.48:                               ;   in Loop: Header=BB239_8 Depth=1
	s_and_not1_saveexec_b32 s22, s22
; %bb.49:                               ;   in Loop: Header=BB239_8 Depth=1
	v_and_b32_e32 v0, 0xffff, v1
	v_or_b32_e32 v4, 0x10000, v1
	s_delay_alu instid0(VALU_DEP_2) | instskip(NEXT) | instid1(VALU_DEP_2)
	v_cmp_eq_u32_e32 vcc_lo, 0, v0
	v_cndmask_b32_e32 v0, v4, v1, vcc_lo
; %bb.50:                               ;   in Loop: Header=BB239_8 Depth=1
	s_or_b32 exec_lo, exec_lo, s22
	v_dual_add_f32 v1, v2, v3 :: v_dual_add_nc_u32 v2, 1, v41
	s_waitcnt vmcnt(0)
	v_dual_mov_b32 v3, v42 :: v_dual_lshlrev_b32 v4, 16, v10
	s_mov_b32 s22, exec_lo
	s_delay_alu instid0(VALU_DEP_1) | instskip(NEXT) | instid1(VALU_DEP_2)
	v_add_f32_e32 v1, v1, v4
	v_lshlrev_b64 v[2:3], 1, v[2:3]
	s_delay_alu instid0(VALU_DEP_2) | instskip(NEXT) | instid1(VALU_DEP_2)
	v_and_b32_e32 v4, 0x7f800000, v1
	v_add_co_u32 v2, vcc_lo, s12, v2
	s_delay_alu instid0(VALU_DEP_3)
	v_add_co_ci_u32_e32 v3, vcc_lo, s13, v3, vcc_lo
	global_store_d16_hi_b16 v[2:3], v0, off
                                        ; implicit-def: $vgpr0
	v_cmpx_ne_u32_e32 0x7f800000, v4
	s_xor_b32 s22, exec_lo, s22
; %bb.51:                               ;   in Loop: Header=BB239_8 Depth=1
	v_bfe_u32 v0, v1, 16, 1
	s_delay_alu instid0(VALU_DEP_1)
	v_add3_u32 v0, v1, v0, 0x7fff
                                        ; implicit-def: $vgpr1
; %bb.52:                               ;   in Loop: Header=BB239_8 Depth=1
	s_and_not1_saveexec_b32 s22, s22
	s_cbranch_execz .LBB239_6
; %bb.53:                               ;   in Loop: Header=BB239_8 Depth=1
	v_and_b32_e32 v0, 0xffff, v1
	v_or_b32_e32 v2, 0x10000, v1
	s_delay_alu instid0(VALU_DEP_2) | instskip(NEXT) | instid1(VALU_DEP_2)
	v_cmp_eq_u32_e32 vcc_lo, 0, v0
	v_cndmask_b32_e32 v0, v2, v1, vcc_lo
	s_branch .LBB239_6
.LBB239_54:
	s_nop 0
	s_sendmsg sendmsg(MSG_DEALLOC_VGPRS)
	s_endpgm
	.section	.rodata,"a",@progbits
	.p2align	6, 0x0
	.amdhsa_kernel _Z16wvSplitK_hf_sml_I14__hip_bfloat16Li64ELi3ELi16ELi8ELi2ELi3EEviiiiiiPKT_S3_S3_PS1_ii
		.amdhsa_group_segment_fixed_size 65536
		.amdhsa_private_segment_fixed_size 0
		.amdhsa_kernarg_size 64
		.amdhsa_user_sgpr_count 15
		.amdhsa_user_sgpr_dispatch_ptr 0
		.amdhsa_user_sgpr_queue_ptr 0
		.amdhsa_user_sgpr_kernarg_segment_ptr 1
		.amdhsa_user_sgpr_dispatch_id 0
		.amdhsa_user_sgpr_private_segment_size 0
		.amdhsa_wavefront_size32 1
		.amdhsa_uses_dynamic_stack 0
		.amdhsa_enable_private_segment 0
		.amdhsa_system_sgpr_workgroup_id_x 1
		.amdhsa_system_sgpr_workgroup_id_y 0
		.amdhsa_system_sgpr_workgroup_id_z 0
		.amdhsa_system_sgpr_workgroup_info 0
		.amdhsa_system_vgpr_workitem_id 1
		.amdhsa_next_free_vgpr 87
		.amdhsa_next_free_sgpr 24
		.amdhsa_reserve_vcc 1
		.amdhsa_float_round_mode_32 0
		.amdhsa_float_round_mode_16_64 0
		.amdhsa_float_denorm_mode_32 3
		.amdhsa_float_denorm_mode_16_64 3
		.amdhsa_dx10_clamp 1
		.amdhsa_ieee_mode 1
		.amdhsa_fp16_overflow 0
		.amdhsa_workgroup_processor_mode 1
		.amdhsa_memory_ordered 1
		.amdhsa_forward_progress 0
		.amdhsa_shared_vgpr_count 0
		.amdhsa_exception_fp_ieee_invalid_op 0
		.amdhsa_exception_fp_denorm_src 0
		.amdhsa_exception_fp_ieee_div_zero 0
		.amdhsa_exception_fp_ieee_overflow 0
		.amdhsa_exception_fp_ieee_underflow 0
		.amdhsa_exception_fp_ieee_inexact 0
		.amdhsa_exception_int_div_zero 0
	.end_amdhsa_kernel
	.section	.text._Z16wvSplitK_hf_sml_I14__hip_bfloat16Li64ELi3ELi16ELi8ELi2ELi3EEviiiiiiPKT_S3_S3_PS1_ii,"axG",@progbits,_Z16wvSplitK_hf_sml_I14__hip_bfloat16Li64ELi3ELi16ELi8ELi2ELi3EEviiiiiiPKT_S3_S3_PS1_ii,comdat
.Lfunc_end239:
	.size	_Z16wvSplitK_hf_sml_I14__hip_bfloat16Li64ELi3ELi16ELi8ELi2ELi3EEviiiiiiPKT_S3_S3_PS1_ii, .Lfunc_end239-_Z16wvSplitK_hf_sml_I14__hip_bfloat16Li64ELi3ELi16ELi8ELi2ELi3EEviiiiiiPKT_S3_S3_PS1_ii
                                        ; -- End function
	.section	.AMDGPU.csdata,"",@progbits
; Kernel info:
; codeLenInByte = 5580
; NumSgprs: 26
; NumVgprs: 87
; ScratchSize: 0
; MemoryBound: 0
; FloatMode: 240
; IeeeMode: 1
; LDSByteSize: 65536 bytes/workgroup (compile time only)
; SGPRBlocks: 3
; VGPRBlocks: 10
; NumSGPRsForWavesPerEU: 26
; NumVGPRsForWavesPerEU: 87
; Occupancy: 16
; WaveLimiterHint : 0
; COMPUTE_PGM_RSRC2:SCRATCH_EN: 0
; COMPUTE_PGM_RSRC2:USER_SGPR: 15
; COMPUTE_PGM_RSRC2:TRAP_HANDLER: 0
; COMPUTE_PGM_RSRC2:TGID_X_EN: 1
; COMPUTE_PGM_RSRC2:TGID_Y_EN: 0
; COMPUTE_PGM_RSRC2:TGID_Z_EN: 0
; COMPUTE_PGM_RSRC2:TIDIG_COMP_CNT: 1
	.section	.text._Z12wvSplitK_hf_I14__hip_bfloat16Li64ELi3ELi16ELi8ELi2ELi3EEviiiiiiPKT_S3_S3_PS1_ii,"axG",@progbits,_Z12wvSplitK_hf_I14__hip_bfloat16Li64ELi3ELi16ELi8ELi2ELi3EEviiiiiiPKT_S3_S3_PS1_ii,comdat
	.protected	_Z12wvSplitK_hf_I14__hip_bfloat16Li64ELi3ELi16ELi8ELi2ELi3EEviiiiiiPKT_S3_S3_PS1_ii ; -- Begin function _Z12wvSplitK_hf_I14__hip_bfloat16Li64ELi3ELi16ELi8ELi2ELi3EEviiiiiiPKT_S3_S3_PS1_ii
	.globl	_Z12wvSplitK_hf_I14__hip_bfloat16Li64ELi3ELi16ELi8ELi2ELi3EEviiiiiiPKT_S3_S3_PS1_ii
	.p2align	8
	.type	_Z12wvSplitK_hf_I14__hip_bfloat16Li64ELi3ELi16ELi8ELi2ELi3EEviiiiiiPKT_S3_S3_PS1_ii,@function
_Z12wvSplitK_hf_I14__hip_bfloat16Li64ELi3ELi16ELi8ELi2ELi3EEviiiiiiPKT_S3_S3_PS1_ii: ; @_Z12wvSplitK_hf_I14__hip_bfloat16Li64ELi3ELi16ELi8ELi2ELi3EEviiiiiiPKT_S3_S3_PS1_ii
; %bb.0:
	s_clause 0x1
	s_load_b64 s[18:19], s[0:1], 0x38
	s_load_b128 s[4:7], s[0:1], 0x0
	v_bfe_u32 v1, v0, 10, 10
	s_mov_b32 s8, 1
	s_delay_alu instid0(SALU_CYCLE_1) | instskip(SKIP_1) | instid1(SALU_CYCLE_1)
	s_mov_b32 s9, s8
	s_mov_b32 s10, s8
	v_mov_b32_e32 v50, s10
	v_dual_mov_b32 v48, s8 :: v_dual_mov_b32 v49, s9
	s_waitcnt lgkmcnt(0)
	v_mad_u64_u32 v[2:3], null, s15, s18, v[1:2]
	s_clause 0x1
	s_load_b64 s[12:13], s[0:1], 0x20
	s_load_b64 s[14:15], s[0:1], 0x10
	s_delay_alu instid0(VALU_DEP_1) | instskip(NEXT) | instid1(VALU_DEP_1)
	v_lshl_add_u32 v51, v2, 1, v2
	v_add_nc_u32_e32 v2, 3, v51
	v_cmp_gt_u32_e32 vcc_lo, s7, v51
	s_delay_alu instid0(VALU_DEP_2) | instskip(NEXT) | instid1(VALU_DEP_1)
	v_cmp_le_u32_e64 s2, s7, v2
	s_and_b32 s2, vcc_lo, s2
	s_delay_alu instid0(SALU_CYCLE_1)
	s_and_saveexec_b32 s11, s2
	s_cbranch_execz .LBB240_6
; %bb.1:
	v_dual_mov_b32 v50, s10 :: v_dual_mov_b32 v49, s9
	v_mov_b32_e32 v48, s8
	s_add_i32 s16, s7, -3
	s_mov_b32 s17, exec_lo
	v_cmpx_ne_u32_e64 s16, v51
	s_cbranch_execz .LBB240_5
; %bb.2:
	v_subrev_nc_u32_e32 v2, s16, v51
	s_mov_b32 s20, 0
	s_mov_b64 s[2:3], 0
	s_mov_b32 s9, s8
	s_mov_b32 s10, s8
	v_cmp_lt_u32_e32 vcc_lo, 1, v2
	v_cndmask_b32_e32 v2, 1, v2, vcc_lo
.LBB240_3:                              ; =>This Inner Loop Header: Depth=1
	s_cmp_lg_u32 s2, 2
	s_cselect_b32 s10, s10, 0
	s_cmp_lg_u32 s2, 1
	s_cselect_b32 s9, s9, 0
	;; [unrolled: 2-line block ×3, first 2 shown]
	s_add_u32 s2, s2, 1
	v_dual_mov_b32 v50, s10 :: v_dual_mov_b32 v49, s9
	v_cmp_eq_u32_e32 vcc_lo, s2, v2
	v_mov_b32_e32 v48, s8
	s_addc_u32 s3, s3, 0
	s_or_b32 s20, vcc_lo, s20
	s_delay_alu instid0(SALU_CYCLE_1)
	s_and_not1_b32 exec_lo, exec_lo, s20
	s_cbranch_execnz .LBB240_3
; %bb.4:
	s_or_b32 exec_lo, exec_lo, s20
	v_mov_b32_e32 v51, s16
.LBB240_5:
	s_or_b32 exec_lo, exec_lo, s17
.LBB240_6:
	s_delay_alu instid0(SALU_CYCLE_1)
	s_or_b32 exec_lo, exec_lo, s11
	s_load_b64 s[8:9], s[0:1], 0x28
	v_and_b32_e32 v0, 0x3ff, v0
	s_mul_i32 s2, s6, 3
	s_mov_b32 s10, exec_lo
	s_min_u32 s3, s2, 0x8000
	s_delay_alu instid0(VALU_DEP_1) | instskip(NEXT) | instid1(VALU_DEP_1)
	v_lshlrev_b32_e32 v66, 3, v0
	v_lshl_add_u32 v4, v1, 9, v66
	s_delay_alu instid0(VALU_DEP_1)
	v_cmpx_gt_u32_e64 s3, v4
	s_cbranch_execz .LBB240_9
; %bb.7:
	v_lshlrev_b32_e32 v5, 10, v1
	v_lshlrev_b32_e32 v6, 4, v0
	s_mov_b32 s11, 0
	s_delay_alu instid0(VALU_DEP_1) | instskip(NEXT) | instid1(VALU_DEP_1)
	v_add_co_u32 v2, s2, v5, v6
	v_add_co_ci_u32_e64 v3, null, 0, 0, s2
	v_add_nc_u32_e32 v5, v5, v6
	s_waitcnt lgkmcnt(0)
	s_delay_alu instid0(VALU_DEP_3) | instskip(NEXT) | instid1(VALU_DEP_3)
	v_add_co_u32 v2, vcc_lo, s12, v2
	v_add_co_ci_u32_e32 v3, vcc_lo, s13, v3, vcc_lo
	.p2align	6
.LBB240_8:                              ; =>This Inner Loop Header: Depth=1
	global_load_b128 v[6:9], v[2:3], off
	v_add_nc_u32_e32 v4, 0x2000, v4
	v_add_co_u32 v2, vcc_lo, 0x4000, v2
	v_add_co_ci_u32_e32 v3, vcc_lo, 0, v3, vcc_lo
	s_delay_alu instid0(VALU_DEP_3) | instskip(NEXT) | instid1(VALU_DEP_1)
	v_cmp_le_u32_e64 s2, s3, v4
	s_or_b32 s11, s2, s11
	s_waitcnt vmcnt(0)
	ds_store_b128 v5, v[6:9]
	v_add_nc_u32_e32 v5, 0x4000, v5
	s_and_not1_b32 exec_lo, exec_lo, s11
	s_cbranch_execnz .LBB240_8
.LBB240_9:
	s_or_b32 exec_lo, exec_lo, s10
	v_cmp_gt_u32_e32 vcc_lo, s18, v1
	v_cmp_gt_u32_e64 s2, s7, v51
	s_waitcnt lgkmcnt(0)
	s_barrier
	buffer_gl0_inv
	s_and_b32 s2, vcc_lo, s2
	s_delay_alu instid0(SALU_CYCLE_1)
	s_and_saveexec_b32 s3, s2
	s_cbranch_execz .LBB240_106
; %bb.10:
	s_cmp_lg_u32 s4, 0
	v_cvt_f32_u32_e32 v2, s14
	s_cselect_b32 s20, -1, 0
	s_add_i32 s21, s4, -8
	s_add_i32 s22, s7, -1
	s_cmp_lg_u64 s[8:9], 0
	v_rcp_iflag_f32_e32 v2, v2
	s_cselect_b32 s23, -1, 0
	s_abs_i32 s2, s15
	s_clause 0x1
	s_load_b64 s[10:11], s[0:1], 0x18
	s_load_b64 s[16:17], s[0:1], 0x30
	v_cvt_f32_u32_e32 v1, s2
	s_sub_i32 s3, 0, s2
	s_mul_i32 s25, s18, s19
	s_add_i32 s24, s7, -3
	s_sub_i32 s18, 0, s14
	v_rcp_iflag_f32_e32 v1, v1
	s_sub_i32 s19, 1, s2
	v_cmp_eq_u32_e64 s0, 63, v0
	v_lshlrev_b32_e32 v67, 4, v0
	v_mbcnt_lo_u32_b32 v3, -1, 0
	s_mov_b32 s15, 0
	s_mul_i32 s25, s25, 3
	s_waitcnt_depctr 0xfff
	v_dual_mul_f32 v1, 0x4f7ffffe, v1 :: v_dual_add_nc_u32 v68, s6, v66
	s_delay_alu instid0(VALU_DEP_1) | instskip(NEXT) | instid1(VALU_DEP_1)
	v_cvt_u32_f32_e32 v1, v1
	v_readfirstlane_b32 s1, v1
	v_mul_f32_e32 v1, 0x4f7ffffe, v2
	s_delay_alu instid0(VALU_DEP_2) | instskip(NEXT) | instid1(VALU_DEP_1)
	s_mul_i32 s3, s3, s1
	v_cvt_u32_f32_e32 v0, v1
	s_mul_hi_u32 s3, s1, s3
	v_xor_b32_e32 v1, 16, v3
	s_add_i32 s1, s1, s3
	s_cmp_lt_u32 s2, 2
	v_mul_lo_u32 v2, s18, v0
	s_cselect_b32 s3, s19, 1
	v_cmp_gt_i32_e32 vcc_lo, 32, v1
	s_sub_i32 s19, s3, s2
	s_cmp_ge_u32 s3, s2
	s_cselect_b32 s27, s19, s3
	s_lshr_b32 s1, s1, 31
	s_delay_alu instid0(VALU_DEP_2)
	v_mul_hi_u32 v2, v0, v2
	s_mul_i32 s1, s1, s2
	v_cndmask_b32_e32 v1, v3, v1, vcc_lo
	s_sub_i32 s1, 2, s1
	v_mov_b32_e32 v53, 0
	s_sub_i32 s3, s1, s2
	s_cmp_ge_u32 s1, s2
	v_lshlrev_b32_e32 v69, 2, v1
	v_add_nc_u32_e32 v70, v0, v2
	s_cselect_b32 s1, s3, s1
	s_mul_i32 s27, s27, s14
	s_sub_i32 s3, s1, s2
	s_cmp_ge_u32 s1, s2
	s_cselect_b32 s28, s3, s1
	s_lshl_b32 s26, s6, 1
	s_mul_i32 s28, s28, s14
	v_add_nc_u32_e32 v71, s26, v66
	s_lshl_b32 s6, s6, 2
	s_branch .LBB240_13
.LBB240_11:                             ;   in Loop: Header=BB240_13 Depth=1
	s_or_b32 exec_lo, exec_lo, s30
	v_mov_b32_e32 v51, s24
.LBB240_12:                             ;   in Loop: Header=BB240_13 Depth=1
	s_or_b32 exec_lo, exec_lo, s29
	s_delay_alu instid0(VALU_DEP_1) | instskip(SKIP_1) | instid1(SALU_CYCLE_1)
	v_cmp_le_u32_e32 vcc_lo, s7, v51
	s_or_b32 s15, vcc_lo, s15
	s_and_not1_b32 exec_lo, exec_lo, s15
	s_cbranch_execz .LBB240_106
.LBB240_13:                             ; =>This Loop Header: Depth=1
                                        ;     Child Loop BB240_18 Depth 2
                                        ;     Child Loop BB240_104 Depth 2
	v_dual_mov_b32 v72, v53 :: v_dual_add_nc_u32 v55, 1, v51
	v_dual_mov_b32 v73, v53 :: v_dual_add_nc_u32 v54, 2, v51
	v_mov_b32_e32 v74, v53
	v_mov_b32_e32 v78, v53
	;; [unrolled: 1-line block ×7, first 2 shown]
	s_and_not1_b32 vcc_lo, exec_lo, s20
	s_cbranch_vccnz .LBB240_44
; %bb.14:                               ;   in Loop: Header=BB240_13 Depth=1
	v_min_u32_e32 v0, s22, v51
	s_waitcnt lgkmcnt(0)
	v_min_u32_e32 v1, s22, v55
	v_min_u32_e32 v2, s22, v54
	v_dual_mov_b32 v3, v53 :: v_dual_mov_b32 v80, 0
	v_mul_lo_u32 v52, v0, s5
	s_delay_alu instid0(VALU_DEP_4) | instskip(NEXT) | instid1(VALU_DEP_4)
	v_mul_lo_u32 v0, v1, s5
	v_mul_lo_u32 v2, v2, s5
	v_dual_mov_b32 v1, v53 :: v_dual_mov_b32 v76, 0
	v_dual_mov_b32 v77, 0 :: v_dual_mov_b32 v78, 0
	;; [unrolled: 1-line block ×3, first 2 shown]
	v_lshlrev_b64 v[56:57], 1, v[52:53]
	s_delay_alu instid0(VALU_DEP_4)
	v_lshlrev_b64 v[58:59], 1, v[0:1]
	v_lshlrev_b64 v[60:61], 1, v[2:3]
	v_dual_mov_b32 v81, 0 :: v_dual_mov_b32 v72, 0
	v_mov_b32_e32 v79, 0
	v_mov_b32_e32 v73, 0
	s_mov_b32 s1, 0
	s_branch .LBB240_18
.LBB240_15:                             ;   in Loop: Header=BB240_18 Depth=2
	s_or_b32 exec_lo, exec_lo, s18
.LBB240_16:                             ;   in Loop: Header=BB240_18 Depth=2
	s_delay_alu instid0(SALU_CYCLE_1)
	s_or_b32 exec_lo, exec_lo, s3
.LBB240_17:                             ;   in Loop: Header=BB240_18 Depth=2
	s_delay_alu instid0(SALU_CYCLE_1)
	s_or_b32 exec_lo, exec_lo, s2
	s_waitcnt vmcnt(0) lgkmcnt(0)
	v_and_b32_e32 v84, 0xffff0000, v40
	v_and_b32_e32 v62, 0xffff0000, v36
	v_lshlrev_b32_e32 v85, 16, v40
	v_lshlrev_b32_e32 v40, 16, v37
	;; [unrolled: 1-line block ×3, first 2 shown]
	s_addk_i32 s1, 0x400
	v_dual_mul_f32 v64, v84, v62 :: v_dual_lshlrev_b32 v87, 16, v41
	v_and_b32_e32 v86, 0xffff0000, v41
	v_and_b32_e32 v52, 0xffff0000, v37
	;; [unrolled: 1-line block ×4, first 2 shown]
	v_lshlrev_b32_e32 v63, 16, v36
	s_delay_alu instid0(VALU_DEP_4) | instskip(SKIP_1) | instid1(VALU_DEP_4)
	v_dual_mul_f32 v65, v86, v52 :: v_dual_lshlrev_b32 v36, 16, v38
	v_and_b32_e32 v95, 0xffff0000, v25
	v_mul_f32_e32 v42, v88, v37
	s_delay_alu instid0(VALU_DEP_4)
	v_fmac_f32_e32 v64, v85, v63
	s_cmp_ge_u32 s1, s4
	v_fmac_f32_e32 v65, v87, v40
	v_and_b32_e32 v96, 0xffff0000, v12
	v_and_b32_e32 v100, 0xffff0000, v6
	v_dual_add_f32 v38, v77, v64 :: v_dual_and_b32 v77, 0xffff0000, v43
	s_delay_alu instid0(VALU_DEP_1) | instskip(SKIP_4) | instid1(VALU_DEP_4)
	v_dual_add_f32 v64, v38, v65 :: v_dual_add_nc_u32 v75, 0x800, v75
	v_fmac_f32_e32 v42, v89, v36
	v_lshlrev_b32_e32 v38, 16, v28
	v_and_b32_e32 v41, 0xffff0000, v28
	v_and_b32_e32 v65, 0xffff0000, v30
	v_dual_add_f32 v91, v64, v42 :: v_dual_lshlrev_b32 v28, 16, v39
	v_and_b32_e32 v42, 0xffff0000, v39
	s_delay_alu instid0(VALU_DEP_4) | instskip(NEXT) | instid1(VALU_DEP_1)
	v_mul_f32_e32 v82, v84, v41
	v_fmac_f32_e32 v82, v85, v38
	s_delay_alu instid0(VALU_DEP_1) | instskip(SKIP_1) | instid1(VALU_DEP_1)
	v_add_f32_e32 v39, v81, v82
	v_and_b32_e32 v93, 0xffff0000, v24
	v_dual_mul_f32 v84, v84, v93 :: v_dual_lshlrev_b32 v83, 16, v24
	s_delay_alu instid0(VALU_DEP_1)
	v_fmac_f32_e32 v84, v85, v83
	v_dual_mul_f32 v85, v86, v95 :: v_dual_and_b32 v64, 0xffff0000, v29
	v_lshlrev_b32_e32 v82, 16, v30
	v_lshlrev_b32_e32 v90, 16, v43
	v_lshlrev_b32_e32 v43, 16, v29
	v_add_f32_e32 v79, v79, v84
	v_mul_f32_e32 v29, v86, v64
	s_delay_alu instid0(VALU_DEP_1) | instskip(SKIP_1) | instid1(VALU_DEP_2)
	v_fmac_f32_e32 v29, v87, v43
	v_mul_f32_e32 v81, v88, v65
	v_add_f32_e32 v94, v39, v29
	v_lshlrev_b32_e32 v39, 16, v25
	v_lshlrev_b32_e32 v25, 16, v26
	s_delay_alu instid0(VALU_DEP_2) | instskip(SKIP_2) | instid1(VALU_DEP_3)
	v_fmac_f32_e32 v85, v87, v39
	v_dual_fmac_f32 v81, v89, v82 :: v_dual_lshlrev_b32 v24, 16, v31
	v_lshlrev_b32_e32 v87, 16, v20
	v_dual_add_f32 v79, v79, v85 :: v_dual_and_b32 v30, 0xffff0000, v26
	v_and_b32_e32 v29, 0xffff0000, v31
	s_delay_alu instid0(VALU_DEP_4) | instskip(SKIP_2) | instid1(VALU_DEP_4)
	v_add_f32_e32 v81, v94, v81
	v_and_b32_e32 v85, 0xffff0000, v44
	v_and_b32_e32 v94, 0xffff0000, v47
	v_dual_mul_f32 v26, v88, v30 :: v_dual_mul_f32 v31, v77, v29
	v_mul_f32_e32 v92, v77, v42
	s_delay_alu instid0(VALU_DEP_4) | instskip(NEXT) | instid1(VALU_DEP_3)
	v_dual_mul_f32 v97, v85, v96 :: v_dual_and_b32 v88, 0xffff0000, v27
	v_fmac_f32_e32 v31, v90, v24
	s_delay_alu instid0(VALU_DEP_3) | instskip(SKIP_1) | instid1(VALU_DEP_4)
	v_fmac_f32_e32 v92, v90, v28
	v_and_b32_e32 v86, 0xffff0000, v20
	v_mul_f32_e32 v77, v77, v88
	s_delay_alu instid0(VALU_DEP_3)
	v_dual_add_f32 v31, v81, v31 :: v_dual_add_f32 v84, v91, v92
	v_and_b32_e32 v92, 0xffff0000, v22
	v_fmac_f32_e32 v26, v89, v25
	v_mul_f32_e32 v20, v85, v86
	v_and_b32_e32 v81, 0xffff0000, v46
	v_lshlrev_b32_e32 v46, 16, v46
	v_lshlrev_b32_e32 v22, 16, v22
	v_dual_add_f32 v26, v79, v26 :: v_dual_and_b32 v79, 0xffff0000, v45
	v_and_b32_e32 v89, 0xffff0000, v21
	v_lshlrev_b32_e32 v44, 16, v44
	v_lshlrev_b32_e32 v91, 16, v21
	;; [unrolled: 1-line block ×3, first 2 shown]
	s_delay_alu instid0(VALU_DEP_3) | instskip(NEXT) | instid1(VALU_DEP_1)
	v_dual_mul_f32 v21, v79, v89 :: v_dual_fmac_f32 v20, v44, v87
	v_dual_add_f32 v20, v84, v20 :: v_dual_lshlrev_b32 v27, 16, v27
	s_delay_alu instid0(VALU_DEP_1) | instskip(NEXT) | instid1(VALU_DEP_1)
	v_dual_mul_f32 v84, v81, v92 :: v_dual_fmac_f32 v77, v90, v27
	v_dual_fmac_f32 v84, v46, v22 :: v_dual_lshlrev_b32 v47, 16, v47
	s_delay_alu instid0(VALU_DEP_2) | instskip(NEXT) | instid1(VALU_DEP_1)
	v_dual_add_f32 v26, v26, v77 :: v_dual_fmac_f32 v21, v45, v91
	v_dual_add_f32 v90, v20, v21 :: v_dual_and_b32 v21, 0xffff0000, v23
	v_lshlrev_b32_e32 v6, 16, v6
	s_delay_alu instid0(VALU_DEP_2) | instskip(SKIP_1) | instid1(VALU_DEP_4)
	v_add_f32_e32 v84, v90, v84
	v_lshlrev_b32_e32 v12, 16, v12
	v_dual_mul_f32 v23, v94, v21 :: v_dual_lshlrev_b32 v20, 16, v23
	s_delay_alu instid0(VALU_DEP_2) | instskip(NEXT) | instid1(VALU_DEP_2)
	v_fmac_f32_e32 v97, v44, v12
	v_fmac_f32_e32 v23, v47, v20
	s_delay_alu instid0(VALU_DEP_2) | instskip(NEXT) | instid1(VALU_DEP_2)
	v_add_f32_e32 v31, v31, v97
	v_dual_add_f32 v77, v84, v23 :: v_dual_and_b32 v84, 0xffff0000, v4
	v_and_b32_e32 v23, 0xffff0000, v14
	v_and_b32_e32 v90, 0xffff0000, v13
	s_delay_alu instid0(VALU_DEP_3) | instskip(NEXT) | instid1(VALU_DEP_3)
	v_dual_mul_f32 v85, v85, v84 :: v_dual_lshlrev_b32 v14, 16, v14
	v_mul_f32_e32 v97, v81, v23
	s_delay_alu instid0(VALU_DEP_3) | instskip(NEXT) | instid1(VALU_DEP_1)
	v_dual_mul_f32 v98, v79, v90 :: v_dual_lshlrev_b32 v13, 16, v13
	v_dual_fmac_f32 v97, v46, v14 :: v_dual_fmac_f32 v98, v45, v13
	s_delay_alu instid0(VALU_DEP_1) | instskip(NEXT) | instid1(VALU_DEP_1)
	v_dual_add_f32 v31, v31, v98 :: v_dual_lshlrev_b32 v4, 16, v4
	v_dual_fmac_f32 v85, v44, v4 :: v_dual_and_b32 v98, 0xffff0000, v5
	v_and_b32_e32 v99, 0xffff0000, v15
	v_lshlrev_b32_e32 v15, 16, v15
	s_delay_alu instid0(VALU_DEP_4) | instskip(NEXT) | instid1(VALU_DEP_4)
	v_add_f32_e32 v31, v31, v97
	v_mul_f32_e32 v44, v79, v98
	v_add_f32_e32 v26, v26, v85
	v_lshlrev_b32_e32 v5, 16, v5
	s_delay_alu instid0(VALU_DEP_1) | instskip(SKIP_1) | instid1(VALU_DEP_2)
	v_dual_mul_f32 v79, v94, v99 :: v_dual_fmac_f32 v44, v45, v5
	v_mul_f32_e32 v45, v81, v100
	v_dual_fmac_f32 v79, v47, v15 :: v_dual_add_f32 v26, v26, v44
	s_delay_alu instid0(VALU_DEP_2) | instskip(SKIP_3) | instid1(VALU_DEP_4)
	v_fmac_f32_e32 v45, v46, v6
	v_and_b32_e32 v85, 0xffff0000, v16
	v_and_b32_e32 v44, 0xffff0000, v7
	v_lshlrev_b32_e32 v16, 16, v16
	v_dual_add_f32 v26, v26, v45 :: v_dual_lshlrev_b32 v7, 16, v7
	s_delay_alu instid0(VALU_DEP_4) | instskip(NEXT) | instid1(VALU_DEP_4)
	v_dual_mul_f32 v46, v85, v62 :: v_dual_and_b32 v97, 0xffff0000, v17
	v_dual_mul_f32 v94, v94, v44 :: v_dual_lshlrev_b32 v17, 16, v17
	v_add_f32_e32 v81, v31, v79
	s_delay_alu instid0(VALU_DEP_3) | instskip(NEXT) | instid1(VALU_DEP_1)
	v_dual_fmac_f32 v46, v16, v63 :: v_dual_mul_f32 v45, v97, v52
	v_dual_fmac_f32 v94, v47, v7 :: v_dual_add_f32 v31, v76, v46
	v_mul_f32_e32 v76, v97, v64
	s_delay_alu instid0(VALU_DEP_3) | instskip(SKIP_1) | instid1(VALU_DEP_3)
	v_dual_fmac_f32 v45, v17, v40 :: v_dual_and_b32 v46, 0xffff0000, v18
	v_lshlrev_b32_e32 v18, 16, v18
	v_dual_add_f32 v79, v26, v94 :: v_dual_fmac_f32 v76, v17, v43
	v_mul_f32_e32 v26, v85, v41
	s_delay_alu instid0(VALU_DEP_4) | instskip(NEXT) | instid1(VALU_DEP_2)
	v_mul_f32_e32 v47, v46, v37
	v_dual_add_f32 v31, v31, v45 :: v_dual_fmac_f32 v26, v16, v38
	v_and_b32_e32 v45, 0xffff0000, v19
	s_delay_alu instid0(VALU_DEP_2) | instskip(SKIP_1) | instid1(VALU_DEP_3)
	v_dual_add_f32 v26, v80, v26 :: v_dual_lshlrev_b32 v19, 16, v19
	v_mul_f32_e32 v80, v46, v65
	v_dual_fmac_f32 v47, v18, v36 :: v_dual_mul_f32 v94, v45, v42
	s_delay_alu instid0(VALU_DEP_2) | instskip(NEXT) | instid1(VALU_DEP_2)
	v_fmac_f32_e32 v80, v18, v82
	v_fmac_f32_e32 v94, v19, v28
	v_add_f32_e32 v26, v26, v76
	s_delay_alu instid0(VALU_DEP_4) | instskip(SKIP_2) | instid1(VALU_DEP_3)
	v_dual_mul_f32 v76, v45, v29 :: v_dual_add_f32 v31, v31, v47
	v_mul_f32_e32 v47, v85, v93
	v_mul_f32_e32 v45, v45, v88
	v_add_f32_e32 v31, v31, v94
	s_delay_alu instid0(VALU_DEP_3) | instskip(SKIP_3) | instid1(VALU_DEP_4)
	v_dual_fmac_f32 v47, v16, v83 :: v_dual_add_f32 v26, v26, v80
	v_mul_f32_e32 v16, v97, v95
	v_fmac_f32_e32 v76, v19, v24
	v_fmac_f32_e32 v45, v19, v27
	v_add_f32_e32 v47, v78, v47
	s_delay_alu instid0(VALU_DEP_3) | instskip(SKIP_3) | instid1(VALU_DEP_2)
	v_add_f32_e32 v26, v26, v76
	v_and_b32_e32 v76, 0xffff0000, v33
	v_dual_fmac_f32 v16, v17, v39 :: v_dual_mul_f32 v17, v46, v30
	v_and_b32_e32 v80, 0xffff0000, v32
	v_dual_fmac_f32 v17, v18, v25 :: v_dual_lshlrev_b32 v32, 16, v32
	s_delay_alu instid0(VALU_DEP_2) | instskip(SKIP_3) | instid1(VALU_DEP_2)
	v_mul_f32_e32 v46, v80, v86
	v_lshlrev_b32_e32 v18, 16, v33
	v_mul_f32_e32 v33, v76, v89
	v_mul_f32_e32 v19, v80, v96
	v_dual_fmac_f32 v33, v18, v91 :: v_dual_add_f32 v16, v47, v16
	v_mul_f32_e32 v47, v76, v90
	v_fmac_f32_e32 v46, v32, v87
	s_delay_alu instid0(VALU_DEP_3) | instskip(NEXT) | instid1(VALU_DEP_3)
	v_add_f32_e32 v16, v16, v17
	v_fmac_f32_e32 v47, v18, v13
	s_delay_alu instid0(VALU_DEP_3) | instskip(SKIP_1) | instid1(VALU_DEP_2)
	v_add_f32_e32 v17, v31, v46
	v_and_b32_e32 v31, 0xffff0000, v34
	v_dual_add_f32 v17, v17, v33 :: v_dual_lshlrev_b32 v34, 16, v34
	s_delay_alu instid0(VALU_DEP_2) | instskip(SKIP_1) | instid1(VALU_DEP_2)
	v_dual_mul_f32 v46, v31, v92 :: v_dual_and_b32 v33, 0xffff0000, v35
	v_lshlrev_b32_e32 v35, 16, v35
	v_dual_fmac_f32 v19, v32, v12 :: v_dual_mul_f32 v78, v33, v21
	s_delay_alu instid0(VALU_DEP_3) | instskip(NEXT) | instid1(VALU_DEP_2)
	v_fmac_f32_e32 v46, v34, v22
	v_add_f32_e32 v19, v26, v19
	v_mul_f32_e32 v26, v31, v23
	s_delay_alu instid0(VALU_DEP_3) | instskip(NEXT) | instid1(VALU_DEP_3)
	v_dual_fmac_f32 v78, v35, v20 :: v_dual_add_f32 v17, v17, v46
	v_dual_mul_f32 v46, v80, v84 :: v_dual_add_f32 v19, v19, v47
	s_delay_alu instid0(VALU_DEP_3) | instskip(SKIP_1) | instid1(VALU_DEP_3)
	v_fmac_f32_e32 v26, v34, v14
	v_add_f32_e32 v16, v16, v45
	v_dual_fmac_f32 v46, v32, v4 :: v_dual_and_b32 v45, 0xffff0000, v1
	v_dual_mul_f32 v32, v76, v98 :: v_dual_lshlrev_b32 v1, 16, v1
	s_delay_alu instid0(VALU_DEP_1) | instskip(SKIP_4) | instid1(VALU_DEP_4)
	v_fmac_f32_e32 v32, v18, v5
	v_dual_mul_f32 v18, v31, v100 :: v_dual_mul_f32 v31, v33, v99
	v_add_f32_e32 v76, v17, v78
	v_add_f32_e32 v17, v19, v26
	v_dual_add_f32 v16, v16, v46 :: v_dual_and_b32 v19, 0xffff0000, v0
	v_dual_fmac_f32 v31, v35, v15 :: v_dual_lshlrev_b32 v0, 16, v0
	v_fmac_f32_e32 v18, v34, v6
	s_delay_alu instid0(VALU_DEP_3)
	v_mul_f32_e32 v26, v19, v62
	v_mul_f32_e32 v34, v19, v41
	;; [unrolled: 1-line block ×4, first 2 shown]
	v_add_f32_e32 v16, v16, v32
	v_fmac_f32_e32 v26, v0, v63
	v_fmac_f32_e32 v34, v0, v38
	v_dual_mul_f32 v38, v45, v64 :: v_dual_fmac_f32 v19, v0, v83
	v_mul_f32_e32 v32, v45, v52
	v_mul_f32_e32 v0, v45, v95
	v_add_f32_e32 v16, v16, v18
	s_delay_alu instid0(VALU_DEP_4) | instskip(NEXT) | instid1(VALU_DEP_4)
	v_fmac_f32_e32 v38, v1, v43
	v_dual_add_f32 v19, v72, v19 :: v_dual_fmac_f32 v32, v1, v40
	s_delay_alu instid0(VALU_DEP_4) | instskip(SKIP_4) | instid1(VALU_DEP_4)
	v_dual_fmac_f32 v0, v1, v39 :: v_dual_lshlrev_b32 v1, 16, v8
	v_add_f32_e32 v18, v74, v26
	v_and_b32_e32 v26, 0xffff0000, v2
	v_dual_fmac_f32 v33, v35, v7 :: v_dual_lshlrev_b32 v2, 16, v2
	v_add_f32_e32 v34, v73, v34
	v_add_f32_e32 v18, v18, v32
	s_delay_alu instid0(VALU_DEP_4) | instskip(SKIP_1) | instid1(VALU_DEP_2)
	v_dual_mul_f32 v37, v26, v37 :: v_dual_and_b32 v32, 0xffff0000, v3
	v_dual_add_f32 v0, v19, v0 :: v_dual_lshlrev_b32 v3, 16, v3
	v_dual_add_f32 v80, v17, v31 :: v_dual_mul_f32 v29, v32, v29
	s_delay_alu instid0(VALU_DEP_3) | instskip(NEXT) | instid1(VALU_DEP_2)
	v_fmac_f32_e32 v37, v2, v36
	v_dual_fmac_f32 v29, v3, v24 :: v_dual_mul_f32 v36, v32, v42
	s_delay_alu instid0(VALU_DEP_2) | instskip(NEXT) | instid1(VALU_DEP_2)
	v_add_f32_e32 v18, v18, v37
	v_fmac_f32_e32 v36, v3, v28
	v_add_f32_e32 v28, v34, v38
	v_and_b32_e32 v34, 0xffff0000, v8
	s_delay_alu instid0(VALU_DEP_3) | instskip(SKIP_1) | instid1(VALU_DEP_3)
	v_add_f32_e32 v18, v18, v36
	v_and_b32_e32 v36, 0xffff0000, v9
	v_dual_mul_f32 v8, v34, v86 :: v_dual_lshlrev_b32 v9, 16, v9
	v_add_f32_e32 v78, v16, v33
	s_delay_alu instid0(VALU_DEP_3) | instskip(SKIP_3) | instid1(VALU_DEP_2)
	v_mul_f32_e32 v19, v36, v89
	v_mul_f32_e32 v40, v26, v65
	;; [unrolled: 1-line block ×3, first 2 shown]
	v_fmac_f32_e32 v8, v1, v87
	v_dual_fmac_f32 v19, v9, v91 :: v_dual_fmac_f32 v26, v2, v25
	v_mul_f32_e32 v25, v32, v88
	s_delay_alu instid0(VALU_DEP_3) | instskip(NEXT) | instid1(VALU_DEP_2)
	v_add_f32_e32 v8, v18, v8
	v_dual_add_f32 v0, v0, v26 :: v_dual_fmac_f32 v25, v3, v27
	s_delay_alu instid0(VALU_DEP_2) | instskip(NEXT) | instid1(VALU_DEP_2)
	v_add_f32_e32 v3, v8, v19
	v_dual_mul_f32 v19, v34, v96 :: v_dual_add_f32 v0, v0, v25
	s_delay_alu instid0(VALU_DEP_1) | instskip(SKIP_3) | instid1(VALU_DEP_3)
	v_dual_fmac_f32 v19, v1, v12 :: v_dual_fmac_f32 v40, v2, v82
	v_and_b32_e32 v2, 0xffff0000, v10
	v_lshlrev_b32_e32 v10, 16, v10
	v_mul_f32_e32 v12, v36, v90
	v_mul_f32_e32 v18, v2, v92
	s_delay_alu instid0(VALU_DEP_2) | instskip(NEXT) | instid1(VALU_DEP_2)
	v_fmac_f32_e32 v12, v9, v13
	v_fmac_f32_e32 v18, v10, v22
	s_delay_alu instid0(VALU_DEP_1) | instskip(SKIP_1) | instid1(VALU_DEP_2)
	v_dual_mul_f32 v22, v34, v84 :: v_dual_add_f32 v3, v3, v18
	v_and_b32_e32 v18, 0xffff0000, v11
	v_dual_fmac_f32 v22, v1, v4 :: v_dual_mul_f32 v1, v36, v98
	v_lshlrev_b32_e32 v11, 16, v11
	s_delay_alu instid0(VALU_DEP_2) | instskip(NEXT) | instid1(VALU_DEP_3)
	v_dual_mul_f32 v21, v18, v21 :: v_dual_add_f32 v0, v0, v22
	v_fmac_f32_e32 v1, v9, v5
	v_mul_f32_e32 v5, v18, v99
	s_delay_alu instid0(VALU_DEP_2) | instskip(NEXT) | instid1(VALU_DEP_2)
	v_dual_fmac_f32 v21, v11, v20 :: v_dual_add_f32 v0, v0, v1
	v_dual_fmac_f32 v5, v11, v15 :: v_dual_add_f32 v28, v28, v40
	s_delay_alu instid0(VALU_DEP_2) | instskip(NEXT) | instid1(VALU_DEP_1)
	v_dual_mul_f32 v1, v18, v44 :: v_dual_add_f32 v74, v3, v21
	v_dual_add_f32 v8, v28, v29 :: v_dual_fmac_f32 v1, v11, v7
	s_delay_alu instid0(VALU_DEP_1) | instskip(SKIP_2) | instid1(VALU_DEP_3)
	v_add_f32_e32 v4, v8, v19
	v_mul_f32_e32 v8, v2, v23
	v_mul_f32_e32 v2, v2, v100
	v_add_f32_e32 v4, v4, v12
	s_delay_alu instid0(VALU_DEP_3) | instskip(NEXT) | instid1(VALU_DEP_3)
	v_fmac_f32_e32 v8, v10, v14
	v_fmac_f32_e32 v2, v10, v6
	s_delay_alu instid0(VALU_DEP_2) | instskip(NEXT) | instid1(VALU_DEP_2)
	v_add_f32_e32 v4, v4, v8
	v_add_f32_e32 v0, v0, v2
	s_delay_alu instid0(VALU_DEP_2) | instskip(NEXT) | instid1(VALU_DEP_2)
	v_add_f32_e32 v73, v4, v5
	v_add_f32_e32 v72, v0, v1
	s_cbranch_scc1 .LBB240_44
.LBB240_18:                             ;   Parent Loop BB240_13 Depth=1
                                        ; =>  This Inner Loop Header: Depth=2
	v_add_nc_u32_e32 v63, s1, v66
	v_dual_mov_b32 v35, 0 :: v_dual_mov_b32 v34, 0
	v_dual_mov_b32 v33, 0 :: v_dual_mov_b32 v32, 0
	s_delay_alu instid0(VALU_DEP_3) | instskip(SKIP_3) | instid1(VALU_DEP_4)
	v_min_u32_e32 v52, s21, v63
	v_dual_mov_b32 v47, 0 :: v_dual_add_nc_u32 v62, 0x200, v63
	v_dual_mov_b32 v46, 0 :: v_dual_mov_b32 v45, 0
	v_mov_b32_e32 v44, 0
	v_lshlrev_b64 v[0:1], 1, v[52:53]
	s_delay_alu instid0(VALU_DEP_4)
	v_min_u32_e32 v52, s21, v62
	v_dual_mov_b32 v19, 0 :: v_dual_mov_b32 v18, 0
	s_waitcnt vmcnt(3)
	v_dual_mov_b32 v17, 0 :: v_dual_mov_b32 v16, 0
	s_waitcnt lgkmcnt(0)
	v_add_co_u32 v6, vcc_lo, s10, v0
	v_add_co_ci_u32_e32 v7, vcc_lo, s11, v1, vcc_lo
	v_lshlrev_b64 v[0:1], 1, v[52:53]
	s_delay_alu instid0(VALU_DEP_3) | instskip(NEXT) | instid1(VALU_DEP_3)
	v_add_co_u32 v2, vcc_lo, v6, v56
	v_add_co_ci_u32_e32 v3, vcc_lo, v7, v57, vcc_lo
	v_add_co_u32 v4, vcc_lo, v6, v58
	v_add_co_ci_u32_e32 v5, vcc_lo, v7, v59, vcc_lo
	;; [unrolled: 2-line block ×4, first 2 shown]
	s_delay_alu instid0(VALU_DEP_4) | instskip(NEXT) | instid1(VALU_DEP_4)
	v_add_co_u32 v6, vcc_lo, v10, v56
	v_add_co_ci_u32_e32 v7, vcc_lo, v11, v57, vcc_lo
	s_waitcnt vmcnt(0)
	v_add_co_u32 v8, vcc_lo, v10, v58
	v_add_co_ci_u32_e32 v9, vcc_lo, v11, v59, vcc_lo
	v_add_co_u32 v10, vcc_lo, v10, v60
	v_add_co_ci_u32_e32 v11, vcc_lo, v11, v61, vcc_lo
	s_clause 0x5
	global_load_b128 v[36:39], v[2:3], off slc dlc
	global_load_b128 v[28:31], v[4:5], off slc dlc
	;; [unrolled: 1-line block ×6, first 2 shown]
	v_dual_mov_b32 v11, 0 :: v_dual_mov_b32 v10, 0
	v_cmp_gt_u32_e32 vcc_lo, s4, v63
	v_dual_mov_b32 v9, 0 :: v_dual_mov_b32 v8, 0
	v_dual_mov_b32 v3, 0 :: v_dual_mov_b32 v2, 0
	;; [unrolled: 1-line block ×5, first 2 shown]
	s_and_saveexec_b32 s2, vcc_lo
	s_cbranch_execz .LBB240_17
; %bb.19:                               ;   in Loop: Header=BB240_18 Depth=2
	s_mov_b32 s3, exec_lo
                                        ; implicit-def: $vgpr43
	v_cmpx_lt_u32_e32 0x7fff, v63
	s_xor_b32 s3, exec_lo, s3
	s_cbranch_execz .LBB240_21
; %bb.20:                               ;   in Loop: Header=BB240_18 Depth=2
	v_mov_b32_e32 v64, v53
	s_delay_alu instid0(VALU_DEP_1) | instskip(NEXT) | instid1(VALU_DEP_1)
	v_lshlrev_b64 v[0:1], 1, v[63:64]
	v_add_co_u32 v0, vcc_lo, s12, v0
	s_delay_alu instid0(VALU_DEP_2)
	v_add_co_ci_u32_e32 v1, vcc_lo, s13, v1, vcc_lo
	global_load_b128 v[40:43], v[0:1], off
.LBB240_21:                             ;   in Loop: Header=BB240_18 Depth=2
	s_and_not1_saveexec_b32 s3, s3
	s_cbranch_execz .LBB240_23
; %bb.22:                               ;   in Loop: Header=BB240_18 Depth=2
	s_waitcnt vmcnt(0)
	ds_load_b128 v[40:43], v75
.LBB240_23:                             ;   in Loop: Header=BB240_18 Depth=2
	s_or_b32 exec_lo, exec_lo, s3
	v_add_nc_u32_e32 v52, s1, v68
	s_mov_b32 s3, exec_lo
                                        ; implicit-def: $vgpr19
	s_delay_alu instid0(VALU_DEP_1)
	v_cmpx_lt_u32_e32 0x7fff, v52
	s_xor_b32 s3, exec_lo, s3
	s_cbranch_execz .LBB240_25
; %bb.24:                               ;   in Loop: Header=BB240_18 Depth=2
	v_lshlrev_b64 v[0:1], 1, v[52:53]
	s_delay_alu instid0(VALU_DEP_1) | instskip(NEXT) | instid1(VALU_DEP_2)
	v_add_co_u32 v0, vcc_lo, s12, v0
	v_add_co_ci_u32_e32 v1, vcc_lo, s13, v1, vcc_lo
	global_load_b128 v[16:19], v[0:1], off
.LBB240_25:                             ;   in Loop: Header=BB240_18 Depth=2
	s_and_not1_saveexec_b32 s3, s3
	s_cbranch_execz .LBB240_27
; %bb.26:                               ;   in Loop: Header=BB240_18 Depth=2
	v_add_nc_u32_e32 v0, s26, v75
	s_waitcnt vmcnt(0)
	ds_load_b128 v[16:19], v0
.LBB240_27:                             ;   in Loop: Header=BB240_18 Depth=2
	s_or_b32 exec_lo, exec_lo, s3
	v_add_nc_u32_e32 v64, s1, v71
	s_mov_b32 s3, exec_lo
                                        ; implicit-def: $vgpr3
	s_delay_alu instid0(VALU_DEP_1)
	v_cmpx_lt_u32_e32 0x7fff, v64
	s_xor_b32 s3, exec_lo, s3
	s_cbranch_execz .LBB240_29
; %bb.28:                               ;   in Loop: Header=BB240_18 Depth=2
	v_mov_b32_e32 v65, v53
	s_delay_alu instid0(VALU_DEP_1) | instskip(NEXT) | instid1(VALU_DEP_1)
	v_lshlrev_b64 v[0:1], 1, v[64:65]
	v_add_co_u32 v0, vcc_lo, s12, v0
	s_delay_alu instid0(VALU_DEP_2)
	v_add_co_ci_u32_e32 v1, vcc_lo, s13, v1, vcc_lo
	global_load_b128 v[0:3], v[0:1], off
.LBB240_29:                             ;   in Loop: Header=BB240_18 Depth=2
	s_and_not1_saveexec_b32 s3, s3
	s_cbranch_execz .LBB240_31
; %bb.30:                               ;   in Loop: Header=BB240_18 Depth=2
	s_waitcnt vmcnt(0)
	v_add_nc_u32_e32 v2, s6, v75
	ds_load_2addr_b32 v[0:1], v2 offset1:1
	ds_load_2addr_b32 v[2:3], v2 offset0:2 offset1:3
.LBB240_31:                             ;   in Loop: Header=BB240_18 Depth=2
	s_or_b32 exec_lo, exec_lo, s3
	v_dual_mov_b32 v11, 0 :: v_dual_mov_b32 v10, 0
	v_dual_mov_b32 v9, 0 :: v_dual_mov_b32 v8, 0
	;; [unrolled: 1-line block ×6, first 2 shown]
	s_mov_b32 s3, exec_lo
	v_cmpx_gt_u32_e64 s4, v62
	s_cbranch_execz .LBB240_16
; %bb.32:                               ;   in Loop: Header=BB240_18 Depth=2
	s_mov_b32 s18, exec_lo
                                        ; implicit-def: $vgpr47
	v_cmpx_lt_u32_e32 0x7fff, v62
	s_xor_b32 s18, exec_lo, s18
	s_cbranch_execz .LBB240_34
; %bb.33:                               ;   in Loop: Header=BB240_18 Depth=2
	v_mov_b32_e32 v63, v53
	s_delay_alu instid0(VALU_DEP_1) | instskip(NEXT) | instid1(VALU_DEP_1)
	v_lshlrev_b64 v[8:9], 1, v[62:63]
	v_add_co_u32 v8, vcc_lo, s12, v8
	s_delay_alu instid0(VALU_DEP_2)
	v_add_co_ci_u32_e32 v9, vcc_lo, s13, v9, vcc_lo
	global_load_b128 v[44:47], v[8:9], off
.LBB240_34:                             ;   in Loop: Header=BB240_18 Depth=2
	s_and_not1_saveexec_b32 s18, s18
	s_cbranch_execz .LBB240_36
; %bb.35:                               ;   in Loop: Header=BB240_18 Depth=2
	s_waitcnt vmcnt(0)
	ds_load_b128 v[44:47], v75 offset:1024
.LBB240_36:                             ;   in Loop: Header=BB240_18 Depth=2
	s_or_b32 exec_lo, exec_lo, s18
	v_add_nc_u32_e32 v52, 0x200, v52
	s_mov_b32 s18, exec_lo
                                        ; implicit-def: $vgpr35
	s_delay_alu instid0(VALU_DEP_1)
	v_cmpx_lt_u32_e32 0x7fff, v52
	s_xor_b32 s18, exec_lo, s18
	s_cbranch_execz .LBB240_38
; %bb.37:                               ;   in Loop: Header=BB240_18 Depth=2
	v_lshlrev_b64 v[8:9], 1, v[52:53]
	s_delay_alu instid0(VALU_DEP_1) | instskip(NEXT) | instid1(VALU_DEP_2)
	v_add_co_u32 v8, vcc_lo, s12, v8
	v_add_co_ci_u32_e32 v9, vcc_lo, s13, v9, vcc_lo
	global_load_b128 v[32:35], v[8:9], off
.LBB240_38:                             ;   in Loop: Header=BB240_18 Depth=2
	s_and_not1_saveexec_b32 s18, s18
	s_cbranch_execz .LBB240_40
; %bb.39:                               ;   in Loop: Header=BB240_18 Depth=2
	v_add_nc_u32_e32 v8, s26, v75
	s_waitcnt vmcnt(0)
	ds_load_b128 v[32:35], v8 offset:1024
.LBB240_40:                             ;   in Loop: Header=BB240_18 Depth=2
	s_or_b32 exec_lo, exec_lo, s18
	v_add_nc_u32_e32 v52, 0x200, v64
	s_mov_b32 s18, exec_lo
                                        ; implicit-def: $vgpr11
	s_delay_alu instid0(VALU_DEP_1)
	v_cmpx_lt_u32_e32 0x7fff, v52
	s_xor_b32 s18, exec_lo, s18
	s_cbranch_execz .LBB240_42
; %bb.41:                               ;   in Loop: Header=BB240_18 Depth=2
	v_lshlrev_b64 v[8:9], 1, v[52:53]
	s_delay_alu instid0(VALU_DEP_1) | instskip(NEXT) | instid1(VALU_DEP_2)
	v_add_co_u32 v8, vcc_lo, s12, v8
	v_add_co_ci_u32_e32 v9, vcc_lo, s13, v9, vcc_lo
	global_load_b128 v[8:11], v[8:9], off
.LBB240_42:                             ;   in Loop: Header=BB240_18 Depth=2
	s_and_not1_saveexec_b32 s18, s18
	s_cbranch_execz .LBB240_15
; %bb.43:                               ;   in Loop: Header=BB240_18 Depth=2
	s_waitcnt vmcnt(0)
	v_add_nc_u32_e32 v8, s6, v75
	s_delay_alu instid0(VALU_DEP_1)
	v_add_nc_u32_e32 v9, 0x400, v8
	v_add_nc_u32_e32 v10, 0x408, v8
	ds_load_2addr_b32 v[8:9], v9 offset1:1
	ds_load_2addr_b32 v[10:11], v10 offset1:1
	s_branch .LBB240_15
.LBB240_44:                             ;   in Loop: Header=BB240_13 Depth=1
	s_delay_alu instid0(VALU_DEP_1)
	v_cvt_i32_f32_e32 v0, v77
	s_waitcnt lgkmcnt(0)
	v_cvt_i32_f32_e32 v1, v81
	v_cvt_i32_f32_e32 v2, v79
	;; [unrolled: 1-line block ×3, first 2 shown]
	s_waitcnt vmcnt(0)
	v_cvt_i32_f32_e32 v8, v80
	v_cvt_f32_i32_dpp v0, v0 row_shr:8 row_mask:0xf bank_mask:0xf bound_ctrl:1
	v_cvt_f32_i32_dpp v1, v1 row_shr:8 row_mask:0xf bank_mask:0xf bound_ctrl:1
	;; [unrolled: 1-line block ×4, first 2 shown]
	v_cvt_i32_f32_e32 v9, v78
	v_add_f32_e32 v0, v77, v0
	s_delay_alu instid0(VALU_DEP_4) | instskip(NEXT) | instid1(VALU_DEP_4)
	v_dual_add_f32 v1, v81, v1 :: v_dual_add_f32 v2, v79, v2
	v_add_f32_e32 v3, v76, v3
	v_cvt_i32_f32_e32 v12, v73
	s_delay_alu instid0(VALU_DEP_4) | instskip(NEXT) | instid1(VALU_DEP_4)
	v_cvt_i32_f32_e32 v4, v0
	v_cvt_i32_f32_e32 v5, v1
	;; [unrolled: 1-line block ×4, first 2 shown]
	v_cvt_f32_i32_dpp v9, v9 row_shr:8 row_mask:0xf bank_mask:0xf bound_ctrl:1
	v_cvt_f32_i32_dpp v4, v4 row_shr:4 row_mask:0xf bank_mask:0xf bound_ctrl:1
	;; [unrolled: 1-line block ×5, first 2 shown]
	v_cvt_i32_f32_e32 v14, v72
	s_delay_alu instid0(VALU_DEP_4) | instskip(NEXT) | instid1(VALU_DEP_3)
	v_dual_add_f32 v0, v0, v4 :: v_dual_add_f32 v1, v1, v5
	v_dual_add_f32 v2, v2, v6 :: v_dual_add_f32 v3, v3, v7
	v_cvt_i32_f32_e32 v4, v74
	s_delay_alu instid0(VALU_DEP_3) | instskip(NEXT) | instid1(VALU_DEP_4)
	v_cvt_i32_f32_e32 v5, v0
	v_cvt_i32_f32_e32 v6, v1
	s_delay_alu instid0(VALU_DEP_4)
	v_cvt_i32_f32_e32 v7, v2
	v_cvt_i32_f32_e32 v10, v3
	v_cvt_f32_i32_dpp v4, v4 row_shr:8 row_mask:0xf bank_mask:0xf bound_ctrl:1
	v_cvt_f32_i32_dpp v5, v5 row_shr:2 row_mask:0xf bank_mask:0xf bound_ctrl:1
	;; [unrolled: 1-line block ×5, first 2 shown]
	v_add_f32_e32 v4, v74, v4
	s_delay_alu instid0(VALU_DEP_4) | instskip(NEXT) | instid1(VALU_DEP_3)
	v_dual_add_f32 v0, v0, v5 :: v_dual_add_f32 v1, v1, v6
	v_dual_add_f32 v2, v2, v7 :: v_dual_add_f32 v3, v3, v10
	v_cvt_f32_i32_dpp v5, v8 row_shr:8 row_mask:0xf bank_mask:0xf bound_ctrl:1
	s_delay_alu instid0(VALU_DEP_3) | instskip(NEXT) | instid1(VALU_DEP_4)
	v_cvt_i32_f32_e32 v6, v0
	v_cvt_i32_f32_e32 v7, v1
	s_delay_alu instid0(VALU_DEP_4) | instskip(SKIP_1) | instid1(VALU_DEP_4)
	v_cvt_i32_f32_e32 v8, v2
	v_cvt_i32_f32_e32 v10, v3
	v_cvt_f32_i32_dpp v6, v6 row_shr:1 row_mask:0xf bank_mask:0xf bound_ctrl:1
	s_delay_alu instid0(VALU_DEP_4) | instskip(NEXT) | instid1(VALU_DEP_4)
	v_cvt_f32_i32_dpp v7, v7 row_shr:1 row_mask:0xf bank_mask:0xf bound_ctrl:1
	v_cvt_f32_i32_dpp v8, v8 row_shr:1 row_mask:0xf bank_mask:0xf bound_ctrl:1
	s_delay_alu instid0(VALU_DEP_4) | instskip(NEXT) | instid1(VALU_DEP_3)
	v_cvt_f32_i32_dpp v10, v10 row_shr:1 row_mask:0xf bank_mask:0xf bound_ctrl:1
	v_dual_add_f32 v21, v0, v6 :: v_dual_add_f32 v18, v1, v7
	s_delay_alu instid0(VALU_DEP_3) | instskip(NEXT) | instid1(VALU_DEP_3)
	v_dual_add_f32 v15, v2, v8 :: v_dual_add_f32 v2, v80, v5
	v_add_f32_e32 v11, v3, v10
	v_cvt_f32_i32_dpp v0, v12 row_shr:8 row_mask:0xf bank_mask:0xf bound_ctrl:1
	v_add_f32_e32 v3, v78, v9
	v_cvt_f32_i32_dpp v1, v14 row_shr:8 row_mask:0xf bank_mask:0xf bound_ctrl:1
	v_cvt_i32_f32_e32 v5, v2
	v_cvt_i32_f32_e32 v7, v4
	v_add_f32_e32 v0, v73, v0
	v_cvt_i32_f32_e32 v6, v3
	ds_bpermute_b32 v22, v69, v21
	v_cvt_f32_i32_dpp v5, v5 row_shr:4 row_mask:0xf bank_mask:0xf bound_ctrl:1
	v_cvt_f32_i32_dpp v7, v7 row_shr:4 row_mask:0xf bank_mask:0xf bound_ctrl:1
	v_cvt_i32_f32_e32 v8, v0
	v_cvt_f32_i32_dpp v6, v6 row_shr:4 row_mask:0xf bank_mask:0xf bound_ctrl:1
	ds_bpermute_b32 v19, v69, v18
	v_add_f32_e32 v2, v2, v5
	ds_bpermute_b32 v16, v69, v15
	v_cvt_f32_i32_dpp v8, v8 row_shr:4 row_mask:0xf bank_mask:0xf bound_ctrl:1
	v_add_f32_e32 v3, v3, v6
	ds_bpermute_b32 v13, v69, v11
	v_cvt_i32_f32_e32 v5, v2
	v_cvt_i32_f32_e32 v6, v3
	s_delay_alu instid0(VALU_DEP_2) | instskip(NEXT) | instid1(VALU_DEP_2)
	v_cvt_f32_i32_dpp v5, v5 row_shr:2 row_mask:0xf bank_mask:0xf bound_ctrl:1
	v_cvt_f32_i32_dpp v6, v6 row_shr:2 row_mask:0xf bank_mask:0xf bound_ctrl:1
	v_add_f32_e32 v0, v0, v8
	s_delay_alu instid0(VALU_DEP_2) | instskip(NEXT) | instid1(VALU_DEP_2)
	v_dual_add_f32 v2, v2, v5 :: v_dual_add_f32 v3, v3, v6
	v_cvt_i32_f32_e32 v8, v0
	s_delay_alu instid0(VALU_DEP_2) | instskip(NEXT) | instid1(VALU_DEP_3)
	v_cvt_i32_f32_e32 v5, v2
	v_cvt_i32_f32_e32 v6, v3
	s_delay_alu instid0(VALU_DEP_3) | instskip(NEXT) | instid1(VALU_DEP_3)
	v_cvt_f32_i32_dpp v8, v8 row_shr:2 row_mask:0xf bank_mask:0xf bound_ctrl:1
	v_cvt_f32_i32_dpp v5, v5 row_shr:1 row_mask:0xf bank_mask:0xf bound_ctrl:1
	s_delay_alu instid0(VALU_DEP_3) | instskip(SKIP_1) | instid1(VALU_DEP_4)
	v_cvt_f32_i32_dpp v6, v6 row_shr:1 row_mask:0xf bank_mask:0xf bound_ctrl:1
	v_add_f32_e32 v1, v72, v1
	v_add_f32_e32 v0, v0, v8
	s_delay_alu instid0(VALU_DEP_3) | instskip(NEXT) | instid1(VALU_DEP_3)
	v_add_f32_e32 v6, v3, v6
	v_cvt_i32_f32_e32 v9, v1
	s_delay_alu instid0(VALU_DEP_1) | instskip(NEXT) | instid1(VALU_DEP_1)
	v_cvt_f32_i32_dpp v9, v9 row_shr:4 row_mask:0xf bank_mask:0xf bound_ctrl:1
	v_dual_add_f32 v4, v4, v7 :: v_dual_add_f32 v1, v1, v9
	s_delay_alu instid0(VALU_DEP_1) | instskip(NEXT) | instid1(VALU_DEP_2)
	v_cvt_i32_f32_e32 v7, v4
	v_cvt_i32_f32_e32 v9, v1
	s_delay_alu instid0(VALU_DEP_2) | instskip(NEXT) | instid1(VALU_DEP_2)
	v_cvt_f32_i32_dpp v7, v7 row_shr:2 row_mask:0xf bank_mask:0xf bound_ctrl:1
	v_cvt_f32_i32_dpp v9, v9 row_shr:2 row_mask:0xf bank_mask:0xf bound_ctrl:1
	s_delay_alu instid0(VALU_DEP_1) | instskip(NEXT) | instid1(VALU_DEP_1)
	v_dual_add_f32 v4, v4, v7 :: v_dual_add_f32 v1, v1, v9
	v_cvt_i32_f32_e32 v7, v4
	s_delay_alu instid0(VALU_DEP_2) | instskip(NEXT) | instid1(VALU_DEP_2)
	v_cvt_i32_f32_e32 v9, v1
	v_cvt_f32_i32_dpp v7, v7 row_shr:1 row_mask:0xf bank_mask:0xf bound_ctrl:1
	s_delay_alu instid0(VALU_DEP_2) | instskip(SKIP_2) | instid1(VALU_DEP_4)
	v_cvt_f32_i32_dpp v10, v9 row_shr:1 row_mask:0xf bank_mask:0xf bound_ctrl:1
	v_add_f32_e32 v9, v2, v5
	v_cvt_i32_f32_e32 v8, v0
	v_add_f32_e32 v4, v4, v7
	ds_bpermute_b32 v7, v69, v6
	v_cvt_f32_i32_dpp v8, v8 row_shr:1 row_mask:0xf bank_mask:0xf bound_ctrl:1
	ds_bpermute_b32 v5, v69, v4
	v_add_f32_e32 v2, v0, v8
	v_add_f32_e32 v0, v1, v10
	ds_bpermute_b32 v10, v69, v9
	ds_bpermute_b32 v3, v69, v2
	ds_bpermute_b32 v1, v69, v0
	s_and_saveexec_b32 s18, s0
	s_cbranch_execz .LBB240_101
; %bb.45:                               ;   in Loop: Header=BB240_13 Depth=1
	v_dual_mov_b32 v26, 0 :: v_dual_mov_b32 v25, 0
	v_dual_mov_b32 v24, 0 :: v_dual_mov_b32 v23, 0
	;; [unrolled: 1-line block ×3, first 2 shown]
	v_mov_b32_e32 v14, 0
	v_mov_b32_e32 v12, 0
	;; [unrolled: 1-line block ×3, first 2 shown]
	s_and_not1_b32 vcc_lo, exec_lo, s23
	s_cbranch_vccnz .LBB240_47
; %bb.46:                               ;   in Loop: Header=BB240_13 Depth=1
	v_mul_hi_u32 v8, v51, v70
	v_mul_hi_u32 v12, v55, v70
	;; [unrolled: 1-line block ×3, first 2 shown]
	v_mov_b32_e32 v28, v53
	v_mov_b32_e32 v30, v53
	;; [unrolled: 1-line block ×3, first 2 shown]
	v_mul_lo_u32 v8, v8, s14
	v_mul_lo_u32 v12, v12, s14
	;; [unrolled: 1-line block ×3, first 2 shown]
	s_delay_alu instid0(VALU_DEP_3) | instskip(NEXT) | instid1(VALU_DEP_3)
	v_sub_nc_u32_e32 v8, v51, v8
	v_sub_nc_u32_e32 v12, v55, v12
	s_delay_alu instid0(VALU_DEP_3) | instskip(NEXT) | instid1(VALU_DEP_3)
	v_sub_nc_u32_e32 v14, v54, v14
	v_subrev_nc_u32_e32 v17, s14, v8
	v_cmp_le_u32_e32 vcc_lo, s14, v8
	s_delay_alu instid0(VALU_DEP_4) | instskip(NEXT) | instid1(VALU_DEP_4)
	v_subrev_nc_u32_e32 v20, s14, v12
	v_subrev_nc_u32_e32 v23, s14, v14
	s_delay_alu instid0(VALU_DEP_4) | instskip(SKIP_1) | instid1(VALU_DEP_2)
	v_cndmask_b32_e32 v8, v8, v17, vcc_lo
	v_cmp_le_u32_e32 vcc_lo, s14, v12
	v_subrev_nc_u32_e32 v17, s14, v8
	v_cndmask_b32_e32 v12, v12, v20, vcc_lo
	v_cmp_le_u32_e32 vcc_lo, s14, v14
	s_delay_alu instid0(VALU_DEP_2) | instskip(SKIP_2) | instid1(VALU_DEP_2)
	v_subrev_nc_u32_e32 v20, s14, v12
	v_cndmask_b32_e32 v14, v14, v23, vcc_lo
	v_cmp_le_u32_e32 vcc_lo, s14, v8
	v_subrev_nc_u32_e32 v25, s14, v14
	v_cndmask_b32_e32 v52, v8, v17, vcc_lo
	v_cmp_le_u32_e32 vcc_lo, s14, v12
	v_mov_b32_e32 v24, v53
	s_delay_alu instid0(VALU_DEP_3) | instskip(SKIP_4) | instid1(VALU_DEP_4)
	v_lshlrev_b64 v[31:32], 1, v[52:53]
	v_cndmask_b32_e32 v23, v12, v20, vcc_lo
	v_cmp_le_u32_e32 vcc_lo, s14, v14
	v_dual_mov_b32 v26, v53 :: v_dual_add_nc_u32 v27, s27, v52
	v_add_nc_u32_e32 v52, s28, v52
	v_add_nc_u32_e32 v29, s27, v23
	v_cndmask_b32_e32 v25, v14, v25, vcc_lo
	v_lshlrev_b64 v[33:34], 1, v[23:24]
	v_add_co_u32 v31, vcc_lo, s8, v31
	v_add_co_ci_u32_e32 v32, vcc_lo, s9, v32, vcc_lo
	s_delay_alu instid0(VALU_DEP_4) | instskip(SKIP_3) | instid1(VALU_DEP_4)
	v_lshlrev_b64 v[35:36], 1, v[25:26]
	v_lshlrev_b64 v[26:27], 1, v[27:28]
	v_add_co_u32 v33, vcc_lo, s8, v33
	v_add_co_ci_u32_e32 v34, vcc_lo, s9, v34, vcc_lo
	v_add_co_u32 v35, vcc_lo, s8, v35
	v_add_nc_u32_e32 v37, s27, v25
	v_add_co_ci_u32_e32 v36, vcc_lo, s9, v36, vcc_lo
	v_lshlrev_b64 v[28:29], 1, v[29:30]
	v_add_co_u32 v39, vcc_lo, s8, v26
	v_add_co_ci_u32_e32 v40, vcc_lo, s9, v27, vcc_lo
	v_lshlrev_b64 v[26:27], 1, v[37:38]
	v_lshlrev_b64 v[37:38], 1, v[52:53]
	v_add_nc_u32_e32 v52, s28, v23
	v_add_co_u32 v28, vcc_lo, s8, v28
	v_add_co_ci_u32_e32 v29, vcc_lo, s9, v29, vcc_lo
	s_delay_alu instid0(VALU_DEP_3) | instskip(SKIP_4) | instid1(VALU_DEP_4)
	v_lshlrev_b64 v[23:24], 1, v[52:53]
	v_add_nc_u32_e32 v52, s28, v25
	v_add_co_u32 v41, vcc_lo, s8, v26
	v_add_co_ci_u32_e32 v42, vcc_lo, s9, v27, vcc_lo
	v_add_co_u32 v37, vcc_lo, s8, v37
	v_lshlrev_b64 v[25:26], 1, v[52:53]
	v_add_co_ci_u32_e32 v38, vcc_lo, s9, v38, vcc_lo
	v_add_co_u32 v43, vcc_lo, s8, v23
	v_add_co_ci_u32_e32 v44, vcc_lo, s9, v24, vcc_lo
	s_delay_alu instid0(VALU_DEP_4)
	v_add_co_u32 v45, vcc_lo, s8, v25
	v_add_co_ci_u32_e32 v46, vcc_lo, s9, v26, vcc_lo
	s_clause 0x8
	global_load_u16 v26, v[31:32], off
	global_load_u16 v25, v[33:34], off
	;; [unrolled: 1-line block ×9, first 2 shown]
.LBB240_47:                             ;   in Loop: Header=BB240_13 Depth=1
	v_cmp_ne_u32_e32 vcc_lo, 0, v48
	s_and_saveexec_b32 s2, vcc_lo
	s_cbranch_execnz .LBB240_56
; %bb.48:                               ;   in Loop: Header=BB240_13 Depth=1
	s_or_b32 exec_lo, exec_lo, s2
	v_cmp_ne_u32_e64 s1, 0, v49
	s_delay_alu instid0(VALU_DEP_1)
	s_and_saveexec_b32 s3, s1
	s_cbranch_execnz .LBB240_61
.LBB240_49:                             ;   in Loop: Header=BB240_13 Depth=1
	s_or_b32 exec_lo, exec_lo, s3
	v_cmp_ne_u32_e64 s2, 0, v50
	s_delay_alu instid0(VALU_DEP_1)
	s_and_saveexec_b32 s19, s2
	s_cbranch_execnz .LBB240_66
.LBB240_50:                             ;   in Loop: Header=BB240_13 Depth=1
	s_or_b32 exec_lo, exec_lo, s19
	v_add_nc_u32_e32 v52, s7, v51
	s_and_saveexec_b32 s19, vcc_lo
	s_cbranch_execnz .LBB240_71
.LBB240_51:                             ;   in Loop: Header=BB240_13 Depth=1
	s_or_b32 exec_lo, exec_lo, s19
	s_and_saveexec_b32 s19, s1
	s_cbranch_execnz .LBB240_76
.LBB240_52:                             ;   in Loop: Header=BB240_13 Depth=1
	s_or_b32 exec_lo, exec_lo, s19
	s_and_saveexec_b32 s19, s2
	s_cbranch_execnz .LBB240_81
.LBB240_53:                             ;   in Loop: Header=BB240_13 Depth=1
	s_or_b32 exec_lo, exec_lo, s19
	v_add_nc_u32_e32 v52, s7, v52
	s_and_saveexec_b32 s3, vcc_lo
	s_cbranch_execnz .LBB240_86
.LBB240_54:                             ;   in Loop: Header=BB240_13 Depth=1
	s_or_b32 exec_lo, exec_lo, s3
	s_and_saveexec_b32 s3, s1
	s_cbranch_execnz .LBB240_91
.LBB240_55:                             ;   in Loop: Header=BB240_13 Depth=1
	s_or_b32 exec_lo, exec_lo, s3
	s_delay_alu instid0(SALU_CYCLE_1)
	s_and_b32 exec_lo, exec_lo, s2
	s_cbranch_execnz .LBB240_96
	s_branch .LBB240_101
.LBB240_56:                             ;   in Loop: Header=BB240_13 Depth=1
	s_waitcnt lgkmcnt(0)
	v_add_f32_e32 v21, v21, v22
	s_waitcnt vmcnt(8)
	v_lshlrev_b32_e32 v22, 16, v26
	s_delay_alu instid0(VALU_DEP_1) | instskip(NEXT) | instid1(VALU_DEP_1)
	v_add_f32_e32 v22, v21, v22
	v_and_b32_e32 v21, 0x7f800000, v22
	s_delay_alu instid0(VALU_DEP_1) | instskip(NEXT) | instid1(VALU_DEP_1)
	v_cmp_ne_u32_e64 s1, 0x7f800000, v21
                                        ; implicit-def: $vgpr21
	s_and_saveexec_b32 s3, s1
	s_delay_alu instid0(SALU_CYCLE_1)
	s_xor_b32 s1, exec_lo, s3
; %bb.57:                               ;   in Loop: Header=BB240_13 Depth=1
	v_bfe_u32 v21, v22, 16, 1
	s_delay_alu instid0(VALU_DEP_1)
	v_add3_u32 v21, v22, v21, 0x7fff
                                        ; implicit-def: $vgpr22
; %bb.58:                               ;   in Loop: Header=BB240_13 Depth=1
	s_and_not1_saveexec_b32 s3, s1
; %bb.59:                               ;   in Loop: Header=BB240_13 Depth=1
	v_and_b32_e32 v21, 0xffff, v22
	v_or_b32_e32 v26, 0x10000, v22
	s_delay_alu instid0(VALU_DEP_2) | instskip(NEXT) | instid1(VALU_DEP_1)
	v_cmp_eq_u32_e64 s1, 0, v21
	v_cndmask_b32_e64 v21, v26, v22, s1
; %bb.60:                               ;   in Loop: Header=BB240_13 Depth=1
	s_or_b32 exec_lo, exec_lo, s3
	v_mov_b32_e32 v52, v53
	s_delay_alu instid0(VALU_DEP_1) | instskip(NEXT) | instid1(VALU_DEP_1)
	v_lshlrev_b64 v[26:27], 1, v[51:52]
	v_add_co_u32 v26, s1, s16, v26
	s_delay_alu instid0(VALU_DEP_1) | instskip(SKIP_3) | instid1(VALU_DEP_1)
	v_add_co_ci_u32_e64 v27, s1, s17, v27, s1
	global_store_d16_hi_b16 v[26:27], v21, off
	s_or_b32 exec_lo, exec_lo, s2
	v_cmp_ne_u32_e64 s1, 0, v49
	s_and_saveexec_b32 s3, s1
	s_cbranch_execz .LBB240_49
.LBB240_61:                             ;   in Loop: Header=BB240_13 Depth=1
	s_waitcnt vmcnt(7) lgkmcnt(0)
	v_dual_add_f32 v18, v18, v19 :: v_dual_lshlrev_b32 v19, 16, v25
	s_delay_alu instid0(VALU_DEP_1) | instskip(NEXT) | instid1(VALU_DEP_1)
	v_add_f32_e32 v19, v18, v19
	v_and_b32_e32 v18, 0x7f800000, v19
	s_delay_alu instid0(VALU_DEP_1) | instskip(NEXT) | instid1(VALU_DEP_1)
	v_cmp_ne_u32_e64 s2, 0x7f800000, v18
                                        ; implicit-def: $vgpr18
	s_and_saveexec_b32 s19, s2
	s_delay_alu instid0(SALU_CYCLE_1)
	s_xor_b32 s2, exec_lo, s19
; %bb.62:                               ;   in Loop: Header=BB240_13 Depth=1
	v_bfe_u32 v18, v19, 16, 1
	s_delay_alu instid0(VALU_DEP_1)
	v_add3_u32 v18, v19, v18, 0x7fff
                                        ; implicit-def: $vgpr19
; %bb.63:                               ;   in Loop: Header=BB240_13 Depth=1
	s_and_not1_saveexec_b32 s19, s2
; %bb.64:                               ;   in Loop: Header=BB240_13 Depth=1
	v_and_b32_e32 v18, 0xffff, v19
	v_or_b32_e32 v21, 0x10000, v19
	s_delay_alu instid0(VALU_DEP_2) | instskip(NEXT) | instid1(VALU_DEP_1)
	v_cmp_eq_u32_e64 s2, 0, v18
	v_cndmask_b32_e64 v18, v21, v19, s2
; %bb.65:                               ;   in Loop: Header=BB240_13 Depth=1
	s_or_b32 exec_lo, exec_lo, s19
	v_mov_b32_e32 v56, v53
	s_delay_alu instid0(VALU_DEP_1) | instskip(NEXT) | instid1(VALU_DEP_1)
	v_lshlrev_b64 v[21:22], 1, v[55:56]
	v_add_co_u32 v21, s2, s16, v21
	s_delay_alu instid0(VALU_DEP_1) | instskip(SKIP_3) | instid1(VALU_DEP_1)
	v_add_co_ci_u32_e64 v22, s2, s17, v22, s2
	global_store_d16_hi_b16 v[21:22], v18, off
	s_or_b32 exec_lo, exec_lo, s3
	v_cmp_ne_u32_e64 s2, 0, v50
	s_and_saveexec_b32 s19, s2
	s_cbranch_execz .LBB240_50
.LBB240_66:                             ;   in Loop: Header=BB240_13 Depth=1
	s_waitcnt lgkmcnt(0)
	v_add_f32_e32 v15, v15, v16
	s_waitcnt vmcnt(6)
	v_lshlrev_b32_e32 v16, 16, v24
	s_delay_alu instid0(VALU_DEP_1) | instskip(NEXT) | instid1(VALU_DEP_1)
	v_add_f32_e32 v16, v15, v16
	v_and_b32_e32 v15, 0x7f800000, v16
	s_delay_alu instid0(VALU_DEP_1) | instskip(NEXT) | instid1(VALU_DEP_1)
	v_cmp_ne_u32_e64 s3, 0x7f800000, v15
                                        ; implicit-def: $vgpr15
	s_and_saveexec_b32 s29, s3
	s_delay_alu instid0(SALU_CYCLE_1)
	s_xor_b32 s3, exec_lo, s29
; %bb.67:                               ;   in Loop: Header=BB240_13 Depth=1
	v_bfe_u32 v15, v16, 16, 1
	s_delay_alu instid0(VALU_DEP_1)
	v_add3_u32 v15, v16, v15, 0x7fff
                                        ; implicit-def: $vgpr16
; %bb.68:                               ;   in Loop: Header=BB240_13 Depth=1
	s_and_not1_saveexec_b32 s29, s3
; %bb.69:                               ;   in Loop: Header=BB240_13 Depth=1
	v_and_b32_e32 v15, 0xffff, v16
	v_or_b32_e32 v18, 0x10000, v16
	s_delay_alu instid0(VALU_DEP_2) | instskip(NEXT) | instid1(VALU_DEP_1)
	v_cmp_eq_u32_e64 s3, 0, v15
	v_cndmask_b32_e64 v15, v18, v16, s3
; %bb.70:                               ;   in Loop: Header=BB240_13 Depth=1
	s_or_b32 exec_lo, exec_lo, s29
	v_mov_b32_e32 v55, v53
	s_delay_alu instid0(VALU_DEP_1) | instskip(NEXT) | instid1(VALU_DEP_1)
	v_lshlrev_b64 v[18:19], 1, v[54:55]
	v_add_co_u32 v18, s3, s16, v18
	s_delay_alu instid0(VALU_DEP_1)
	v_add_co_ci_u32_e64 v19, s3, s17, v19, s3
	global_store_d16_hi_b16 v[18:19], v15, off
	s_or_b32 exec_lo, exec_lo, s19
	v_add_nc_u32_e32 v52, s7, v51
	s_and_saveexec_b32 s19, vcc_lo
	s_cbranch_execz .LBB240_51
.LBB240_71:                             ;   in Loop: Header=BB240_13 Depth=1
	s_waitcnt lgkmcnt(0)
	v_add_f32_e32 v11, v11, v13
	s_waitcnt vmcnt(5)
	v_lshlrev_b32_e32 v13, 16, v23
	s_delay_alu instid0(VALU_DEP_1) | instskip(NEXT) | instid1(VALU_DEP_1)
	v_add_f32_e32 v13, v11, v13
	v_and_b32_e32 v11, 0x7f800000, v13
	s_delay_alu instid0(VALU_DEP_1) | instskip(NEXT) | instid1(VALU_DEP_1)
	v_cmp_ne_u32_e64 s3, 0x7f800000, v11
                                        ; implicit-def: $vgpr11
	s_and_saveexec_b32 s29, s3
	s_delay_alu instid0(SALU_CYCLE_1)
	s_xor_b32 s3, exec_lo, s29
; %bb.72:                               ;   in Loop: Header=BB240_13 Depth=1
	v_bfe_u32 v11, v13, 16, 1
	s_delay_alu instid0(VALU_DEP_1)
	v_add3_u32 v11, v13, v11, 0x7fff
                                        ; implicit-def: $vgpr13
; %bb.73:                               ;   in Loop: Header=BB240_13 Depth=1
	s_and_not1_saveexec_b32 s29, s3
; %bb.74:                               ;   in Loop: Header=BB240_13 Depth=1
	v_and_b32_e32 v11, 0xffff, v13
	v_or_b32_e32 v15, 0x10000, v13
	s_delay_alu instid0(VALU_DEP_2) | instskip(NEXT) | instid1(VALU_DEP_1)
	v_cmp_eq_u32_e64 s3, 0, v11
	v_cndmask_b32_e64 v11, v15, v13, s3
; %bb.75:                               ;   in Loop: Header=BB240_13 Depth=1
	s_or_b32 exec_lo, exec_lo, s29
	v_lshlrev_b64 v[15:16], 1, v[52:53]
	s_delay_alu instid0(VALU_DEP_1) | instskip(NEXT) | instid1(VALU_DEP_1)
	v_add_co_u32 v15, s3, s16, v15
	v_add_co_ci_u32_e64 v16, s3, s17, v16, s3
	global_store_d16_hi_b16 v[15:16], v11, off
	s_or_b32 exec_lo, exec_lo, s19
	s_and_saveexec_b32 s19, s1
	s_cbranch_execz .LBB240_52
.LBB240_76:                             ;   in Loop: Header=BB240_13 Depth=1
	s_waitcnt vmcnt(4) lgkmcnt(0)
	v_dual_add_f32 v9, v9, v10 :: v_dual_lshlrev_b32 v10, 16, v20
	s_delay_alu instid0(VALU_DEP_1) | instskip(NEXT) | instid1(VALU_DEP_1)
	v_add_f32_e32 v10, v9, v10
	v_and_b32_e32 v9, 0x7f800000, v10
	s_delay_alu instid0(VALU_DEP_1) | instskip(NEXT) | instid1(VALU_DEP_1)
	v_cmp_ne_u32_e64 s3, 0x7f800000, v9
                                        ; implicit-def: $vgpr9
	s_and_saveexec_b32 s29, s3
	s_delay_alu instid0(SALU_CYCLE_1)
	s_xor_b32 s3, exec_lo, s29
; %bb.77:                               ;   in Loop: Header=BB240_13 Depth=1
	v_bfe_u32 v9, v10, 16, 1
	s_delay_alu instid0(VALU_DEP_1)
	v_add3_u32 v9, v10, v9, 0x7fff
                                        ; implicit-def: $vgpr10
; %bb.78:                               ;   in Loop: Header=BB240_13 Depth=1
	s_and_not1_saveexec_b32 s29, s3
; %bb.79:                               ;   in Loop: Header=BB240_13 Depth=1
	v_and_b32_e32 v9, 0xffff, v10
	v_or_b32_e32 v11, 0x10000, v10
	s_delay_alu instid0(VALU_DEP_2) | instskip(NEXT) | instid1(VALU_DEP_1)
	v_cmp_eq_u32_e64 s3, 0, v9
	v_cndmask_b32_e64 v9, v11, v10, s3
; %bb.80:                               ;   in Loop: Header=BB240_13 Depth=1
	s_or_b32 exec_lo, exec_lo, s29
	v_dual_mov_b32 v11, v53 :: v_dual_add_nc_u32 v10, 1, v52
	s_delay_alu instid0(VALU_DEP_1) | instskip(NEXT) | instid1(VALU_DEP_1)
	v_lshlrev_b64 v[10:11], 1, v[10:11]
	v_add_co_u32 v10, s3, s16, v10
	s_delay_alu instid0(VALU_DEP_1)
	v_add_co_ci_u32_e64 v11, s3, s17, v11, s3
	global_store_d16_hi_b16 v[10:11], v9, off
	s_or_b32 exec_lo, exec_lo, s19
	s_and_saveexec_b32 s19, s2
	s_cbranch_execz .LBB240_53
.LBB240_81:                             ;   in Loop: Header=BB240_13 Depth=1
	s_waitcnt vmcnt(3) lgkmcnt(0)
	v_dual_add_f32 v6, v6, v7 :: v_dual_lshlrev_b32 v7, 16, v17
	s_delay_alu instid0(VALU_DEP_1) | instskip(NEXT) | instid1(VALU_DEP_1)
	v_add_f32_e32 v7, v6, v7
	v_and_b32_e32 v6, 0x7f800000, v7
	s_delay_alu instid0(VALU_DEP_1) | instskip(NEXT) | instid1(VALU_DEP_1)
	v_cmp_ne_u32_e64 s3, 0x7f800000, v6
                                        ; implicit-def: $vgpr6
	s_and_saveexec_b32 s29, s3
	s_delay_alu instid0(SALU_CYCLE_1)
	s_xor_b32 s3, exec_lo, s29
; %bb.82:                               ;   in Loop: Header=BB240_13 Depth=1
	v_bfe_u32 v6, v7, 16, 1
	s_delay_alu instid0(VALU_DEP_1)
	v_add3_u32 v6, v7, v6, 0x7fff
                                        ; implicit-def: $vgpr7
; %bb.83:                               ;   in Loop: Header=BB240_13 Depth=1
	s_and_not1_saveexec_b32 s29, s3
; %bb.84:                               ;   in Loop: Header=BB240_13 Depth=1
	v_and_b32_e32 v6, 0xffff, v7
	v_or_b32_e32 v9, 0x10000, v7
	s_delay_alu instid0(VALU_DEP_2) | instskip(NEXT) | instid1(VALU_DEP_1)
	v_cmp_eq_u32_e64 s3, 0, v6
	v_cndmask_b32_e64 v6, v9, v7, s3
; %bb.85:                               ;   in Loop: Header=BB240_13 Depth=1
	s_or_b32 exec_lo, exec_lo, s29
	v_dual_mov_b32 v10, v53 :: v_dual_add_nc_u32 v9, 2, v52
	s_delay_alu instid0(VALU_DEP_1) | instskip(NEXT) | instid1(VALU_DEP_1)
	v_lshlrev_b64 v[9:10], 1, v[9:10]
	v_add_co_u32 v9, s3, s16, v9
	s_delay_alu instid0(VALU_DEP_1)
	v_add_co_ci_u32_e64 v10, s3, s17, v10, s3
	global_store_d16_hi_b16 v[9:10], v6, off
	s_or_b32 exec_lo, exec_lo, s19
	v_add_nc_u32_e32 v52, s7, v52
	s_and_saveexec_b32 s3, vcc_lo
	s_cbranch_execz .LBB240_54
.LBB240_86:                             ;   in Loop: Header=BB240_13 Depth=1
	s_waitcnt vmcnt(2) lgkmcnt(0)
	v_dual_add_f32 v4, v4, v5 :: v_dual_lshlrev_b32 v5, 16, v14
	s_delay_alu instid0(VALU_DEP_1) | instskip(NEXT) | instid1(VALU_DEP_1)
	v_add_f32_e32 v5, v4, v5
	v_and_b32_e32 v4, 0x7f800000, v5
	s_delay_alu instid0(VALU_DEP_1) | instskip(SKIP_1) | instid1(SALU_CYCLE_1)
	v_cmp_ne_u32_e32 vcc_lo, 0x7f800000, v4
                                        ; implicit-def: $vgpr4
	s_and_saveexec_b32 s19, vcc_lo
	s_xor_b32 s19, exec_lo, s19
; %bb.87:                               ;   in Loop: Header=BB240_13 Depth=1
	v_bfe_u32 v4, v5, 16, 1
	s_delay_alu instid0(VALU_DEP_1)
	v_add3_u32 v4, v5, v4, 0x7fff
                                        ; implicit-def: $vgpr5
; %bb.88:                               ;   in Loop: Header=BB240_13 Depth=1
	s_and_not1_saveexec_b32 s19, s19
; %bb.89:                               ;   in Loop: Header=BB240_13 Depth=1
	v_and_b32_e32 v4, 0xffff, v5
	v_or_b32_e32 v6, 0x10000, v5
	s_delay_alu instid0(VALU_DEP_2) | instskip(NEXT) | instid1(VALU_DEP_2)
	v_cmp_eq_u32_e32 vcc_lo, 0, v4
	v_cndmask_b32_e32 v4, v6, v5, vcc_lo
; %bb.90:                               ;   in Loop: Header=BB240_13 Depth=1
	s_or_b32 exec_lo, exec_lo, s19
	v_lshlrev_b64 v[5:6], 1, v[52:53]
	s_delay_alu instid0(VALU_DEP_1) | instskip(NEXT) | instid1(VALU_DEP_2)
	v_add_co_u32 v5, vcc_lo, s16, v5
	v_add_co_ci_u32_e32 v6, vcc_lo, s17, v6, vcc_lo
	global_store_d16_hi_b16 v[5:6], v4, off
	s_or_b32 exec_lo, exec_lo, s3
	s_and_saveexec_b32 s3, s1
	s_cbranch_execz .LBB240_55
.LBB240_91:                             ;   in Loop: Header=BB240_13 Depth=1
	s_waitcnt vmcnt(1) lgkmcnt(0)
	v_dual_add_f32 v2, v2, v3 :: v_dual_lshlrev_b32 v3, 16, v12
	s_delay_alu instid0(VALU_DEP_1) | instskip(NEXT) | instid1(VALU_DEP_1)
	v_add_f32_e32 v3, v2, v3
	v_and_b32_e32 v2, 0x7f800000, v3
	s_delay_alu instid0(VALU_DEP_1) | instskip(SKIP_1) | instid1(SALU_CYCLE_1)
	v_cmp_ne_u32_e32 vcc_lo, 0x7f800000, v2
                                        ; implicit-def: $vgpr2
	s_and_saveexec_b32 s1, vcc_lo
	s_xor_b32 s1, exec_lo, s1
; %bb.92:                               ;   in Loop: Header=BB240_13 Depth=1
	v_bfe_u32 v2, v3, 16, 1
	s_delay_alu instid0(VALU_DEP_1)
	v_add3_u32 v2, v3, v2, 0x7fff
                                        ; implicit-def: $vgpr3
; %bb.93:                               ;   in Loop: Header=BB240_13 Depth=1
	s_and_not1_saveexec_b32 s1, s1
; %bb.94:                               ;   in Loop: Header=BB240_13 Depth=1
	v_and_b32_e32 v2, 0xffff, v3
	v_or_b32_e32 v4, 0x10000, v3
	s_delay_alu instid0(VALU_DEP_2) | instskip(NEXT) | instid1(VALU_DEP_2)
	v_cmp_eq_u32_e32 vcc_lo, 0, v2
	v_cndmask_b32_e32 v2, v4, v3, vcc_lo
; %bb.95:                               ;   in Loop: Header=BB240_13 Depth=1
	s_or_b32 exec_lo, exec_lo, s1
	v_dual_mov_b32 v4, v53 :: v_dual_add_nc_u32 v3, 1, v52
	s_delay_alu instid0(VALU_DEP_1) | instskip(NEXT) | instid1(VALU_DEP_1)
	v_lshlrev_b64 v[3:4], 1, v[3:4]
	v_add_co_u32 v3, vcc_lo, s16, v3
	s_delay_alu instid0(VALU_DEP_2) | instskip(SKIP_2) | instid1(SALU_CYCLE_1)
	v_add_co_ci_u32_e32 v4, vcc_lo, s17, v4, vcc_lo
	global_store_d16_hi_b16 v[3:4], v2, off
	s_or_b32 exec_lo, exec_lo, s3
	s_and_b32 exec_lo, exec_lo, s2
	s_cbranch_execz .LBB240_101
.LBB240_96:                             ;   in Loop: Header=BB240_13 Depth=1
	s_waitcnt vmcnt(0) lgkmcnt(0)
	v_dual_add_f32 v0, v0, v1 :: v_dual_lshlrev_b32 v1, 16, v8
	s_delay_alu instid0(VALU_DEP_1) | instskip(NEXT) | instid1(VALU_DEP_1)
	v_add_f32_e32 v1, v0, v1
	v_and_b32_e32 v0, 0x7f800000, v1
	s_delay_alu instid0(VALU_DEP_1) | instskip(SKIP_1) | instid1(SALU_CYCLE_1)
	v_cmp_ne_u32_e32 vcc_lo, 0x7f800000, v0
                                        ; implicit-def: $vgpr0
	s_and_saveexec_b32 s1, vcc_lo
	s_xor_b32 s1, exec_lo, s1
; %bb.97:                               ;   in Loop: Header=BB240_13 Depth=1
	v_bfe_u32 v0, v1, 16, 1
	s_delay_alu instid0(VALU_DEP_1)
	v_add3_u32 v0, v1, v0, 0x7fff
                                        ; implicit-def: $vgpr1
; %bb.98:                               ;   in Loop: Header=BB240_13 Depth=1
	s_and_not1_saveexec_b32 s1, s1
; %bb.99:                               ;   in Loop: Header=BB240_13 Depth=1
	v_and_b32_e32 v0, 0xffff, v1
	v_or_b32_e32 v2, 0x10000, v1
	s_delay_alu instid0(VALU_DEP_2) | instskip(NEXT) | instid1(VALU_DEP_2)
	v_cmp_eq_u32_e32 vcc_lo, 0, v0
	v_cndmask_b32_e32 v0, v2, v1, vcc_lo
; %bb.100:                              ;   in Loop: Header=BB240_13 Depth=1
	s_or_b32 exec_lo, exec_lo, s1
	v_add_nc_u32_e32 v52, 2, v52
	s_delay_alu instid0(VALU_DEP_1) | instskip(NEXT) | instid1(VALU_DEP_1)
	v_lshlrev_b64 v[1:2], 1, v[52:53]
	v_add_co_u32 v1, vcc_lo, s16, v1
	s_delay_alu instid0(VALU_DEP_2)
	v_add_co_ci_u32_e32 v2, vcc_lo, s17, v2, vcc_lo
	global_store_d16_hi_b16 v[1:2], v0, off
.LBB240_101:                            ;   in Loop: Header=BB240_13 Depth=1
	s_or_b32 exec_lo, exec_lo, s18
	v_add_nc_u32_e32 v51, s25, v51
	s_delay_alu instid0(VALU_DEP_1) | instskip(SKIP_1) | instid1(VALU_DEP_2)
	v_add_nc_u32_e32 v0, 3, v51
	v_cmp_gt_u32_e32 vcc_lo, s7, v51
	v_cmp_le_u32_e64 s1, s7, v0
	s_delay_alu instid0(VALU_DEP_1) | instskip(NEXT) | instid1(SALU_CYCLE_1)
	s_and_b32 s1, vcc_lo, s1
	s_and_saveexec_b32 s29, s1
	s_cbranch_execz .LBB240_12
; %bb.102:                              ;   in Loop: Header=BB240_13 Depth=1
	s_mov_b32 s30, exec_lo
	v_cmpx_ne_u32_e64 s24, v51
	s_cbranch_execz .LBB240_11
; %bb.103:                              ;   in Loop: Header=BB240_13 Depth=1
	v_subrev_nc_u32_e32 v0, s24, v51
	s_mov_b32 s31, 0
	s_mov_b64 s[18:19], 0
	s_delay_alu instid0(VALU_DEP_1)
	v_cmp_lt_u32_e32 vcc_lo, 1, v0
	v_cndmask_b32_e32 v0, 1, v0, vcc_lo
	.p2align	6
.LBB240_104:                            ;   Parent Loop BB240_13 Depth=1
                                        ; =>  This Inner Loop Header: Depth=2
	s_cmp_lg_u32 s18, 2
	s_cselect_b32 vcc_lo, -1, 0
	s_cmp_lg_u32 s18, 1
	v_cndmask_b32_e32 v50, 0, v50, vcc_lo
	s_cselect_b32 s1, -1, 0
	s_cmp_lg_u32 s18, 0
	v_cndmask_b32_e64 v49, 0, v49, s1
	s_cselect_b32 s2, -1, 0
	s_add_u32 s18, s18, 1
	v_cndmask_b32_e64 v48, 0, v48, s2
	v_cmp_eq_u32_e64 s3, s18, v0
	s_addc_u32 s19, s19, 0
	s_delay_alu instid0(VALU_DEP_1) | instskip(NEXT) | instid1(SALU_CYCLE_1)
	s_or_b32 s31, s3, s31
	s_and_not1_b32 exec_lo, exec_lo, s31
	s_cbranch_execnz .LBB240_104
; %bb.105:                              ;   in Loop: Header=BB240_13 Depth=1
	s_or_b32 exec_lo, exec_lo, s31
	s_branch .LBB240_11
.LBB240_106:
	s_nop 0
	s_sendmsg sendmsg(MSG_DEALLOC_VGPRS)
	s_endpgm
	.section	.rodata,"a",@progbits
	.p2align	6, 0x0
	.amdhsa_kernel _Z12wvSplitK_hf_I14__hip_bfloat16Li64ELi3ELi16ELi8ELi2ELi3EEviiiiiiPKT_S3_S3_PS1_ii
		.amdhsa_group_segment_fixed_size 65536
		.amdhsa_private_segment_fixed_size 0
		.amdhsa_kernarg_size 64
		.amdhsa_user_sgpr_count 15
		.amdhsa_user_sgpr_dispatch_ptr 0
		.amdhsa_user_sgpr_queue_ptr 0
		.amdhsa_user_sgpr_kernarg_segment_ptr 1
		.amdhsa_user_sgpr_dispatch_id 0
		.amdhsa_user_sgpr_private_segment_size 0
		.amdhsa_wavefront_size32 1
		.amdhsa_uses_dynamic_stack 0
		.amdhsa_enable_private_segment 0
		.amdhsa_system_sgpr_workgroup_id_x 1
		.amdhsa_system_sgpr_workgroup_id_y 0
		.amdhsa_system_sgpr_workgroup_id_z 0
		.amdhsa_system_sgpr_workgroup_info 0
		.amdhsa_system_vgpr_workitem_id 1
		.amdhsa_next_free_vgpr 101
		.amdhsa_next_free_sgpr 32
		.amdhsa_reserve_vcc 1
		.amdhsa_float_round_mode_32 0
		.amdhsa_float_round_mode_16_64 0
		.amdhsa_float_denorm_mode_32 3
		.amdhsa_float_denorm_mode_16_64 3
		.amdhsa_dx10_clamp 1
		.amdhsa_ieee_mode 1
		.amdhsa_fp16_overflow 0
		.amdhsa_workgroup_processor_mode 1
		.amdhsa_memory_ordered 1
		.amdhsa_forward_progress 0
		.amdhsa_shared_vgpr_count 0
		.amdhsa_exception_fp_ieee_invalid_op 0
		.amdhsa_exception_fp_denorm_src 0
		.amdhsa_exception_fp_ieee_div_zero 0
		.amdhsa_exception_fp_ieee_overflow 0
		.amdhsa_exception_fp_ieee_underflow 0
		.amdhsa_exception_fp_ieee_inexact 0
		.amdhsa_exception_int_div_zero 0
	.end_amdhsa_kernel
	.section	.text._Z12wvSplitK_hf_I14__hip_bfloat16Li64ELi3ELi16ELi8ELi2ELi3EEviiiiiiPKT_S3_S3_PS1_ii,"axG",@progbits,_Z12wvSplitK_hf_I14__hip_bfloat16Li64ELi3ELi16ELi8ELi2ELi3EEviiiiiiPKT_S3_S3_PS1_ii,comdat
.Lfunc_end240:
	.size	_Z12wvSplitK_hf_I14__hip_bfloat16Li64ELi3ELi16ELi8ELi2ELi3EEviiiiiiPKT_S3_S3_PS1_ii, .Lfunc_end240-_Z12wvSplitK_hf_I14__hip_bfloat16Li64ELi3ELi16ELi8ELi2ELi3EEviiiiiiPKT_S3_S3_PS1_ii
                                        ; -- End function
	.section	.AMDGPU.csdata,"",@progbits
; Kernel info:
; codeLenInByte = 6892
; NumSgprs: 34
; NumVgprs: 101
; ScratchSize: 0
; MemoryBound: 0
; FloatMode: 240
; IeeeMode: 1
; LDSByteSize: 65536 bytes/workgroup (compile time only)
; SGPRBlocks: 4
; VGPRBlocks: 12
; NumSGPRsForWavesPerEU: 34
; NumVGPRsForWavesPerEU: 101
; Occupancy: 12
; WaveLimiterHint : 0
; COMPUTE_PGM_RSRC2:SCRATCH_EN: 0
; COMPUTE_PGM_RSRC2:USER_SGPR: 15
; COMPUTE_PGM_RSRC2:TRAP_HANDLER: 0
; COMPUTE_PGM_RSRC2:TGID_X_EN: 1
; COMPUTE_PGM_RSRC2:TGID_Y_EN: 0
; COMPUTE_PGM_RSRC2:TGID_Z_EN: 0
; COMPUTE_PGM_RSRC2:TIDIG_COMP_CNT: 1
	.section	.text._Z16wvSplitK_hf_big_I14__hip_bfloat16Li64ELi3ELi16ELi8ELi2ELi3EEviiiiiiPKT_S3_S3_PS1_ii,"axG",@progbits,_Z16wvSplitK_hf_big_I14__hip_bfloat16Li64ELi3ELi16ELi8ELi2ELi3EEviiiiiiPKT_S3_S3_PS1_ii,comdat
	.protected	_Z16wvSplitK_hf_big_I14__hip_bfloat16Li64ELi3ELi16ELi8ELi2ELi3EEviiiiiiPKT_S3_S3_PS1_ii ; -- Begin function _Z16wvSplitK_hf_big_I14__hip_bfloat16Li64ELi3ELi16ELi8ELi2ELi3EEviiiiiiPKT_S3_S3_PS1_ii
	.globl	_Z16wvSplitK_hf_big_I14__hip_bfloat16Li64ELi3ELi16ELi8ELi2ELi3EEviiiiiiPKT_S3_S3_PS1_ii
	.p2align	8
	.type	_Z16wvSplitK_hf_big_I14__hip_bfloat16Li64ELi3ELi16ELi8ELi2ELi3EEviiiiiiPKT_S3_S3_PS1_ii,@function
_Z16wvSplitK_hf_big_I14__hip_bfloat16Li64ELi3ELi16ELi8ELi2ELi3EEviiiiiiPKT_S3_S3_PS1_ii: ; @_Z16wvSplitK_hf_big_I14__hip_bfloat16Li64ELi3ELi16ELi8ELi2ELi3EEviiiiiiPKT_S3_S3_PS1_ii
; %bb.0:
	s_load_b64 s[20:21], s[0:1], 0x38
	v_bfe_u32 v1, v0, 10, 10
	s_mov_b32 s2, exec_lo
	s_waitcnt lgkmcnt(0)
	s_delay_alu instid0(VALU_DEP_1)
	v_cmpx_gt_u32_e64 s20, v1
	s_cbranch_execz .LBB241_94
; %bb.1:
	s_load_b128 s[16:19], s[0:1], 0x0
	v_mad_u64_u32 v[2:3], null, s15, s20, v[1:2]
	s_mov_b32 s4, 1
	s_delay_alu instid0(SALU_CYCLE_1) | instskip(SKIP_1) | instid1(SALU_CYCLE_1)
	s_mov_b32 s5, s4
	s_mov_b32 s6, s4
	v_mov_b32_e32 v50, s6
	s_delay_alu instid0(VALU_DEP_2) | instskip(SKIP_1) | instid1(VALU_DEP_2)
	v_lshl_add_u32 v51, v2, 1, v2
	v_dual_mov_b32 v48, s4 :: v_dual_mov_b32 v49, s5
	v_add_nc_u32_e32 v2, 3, v51
	s_waitcnt lgkmcnt(0)
	v_cmp_gt_u32_e32 vcc_lo, s19, v51
	s_delay_alu instid0(VALU_DEP_2) | instskip(NEXT) | instid1(VALU_DEP_1)
	v_cmp_le_u32_e64 s2, s19, v2
	s_and_b32 s2, vcc_lo, s2
	s_delay_alu instid0(SALU_CYCLE_1)
	s_and_saveexec_b32 s7, s2
	s_cbranch_execz .LBB241_7
; %bb.2:
	v_dual_mov_b32 v50, s6 :: v_dual_mov_b32 v49, s5
	v_mov_b32_e32 v48, s4
	s_add_i32 s8, s19, -3
	s_mov_b32 s9, exec_lo
	v_cmpx_ne_u32_e64 s8, v51
	s_cbranch_execz .LBB241_6
; %bb.3:
	v_subrev_nc_u32_e32 v2, s8, v51
	s_mov_b32 s10, 0
	s_mov_b64 s[2:3], 0
	s_mov_b32 s5, s4
	s_mov_b32 s6, s4
	v_cmp_lt_u32_e32 vcc_lo, 1, v2
	v_cndmask_b32_e32 v2, 1, v2, vcc_lo
.LBB241_4:                              ; =>This Inner Loop Header: Depth=1
	s_cmp_lg_u32 s2, 2
	s_cselect_b32 s6, s6, 0
	s_cmp_lg_u32 s2, 1
	s_cselect_b32 s5, s5, 0
	;; [unrolled: 2-line block ×3, first 2 shown]
	s_add_u32 s2, s2, 1
	v_dual_mov_b32 v50, s6 :: v_dual_mov_b32 v49, s5
	v_cmp_eq_u32_e32 vcc_lo, s2, v2
	v_mov_b32_e32 v48, s4
	s_addc_u32 s3, s3, 0
	s_or_b32 s10, vcc_lo, s10
	s_delay_alu instid0(SALU_CYCLE_1)
	s_and_not1_b32 exec_lo, exec_lo, s10
	s_cbranch_execnz .LBB241_4
; %bb.5:
	s_or_b32 exec_lo, exec_lo, s10
	v_mov_b32_e32 v51, s8
.LBB241_6:
	s_or_b32 exec_lo, exec_lo, s9
.LBB241_7:
	s_delay_alu instid0(SALU_CYCLE_1)
	s_or_b32 exec_lo, exec_lo, s7
	s_mul_i32 s2, s20, 3
	s_abs_i32 s6, s19
	s_abs_i32 s3, s2
	s_mov_b32 s23, 0
	v_cvt_f32_u32_e32 v2, s3
	s_sub_i32 s5, 0, s3
	s_delay_alu instid0(VALU_DEP_1) | instskip(SKIP_2) | instid1(VALU_DEP_1)
	v_rcp_iflag_f32_e32 v2, v2
	s_waitcnt_depctr 0xfff
	v_mul_f32_e32 v2, 0x4f7ffffe, v2
	v_cvt_u32_f32_e32 v2, v2
	s_delay_alu instid0(VALU_DEP_1) | instskip(NEXT) | instid1(VALU_DEP_1)
	v_readfirstlane_b32 s4, v2
	s_mul_i32 s5, s5, s4
	s_delay_alu instid0(SALU_CYCLE_1) | instskip(NEXT) | instid1(SALU_CYCLE_1)
	s_mul_hi_u32 s5, s4, s5
	s_add_i32 s4, s4, s5
	s_ashr_i32 s5, s19, 31
	s_mul_hi_u32 s4, s6, s4
	s_delay_alu instid0(SALU_CYCLE_1) | instskip(NEXT) | instid1(SALU_CYCLE_1)
	s_mul_i32 s4, s4, s3
	s_sub_i32 s4, s6, s4
	s_delay_alu instid0(SALU_CYCLE_1) | instskip(SKIP_2) | instid1(SALU_CYCLE_1)
	s_sub_i32 s6, s4, s3
	s_cmp_ge_u32 s4, s3
	s_cselect_b32 s4, s6, s4
	s_sub_i32 s6, s4, s3
	s_cmp_ge_u32 s4, s3
	s_cselect_b32 s3, s6, s4
	s_add_i32 s4, s2, s19
	s_xor_b32 s3, s3, s5
	s_delay_alu instid0(SALU_CYCLE_1) | instskip(NEXT) | instid1(SALU_CYCLE_1)
	s_sub_i32 s3, s3, s5
	s_sub_i32 s4, s4, s3
	s_cmp_eq_u32 s3, 0
	s_cselect_b32 s22, s19, s4
	s_delay_alu instid0(SALU_CYCLE_1)
	v_cmp_gt_u32_e32 vcc_lo, s22, v51
	s_and_b32 exec_lo, exec_lo, vcc_lo
	s_cbranch_execz .LBB241_94
; %bb.8:
	s_load_b256 s[4:11], s[0:1], 0x10
	s_min_u32 s24, s18, 0x2800
	s_cmp_lg_u32 s16, 0
	s_load_b64 s[12:13], s[0:1], 0x30
	s_cselect_b32 s25, -1, 0
	s_cmp_lg_u32 s18, 0
	v_and_b32_e32 v0, 0x3ff, v0
	s_cselect_b32 s26, -1, 0
	s_lshl_b32 s27, s20, 9
	s_add_i32 s28, s16, -8
	s_add_i32 s29, s19, -1
	v_lshlrev_b32_e32 v62, 3, v0
	v_cmp_eq_u32_e64 s0, 63, v0
	v_lshlrev_b32_e32 v0, 4, v0
	v_mbcnt_lo_u32_b32 v61, -1, 0
	s_delay_alu instid0(VALU_DEP_4) | instskip(NEXT) | instid1(VALU_DEP_3)
	v_lshl_add_u32 v63, v1, 9, v62
	v_lshl_add_u32 v64, v1, 10, v0
	s_waitcnt lgkmcnt(0)
	s_cmp_lg_u64 s[10:11], 0
	v_cvt_f32_u32_e32 v3, s4
	s_cselect_b32 s30, -1, 0
	s_abs_i32 s3, s5
	s_mul_i32 s5, s2, s21
	v_cvt_f32_u32_e32 v2, s3
	v_rcp_iflag_f32_e32 v3, v3
	s_sub_i32 s2, 0, s3
	s_add_i32 s21, s19, -3
	s_sub_i32 s14, 0, s4
	v_rcp_iflag_f32_e32 v2, v2
	s_sub_i32 s15, 1, s3
	v_lshl_add_u32 v65, s18, 1, v63
	v_add_nc_u32_e32 v66, s18, v63
	s_waitcnt_depctr 0xfff
	v_mul_f32_e32 v2, 0x4f7ffffe, v2
	s_delay_alu instid0(VALU_DEP_1) | instskip(NEXT) | instid1(VALU_DEP_1)
	v_cvt_u32_f32_e32 v2, v2
	v_readfirstlane_b32 s1, v2
	v_mul_f32_e32 v2, 0x4f7ffffe, v3
	s_delay_alu instid0(VALU_DEP_2) | instskip(NEXT) | instid1(VALU_DEP_1)
	s_mul_i32 s2, s2, s1
	v_cvt_u32_f32_e32 v2, v2
	s_mul_hi_u32 s2, s1, s2
	s_delay_alu instid0(SALU_CYCLE_1) | instskip(SKIP_1) | instid1(VALU_DEP_1)
	s_add_i32 s1, s1, s2
	s_cmp_lt_u32 s3, 2
	v_mul_lo_u32 v3, s14, v2
	s_cselect_b32 s2, s15, 1
	s_delay_alu instid0(SALU_CYCLE_1) | instskip(SKIP_3) | instid1(VALU_DEP_1)
	s_sub_i32 s14, s2, s3
	s_cmp_ge_u32 s2, s3
	s_cselect_b32 s31, s14, s2
	s_lshr_b32 s1, s1, 31
	v_mul_hi_u32 v3, v2, v3
	s_mul_i32 s1, s1, s3
	v_mov_b32_e32 v54, 0
	s_sub_i32 s1, 2, s1
	s_mul_i32 s31, s31, s4
	s_sub_i32 s2, s1, s3
	s_cmp_ge_u32 s1, s3
	s_delay_alu instid0(VALU_DEP_2) | instskip(SKIP_1) | instid1(SALU_CYCLE_1)
	v_add_nc_u32_e32 v67, v2, v3
	s_cselect_b32 s1, s2, s1
	s_sub_i32 s2, s1, s3
	s_cmp_ge_u32 s1, s3
	s_cselect_b32 s36, s2, s1
	s_add_u32 s33, s12, 2
	s_addc_u32 s34, s13, 0
	s_lshl_b32 s35, s24, 2
	s_lshl_b32 s20, s20, 10
	s_mul_i32 s36, s36, s4
	s_lshl_b32 s37, s24, 1
	s_branch .LBB241_12
.LBB241_9:                              ;   in Loop: Header=BB241_12 Depth=1
	s_or_b32 exec_lo, exec_lo, s40
	v_mov_b32_e32 v51, s21
.LBB241_10:                             ;   in Loop: Header=BB241_12 Depth=1
	s_or_b32 exec_lo, exec_lo, s39
.LBB241_11:                             ;   in Loop: Header=BB241_12 Depth=1
	s_delay_alu instid0(SALU_CYCLE_1) | instskip(NEXT) | instid1(VALU_DEP_1)
	s_or_b32 exec_lo, exec_lo, s38
	v_cmp_le_u32_e32 vcc_lo, s22, v51
	s_or_b32 s23, vcc_lo, s23
	s_delay_alu instid0(SALU_CYCLE_1)
	s_and_not1_b32 exec_lo, exec_lo, s23
	s_cbranch_execz .LBB241_94
.LBB241_12:                             ; =>This Loop Header: Depth=1
                                        ;     Child Loop BB241_17 Depth 2
                                        ;       Child Loop BB241_22 Depth 3
                                        ;     Child Loop BB241_92 Depth 2
	v_mov_b32_e32 v52, v54
	v_mov_b32_e32 v68, v54
	;; [unrolled: 1-line block ×9, first 2 shown]
	s_and_not1_b32 vcc_lo, exec_lo, s25
	s_mov_b32 s3, 0
	s_cbranch_vccnz .LBB241_29
; %bb.13:                               ;   in Loop: Header=BB241_12 Depth=1
	v_add_nc_u32_e32 v0, 1, v51
	s_waitcnt lgkmcnt(0)
	v_dual_mov_b32 v74, 0 :: v_dual_add_nc_u32 v1, 2, v51
	v_min_u32_e32 v2, s29, v51
	v_dual_mov_b32 v3, v54 :: v_dual_mov_b32 v72, 0
	s_delay_alu instid0(VALU_DEP_3)
	v_min_u32_e32 v4, s29, v1
	v_mov_b32_e32 v1, v54
	v_min_u32_e32 v0, s29, v0
	v_mul_lo_u32 v53, v2, s17
	v_cmp_gt_u32_e64 s1, s19, v51
	v_mul_lo_u32 v2, v4, s17
	v_dual_mov_b32 v75, 0 :: v_dual_mov_b32 v70, 0
	v_mul_lo_u32 v0, v0, s17
	v_dual_mov_b32 v73, 0 :: v_dual_mov_b32 v68, 0
	v_lshlrev_b64 v[55:56], 1, v[53:54]
	v_dual_mov_b32 v71, 0 :: v_dual_mov_b32 v52, 0
	v_lshlrev_b64 v[59:60], 1, v[2:3]
	v_mov_b32_e32 v69, 0
	v_lshlrev_b64 v[57:58], 1, v[0:1]
	s_mov_b32 s14, 0
	s_branch .LBB241_17
.LBB241_14:                             ;   in Loop: Header=BB241_17 Depth=2
	s_or_b32 exec_lo, exec_lo, s38
.LBB241_15:                             ;   in Loop: Header=BB241_17 Depth=2
	s_delay_alu instid0(SALU_CYCLE_1)
	s_or_b32 exec_lo, exec_lo, s15
	s_waitcnt lgkmcnt(2)
	v_and_b32_e32 v77, 0xffff0000, v45
	s_waitcnt vmcnt(4)
	v_and_b32_e32 v86, 0xffff0000, v37
	v_lshlrev_b32_e32 v45, 16, v45
	v_and_b32_e32 v82, 0xffff0000, v42
	v_lshlrev_b32_e32 v37, 16, v37
	s_waitcnt vmcnt(3)
	v_dual_mul_f32 v88, v77, v86 :: v_dual_and_b32 v89, 0xffff0000, v29
	v_and_b32_e32 v81, 0xffff0000, v46
	v_and_b32_e32 v76, 0xffff0000, v40
	v_lshlrev_b32_e32 v46, 16, v46
	s_delay_alu instid0(VALU_DEP_4) | instskip(NEXT) | instid1(VALU_DEP_4)
	v_fmac_f32_e32 v88, v45, v37
	v_dual_mul_f32 v83, v81, v82 :: v_dual_and_b32 v78, 0xffff0000, v41
	v_and_b32_e32 v53, 0xffff0000, v44
	v_lshlrev_b32_e32 v44, 16, v44
	s_delay_alu instid0(VALU_DEP_3) | instskip(NEXT) | instid1(VALU_DEP_3)
	v_mul_f32_e32 v80, v77, v78
	v_dual_mul_f32 v79, v53, v76 :: v_dual_lshlrev_b32 v42, 16, v42
	s_delay_alu instid0(VALU_DEP_1) | instskip(NEXT) | instid1(VALU_DEP_1)
	v_dual_fmac_f32 v83, v46, v42 :: v_dual_lshlrev_b32 v40, 16, v40
	v_fmac_f32_e32 v79, v44, v40
	s_delay_alu instid0(VALU_DEP_1) | instskip(SKIP_1) | instid1(VALU_DEP_1)
	v_add_f32_e32 v75, v75, v79
	v_and_b32_e32 v79, 0xffff0000, v36
	v_dual_mul_f32 v85, v53, v79 :: v_dual_lshlrev_b32 v36, 16, v36
	s_delay_alu instid0(VALU_DEP_1) | instskip(NEXT) | instid1(VALU_DEP_1)
	v_dual_fmac_f32 v85, v44, v36 :: v_dual_and_b32 v84, 0xffff0000, v43
	v_add_f32_e32 v73, v73, v85
	s_delay_alu instid0(VALU_DEP_1) | instskip(SKIP_2) | instid1(VALU_DEP_1)
	v_dual_add_f32 v73, v73, v88 :: v_dual_and_b32 v88, 0xffff0000, v39
	v_lshlrev_b32_e32 v39, 16, v39
	v_lshlrev_b32_e32 v41, 16, v41
	v_fmac_f32_e32 v80, v45, v41
	s_delay_alu instid0(VALU_DEP_1) | instskip(NEXT) | instid1(VALU_DEP_1)
	v_add_f32_e32 v75, v75, v80
	v_add_f32_e32 v75, v75, v83
	v_and_b32_e32 v83, 0xffff0000, v38
	s_delay_alu instid0(VALU_DEP_1) | instskip(NEXT) | instid1(VALU_DEP_1)
	v_dual_mul_f32 v85, v81, v83 :: v_dual_lshlrev_b32 v38, 16, v38
	v_dual_fmac_f32 v85, v46, v38 :: v_dual_and_b32 v80, 0xffff0000, v47
	s_delay_alu instid0(VALU_DEP_1)
	v_mul_f32_e32 v87, v80, v84
	v_dual_mul_f32 v90, v80, v88 :: v_dual_lshlrev_b32 v47, 16, v47
	v_lshlrev_b32_e32 v29, 16, v29
	v_lshlrev_b32_e32 v43, 16, v43
	v_add_f32_e32 v73, v73, v85
	s_waitcnt lgkmcnt(1)
	v_and_b32_e32 v85, 0xffff0000, v33
	s_delay_alu instid0(VALU_DEP_3) | instskip(NEXT) | instid1(VALU_DEP_1)
	v_fmac_f32_e32 v87, v47, v43
	v_add_f32_e32 v75, v75, v87
	v_and_b32_e32 v87, 0xffff0000, v28
	s_delay_alu instid0(VALU_DEP_1) | instskip(NEXT) | instid1(VALU_DEP_1)
	v_dual_mul_f32 v53, v53, v87 :: v_dual_lshlrev_b32 v28, 16, v28
	v_dual_fmac_f32 v53, v44, v28 :: v_dual_mul_f32 v44, v77, v89
	v_fmac_f32_e32 v90, v47, v39
	s_delay_alu instid0(VALU_DEP_2) | instskip(NEXT) | instid1(VALU_DEP_2)
	v_fmac_f32_e32 v44, v45, v29
	v_add_f32_e32 v73, v73, v90
	v_and_b32_e32 v90, 0xffff0000, v34
	v_dual_add_f32 v53, v74, v53 :: v_dual_lshlrev_b32 v34, 16, v34
	v_and_b32_e32 v74, 0xffff0000, v32
	v_lshlrev_b32_e32 v32, 16, v32
	s_delay_alu instid0(VALU_DEP_3) | instskip(SKIP_3) | instid1(VALU_DEP_3)
	v_dual_add_f32 v44, v53, v44 :: v_dual_lshlrev_b32 v33, 16, v33
	v_and_b32_e32 v53, 0xffff0000, v31
	v_and_b32_e32 v77, 0xffff0000, v30
	v_lshlrev_b32_e32 v30, 16, v30
	v_dual_mul_f32 v80, v80, v53 :: v_dual_lshlrev_b32 v31, 16, v31
	s_delay_alu instid0(VALU_DEP_1) | instskip(NEXT) | instid1(VALU_DEP_1)
	v_dual_mul_f32 v45, v81, v77 :: v_dual_fmac_f32 v80, v47, v31
	v_fmac_f32_e32 v45, v46, v30
	s_delay_alu instid0(VALU_DEP_1) | instskip(NEXT) | instid1(VALU_DEP_1)
	v_dual_mul_f32 v81, v74, v76 :: v_dual_add_f32 v44, v44, v45
	v_dual_mul_f32 v45, v74, v79 :: v_dual_add_f32 v44, v44, v80
	s_delay_alu instid0(VALU_DEP_2) | instskip(SKIP_1) | instid1(VALU_DEP_2)
	v_dual_fmac_f32 v81, v32, v40 :: v_dual_mul_f32 v46, v85, v78
	v_mul_f32_e32 v74, v74, v87
	v_add_f32_e32 v72, v72, v81
	s_delay_alu instid0(VALU_DEP_2) | instskip(NEXT) | instid1(VALU_DEP_4)
	v_fmac_f32_e32 v74, v32, v28
	v_dual_fmac_f32 v46, v33, v41 :: v_dual_and_b32 v47, 0xffff0000, v35
	v_mul_f32_e32 v81, v90, v82
	s_delay_alu instid0(VALU_DEP_3) | instskip(NEXT) | instid1(VALU_DEP_3)
	v_add_f32_e32 v70, v70, v74
	v_add_f32_e32 v46, v72, v46
	v_dual_fmac_f32 v45, v32, v36 :: v_dual_mul_f32 v72, v85, v86
	s_delay_alu instid0(VALU_DEP_1) | instskip(NEXT) | instid1(VALU_DEP_2)
	v_add_f32_e32 v45, v71, v45
	v_dual_fmac_f32 v72, v33, v37 :: v_dual_mul_f32 v71, v90, v83
	s_delay_alu instid0(VALU_DEP_1) | instskip(NEXT) | instid1(VALU_DEP_2)
	v_add_f32_e32 v45, v45, v72
	v_dual_mul_f32 v72, v47, v88 :: v_dual_fmac_f32 v71, v34, v38
	s_delay_alu instid0(VALU_DEP_1) | instskip(SKIP_4) | instid1(VALU_DEP_3)
	v_add_f32_e32 v45, v45, v71
	s_waitcnt lgkmcnt(0)
	v_and_b32_e32 v71, 0xffff0000, v24
	v_lshlrev_b32_e32 v35, 16, v35
	v_lshlrev_b32_e32 v24, 16, v24
	v_dual_mul_f32 v74, v71, v76 :: v_dual_fmac_f32 v81, v34, v42
	s_delay_alu instid0(VALU_DEP_3) | instskip(NEXT) | instid1(VALU_DEP_2)
	v_fmac_f32_e32 v72, v35, v39
	v_fmac_f32_e32 v74, v24, v40
	s_delay_alu instid0(VALU_DEP_3) | instskip(NEXT) | instid1(VALU_DEP_1)
	v_dual_add_f32 v46, v46, v81 :: v_dual_mul_f32 v81, v47, v84
	v_fmac_f32_e32 v81, v35, v43
	s_delay_alu instid0(VALU_DEP_1) | instskip(SKIP_1) | instid1(VALU_DEP_1)
	v_add_f32_e32 v32, v46, v81
	v_mul_f32_e32 v46, v85, v89
	v_fmac_f32_e32 v46, v33, v29
	s_delay_alu instid0(VALU_DEP_1) | instskip(SKIP_1) | instid1(VALU_DEP_1)
	v_add_f32_e32 v46, v70, v46
	v_and_b32_e32 v70, 0xffff0000, v25
	v_dual_mul_f32 v40, v70, v78 :: v_dual_lshlrev_b32 v25, 16, v25
	s_delay_alu instid0(VALU_DEP_1) | instskip(SKIP_1) | instid1(VALU_DEP_1)
	v_fmac_f32_e32 v40, v25, v41
	v_mul_f32_e32 v33, v90, v77
	v_dual_fmac_f32 v33, v34, v30 :: v_dual_mul_f32 v34, v47, v53
	v_mul_f32_e32 v47, v71, v79
	s_delay_alu instid0(VALU_DEP_1) | instskip(NEXT) | instid1(VALU_DEP_3)
	v_dual_fmac_f32 v34, v35, v31 :: v_dual_fmac_f32 v47, v24, v36
	v_dual_add_f32 v33, v46, v33 :: v_dual_and_b32 v36, 0xffff0000, v27
	v_and_b32_e32 v46, 0xffff0000, v26
	v_add_f32_e32 v35, v69, v74
	v_lshlrev_b32_e32 v26, 16, v26
	s_delay_alu instid0(VALU_DEP_3) | instskip(NEXT) | instid1(VALU_DEP_1)
	v_mul_f32_e32 v41, v46, v82
	v_dual_fmac_f32 v41, v26, v42 :: v_dual_add_f32 v42, v68, v47
	s_delay_alu instid0(VALU_DEP_4) | instskip(SKIP_1) | instid1(VALU_DEP_1)
	v_dual_add_f32 v33, v33, v34 :: v_dual_add_f32 v34, v35, v40
	v_dual_mul_f32 v35, v70, v86 :: v_dual_mul_f32 v40, v71, v87
	v_dual_fmac_f32 v35, v25, v37 :: v_dual_fmac_f32 v40, v24, v28
	v_dual_mul_f32 v24, v70, v89 :: v_dual_add_f32 v45, v45, v72
	s_delay_alu instid0(VALU_DEP_2) | instskip(NEXT) | instid1(VALU_DEP_2)
	v_dual_add_f32 v28, v42, v35 :: v_dual_add_f32 v35, v52, v40
	v_fmac_f32_e32 v24, v25, v29
	s_waitcnt vmcnt(1)
	v_and_b32_e32 v52, 0xffff0000, v15
	s_delay_alu instid0(VALU_DEP_2) | instskip(SKIP_1) | instid1(VALU_DEP_2)
	v_dual_add_f32 v24, v35, v24 :: v_dual_mul_f32 v37, v46, v83
	v_add_f32_e32 v34, v34, v41
	v_fmac_f32_e32 v37, v26, v38
	s_delay_alu instid0(VALU_DEP_1) | instskip(SKIP_1) | instid1(VALU_DEP_1)
	v_add_f32_e32 v25, v28, v37
	v_dual_mul_f32 v28, v46, v77 :: v_dual_lshlrev_b32 v27, 16, v27
	v_fmac_f32_e32 v28, v26, v30
	v_and_b32_e32 v30, 0xffff0000, v17
	s_delay_alu instid0(VALU_DEP_2)
	v_add_f32_e32 v24, v24, v28
	v_and_b32_e32 v28, 0xffff0000, v21
	v_and_b32_e32 v35, 0xffff0000, v20
	v_lshlrev_b32_e32 v21, 16, v21
	v_lshlrev_b32_e32 v17, 16, v17
	;; [unrolled: 1-line block ×3, first 2 shown]
	v_dual_mul_f32 v38, v28, v30 :: v_dual_and_b32 v37, 0xffff0000, v16
	v_lshlrev_b32_e32 v16, 16, v16
	s_delay_alu instid0(VALU_DEP_2) | instskip(NEXT) | instid1(VALU_DEP_3)
	v_dual_fmac_f32 v38, v21, v17 :: v_dual_mul_f32 v47, v36, v84
	v_mul_f32_e32 v26, v35, v37
	s_delay_alu instid0(VALU_DEP_1) | instskip(SKIP_2) | instid1(VALU_DEP_3)
	v_dual_fmac_f32 v47, v27, v43 :: v_dual_fmac_f32 v26, v20, v16
	v_mul_f32_e32 v29, v36, v88
	v_mul_f32_e32 v36, v36, v53
	v_add_f32_e32 v34, v34, v47
	s_delay_alu instid0(VALU_DEP_4) | instskip(NEXT) | instid1(VALU_DEP_4)
	v_add_f32_e32 v26, v75, v26
	v_fmac_f32_e32 v29, v27, v39
	s_delay_alu instid0(VALU_DEP_4) | instskip(SKIP_1) | instid1(VALU_DEP_3)
	v_dual_fmac_f32 v36, v27, v31 :: v_dual_and_b32 v27, 0xffff0000, v22
	v_lshlrev_b32_e32 v22, 16, v22
	v_dual_add_f32 v26, v26, v38 :: v_dual_add_f32 v25, v25, v29
	v_and_b32_e32 v41, 0xffff0000, v13
	v_and_b32_e32 v38, 0xffff0000, v19
	;; [unrolled: 1-line block ×3, first 2 shown]
	v_dual_add_f32 v24, v24, v36 :: v_dual_and_b32 v31, 0xffff0000, v18
	v_and_b32_e32 v36, 0xffff0000, v23
	s_delay_alu instid0(VALU_DEP_3) | instskip(NEXT) | instid1(VALU_DEP_3)
	v_mul_f32_e32 v40, v35, v29
	v_dual_mul_f32 v39, v27, v31 :: v_dual_lshlrev_b32 v18, 16, v18
	s_delay_alu instid0(VALU_DEP_3) | instskip(NEXT) | instid1(VALU_DEP_2)
	v_mul_f32_e32 v53, v36, v52
	v_fmac_f32_e32 v39, v22, v18
	s_delay_alu instid0(VALU_DEP_1) | instskip(SKIP_1) | instid1(VALU_DEP_1)
	v_dual_add_f32 v26, v26, v39 :: v_dual_mul_f32 v39, v28, v41
	v_dual_mul_f32 v42, v36, v38 :: v_dual_lshlrev_b32 v13, 16, v13
	v_dual_fmac_f32 v39, v21, v13 :: v_dual_lshlrev_b32 v12, 16, v12
	s_delay_alu instid0(VALU_DEP_1) | instskip(NEXT) | instid1(VALU_DEP_1)
	v_dual_fmac_f32 v40, v20, v12 :: v_dual_lshlrev_b32 v23, 16, v23
	v_dual_add_f32 v40, v73, v40 :: v_dual_lshlrev_b32 v19, 16, v19
	s_delay_alu instid0(VALU_DEP_1) | instskip(SKIP_1) | instid1(VALU_DEP_2)
	v_fmac_f32_e32 v42, v23, v19
	s_waitcnt vmcnt(0)
	v_dual_add_f32 v39, v40, v39 :: v_dual_and_b32 v40, 0xffff0000, v5
	v_and_b32_e32 v43, 0xffff0000, v14
	v_and_b32_e32 v46, 0xffff0000, v4
	v_dual_add_f32 v75, v26, v42 :: v_dual_lshlrev_b32 v4, 16, v4
	s_delay_alu instid0(VALU_DEP_2) | instskip(NEXT) | instid1(VALU_DEP_1)
	v_dual_mul_f32 v35, v35, v46 :: v_dual_and_b32 v26, 0xffff0000, v9
	v_dual_fmac_f32 v35, v20, v4 :: v_dual_lshlrev_b32 v14, 16, v14
	v_dual_mul_f32 v20, v28, v40 :: v_dual_mul_f32 v47, v27, v43
	v_and_b32_e32 v28, 0xffff0000, v6
	s_delay_alu instid0(VALU_DEP_3) | instskip(SKIP_1) | instid1(VALU_DEP_4)
	v_dual_add_f32 v35, v44, v35 :: v_dual_lshlrev_b32 v6, 16, v6
	v_lshlrev_b32_e32 v5, 16, v5
	v_fmac_f32_e32 v47, v22, v14
	v_dual_mul_f32 v44, v26, v41 :: v_dual_lshlrev_b32 v15, 16, v15
	s_delay_alu instid0(VALU_DEP_3) | instskip(NEXT) | instid1(VALU_DEP_3)
	v_dual_fmac_f32 v20, v21, v5 :: v_dual_mul_f32 v21, v27, v28
	v_add_f32_e32 v27, v39, v47
	s_delay_alu instid0(VALU_DEP_2) | instskip(SKIP_2) | instid1(VALU_DEP_3)
	v_dual_add_f32 v20, v35, v20 :: v_dual_fmac_f32 v21, v22, v6
	v_and_b32_e32 v39, 0xffff0000, v8
	v_lshlrev_b32_e32 v8, 16, v8
	v_add_f32_e32 v20, v20, v21
	s_delay_alu instid0(VALU_DEP_3) | instskip(SKIP_3) | instid1(VALU_DEP_3)
	v_mul_f32_e32 v22, v39, v37
	v_fmac_f32_e32 v53, v23, v15
	v_mul_f32_e32 v21, v26, v30
	v_mul_f32_e32 v26, v26, v40
	v_dual_fmac_f32 v22, v8, v16 :: v_dual_add_f32 v73, v27, v53
	v_and_b32_e32 v27, 0xffff0000, v7
	s_delay_alu instid0(VALU_DEP_2) | instskip(SKIP_2) | instid1(VALU_DEP_4)
	v_dual_add_f32 v22, v32, v22 :: v_dual_lshlrev_b32 v7, 16, v7
	v_and_b32_e32 v32, 0xffff0000, v10
	v_lshlrev_b32_e32 v9, 16, v9
	v_dual_mul_f32 v35, v36, v27 :: v_dual_lshlrev_b32 v10, 16, v10
	v_mul_f32_e32 v36, v39, v29
	s_delay_alu instid0(VALU_DEP_3) | instskip(NEXT) | instid1(VALU_DEP_3)
	v_dual_mul_f32 v42, v32, v31 :: v_dual_fmac_f32 v21, v9, v17
	v_dual_fmac_f32 v44, v9, v13 :: v_dual_fmac_f32 v35, v23, v7
	s_delay_alu instid0(VALU_DEP_3) | instskip(NEXT) | instid1(VALU_DEP_3)
	v_fmac_f32_e32 v36, v8, v12
	v_fmac_f32_e32 v42, v10, v18
	s_delay_alu instid0(VALU_DEP_4) | instskip(NEXT) | instid1(VALU_DEP_3)
	v_dual_add_f32 v21, v22, v21 :: v_dual_and_b32 v22, 0xffff0000, v11
	v_dual_add_f32 v36, v45, v36 :: v_dual_lshlrev_b32 v11, 16, v11
	v_mul_f32_e32 v45, v32, v43
	s_delay_alu instid0(VALU_DEP_3) | instskip(NEXT) | instid1(VALU_DEP_4)
	v_dual_add_f32 v21, v21, v42 :: v_dual_add_f32 v74, v20, v35
	v_mul_f32_e32 v47, v22, v38
	s_delay_alu instid0(VALU_DEP_4) | instskip(NEXT) | instid1(VALU_DEP_4)
	v_dual_add_f32 v23, v36, v44 :: v_dual_mul_f32 v36, v39, v46
	v_dual_fmac_f32 v45, v10, v14 :: v_dual_and_b32 v20, 0xffff0000, v0
	s_delay_alu instid0(VALU_DEP_3) | instskip(NEXT) | instid1(VALU_DEP_3)
	v_dual_fmac_f32 v47, v11, v19 :: v_dual_lshlrev_b32 v0, 16, v0
	v_fmac_f32_e32 v36, v8, v4
	v_dual_fmac_f32 v26, v9, v5 :: v_dual_and_b32 v9, 0xffff0000, v2
	s_delay_alu instid0(VALU_DEP_4) | instskip(NEXT) | instid1(VALU_DEP_4)
	v_mul_f32_e32 v8, v20, v37
	v_dual_add_f32 v72, v21, v47 :: v_dual_add_f32 v21, v23, v45
	v_mul_f32_e32 v23, v22, v52
	s_delay_alu instid0(VALU_DEP_3) | instskip(SKIP_2) | instid1(VALU_DEP_4)
	v_dual_fmac_f32 v8, v0, v16 :: v_dual_and_b32 v35, 0xffff0000, v1
	v_add_f32_e32 v33, v33, v36
	v_lshlrev_b32_e32 v1, 16, v1
	v_dual_fmac_f32 v23, v11, v15 :: v_dual_lshlrev_b32 v2, 16, v2
	s_delay_alu instid0(VALU_DEP_4)
	v_mul_f32_e32 v16, v35, v30
	v_mul_f32_e32 v30, v32, v28
	v_add_f32_e32 v8, v34, v8
	v_add_f32_e32 v26, v33, v26
	;; [unrolled: 1-line block ×3, first 2 shown]
	v_fmac_f32_e32 v16, v1, v17
	v_dual_mul_f32 v17, v9, v31 :: v_dual_fmac_f32 v30, v10, v6
	v_mul_f32_e32 v10, v22, v27
	s_delay_alu instid0(VALU_DEP_2) | instskip(NEXT) | instid1(VALU_DEP_1)
	v_dual_fmac_f32 v17, v2, v18 :: v_dual_add_f32 v8, v8, v16
	v_dual_add_f32 v8, v8, v17 :: v_dual_and_b32 v17, 0xffff0000, v3
	v_dual_mul_f32 v18, v20, v46 :: v_dual_lshlrev_b32 v3, 16, v3
	s_delay_alu instid0(VALU_DEP_1) | instskip(SKIP_1) | instid1(VALU_DEP_1)
	v_fmac_f32_e32 v18, v0, v4
	v_dual_fmac_f32 v10, v11, v7 :: v_dual_mul_f32 v11, v20, v29
	v_dual_add_f32 v16, v26, v30 :: v_dual_fmac_f32 v11, v0, v12
	v_mul_f32_e32 v0, v35, v40
	s_delay_alu instid0(VALU_DEP_1) | instskip(SKIP_1) | instid1(VALU_DEP_1)
	v_fmac_f32_e32 v0, v1, v5
	v_mul_f32_e32 v5, v17, v52
	v_dual_mul_f32 v20, v17, v38 :: v_dual_fmac_f32 v5, v3, v15
	s_delay_alu instid0(VALU_DEP_1) | instskip(SKIP_2) | instid1(VALU_DEP_1)
	v_fmac_f32_e32 v20, v3, v19
	v_add_f32_e32 v4, v25, v11
	v_dual_mul_f32 v11, v9, v43 :: v_dual_mul_f32 v12, v35, v41
	v_dual_fmac_f32 v11, v2, v14 :: v_dual_fmac_f32 v12, v1, v13
	v_mul_f32_e32 v1, v9, v28
	v_add_f32_e32 v69, v8, v20
	s_delay_alu instid0(VALU_DEP_2) | instskip(SKIP_2) | instid1(VALU_DEP_3)
	v_dual_add_f32 v4, v4, v12 :: v_dual_fmac_f32 v1, v2, v6
	v_dual_add_f32 v13, v24, v18 :: v_dual_mul_f32 v2, v17, v27
	v_add_f32_e32 v70, v16, v10
	v_add_f32_e32 v4, v4, v11
	s_delay_alu instid0(VALU_DEP_3) | instskip(NEXT) | instid1(VALU_DEP_4)
	v_add_f32_e32 v0, v13, v0
	v_fmac_f32_e32 v2, v3, v7
	s_delay_alu instid0(VALU_DEP_3) | instskip(NEXT) | instid1(VALU_DEP_3)
	v_add_f32_e32 v68, v4, v5
	v_add_f32_e32 v0, v0, v1
	s_delay_alu instid0(VALU_DEP_1)
	v_add_f32_e32 v52, v0, v2
.LBB241_16:                             ;   in Loop: Header=BB241_17 Depth=2
	s_or_b32 exec_lo, exec_lo, s2
	s_addk_i32 s14, 0x400
	s_delay_alu instid0(SALU_CYCLE_1)
	s_cmp_ge_u32 s14, s16
	s_cbranch_scc1 .LBB241_29
.LBB241_17:                             ;   Parent Loop BB241_12 Depth=1
                                        ; =>  This Loop Header: Depth=2
                                        ;       Child Loop BB241_22 Depth 3
	s_cmp_eq_u32 s14, 0
	s_cselect_b32 s15, -1, 0
	s_add_i32 s2, s3, s24
	s_delay_alu instid0(SALU_CYCLE_1) | instskip(SKIP_1) | instid1(SALU_CYCLE_1)
	s_cmp_eq_u32 s14, s2
	s_cselect_b32 s38, -1, 0
	s_or_b32 s38, s15, s38
	s_delay_alu instid0(SALU_CYCLE_1)
	s_and_not1_b32 vcc_lo, exec_lo, s38
	s_cbranch_vccz .LBB241_19
; %bb.18:                               ;   in Loop: Header=BB241_17 Depth=2
	s_and_saveexec_b32 s2, s1
	s_cbranch_execz .LBB241_16
	s_branch .LBB241_26
.LBB241_19:                             ;   in Loop: Header=BB241_17 Depth=2
	s_and_b32 s15, s15, exec_lo
	s_cselect_b32 s3, s3, s2
	s_and_not1_b32 vcc_lo, exec_lo, s26
	s_waitcnt vmcnt(0)
	s_waitcnt_vscnt null, 0x0
	s_barrier
	buffer_gl0_inv
	s_cbranch_vccnz .LBB241_25
; %bb.20:                               ;   in Loop: Header=BB241_17 Depth=2
	v_dual_mov_b32 v3, v64 :: v_dual_add_nc_u32 v0, s3, v65
	v_add_nc_u32_e32 v1, s3, v66
	v_add_nc_u32_e32 v2, s3, v63
	s_mov_b32 s15, 0
	s_mov_b32 s38, 0
                                        ; implicit-def: $sgpr39
	s_branch .LBB241_22
.LBB241_21:                             ;   in Loop: Header=BB241_22 Depth=3
	s_or_b32 exec_lo, exec_lo, s2
	s_delay_alu instid0(SALU_CYCLE_1) | instskip(NEXT) | instid1(SALU_CYCLE_1)
	s_and_b32 s2, exec_lo, s39
	s_or_b32 s15, s2, s15
	s_delay_alu instid0(SALU_CYCLE_1)
	s_and_not1_b32 exec_lo, exec_lo, s15
	s_cbranch_execz .LBB241_24
.LBB241_22:                             ;   Parent Loop BB241_12 Depth=1
                                        ;     Parent Loop BB241_17 Depth=2
                                        ; =>    This Inner Loop Header: Depth=3
	s_delay_alu instid0(VALU_DEP_1) | instskip(SKIP_2) | instid1(VALU_DEP_2)
	v_add_nc_u32_e32 v53, s38, v2
	v_add_nc_u32_e32 v4, s38, v63
	s_or_b32 s39, s39, exec_lo
	v_cmp_gt_u32_e32 vcc_lo, s18, v53
	s_delay_alu instid0(VALU_DEP_2) | instskip(NEXT) | instid1(VALU_DEP_1)
	v_cmp_gt_u32_e64 s2, s24, v4
	s_and_b32 s40, s2, vcc_lo
	s_delay_alu instid0(SALU_CYCLE_1)
	s_and_saveexec_b32 s2, s40
	s_cbranch_execz .LBB241_21
; %bb.23:                               ;   in Loop: Header=BB241_22 Depth=3
	v_lshlrev_b64 v[4:5], 1, v[53:54]
	v_add_nc_u32_e32 v53, s38, v1
	v_add_nc_u32_e32 v16, s37, v3
	v_add_nc_u32_e32 v17, s35, v3
	s_delay_alu instid0(VALU_DEP_3) | instskip(SKIP_3) | instid1(VALU_DEP_3)
	v_lshlrev_b64 v[6:7], 1, v[53:54]
	v_add_nc_u32_e32 v53, s38, v0
	v_add_co_u32 v4, vcc_lo, s8, v4
	v_add_co_ci_u32_e32 v5, vcc_lo, s9, v5, vcc_lo
	v_lshlrev_b64 v[8:9], 1, v[53:54]
	v_add_co_u32 v10, vcc_lo, s8, v6
	v_add_co_ci_u32_e32 v11, vcc_lo, s9, v7, vcc_lo
	s_add_i32 s38, s38, s27
	s_delay_alu instid0(VALU_DEP_3) | instskip(NEXT) | instid1(VALU_DEP_4)
	v_add_co_u32 v12, vcc_lo, s8, v8
	v_add_co_ci_u32_e32 v13, vcc_lo, s9, v9, vcc_lo
	s_clause 0x2
	global_load_b128 v[4:7], v[4:5], off
	global_load_b128 v[8:11], v[10:11], off
	;; [unrolled: 1-line block ×3, first 2 shown]
	s_cmp_ge_u32 s38, s24
	s_cselect_b32 s40, -1, 0
	s_and_not1_b32 s39, s39, exec_lo
	s_and_b32 s40, s40, exec_lo
	s_delay_alu instid0(SALU_CYCLE_1)
	s_or_b32 s39, s39, s40
	s_waitcnt vmcnt(2)
	ds_store_b128 v3, v[4:7]
	v_add_nc_u32_e32 v3, s20, v3
	s_waitcnt vmcnt(1)
	ds_store_2addr_b64 v16, v[8:9], v[10:11] offset1:1
	s_waitcnt vmcnt(0)
	ds_store_2addr_b32 v17, v12, v13 offset1:1
	ds_store_2addr_b32 v17, v14, v15 offset0:2 offset1:3
	s_branch .LBB241_21
.LBB241_24:                             ;   in Loop: Header=BB241_17 Depth=2
	s_or_b32 exec_lo, exec_lo, s15
.LBB241_25:                             ;   in Loop: Header=BB241_17 Depth=2
	s_waitcnt lgkmcnt(0)
	s_barrier
	buffer_gl0_inv
	s_and_saveexec_b32 s2, s1
	s_cbranch_execz .LBB241_16
.LBB241_26:                             ;   in Loop: Header=BB241_17 Depth=2
	s_waitcnt vmcnt(5)
	v_dual_mov_b32 v23, 0 :: v_dual_add_nc_u32 v76, s14, v62
	s_waitcnt vmcnt(4)
	v_dual_mov_b32 v22, 0 :: v_dual_mov_b32 v21, 0
	v_mov_b32_e32 v20, 0
	s_delay_alu instid0(VALU_DEP_3) | instskip(SKIP_3) | instid1(VALU_DEP_4)
	v_min_u32_e32 v53, s28, v76
	v_add_nc_u32_e32 v77, 0x200, v76
	v_dual_mov_b32 v27, 0 :: v_dual_mov_b32 v26, 0
	v_dual_mov_b32 v25, 0 :: v_dual_mov_b32 v24, 0
	v_lshlrev_b64 v[0:1], 1, v[53:54]
	s_delay_alu instid0(VALU_DEP_4) | instskip(SKIP_2) | instid1(VALU_DEP_4)
	v_min_u32_e32 v53, s28, v77
	v_dual_mov_b32 v35, 0 :: v_dual_mov_b32 v34, 0
	v_dual_mov_b32 v33, 0 :: v_dual_mov_b32 v32, 0
	v_add_co_u32 v6, vcc_lo, s6, v0
	v_add_co_ci_u32_e32 v7, vcc_lo, s7, v1, vcc_lo
	v_lshlrev_b64 v[0:1], 1, v[53:54]
	s_delay_alu instid0(VALU_DEP_3) | instskip(NEXT) | instid1(VALU_DEP_3)
	v_add_co_u32 v2, vcc_lo, v6, v55
	v_add_co_ci_u32_e32 v3, vcc_lo, v7, v56, vcc_lo
	v_add_co_u32 v4, vcc_lo, v6, v57
	v_add_co_ci_u32_e32 v5, vcc_lo, v7, v58, vcc_lo
	;; [unrolled: 2-line block ×4, first 2 shown]
	s_delay_alu instid0(VALU_DEP_4) | instskip(NEXT) | instid1(VALU_DEP_4)
	v_add_co_u32 v6, vcc_lo, v10, v55
	v_add_co_ci_u32_e32 v7, vcc_lo, v11, v56, vcc_lo
	s_waitcnt vmcnt(0)
	v_add_co_u32 v8, vcc_lo, v10, v57
	v_add_co_ci_u32_e32 v9, vcc_lo, v11, v58, vcc_lo
	v_add_co_u32 v10, vcc_lo, v10, v59
	v_add_co_ci_u32_e32 v11, vcc_lo, v11, v60, vcc_lo
	s_clause 0x5
	global_load_b128 v[40:43], v[2:3], off slc dlc
	global_load_b128 v[36:39], v[4:5], off slc dlc
	;; [unrolled: 1-line block ×6, first 2 shown]
	v_mov_b32_e32 v3, 0
	v_cmp_gt_u32_e32 vcc_lo, s16, v76
	v_dual_mov_b32 v2, 0 :: v_dual_mov_b32 v1, 0
	v_dual_mov_b32 v0, 0 :: v_dual_mov_b32 v11, 0
	;; [unrolled: 1-line block ×5, first 2 shown]
	v_mov_b32_e32 v44, 0
	s_and_saveexec_b32 s15, vcc_lo
	s_cbranch_execz .LBB241_15
; %bb.27:                               ;   in Loop: Header=BB241_17 Depth=2
	v_subrev_nc_u32_e32 v0, s3, v76
	v_dual_mov_b32 v22, 0 :: v_dual_mov_b32 v9, 0
	v_dual_mov_b32 v8, 0 :: v_dual_mov_b32 v11, 0
	s_delay_alu instid0(VALU_DEP_3) | instskip(SKIP_2) | instid1(VALU_DEP_3)
	v_dual_mov_b32 v21, 0 :: v_dual_lshlrev_b32 v78, 1, v0
	v_dual_mov_b32 v10, 0 :: v_dual_mov_b32 v1, 0
	v_dual_mov_b32 v0, 0 :: v_dual_mov_b32 v3, 0
	v_dual_mov_b32 v23, 0 :: v_dual_add_nc_u32 v76, s37, v78
	v_mov_b32_e32 v2, 0
	s_mov_b32 s38, exec_lo
	s_delay_alu instid0(VALU_DEP_2)
	v_dual_mov_b32 v20, 0 :: v_dual_add_nc_u32 v53, s37, v76
	ds_load_b128 v[44:47], v78
	ds_load_b128 v[32:35], v76
	;; [unrolled: 1-line block ×3, first 2 shown]
	v_cmpx_gt_u32_e64 s16, v77
	s_cbranch_execz .LBB241_14
; %bb.28:                               ;   in Loop: Header=BB241_17 Depth=2
	ds_load_b128 v[20:23], v78 offset:1024
	ds_load_b128 v[8:11], v76 offset:1024
	;; [unrolled: 1-line block ×3, first 2 shown]
	s_branch .LBB241_14
.LBB241_29:                             ;   in Loop: Header=BB241_12 Depth=1
	s_mov_b32 s1, exec_lo
	v_cmpx_le_u32_e64 s19, v51
	s_xor_b32 s1, exec_lo, s1
; %bb.30:                               ;   in Loop: Header=BB241_12 Depth=1
	v_add_nc_u32_e32 v51, s5, v51
                                        ; implicit-def: $vgpr52
                                        ; implicit-def: $vgpr68
                                        ; implicit-def: $vgpr69
                                        ; implicit-def: $vgpr70
                                        ; implicit-def: $vgpr71
                                        ; implicit-def: $vgpr72
                                        ; implicit-def: $vgpr74
                                        ; implicit-def: $vgpr73
                                        ; implicit-def: $vgpr75
; %bb.31:                               ;   in Loop: Header=BB241_12 Depth=1
	s_and_not1_saveexec_b32 s38, s1
	s_cbranch_execz .LBB241_11
; %bb.32:                               ;   in Loop: Header=BB241_12 Depth=1
	v_cvt_i32_f32_e32 v0, v75
	s_waitcnt lgkmcnt(0)
	v_cvt_i32_f32_e32 v1, v73
	v_cvt_i32_f32_e32 v2, v74
	;; [unrolled: 1-line block ×3, first 2 shown]
	s_waitcnt vmcnt(0)
	v_xor_b32_e32 v8, 16, v61
	v_cvt_f32_i32_dpp v0, v0 row_shr:8 row_mask:0xf bank_mask:0xf bound_ctrl:1
	v_cvt_f32_i32_dpp v1, v1 row_shr:8 row_mask:0xf bank_mask:0xf bound_ctrl:1
	;; [unrolled: 1-line block ×4, first 2 shown]
	v_cmp_gt_i32_e32 vcc_lo, 32, v8
	s_delay_alu instid0(VALU_DEP_4) | instskip(NEXT) | instid1(VALU_DEP_3)
	v_dual_add_f32 v0, v75, v0 :: v_dual_add_f32 v1, v73, v1
	v_dual_add_f32 v2, v74, v2 :: v_dual_add_f32 v3, v72, v3
	v_cvt_i32_f32_e32 v10, v70
	s_delay_alu instid0(VALU_DEP_3) | instskip(NEXT) | instid1(VALU_DEP_4)
	v_cvt_i32_f32_e32 v4, v0
	v_cvt_i32_f32_e32 v5, v1
	s_delay_alu instid0(VALU_DEP_4)
	v_cvt_i32_f32_e32 v6, v2
	v_cvt_i32_f32_e32 v7, v3
	v_cvt_i32_f32_e32 v11, v69
	v_cvt_f32_i32_dpp v4, v4 row_shr:4 row_mask:0xf bank_mask:0xf bound_ctrl:1
	v_cvt_f32_i32_dpp v5, v5 row_shr:4 row_mask:0xf bank_mask:0xf bound_ctrl:1
	;; [unrolled: 1-line block ×4, first 2 shown]
	s_delay_alu instid0(VALU_DEP_3) | instskip(NEXT) | instid1(VALU_DEP_2)
	v_dual_add_f32 v0, v0, v4 :: v_dual_add_f32 v1, v1, v5
	v_dual_add_f32 v2, v2, v6 :: v_dual_add_f32 v3, v3, v7
	v_cvt_i32_f32_e32 v4, v71
	s_delay_alu instid0(VALU_DEP_3) | instskip(NEXT) | instid1(VALU_DEP_4)
	v_cvt_i32_f32_e32 v5, v0
	v_cvt_i32_f32_e32 v6, v1
	s_delay_alu instid0(VALU_DEP_4) | instskip(SKIP_1) | instid1(VALU_DEP_4)
	v_cvt_i32_f32_e32 v7, v2
	v_cvt_i32_f32_e32 v9, v3
	v_cvt_f32_i32_dpp v5, v5 row_shr:2 row_mask:0xf bank_mask:0xf bound_ctrl:1
	s_delay_alu instid0(VALU_DEP_4) | instskip(NEXT) | instid1(VALU_DEP_4)
	v_cvt_f32_i32_dpp v6, v6 row_shr:2 row_mask:0xf bank_mask:0xf bound_ctrl:1
	v_cvt_f32_i32_dpp v7, v7 row_shr:2 row_mask:0xf bank_mask:0xf bound_ctrl:1
	s_delay_alu instid0(VALU_DEP_4) | instskip(NEXT) | instid1(VALU_DEP_3)
	v_cvt_f32_i32_dpp v9, v9 row_shr:2 row_mask:0xf bank_mask:0xf bound_ctrl:1
	v_dual_add_f32 v0, v0, v5 :: v_dual_add_f32 v1, v1, v6
	s_delay_alu instid0(VALU_DEP_2) | instskip(SKIP_1) | instid1(VALU_DEP_3)
	v_dual_add_f32 v2, v2, v7 :: v_dual_add_f32 v3, v3, v9
	v_cvt_i32_f32_e32 v5, v68
	v_cvt_i32_f32_e32 v6, v0
	s_delay_alu instid0(VALU_DEP_4) | instskip(NEXT) | instid1(VALU_DEP_4)
	v_cvt_i32_f32_e32 v7, v1
	v_cvt_i32_f32_e32 v9, v2
	;; [unrolled: 1-line block ×3, first 2 shown]
	s_delay_alu instid0(VALU_DEP_4) | instskip(NEXT) | instid1(VALU_DEP_4)
	v_cvt_f32_i32_dpp v6, v6 row_shr:1 row_mask:0xf bank_mask:0xf bound_ctrl:1
	v_cvt_f32_i32_dpp v7, v7 row_shr:1 row_mask:0xf bank_mask:0xf bound_ctrl:1
	s_delay_alu instid0(VALU_DEP_4) | instskip(NEXT) | instid1(VALU_DEP_4)
	v_cvt_f32_i32_dpp v9, v9 row_shr:1 row_mask:0xf bank_mask:0xf bound_ctrl:1
	v_cvt_f32_i32_dpp v12, v12 row_shr:1 row_mask:0xf bank_mask:0xf bound_ctrl:1
	s_delay_alu instid0(VALU_DEP_3) | instskip(SKIP_4) | instid1(VALU_DEP_4)
	v_dual_add_f32 v20, v0, v6 :: v_dual_add_f32 v17, v1, v7
	v_cvt_f32_i32_dpp v1, v4 row_shr:8 row_mask:0xf bank_mask:0xf bound_ctrl:1
	v_cndmask_b32_e32 v8, v61, v8, vcc_lo
	v_cvt_f32_i32_dpp v4, v5 row_shr:8 row_mask:0xf bank_mask:0xf bound_ctrl:1
	v_dual_add_f32 v14, v2, v9 :: v_dual_add_f32 v9, v3, v12
	v_add_f32_e32 v1, v71, v1
	v_cvt_f32_i32_dpp v2, v10 row_shr:8 row_mask:0xf bank_mask:0xf bound_ctrl:1
	v_cvt_f32_i32_dpp v3, v11 row_shr:8 row_mask:0xf bank_mask:0xf bound_ctrl:1
	v_lshlrev_b32_e32 v8, 2, v8
	v_cvt_i32_f32_e32 v0, v52
	v_cvt_i32_f32_e32 v5, v1
	s_delay_alu instid0(VALU_DEP_4)
	v_add_f32_e32 v3, v69, v3
	ds_bpermute_b32 v21, v8, v20
	v_cvt_f32_i32_dpp v0, v0 row_shr:8 row_mask:0xf bank_mask:0xf bound_ctrl:1
	v_cvt_f32_i32_dpp v5, v5 row_shr:4 row_mask:0xf bank_mask:0xf bound_ctrl:1
	v_add_f32_e32 v2, v70, v2
	v_cvt_i32_f32_e32 v7, v3
	ds_bpermute_b32 v18, v8, v17
	ds_bpermute_b32 v15, v8, v14
	v_add_f32_e32 v1, v1, v5
	v_cvt_i32_f32_e32 v6, v2
	v_cvt_f32_i32_dpp v7, v7 row_shr:4 row_mask:0xf bank_mask:0xf bound_ctrl:1
	v_add_f32_e32 v4, v68, v4
	ds_bpermute_b32 v12, v8, v9
	v_cvt_i32_f32_e32 v5, v1
	v_cvt_f32_i32_dpp v6, v6 row_shr:4 row_mask:0xf bank_mask:0xf bound_ctrl:1
	v_add_f32_e32 v3, v3, v7
	v_cvt_i32_f32_e32 v10, v4
	s_delay_alu instid0(VALU_DEP_4) | instskip(SKIP_1) | instid1(VALU_DEP_4)
	v_cvt_f32_i32_dpp v5, v5 row_shr:2 row_mask:0xf bank_mask:0xf bound_ctrl:1
	v_add_f32_e32 v0, v52, v0
	v_cvt_i32_f32_e32 v7, v3
	s_delay_alu instid0(VALU_DEP_4) | instskip(NEXT) | instid1(VALU_DEP_4)
	v_cvt_f32_i32_dpp v10, v10 row_shr:4 row_mask:0xf bank_mask:0xf bound_ctrl:1
	v_add_f32_e32 v1, v1, v5
	s_delay_alu instid0(VALU_DEP_4) | instskip(NEXT) | instid1(VALU_DEP_4)
	v_cvt_i32_f32_e32 v11, v0
	v_cvt_f32_i32_dpp v7, v7 row_shr:2 row_mask:0xf bank_mask:0xf bound_ctrl:1
	v_add_f32_e32 v2, v2, v6
	v_add_f32_e32 v4, v4, v10
	s_delay_alu instid0(VALU_DEP_4) | instskip(NEXT) | instid1(VALU_DEP_4)
	v_cvt_f32_i32_dpp v11, v11 row_shr:4 row_mask:0xf bank_mask:0xf bound_ctrl:1
	v_add_f32_e32 v3, v3, v7
	s_delay_alu instid0(VALU_DEP_4) | instskip(NEXT) | instid1(VALU_DEP_4)
	v_cvt_i32_f32_e32 v6, v2
	v_cvt_i32_f32_e32 v10, v4
	s_delay_alu instid0(VALU_DEP_4) | instskip(NEXT) | instid1(VALU_DEP_4)
	v_add_f32_e32 v0, v0, v11
	v_cvt_i32_f32_e32 v7, v3
	s_delay_alu instid0(VALU_DEP_4) | instskip(NEXT) | instid1(VALU_DEP_4)
	v_cvt_f32_i32_dpp v6, v6 row_shr:2 row_mask:0xf bank_mask:0xf bound_ctrl:1
	v_cvt_f32_i32_dpp v10, v10 row_shr:2 row_mask:0xf bank_mask:0xf bound_ctrl:1
	s_delay_alu instid0(VALU_DEP_4) | instskip(NEXT) | instid1(VALU_DEP_4)
	v_cvt_i32_f32_e32 v11, v0
	v_cvt_f32_i32_dpp v7, v7 row_shr:1 row_mask:0xf bank_mask:0xf bound_ctrl:1
	s_delay_alu instid0(VALU_DEP_4) | instskip(NEXT) | instid1(VALU_DEP_4)
	v_add_f32_e32 v2, v2, v6
	v_add_f32_e32 v5, v4, v10
	v_cvt_i32_f32_e32 v4, v1
	v_cvt_f32_i32_dpp v11, v11 row_shr:2 row_mask:0xf bank_mask:0xf bound_ctrl:1
	s_delay_alu instid0(VALU_DEP_4) | instskip(NEXT) | instid1(VALU_DEP_4)
	v_cvt_i32_f32_e32 v6, v2
	v_cvt_i32_f32_e32 v10, v5
	s_delay_alu instid0(VALU_DEP_4) | instskip(NEXT) | instid1(VALU_DEP_4)
	v_cvt_f32_i32_dpp v4, v4 row_shr:1 row_mask:0xf bank_mask:0xf bound_ctrl:1
	v_add_f32_e32 v0, v0, v11
	s_delay_alu instid0(VALU_DEP_4) | instskip(NEXT) | instid1(VALU_DEP_4)
	v_cvt_f32_i32_dpp v6, v6 row_shr:1 row_mask:0xf bank_mask:0xf bound_ctrl:1
	v_cvt_f32_i32_dpp v13, v10 row_shr:1 row_mask:0xf bank_mask:0xf bound_ctrl:1
	s_delay_alu instid0(VALU_DEP_4) | instskip(NEXT) | instid1(VALU_DEP_4)
	v_add_f32_e32 v10, v1, v4
	v_cvt_i32_f32_e32 v11, v0
	v_add_f32_e32 v4, v3, v7
	v_add_f32_e32 v6, v2, v6
	;; [unrolled: 1-line block ×3, first 2 shown]
	s_delay_alu instid0(VALU_DEP_4)
	v_cvt_f32_i32_dpp v11, v11 row_shr:1 row_mask:0xf bank_mask:0xf bound_ctrl:1
	ds_bpermute_b32 v5, v8, v4
	ds_bpermute_b32 v7, v8, v6
	;; [unrolled: 1-line block ×3, first 2 shown]
	v_add_f32_e32 v0, v0, v11
	ds_bpermute_b32 v11, v8, v10
	ds_bpermute_b32 v1, v8, v0
	s_and_saveexec_b32 s14, s0
	s_cbranch_execz .LBB241_89
; %bb.33:                               ;   in Loop: Header=BB241_12 Depth=1
	v_dual_mov_b32 v26, 0 :: v_dual_add_nc_u32 v53, 2, v51
	v_dual_mov_b32 v25, 0 :: v_dual_mov_b32 v24, 0
	v_dual_mov_b32 v23, 0 :: v_dual_mov_b32 v22, 0
	;; [unrolled: 1-line block ×4, first 2 shown]
	s_and_not1_b32 vcc_lo, exec_lo, s30
	s_cbranch_vccnz .LBB241_35
; %bb.34:                               ;   in Loop: Header=BB241_12 Depth=1
	v_dual_mov_b32 v23, v54 :: v_dual_add_nc_u32 v8, 1, v51
	v_mul_hi_u32 v13, v51, v67
	v_mul_hi_u32 v16, v53, v67
	v_mov_b32_e32 v30, v54
	s_delay_alu instid0(VALU_DEP_4) | instskip(SKIP_3) | instid1(VALU_DEP_4)
	v_mul_hi_u32 v19, v8, v67
	v_mov_b32_e32 v40, v54
	v_mul_lo_u32 v13, v13, s4
	v_mul_lo_u32 v16, v16, s4
	;; [unrolled: 1-line block ×3, first 2 shown]
	s_delay_alu instid0(VALU_DEP_3) | instskip(NEXT) | instid1(VALU_DEP_3)
	v_sub_nc_u32_e32 v13, v51, v13
	v_sub_nc_u32_e32 v16, v53, v16
	s_delay_alu instid0(VALU_DEP_3) | instskip(NEXT) | instid1(VALU_DEP_3)
	v_sub_nc_u32_e32 v8, v8, v19
	v_subrev_nc_u32_e32 v19, s4, v13
	v_cmp_le_u32_e32 vcc_lo, s4, v13
	s_delay_alu instid0(VALU_DEP_4) | instskip(NEXT) | instid1(VALU_DEP_4)
	v_subrev_nc_u32_e32 v22, s4, v16
	v_subrev_nc_u32_e32 v24, s4, v8
	s_delay_alu instid0(VALU_DEP_4) | instskip(SKIP_2) | instid1(VALU_DEP_3)
	v_cndmask_b32_e32 v13, v13, v19, vcc_lo
	v_cmp_le_u32_e32 vcc_lo, s4, v16
	v_mov_b32_e32 v25, v54
	v_subrev_nc_u32_e32 v19, s4, v13
	v_cndmask_b32_e32 v16, v16, v22, vcc_lo
	v_cmp_le_u32_e32 vcc_lo, s4, v8
	v_dual_mov_b32 v27, v54 :: v_dual_cndmask_b32 v8, v8, v24
	v_cmp_le_u32_e32 vcc_lo, s4, v13
	v_mov_b32_e32 v29, v54
	v_subrev_nc_u32_e32 v24, s4, v16
	s_delay_alu instid0(VALU_DEP_4) | instskip(SKIP_2) | instid1(VALU_DEP_2)
	v_subrev_nc_u32_e32 v28, s4, v8
	v_cndmask_b32_e32 v22, v13, v19, vcc_lo
	v_cmp_le_u32_e32 vcc_lo, s4, v16
	v_lshlrev_b64 v[31:32], 1, v[22:23]
	v_cndmask_b32_e32 v26, v16, v24, vcc_lo
	v_cmp_le_u32_e32 vcc_lo, s4, v8
	s_delay_alu instid0(VALU_DEP_2) | instskip(SKIP_3) | instid1(VALU_DEP_3)
	v_lshlrev_b64 v[33:34], 1, v[26:27]
	v_dual_cndmask_b32 v24, v8, v28 :: v_dual_add_nc_u32 v27, s31, v26
	v_add_nc_u32_e32 v28, s31, v22
	v_add_co_u32 v31, vcc_lo, s10, v31
	v_lshlrev_b64 v[35:36], 1, v[24:25]
	v_add_co_ci_u32_e32 v32, vcc_lo, s11, v32, vcc_lo
	s_delay_alu instid0(VALU_DEP_4) | instskip(SKIP_3) | instid1(VALU_DEP_3)
	v_lshlrev_b64 v[37:38], 1, v[28:29]
	v_dual_mov_b32 v28, v54 :: v_dual_add_nc_u32 v29, s31, v24
	v_add_co_u32 v33, vcc_lo, s10, v33
	v_add_co_ci_u32_e32 v34, vcc_lo, s11, v34, vcc_lo
	v_lshlrev_b64 v[29:30], 1, v[29:30]
	v_add_co_u32 v35, vcc_lo, s10, v35
	v_add_nc_u32_e32 v22, s36, v22
	v_add_co_ci_u32_e32 v36, vcc_lo, s11, v36, vcc_lo
	v_add_co_u32 v37, vcc_lo, s10, v37
	v_lshlrev_b64 v[27:28], 1, v[27:28]
	v_add_co_ci_u32_e32 v38, vcc_lo, s11, v38, vcc_lo
	v_add_co_u32 v29, vcc_lo, s10, v29
	v_lshlrev_b64 v[22:23], 1, v[22:23]
	v_add_nc_u32_e32 v24, s36, v24
	v_add_co_ci_u32_e32 v30, vcc_lo, s11, v30, vcc_lo
	v_add_co_u32 v27, vcc_lo, s10, v27
	v_add_nc_u32_e32 v39, s36, v26
	v_add_co_ci_u32_e32 v28, vcc_lo, s11, v28, vcc_lo
	v_lshlrev_b64 v[24:25], 1, v[24:25]
	v_add_co_u32 v41, vcc_lo, s10, v22
	v_add_co_ci_u32_e32 v42, vcc_lo, s11, v23, vcc_lo
	v_lshlrev_b64 v[22:23], 1, v[39:40]
	s_delay_alu instid0(VALU_DEP_4) | instskip(SKIP_1) | instid1(VALU_DEP_3)
	v_add_co_u32 v39, vcc_lo, s10, v24
	v_add_co_ci_u32_e32 v40, vcc_lo, s11, v25, vcc_lo
	v_add_co_u32 v43, vcc_lo, s10, v22
	s_delay_alu instid0(VALU_DEP_4)
	v_add_co_ci_u32_e32 v44, vcc_lo, s11, v23, vcc_lo
	s_clause 0x8
	global_load_u16 v26, v[31:32], off
	global_load_u16 v25, v[35:36], off
	;; [unrolled: 1-line block ×9, first 2 shown]
.LBB241_35:                             ;   in Loop: Header=BB241_12 Depth=1
	v_cmp_ne_u32_e32 vcc_lo, 0, v48
	s_and_saveexec_b32 s2, vcc_lo
	s_cbranch_execnz .LBB241_44
; %bb.36:                               ;   in Loop: Header=BB241_12 Depth=1
	s_or_b32 exec_lo, exec_lo, s2
	v_cmp_ne_u32_e64 s1, 0, v49
	s_delay_alu instid0(VALU_DEP_1)
	s_and_saveexec_b32 s3, s1
	s_cbranch_execnz .LBB241_49
.LBB241_37:                             ;   in Loop: Header=BB241_12 Depth=1
	s_or_b32 exec_lo, exec_lo, s3
	v_cmp_ne_u32_e64 s2, 0, v50
	s_delay_alu instid0(VALU_DEP_1)
	s_and_saveexec_b32 s15, s2
	s_cbranch_execnz .LBB241_54
.LBB241_38:                             ;   in Loop: Header=BB241_12 Depth=1
	s_or_b32 exec_lo, exec_lo, s15
	v_add_nc_u32_e32 v53, s19, v51
	s_and_saveexec_b32 s15, vcc_lo
	s_cbranch_execnz .LBB241_59
.LBB241_39:                             ;   in Loop: Header=BB241_12 Depth=1
	s_or_b32 exec_lo, exec_lo, s15
	s_and_saveexec_b32 s15, s1
	s_cbranch_execnz .LBB241_64
.LBB241_40:                             ;   in Loop: Header=BB241_12 Depth=1
	s_or_b32 exec_lo, exec_lo, s15
	s_and_saveexec_b32 s15, s2
	s_cbranch_execnz .LBB241_69
.LBB241_41:                             ;   in Loop: Header=BB241_12 Depth=1
	s_or_b32 exec_lo, exec_lo, s15
	v_add_nc_u32_e32 v53, s19, v53
	s_and_saveexec_b32 s3, vcc_lo
	s_cbranch_execnz .LBB241_74
.LBB241_42:                             ;   in Loop: Header=BB241_12 Depth=1
	s_or_b32 exec_lo, exec_lo, s3
	s_and_saveexec_b32 s3, s1
	s_cbranch_execnz .LBB241_79
.LBB241_43:                             ;   in Loop: Header=BB241_12 Depth=1
	s_or_b32 exec_lo, exec_lo, s3
	s_delay_alu instid0(SALU_CYCLE_1)
	s_and_b32 exec_lo, exec_lo, s2
	s_cbranch_execnz .LBB241_84
	s_branch .LBB241_89
.LBB241_44:                             ;   in Loop: Header=BB241_12 Depth=1
	s_waitcnt vmcnt(8) lgkmcnt(8)
	v_dual_add_f32 v20, v20, v21 :: v_dual_lshlrev_b32 v21, 16, v26
	s_delay_alu instid0(VALU_DEP_1) | instskip(NEXT) | instid1(VALU_DEP_1)
	v_add_f32_e32 v21, v20, v21
	v_and_b32_e32 v20, 0x7f800000, v21
	s_delay_alu instid0(VALU_DEP_1) | instskip(NEXT) | instid1(VALU_DEP_1)
	v_cmp_ne_u32_e64 s1, 0x7f800000, v20
                                        ; implicit-def: $vgpr20
	s_and_saveexec_b32 s3, s1
	s_delay_alu instid0(SALU_CYCLE_1)
	s_xor_b32 s1, exec_lo, s3
; %bb.45:                               ;   in Loop: Header=BB241_12 Depth=1
	v_bfe_u32 v20, v21, 16, 1
	s_delay_alu instid0(VALU_DEP_1)
	v_add3_u32 v20, v21, v20, 0x7fff
                                        ; implicit-def: $vgpr21
; %bb.46:                               ;   in Loop: Header=BB241_12 Depth=1
	s_and_not1_saveexec_b32 s3, s1
; %bb.47:                               ;   in Loop: Header=BB241_12 Depth=1
	v_and_b32_e32 v20, 0xffff, v21
	v_or_b32_e32 v26, 0x10000, v21
	s_delay_alu instid0(VALU_DEP_2) | instskip(NEXT) | instid1(VALU_DEP_1)
	v_cmp_eq_u32_e64 s1, 0, v20
	v_cndmask_b32_e64 v20, v26, v21, s1
; %bb.48:                               ;   in Loop: Header=BB241_12 Depth=1
	s_or_b32 exec_lo, exec_lo, s3
	v_mov_b32_e32 v52, v54
	s_delay_alu instid0(VALU_DEP_1) | instskip(NEXT) | instid1(VALU_DEP_1)
	v_lshlrev_b64 v[26:27], 1, v[51:52]
	v_add_co_u32 v26, s1, s12, v26
	s_delay_alu instid0(VALU_DEP_1) | instskip(SKIP_3) | instid1(VALU_DEP_1)
	v_add_co_ci_u32_e64 v27, s1, s13, v27, s1
	global_store_d16_hi_b16 v[26:27], v20, off
	s_or_b32 exec_lo, exec_lo, s2
	v_cmp_ne_u32_e64 s1, 0, v49
	s_and_saveexec_b32 s3, s1
	s_cbranch_execz .LBB241_37
.LBB241_49:                             ;   in Loop: Header=BB241_12 Depth=1
	s_waitcnt vmcnt(7) lgkmcnt(7)
	v_dual_add_f32 v17, v17, v18 :: v_dual_lshlrev_b32 v18, 16, v25
	s_delay_alu instid0(VALU_DEP_1) | instskip(NEXT) | instid1(VALU_DEP_1)
	v_add_f32_e32 v18, v17, v18
	v_and_b32_e32 v17, 0x7f800000, v18
	s_delay_alu instid0(VALU_DEP_1) | instskip(NEXT) | instid1(VALU_DEP_1)
	v_cmp_ne_u32_e64 s2, 0x7f800000, v17
                                        ; implicit-def: $vgpr17
	s_and_saveexec_b32 s15, s2
	s_delay_alu instid0(SALU_CYCLE_1)
	s_xor_b32 s2, exec_lo, s15
; %bb.50:                               ;   in Loop: Header=BB241_12 Depth=1
	v_bfe_u32 v17, v18, 16, 1
	s_delay_alu instid0(VALU_DEP_1)
	v_add3_u32 v17, v18, v17, 0x7fff
                                        ; implicit-def: $vgpr18
; %bb.51:                               ;   in Loop: Header=BB241_12 Depth=1
	s_and_not1_saveexec_b32 s15, s2
; %bb.52:                               ;   in Loop: Header=BB241_12 Depth=1
	v_and_b32_e32 v17, 0xffff, v18
	v_or_b32_e32 v20, 0x10000, v18
	s_delay_alu instid0(VALU_DEP_2) | instskip(NEXT) | instid1(VALU_DEP_1)
	v_cmp_eq_u32_e64 s2, 0, v17
	v_cndmask_b32_e64 v17, v20, v18, s2
; %bb.53:                               ;   in Loop: Header=BB241_12 Depth=1
	s_or_b32 exec_lo, exec_lo, s15
	v_mov_b32_e32 v52, v54
	s_delay_alu instid0(VALU_DEP_1) | instskip(NEXT) | instid1(VALU_DEP_1)
	v_lshlrev_b64 v[20:21], 1, v[51:52]
	v_add_co_u32 v20, s2, s33, v20
	s_delay_alu instid0(VALU_DEP_1) | instskip(SKIP_3) | instid1(VALU_DEP_1)
	v_add_co_ci_u32_e64 v21, s2, s34, v21, s2
	global_store_d16_hi_b16 v[20:21], v17, off
	s_or_b32 exec_lo, exec_lo, s3
	v_cmp_ne_u32_e64 s2, 0, v50
	s_and_saveexec_b32 s15, s2
	s_cbranch_execz .LBB241_38
.LBB241_54:                             ;   in Loop: Header=BB241_12 Depth=1
	s_waitcnt vmcnt(6) lgkmcnt(6)
	v_dual_add_f32 v14, v14, v15 :: v_dual_lshlrev_b32 v15, 16, v24
	s_delay_alu instid0(VALU_DEP_1) | instskip(NEXT) | instid1(VALU_DEP_1)
	v_add_f32_e32 v15, v14, v15
	v_and_b32_e32 v14, 0x7f800000, v15
	s_delay_alu instid0(VALU_DEP_1) | instskip(NEXT) | instid1(VALU_DEP_1)
	v_cmp_ne_u32_e64 s3, 0x7f800000, v14
                                        ; implicit-def: $vgpr14
	s_and_saveexec_b32 s39, s3
	s_delay_alu instid0(SALU_CYCLE_1)
	s_xor_b32 s3, exec_lo, s39
; %bb.55:                               ;   in Loop: Header=BB241_12 Depth=1
	v_bfe_u32 v14, v15, 16, 1
	s_delay_alu instid0(VALU_DEP_1)
	v_add3_u32 v14, v15, v14, 0x7fff
                                        ; implicit-def: $vgpr15
; %bb.56:                               ;   in Loop: Header=BB241_12 Depth=1
	s_and_not1_saveexec_b32 s39, s3
; %bb.57:                               ;   in Loop: Header=BB241_12 Depth=1
	v_and_b32_e32 v14, 0xffff, v15
	v_or_b32_e32 v17, 0x10000, v15
	s_delay_alu instid0(VALU_DEP_2) | instskip(NEXT) | instid1(VALU_DEP_1)
	v_cmp_eq_u32_e64 s3, 0, v14
	v_cndmask_b32_e64 v14, v17, v15, s3
; %bb.58:                               ;   in Loop: Header=BB241_12 Depth=1
	s_or_b32 exec_lo, exec_lo, s39
	v_lshlrev_b64 v[17:18], 1, v[53:54]
	s_delay_alu instid0(VALU_DEP_1) | instskip(NEXT) | instid1(VALU_DEP_1)
	v_add_co_u32 v17, s3, s12, v17
	v_add_co_ci_u32_e64 v18, s3, s13, v18, s3
	global_store_d16_hi_b16 v[17:18], v14, off
	s_or_b32 exec_lo, exec_lo, s15
	v_add_nc_u32_e32 v53, s19, v51
	s_and_saveexec_b32 s15, vcc_lo
	s_cbranch_execz .LBB241_39
.LBB241_59:                             ;   in Loop: Header=BB241_12 Depth=1
	s_waitcnt vmcnt(5) lgkmcnt(5)
	v_dual_add_f32 v9, v9, v12 :: v_dual_lshlrev_b32 v12, 16, v23
	s_delay_alu instid0(VALU_DEP_1) | instskip(NEXT) | instid1(VALU_DEP_1)
	v_add_f32_e32 v12, v9, v12
	v_and_b32_e32 v9, 0x7f800000, v12
	s_delay_alu instid0(VALU_DEP_1) | instskip(NEXT) | instid1(VALU_DEP_1)
	v_cmp_ne_u32_e64 s3, 0x7f800000, v9
                                        ; implicit-def: $vgpr9
	s_and_saveexec_b32 s39, s3
	s_delay_alu instid0(SALU_CYCLE_1)
	s_xor_b32 s3, exec_lo, s39
; %bb.60:                               ;   in Loop: Header=BB241_12 Depth=1
	v_bfe_u32 v9, v12, 16, 1
	s_delay_alu instid0(VALU_DEP_1)
	v_add3_u32 v9, v12, v9, 0x7fff
                                        ; implicit-def: $vgpr12
; %bb.61:                               ;   in Loop: Header=BB241_12 Depth=1
	s_and_not1_saveexec_b32 s39, s3
; %bb.62:                               ;   in Loop: Header=BB241_12 Depth=1
	v_and_b32_e32 v9, 0xffff, v12
	v_or_b32_e32 v14, 0x10000, v12
	s_delay_alu instid0(VALU_DEP_2) | instskip(NEXT) | instid1(VALU_DEP_1)
	v_cmp_eq_u32_e64 s3, 0, v9
	v_cndmask_b32_e64 v9, v14, v12, s3
; %bb.63:                               ;   in Loop: Header=BB241_12 Depth=1
	s_or_b32 exec_lo, exec_lo, s39
	v_lshlrev_b64 v[14:15], 1, v[53:54]
	s_delay_alu instid0(VALU_DEP_1) | instskip(NEXT) | instid1(VALU_DEP_1)
	v_add_co_u32 v14, s3, s12, v14
	v_add_co_ci_u32_e64 v15, s3, s13, v15, s3
	global_store_d16_hi_b16 v[14:15], v9, off
	s_or_b32 exec_lo, exec_lo, s15
	s_and_saveexec_b32 s15, s1
	s_cbranch_execz .LBB241_40
.LBB241_64:                             ;   in Loop: Header=BB241_12 Depth=1
	s_waitcnt vmcnt(4) lgkmcnt(1)
	v_dual_add_f32 v9, v10, v11 :: v_dual_lshlrev_b32 v10, 16, v22
	s_delay_alu instid0(VALU_DEP_1) | instskip(NEXT) | instid1(VALU_DEP_1)
	v_add_f32_e32 v10, v9, v10
	v_and_b32_e32 v9, 0x7f800000, v10
	s_delay_alu instid0(VALU_DEP_1) | instskip(NEXT) | instid1(VALU_DEP_1)
	v_cmp_ne_u32_e64 s3, 0x7f800000, v9
                                        ; implicit-def: $vgpr9
	s_and_saveexec_b32 s39, s3
	s_delay_alu instid0(SALU_CYCLE_1)
	s_xor_b32 s3, exec_lo, s39
; %bb.65:                               ;   in Loop: Header=BB241_12 Depth=1
	v_bfe_u32 v9, v10, 16, 1
	s_delay_alu instid0(VALU_DEP_1)
	v_add3_u32 v9, v10, v9, 0x7fff
                                        ; implicit-def: $vgpr10
; %bb.66:                               ;   in Loop: Header=BB241_12 Depth=1
	s_and_not1_saveexec_b32 s39, s3
; %bb.67:                               ;   in Loop: Header=BB241_12 Depth=1
	v_and_b32_e32 v9, 0xffff, v10
	v_or_b32_e32 v11, 0x10000, v10
	s_delay_alu instid0(VALU_DEP_2) | instskip(NEXT) | instid1(VALU_DEP_1)
	v_cmp_eq_u32_e64 s3, 0, v9
	v_cndmask_b32_e64 v9, v11, v10, s3
; %bb.68:                               ;   in Loop: Header=BB241_12 Depth=1
	s_or_b32 exec_lo, exec_lo, s39
	v_dual_mov_b32 v11, v54 :: v_dual_add_nc_u32 v10, 1, v53
	s_delay_alu instid0(VALU_DEP_1) | instskip(NEXT) | instid1(VALU_DEP_1)
	v_lshlrev_b64 v[10:11], 1, v[10:11]
	v_add_co_u32 v10, s3, s12, v10
	s_delay_alu instid0(VALU_DEP_1)
	v_add_co_ci_u32_e64 v11, s3, s13, v11, s3
	global_store_d16_hi_b16 v[10:11], v9, off
	s_or_b32 exec_lo, exec_lo, s15
	s_and_saveexec_b32 s15, s2
	s_cbranch_execz .LBB241_41
.LBB241_69:                             ;   in Loop: Header=BB241_12 Depth=1
	s_waitcnt lgkmcnt(3)
	v_add_f32_e32 v6, v6, v7
	s_waitcnt vmcnt(3)
	v_lshlrev_b32_e32 v7, 16, v19
	s_delay_alu instid0(VALU_DEP_1) | instskip(NEXT) | instid1(VALU_DEP_1)
	v_add_f32_e32 v7, v6, v7
	v_and_b32_e32 v6, 0x7f800000, v7
	s_delay_alu instid0(VALU_DEP_1) | instskip(NEXT) | instid1(VALU_DEP_1)
	v_cmp_ne_u32_e64 s3, 0x7f800000, v6
                                        ; implicit-def: $vgpr6
	s_and_saveexec_b32 s39, s3
	s_delay_alu instid0(SALU_CYCLE_1)
	s_xor_b32 s3, exec_lo, s39
; %bb.70:                               ;   in Loop: Header=BB241_12 Depth=1
	v_bfe_u32 v6, v7, 16, 1
	s_delay_alu instid0(VALU_DEP_1)
	v_add3_u32 v6, v7, v6, 0x7fff
                                        ; implicit-def: $vgpr7
; %bb.71:                               ;   in Loop: Header=BB241_12 Depth=1
	s_and_not1_saveexec_b32 s39, s3
; %bb.72:                               ;   in Loop: Header=BB241_12 Depth=1
	v_and_b32_e32 v6, 0xffff, v7
	v_or_b32_e32 v9, 0x10000, v7
	s_delay_alu instid0(VALU_DEP_2) | instskip(NEXT) | instid1(VALU_DEP_1)
	v_cmp_eq_u32_e64 s3, 0, v6
	v_cndmask_b32_e64 v6, v9, v7, s3
; %bb.73:                               ;   in Loop: Header=BB241_12 Depth=1
	s_or_b32 exec_lo, exec_lo, s39
	v_dual_mov_b32 v10, v54 :: v_dual_add_nc_u32 v9, 2, v53
	s_delay_alu instid0(VALU_DEP_1) | instskip(NEXT) | instid1(VALU_DEP_1)
	v_lshlrev_b64 v[9:10], 1, v[9:10]
	v_add_co_u32 v9, s3, s12, v9
	s_delay_alu instid0(VALU_DEP_1)
	v_add_co_ci_u32_e64 v10, s3, s13, v10, s3
	global_store_d16_hi_b16 v[9:10], v6, off
	s_or_b32 exec_lo, exec_lo, s15
	v_add_nc_u32_e32 v53, s19, v53
	s_and_saveexec_b32 s3, vcc_lo
	s_cbranch_execz .LBB241_42
.LBB241_74:                             ;   in Loop: Header=BB241_12 Depth=1
	s_waitcnt vmcnt(2) lgkmcnt(4)
	v_dual_add_f32 v4, v4, v5 :: v_dual_lshlrev_b32 v5, 16, v16
	s_delay_alu instid0(VALU_DEP_1) | instskip(NEXT) | instid1(VALU_DEP_1)
	v_add_f32_e32 v5, v4, v5
	v_and_b32_e32 v4, 0x7f800000, v5
	s_delay_alu instid0(VALU_DEP_1) | instskip(SKIP_1) | instid1(SALU_CYCLE_1)
	v_cmp_ne_u32_e32 vcc_lo, 0x7f800000, v4
                                        ; implicit-def: $vgpr4
	s_and_saveexec_b32 s15, vcc_lo
	s_xor_b32 s15, exec_lo, s15
; %bb.75:                               ;   in Loop: Header=BB241_12 Depth=1
	v_bfe_u32 v4, v5, 16, 1
	s_delay_alu instid0(VALU_DEP_1)
	v_add3_u32 v4, v5, v4, 0x7fff
                                        ; implicit-def: $vgpr5
; %bb.76:                               ;   in Loop: Header=BB241_12 Depth=1
	s_and_not1_saveexec_b32 s15, s15
; %bb.77:                               ;   in Loop: Header=BB241_12 Depth=1
	v_and_b32_e32 v4, 0xffff, v5
	v_or_b32_e32 v6, 0x10000, v5
	s_delay_alu instid0(VALU_DEP_2) | instskip(NEXT) | instid1(VALU_DEP_2)
	v_cmp_eq_u32_e32 vcc_lo, 0, v4
	v_cndmask_b32_e32 v4, v6, v5, vcc_lo
; %bb.78:                               ;   in Loop: Header=BB241_12 Depth=1
	s_or_b32 exec_lo, exec_lo, s15
	v_lshlrev_b64 v[5:6], 1, v[53:54]
	s_delay_alu instid0(VALU_DEP_1) | instskip(NEXT) | instid1(VALU_DEP_2)
	v_add_co_u32 v5, vcc_lo, s12, v5
	v_add_co_ci_u32_e32 v6, vcc_lo, s13, v6, vcc_lo
	global_store_d16_hi_b16 v[5:6], v4, off
	s_or_b32 exec_lo, exec_lo, s3
	s_and_saveexec_b32 s3, s1
	s_cbranch_execz .LBB241_43
.LBB241_79:                             ;   in Loop: Header=BB241_12 Depth=1
	s_waitcnt vmcnt(1) lgkmcnt(2)
	v_dual_add_f32 v2, v2, v3 :: v_dual_lshlrev_b32 v3, 16, v13
	s_delay_alu instid0(VALU_DEP_1) | instskip(NEXT) | instid1(VALU_DEP_1)
	v_add_f32_e32 v3, v2, v3
	v_and_b32_e32 v2, 0x7f800000, v3
	s_delay_alu instid0(VALU_DEP_1) | instskip(SKIP_1) | instid1(SALU_CYCLE_1)
	v_cmp_ne_u32_e32 vcc_lo, 0x7f800000, v2
                                        ; implicit-def: $vgpr2
	s_and_saveexec_b32 s1, vcc_lo
	s_xor_b32 s1, exec_lo, s1
; %bb.80:                               ;   in Loop: Header=BB241_12 Depth=1
	v_bfe_u32 v2, v3, 16, 1
	s_delay_alu instid0(VALU_DEP_1)
	v_add3_u32 v2, v3, v2, 0x7fff
                                        ; implicit-def: $vgpr3
; %bb.81:                               ;   in Loop: Header=BB241_12 Depth=1
	s_and_not1_saveexec_b32 s1, s1
; %bb.82:                               ;   in Loop: Header=BB241_12 Depth=1
	v_and_b32_e32 v2, 0xffff, v3
	v_or_b32_e32 v4, 0x10000, v3
	s_delay_alu instid0(VALU_DEP_2) | instskip(NEXT) | instid1(VALU_DEP_2)
	v_cmp_eq_u32_e32 vcc_lo, 0, v2
	v_cndmask_b32_e32 v2, v4, v3, vcc_lo
; %bb.83:                               ;   in Loop: Header=BB241_12 Depth=1
	s_or_b32 exec_lo, exec_lo, s1
	v_dual_mov_b32 v4, v54 :: v_dual_add_nc_u32 v3, 1, v53
	s_delay_alu instid0(VALU_DEP_1) | instskip(NEXT) | instid1(VALU_DEP_1)
	v_lshlrev_b64 v[3:4], 1, v[3:4]
	v_add_co_u32 v3, vcc_lo, s12, v3
	s_delay_alu instid0(VALU_DEP_2) | instskip(SKIP_2) | instid1(SALU_CYCLE_1)
	v_add_co_ci_u32_e32 v4, vcc_lo, s13, v4, vcc_lo
	global_store_d16_hi_b16 v[3:4], v2, off
	s_or_b32 exec_lo, exec_lo, s3
	s_and_b32 exec_lo, exec_lo, s2
	s_cbranch_execz .LBB241_89
.LBB241_84:                             ;   in Loop: Header=BB241_12 Depth=1
	s_waitcnt vmcnt(0) lgkmcnt(0)
	v_dual_add_f32 v0, v0, v1 :: v_dual_lshlrev_b32 v1, 16, v8
	s_delay_alu instid0(VALU_DEP_1) | instskip(NEXT) | instid1(VALU_DEP_1)
	v_add_f32_e32 v1, v0, v1
	v_and_b32_e32 v0, 0x7f800000, v1
	s_delay_alu instid0(VALU_DEP_1) | instskip(SKIP_1) | instid1(SALU_CYCLE_1)
	v_cmp_ne_u32_e32 vcc_lo, 0x7f800000, v0
                                        ; implicit-def: $vgpr0
	s_and_saveexec_b32 s1, vcc_lo
	s_xor_b32 s1, exec_lo, s1
; %bb.85:                               ;   in Loop: Header=BB241_12 Depth=1
	v_bfe_u32 v0, v1, 16, 1
	s_delay_alu instid0(VALU_DEP_1)
	v_add3_u32 v0, v1, v0, 0x7fff
                                        ; implicit-def: $vgpr1
; %bb.86:                               ;   in Loop: Header=BB241_12 Depth=1
	s_and_not1_saveexec_b32 s1, s1
; %bb.87:                               ;   in Loop: Header=BB241_12 Depth=1
	v_and_b32_e32 v0, 0xffff, v1
	v_or_b32_e32 v2, 0x10000, v1
	s_delay_alu instid0(VALU_DEP_2) | instskip(NEXT) | instid1(VALU_DEP_2)
	v_cmp_eq_u32_e32 vcc_lo, 0, v0
	v_cndmask_b32_e32 v0, v2, v1, vcc_lo
; %bb.88:                               ;   in Loop: Header=BB241_12 Depth=1
	s_or_b32 exec_lo, exec_lo, s1
	v_add_nc_u32_e32 v53, 2, v53
	s_delay_alu instid0(VALU_DEP_1) | instskip(NEXT) | instid1(VALU_DEP_1)
	v_lshlrev_b64 v[1:2], 1, v[53:54]
	v_add_co_u32 v1, vcc_lo, s12, v1
	s_delay_alu instid0(VALU_DEP_2)
	v_add_co_ci_u32_e32 v2, vcc_lo, s13, v2, vcc_lo
	global_store_d16_hi_b16 v[1:2], v0, off
.LBB241_89:                             ;   in Loop: Header=BB241_12 Depth=1
	s_or_b32 exec_lo, exec_lo, s14
	v_add_nc_u32_e32 v51, s5, v51
	s_delay_alu instid0(VALU_DEP_1) | instskip(SKIP_1) | instid1(VALU_DEP_2)
	v_add_nc_u32_e32 v0, 3, v51
	v_cmp_gt_u32_e32 vcc_lo, s19, v51
	v_cmp_le_u32_e64 s1, s19, v0
	s_delay_alu instid0(VALU_DEP_1) | instskip(NEXT) | instid1(SALU_CYCLE_1)
	s_and_b32 s1, vcc_lo, s1
	s_and_saveexec_b32 s39, s1
	s_cbranch_execz .LBB241_10
; %bb.90:                               ;   in Loop: Header=BB241_12 Depth=1
	s_mov_b32 s40, exec_lo
	v_cmpx_ne_u32_e64 s21, v51
	s_cbranch_execz .LBB241_9
; %bb.91:                               ;   in Loop: Header=BB241_12 Depth=1
	v_subrev_nc_u32_e32 v0, s21, v51
	s_mov_b32 s41, 0
	s_mov_b64 s[14:15], 0
	s_delay_alu instid0(VALU_DEP_1)
	v_cmp_lt_u32_e32 vcc_lo, 1, v0
	v_cndmask_b32_e32 v0, 1, v0, vcc_lo
	.p2align	6
.LBB241_92:                             ;   Parent Loop BB241_12 Depth=1
                                        ; =>  This Inner Loop Header: Depth=2
	s_cmp_lg_u32 s14, 2
	s_cselect_b32 vcc_lo, -1, 0
	s_cmp_lg_u32 s14, 1
	v_cndmask_b32_e32 v50, 0, v50, vcc_lo
	s_cselect_b32 s1, -1, 0
	s_cmp_lg_u32 s14, 0
	v_cndmask_b32_e64 v49, 0, v49, s1
	s_cselect_b32 s2, -1, 0
	s_add_u32 s14, s14, 1
	v_cndmask_b32_e64 v48, 0, v48, s2
	v_cmp_eq_u32_e64 s3, s14, v0
	s_addc_u32 s15, s15, 0
	s_delay_alu instid0(VALU_DEP_1) | instskip(NEXT) | instid1(SALU_CYCLE_1)
	s_or_b32 s41, s3, s41
	s_and_not1_b32 exec_lo, exec_lo, s41
	s_cbranch_execnz .LBB241_92
; %bb.93:                               ;   in Loop: Header=BB241_12 Depth=1
	s_or_b32 exec_lo, exec_lo, s41
	s_branch .LBB241_9
.LBB241_94:
	s_nop 0
	s_sendmsg sendmsg(MSG_DEALLOC_VGPRS)
	s_endpgm
	.section	.rodata,"a",@progbits
	.p2align	6, 0x0
	.amdhsa_kernel _Z16wvSplitK_hf_big_I14__hip_bfloat16Li64ELi3ELi16ELi8ELi2ELi3EEviiiiiiPKT_S3_S3_PS1_ii
		.amdhsa_group_segment_fixed_size 65536
		.amdhsa_private_segment_fixed_size 0
		.amdhsa_kernarg_size 64
		.amdhsa_user_sgpr_count 15
		.amdhsa_user_sgpr_dispatch_ptr 0
		.amdhsa_user_sgpr_queue_ptr 0
		.amdhsa_user_sgpr_kernarg_segment_ptr 1
		.amdhsa_user_sgpr_dispatch_id 0
		.amdhsa_user_sgpr_private_segment_size 0
		.amdhsa_wavefront_size32 1
		.amdhsa_uses_dynamic_stack 0
		.amdhsa_enable_private_segment 0
		.amdhsa_system_sgpr_workgroup_id_x 1
		.amdhsa_system_sgpr_workgroup_id_y 0
		.amdhsa_system_sgpr_workgroup_id_z 0
		.amdhsa_system_sgpr_workgroup_info 0
		.amdhsa_system_vgpr_workitem_id 1
		.amdhsa_next_free_vgpr 91
		.amdhsa_next_free_sgpr 42
		.amdhsa_reserve_vcc 1
		.amdhsa_float_round_mode_32 0
		.amdhsa_float_round_mode_16_64 0
		.amdhsa_float_denorm_mode_32 3
		.amdhsa_float_denorm_mode_16_64 3
		.amdhsa_dx10_clamp 1
		.amdhsa_ieee_mode 1
		.amdhsa_fp16_overflow 0
		.amdhsa_workgroup_processor_mode 1
		.amdhsa_memory_ordered 1
		.amdhsa_forward_progress 0
		.amdhsa_shared_vgpr_count 0
		.amdhsa_exception_fp_ieee_invalid_op 0
		.amdhsa_exception_fp_denorm_src 0
		.amdhsa_exception_fp_ieee_div_zero 0
		.amdhsa_exception_fp_ieee_overflow 0
		.amdhsa_exception_fp_ieee_underflow 0
		.amdhsa_exception_fp_ieee_inexact 0
		.amdhsa_exception_int_div_zero 0
	.end_amdhsa_kernel
	.section	.text._Z16wvSplitK_hf_big_I14__hip_bfloat16Li64ELi3ELi16ELi8ELi2ELi3EEviiiiiiPKT_S3_S3_PS1_ii,"axG",@progbits,_Z16wvSplitK_hf_big_I14__hip_bfloat16Li64ELi3ELi16ELi8ELi2ELi3EEviiiiiiPKT_S3_S3_PS1_ii,comdat
.Lfunc_end241:
	.size	_Z16wvSplitK_hf_big_I14__hip_bfloat16Li64ELi3ELi16ELi8ELi2ELi3EEviiiiiiPKT_S3_S3_PS1_ii, .Lfunc_end241-_Z16wvSplitK_hf_big_I14__hip_bfloat16Li64ELi3ELi16ELi8ELi2ELi3EEviiiiiiPKT_S3_S3_PS1_ii
                                        ; -- End function
	.section	.AMDGPU.csdata,"",@progbits
; Kernel info:
; codeLenInByte = 6888
; NumSgprs: 44
; NumVgprs: 91
; ScratchSize: 0
; MemoryBound: 0
; FloatMode: 240
; IeeeMode: 1
; LDSByteSize: 65536 bytes/workgroup (compile time only)
; SGPRBlocks: 5
; VGPRBlocks: 11
; NumSGPRsForWavesPerEU: 44
; NumVGPRsForWavesPerEU: 91
; Occupancy: 16
; WaveLimiterHint : 0
; COMPUTE_PGM_RSRC2:SCRATCH_EN: 0
; COMPUTE_PGM_RSRC2:USER_SGPR: 15
; COMPUTE_PGM_RSRC2:TRAP_HANDLER: 0
; COMPUTE_PGM_RSRC2:TGID_X_EN: 1
; COMPUTE_PGM_RSRC2:TGID_Y_EN: 0
; COMPUTE_PGM_RSRC2:TGID_Z_EN: 0
; COMPUTE_PGM_RSRC2:TIDIG_COMP_CNT: 1
	.section	.text._Z16wvSplitK_hf_sml_I14__hip_bfloat16Li64ELi4ELi16ELi8ELi1ELi3EEviiiiiiPKT_S3_S3_PS1_ii,"axG",@progbits,_Z16wvSplitK_hf_sml_I14__hip_bfloat16Li64ELi4ELi16ELi8ELi1ELi3EEviiiiiiPKT_S3_S3_PS1_ii,comdat
	.protected	_Z16wvSplitK_hf_sml_I14__hip_bfloat16Li64ELi4ELi16ELi8ELi1ELi3EEviiiiiiPKT_S3_S3_PS1_ii ; -- Begin function _Z16wvSplitK_hf_sml_I14__hip_bfloat16Li64ELi4ELi16ELi8ELi1ELi3EEviiiiiiPKT_S3_S3_PS1_ii
	.globl	_Z16wvSplitK_hf_sml_I14__hip_bfloat16Li64ELi4ELi16ELi8ELi1ELi3EEviiiiiiPKT_S3_S3_PS1_ii
	.p2align	8
	.type	_Z16wvSplitK_hf_sml_I14__hip_bfloat16Li64ELi4ELi16ELi8ELi1ELi3EEviiiiiiPKT_S3_S3_PS1_ii,@function
_Z16wvSplitK_hf_sml_I14__hip_bfloat16Li64ELi4ELi16ELi8ELi1ELi3EEviiiiiiPKT_S3_S3_PS1_ii: ; @_Z16wvSplitK_hf_sml_I14__hip_bfloat16Li64ELi4ELi16ELi8ELi1ELi3EEviiiiiiPKT_S3_S3_PS1_ii
; %bb.0:
	s_clause 0x2
	s_load_b128 s[4:7], s[0:1], 0x0
	s_load_b64 s[8:9], s[0:1], 0x10
	s_load_b64 s[10:11], s[0:1], 0x28
	v_and_b32_e32 v2, 0x3ff, v0
	v_bfe_u32 v3, v0, 10, 10
	s_mov_b32 s12, exec_lo
	s_delay_alu instid0(VALU_DEP_2) | instskip(NEXT) | instid1(VALU_DEP_1)
	v_lshlrev_b32_e32 v39, 3, v2
	v_lshl_add_u32 v4, v3, 9, v39
	s_waitcnt lgkmcnt(0)
	s_mul_i32 s2, s6, 3
	s_delay_alu instid0(SALU_CYCLE_1)
	s_min_u32 s3, s2, 0x8000
	s_delay_alu instid0(VALU_DEP_1) | instid1(SALU_CYCLE_1)
	v_cmpx_gt_u32_e64 s3, v4
	s_cbranch_execz .LBB242_3
; %bb.1:
	s_load_b64 s[16:17], s[0:1], 0x20
	v_lshlrev_b32_e32 v5, 10, v3
	v_lshlrev_b32_e32 v6, 4, v2
	s_mov_b32 s13, 0
	s_delay_alu instid0(VALU_DEP_1) | instskip(NEXT) | instid1(VALU_DEP_1)
	v_add_co_u32 v0, s2, v5, v6
	v_add_co_ci_u32_e64 v1, null, 0, 0, s2
	v_add_nc_u32_e32 v5, v5, v6
	s_waitcnt lgkmcnt(0)
	s_delay_alu instid0(VALU_DEP_3) | instskip(NEXT) | instid1(VALU_DEP_3)
	v_add_co_u32 v0, vcc_lo, s16, v0
	v_add_co_ci_u32_e32 v1, vcc_lo, s17, v1, vcc_lo
	.p2align	6
.LBB242_2:                              ; =>This Inner Loop Header: Depth=1
	global_load_b128 v[6:9], v[0:1], off
	v_add_nc_u32_e32 v4, 0x2000, v4
	v_add_co_u32 v0, vcc_lo, 0x4000, v0
	v_add_co_ci_u32_e32 v1, vcc_lo, 0, v1, vcc_lo
	s_delay_alu instid0(VALU_DEP_3) | instskip(NEXT) | instid1(VALU_DEP_1)
	v_cmp_le_u32_e64 s2, s3, v4
	s_or_b32 s13, s2, s13
	s_waitcnt vmcnt(0)
	ds_store_b128 v5, v[6:9]
	v_add_nc_u32_e32 v5, 0x4000, v5
	s_and_not1_b32 exec_lo, exec_lo, s13
	s_cbranch_execnz .LBB242_2
.LBB242_3:
	s_or_b32 exec_lo, exec_lo, s12
	s_load_b64 s[16:17], s[0:1], 0x38
	s_waitcnt lgkmcnt(0)
	s_barrier
	buffer_gl0_inv
	s_mov_b32 s2, exec_lo
	v_cmpx_gt_u32_e64 s16, v3
	s_cbranch_execz .LBB242_64
; %bb.4:
	s_mul_i32 s15, s15, s16
	s_delay_alu instid0(SALU_CYCLE_1) | instskip(NEXT) | instid1(VALU_DEP_1)
	v_add_lshl_u32 v24, s15, v3, 2
	v_cmp_gt_u32_e32 vcc_lo, s7, v24
	s_and_b32 exec_lo, exec_lo, vcc_lo
	s_cbranch_execz .LBB242_64
; %bb.5:
	s_cmp_lg_u32 s4, 0
	v_mbcnt_lo_u32_b32 v3, -1, 0
	s_cselect_b32 s14, -1, 0
	s_add_i32 s15, s4, -8
	s_add_i32 s18, s7, -1
	s_cmp_lg_u64 s[10:11], 0
	s_clause 0x1
	s_load_b64 s[2:3], s[0:1], 0x18
	s_load_b64 s[12:13], s[0:1], 0x30
	s_cselect_b32 s19, -1, 0
	s_abs_i32 s20, s9
	v_cmp_eq_u32_e64 s0, 63, v2
	v_cvt_f32_u32_e32 v0, s20
	v_lshlrev_b32_e32 v40, 4, v2
	v_xor_b32_e32 v2, 16, v3
	v_cvt_f32_u32_e32 v1, s8
	s_mul_i32 s9, s16, s17
	v_rcp_iflag_f32_e32 v0, v0
	s_sub_i32 s17, 0, s20
	v_cmp_gt_i32_e32 vcc_lo, 32, v2
	v_rcp_iflag_f32_e32 v1, v1
	s_lshl_b32 s9, s9, 2
	s_sub_i32 s21, 0, s8
	s_sub_i32 s22, 1, s20
	v_cndmask_b32_e32 v2, v3, v2, vcc_lo
	v_mov_b32_e32 v26, 0
	s_mov_b32 s1, 0
	s_waitcnt_depctr 0xfff
	v_dual_mul_f32 v0, 0x4f7ffffe, v0 :: v_dual_lshlrev_b32 v41, 2, v2
	s_delay_alu instid0(VALU_DEP_1) | instskip(NEXT) | instid1(VALU_DEP_1)
	v_cvt_u32_f32_e32 v0, v0
	v_readfirstlane_b32 s16, v0
	v_mul_f32_e32 v0, 0x4f7ffffe, v1
	s_delay_alu instid0(VALU_DEP_2) | instskip(NEXT) | instid1(VALU_DEP_1)
	s_mul_i32 s17, s17, s16
	v_cvt_u32_f32_e32 v0, v0
	s_mul_hi_u32 s17, s16, s17
	s_delay_alu instid0(SALU_CYCLE_1) | instskip(SKIP_1) | instid1(VALU_DEP_1)
	s_add_i32 s16, s16, s17
	s_cmp_lt_u32 s20, 2
	v_mul_lo_u32 v1, s21, v0
	s_cselect_b32 s17, s22, 1
	s_delay_alu instid0(SALU_CYCLE_1) | instskip(SKIP_3) | instid1(VALU_DEP_1)
	s_sub_i32 s21, s17, s20
	s_cmp_ge_u32 s17, s20
	s_cselect_b32 s17, s21, s17
	s_lshr_b32 s16, s16, 31
	v_mul_hi_u32 v1, v0, v1
	s_mul_i32 s16, s16, s20
	s_delay_alu instid0(SALU_CYCLE_1) | instskip(NEXT) | instid1(SALU_CYCLE_1)
	s_sub_i32 s16, 2, s16
	s_sub_i32 s21, s16, s20
	s_cmp_ge_u32 s16, s20
	s_cselect_b32 s21, s21, s16
	s_delay_alu instid0(VALU_DEP_1)
	v_add_nc_u32_e32 v42, v0, v1
	s_sub_i32 s22, s21, s20
	s_cmp_ge_u32 s21, s20
	s_mul_i32 s16, s17, s8
	s_cselect_b32 s20, s22, s21
	s_lshl_b32 s17, s6, 2
	s_mul_i32 s20, s20, s8
	s_lshl_b32 s6, s6, 1
	s_branch .LBB242_8
.LBB242_6:                              ;   in Loop: Header=BB242_8 Depth=1
	s_or_b32 exec_lo, exec_lo, s22
	v_add_nc_u32_e32 v25, 3, v25
	s_delay_alu instid0(VALU_DEP_1) | instskip(NEXT) | instid1(VALU_DEP_1)
	v_lshlrev_b64 v[1:2], 1, v[25:26]
	v_add_co_u32 v1, vcc_lo, s12, v1
	s_delay_alu instid0(VALU_DEP_2)
	v_add_co_ci_u32_e32 v2, vcc_lo, s13, v2, vcc_lo
	global_store_d16_hi_b16 v[1:2], v0, off
.LBB242_7:                              ;   in Loop: Header=BB242_8 Depth=1
	s_or_b32 exec_lo, exec_lo, s21
	v_add_nc_u32_e32 v24, s9, v24
	s_delay_alu instid0(VALU_DEP_1) | instskip(SKIP_1) | instid1(SALU_CYCLE_1)
	v_cmp_le_u32_e32 vcc_lo, s7, v24
	s_or_b32 s1, vcc_lo, s1
	s_and_not1_b32 exec_lo, exec_lo, s1
	s_cbranch_execz .LBB242_64
.LBB242_8:                              ; =>This Loop Header: Depth=1
                                        ;     Child Loop BB242_11 Depth 2
	v_mov_b32_e32 v43, v26
	v_mov_b32_e32 v44, v26
	;; [unrolled: 1-line block ×12, first 2 shown]
	s_and_not1_b32 vcc_lo, exec_lo, s14
	s_cbranch_vccnz .LBB242_13
; %bb.9:                                ;   in Loop: Header=BB242_8 Depth=1
	v_or_b32_e32 v0, 1, v24
	s_waitcnt lgkmcnt(0)
	v_or_b32_e32 v1, 2, v24
	v_or_b32_e32 v2, 3, v24
	v_min_u32_e32 v3, s18, v24
	v_dual_mov_b32 v5, v26 :: v_dual_mov_b32 v52, 0
	v_min_u32_e32 v0, s18, v0
	v_min_u32_e32 v1, s18, v1
	v_min_u32_e32 v4, s18, v2
	v_mul_lo_u32 v25, v3, s5
	v_dual_mov_b32 v3, v26 :: v_dual_mov_b32 v54, 0
	v_mul_lo_u32 v0, v0, s5
	v_mul_lo_u32 v2, v1, s5
	;; [unrolled: 1-line block ×3, first 2 shown]
	v_dual_mov_b32 v1, v26 :: v_dual_mov_b32 v50, 0
	v_lshlrev_b64 v[27:28], 1, v[25:26]
	v_dual_mov_b32 v55, v40 :: v_dual_mov_b32 v48, 0
	s_delay_alu instid0(VALU_DEP_3)
	v_lshlrev_b64 v[29:30], 1, v[0:1]
	v_lshlrev_b64 v[31:32], 1, v[2:3]
	;; [unrolled: 1-line block ×3, first 2 shown]
	v_dual_mov_b32 v53, 0 :: v_dual_mov_b32 v46, 0
	v_dual_mov_b32 v51, 0 :: v_dual_mov_b32 v44, 0
	v_mov_b32_e32 v49, 0
	v_mov_b32_e32 v47, 0
	;; [unrolled: 1-line block ×4, first 2 shown]
	s_mov_b32 s21, 0
	s_branch .LBB242_11
.LBB242_10:                             ;   in Loop: Header=BB242_11 Depth=2
	s_or_b32 exec_lo, exec_lo, s22
	s_waitcnt lgkmcnt(1)
	v_and_b32_e32 v57, 0xffff0000, v21
	v_and_b32_e32 v63, 0xffff0000, v23
	s_waitcnt vmcnt(1)
	v_and_b32_e32 v69, 0xffff0000, v9
	v_and_b32_e32 v64, 0xffff0000, v19
	;; [unrolled: 1-line block ×4, first 2 shown]
	v_lshlrev_b32_e32 v23, 16, v23
	v_lshlrev_b32_e32 v19, 16, v19
	v_mul_f32_e32 v65, v63, v64
	v_and_b32_e32 v56, 0xffff0000, v16
	v_and_b32_e32 v58, 0xffff0000, v17
	;; [unrolled: 1-line block ×3, first 2 shown]
	s_delay_alu instid0(VALU_DEP_4) | instskip(NEXT) | instid1(VALU_DEP_3)
	v_dual_fmac_f32 v65, v23, v19 :: v_dual_lshlrev_b32 v16, 16, v16
	v_dual_mul_f32 v60, v57, v58 :: v_dual_and_b32 v67, 0xffff0000, v13
	s_delay_alu instid0(VALU_DEP_3)
	v_dual_mul_f32 v59, v25, v56 :: v_dual_lshlrev_b32 v22, 16, v22
	v_lshlrev_b32_e32 v13, 16, v13
	v_lshlrev_b32_e32 v18, 16, v18
	v_lshlrev_b32_e32 v20, 16, v20
	v_lshlrev_b32_e32 v17, 16, v17
	v_and_b32_e32 v72, 0xffff0000, v15
	v_lshlrev_b32_e32 v15, 16, v15
	v_add_nc_u32_e32 v55, 0x400, v55
	v_fmac_f32_e32 v59, v20, v16
	s_addk_i32 s21, 0x200
	v_and_b32_e32 v71, 0xffff0000, v10
	s_cmp_ge_u32 s21, s4
	s_delay_alu instid0(VALU_DEP_2) | instskip(SKIP_1) | instid1(VALU_DEP_1)
	v_dual_add_f32 v50, v50, v59 :: v_dual_lshlrev_b32 v21, 16, v21
	v_mul_f32_e32 v59, v61, v62
	v_dual_fmac_f32 v60, v21, v17 :: v_dual_fmac_f32 v59, v22, v18
	s_delay_alu instid0(VALU_DEP_1) | instskip(NEXT) | instid1(VALU_DEP_1)
	v_add_f32_e32 v50, v50, v60
	v_dual_add_f32 v50, v50, v59 :: v_dual_lshlrev_b32 v9, 16, v9
	s_delay_alu instid0(VALU_DEP_1) | instskip(SKIP_1) | instid1(VALU_DEP_2)
	v_dual_add_f32 v50, v50, v65 :: v_dual_and_b32 v65, 0xffff0000, v8
	v_lshlrev_b32_e32 v8, 16, v8
	v_mul_f32_e32 v68, v25, v65
	s_delay_alu instid0(VALU_DEP_1) | instskip(NEXT) | instid1(VALU_DEP_1)
	v_fmac_f32_e32 v68, v20, v8
	v_add_f32_e32 v53, v53, v68
	v_mul_f32_e32 v68, v61, v71
	v_and_b32_e32 v60, 0xffff0000, v12
	v_lshlrev_b32_e32 v12, 16, v12
	s_delay_alu instid0(VALU_DEP_2) | instskip(NEXT) | instid1(VALU_DEP_1)
	v_mul_f32_e32 v66, v25, v60
	v_fmac_f32_e32 v66, v20, v12
	s_delay_alu instid0(VALU_DEP_1) | instskip(SKIP_1) | instid1(VALU_DEP_1)
	v_dual_mul_f32 v73, v63, v72 :: v_dual_add_f32 v54, v54, v66
	v_and_b32_e32 v66, 0xffff0000, v14
	v_mul_f32_e32 v70, v61, v66
	v_mul_f32_e32 v59, v57, v67
	s_delay_alu instid0(VALU_DEP_1) | instskip(NEXT) | instid1(VALU_DEP_1)
	v_fmac_f32_e32 v59, v21, v13
	v_dual_add_f32 v54, v54, v59 :: v_dual_mul_f32 v59, v57, v69
	s_delay_alu instid0(VALU_DEP_1) | instskip(NEXT) | instid1(VALU_DEP_1)
	v_fmac_f32_e32 v59, v21, v9
	v_add_f32_e32 v53, v53, v59
	s_waitcnt vmcnt(0)
	v_and_b32_e32 v59, 0xffff0000, v4
	v_lshlrev_b32_e32 v14, 16, v14
	s_delay_alu instid0(VALU_DEP_2) | instskip(NEXT) | instid1(VALU_DEP_2)
	v_dual_mul_f32 v25, v25, v59 :: v_dual_lshlrev_b32 v10, 16, v10
	v_fmac_f32_e32 v70, v22, v14
	s_delay_alu instid0(VALU_DEP_2) | instskip(NEXT) | instid1(VALU_DEP_1)
	v_dual_fmac_f32 v68, v22, v10 :: v_dual_fmac_f32 v73, v23, v15
	v_dual_add_f32 v54, v54, v70 :: v_dual_add_f32 v53, v53, v68
	v_and_b32_e32 v70, 0xffff0000, v11
	v_lshlrev_b32_e32 v4, 16, v4
	v_and_b32_e32 v68, 0xffff0000, v5
	s_delay_alu instid0(VALU_DEP_4) | instskip(NEXT) | instid1(VALU_DEP_3)
	v_dual_add_f32 v54, v54, v73 :: v_dual_lshlrev_b32 v11, 16, v11
	v_fmac_f32_e32 v25, v20, v4
	s_delay_alu instid0(VALU_DEP_1) | instskip(SKIP_3) | instid1(VALU_DEP_3)
	v_dual_mul_f32 v20, v57, v68 :: v_dual_add_f32 v25, v51, v25
	v_lshlrev_b32_e32 v5, 16, v5
	v_and_b32_e32 v75, 0xffff0000, v0
	v_dual_mul_f32 v57, v63, v70 :: v_dual_lshlrev_b32 v0, 16, v0
	v_fmac_f32_e32 v20, v21, v5
	s_delay_alu instid0(VALU_DEP_3) | instskip(NEXT) | instid1(VALU_DEP_3)
	v_dual_mul_f32 v51, v75, v56 :: v_dual_and_b32 v74, 0xffff0000, v6
	v_dual_fmac_f32 v57, v23, v11 :: v_dual_lshlrev_b32 v6, 16, v6
	s_delay_alu instid0(VALU_DEP_3) | instskip(NEXT) | instid1(VALU_DEP_3)
	v_add_f32_e32 v20, v25, v20
	v_mul_f32_e32 v21, v61, v74
	s_delay_alu instid0(VALU_DEP_4) | instskip(SKIP_1) | instid1(VALU_DEP_3)
	v_dual_fmac_f32 v51, v0, v16 :: v_dual_and_b32 v76, 0xffff0000, v2
	v_dual_mul_f32 v73, v75, v59 :: v_dual_lshlrev_b32 v2, 16, v2
	v_dual_fmac_f32 v21, v22, v6 :: v_dual_and_b32 v22, 0xffff0000, v7
	s_delay_alu instid0(VALU_DEP_3) | instskip(NEXT) | instid1(VALU_DEP_4)
	v_add_f32_e32 v51, v52, v51
	v_dual_mul_f32 v52, v76, v62 :: v_dual_and_b32 v25, 0xffff0000, v1
	v_lshlrev_b32_e32 v1, 16, v1
	s_delay_alu instid0(VALU_DEP_4) | instskip(NEXT) | instid1(VALU_DEP_3)
	v_dual_add_f32 v20, v20, v21 :: v_dual_lshlrev_b32 v7, 16, v7
	v_mul_f32_e32 v61, v25, v58
	s_delay_alu instid0(VALU_DEP_4) | instskip(SKIP_2) | instid1(VALU_DEP_4)
	v_fmac_f32_e32 v52, v2, v18
	v_mul_f32_e32 v63, v63, v22
	v_add_f32_e32 v53, v53, v57
	v_fmac_f32_e32 v61, v1, v17
	s_delay_alu instid0(VALU_DEP_1) | instskip(NEXT) | instid1(VALU_DEP_1)
	v_add_f32_e32 v21, v51, v61
	v_dual_add_f32 v21, v21, v52 :: v_dual_mul_f32 v52, v75, v65
	s_delay_alu instid0(VALU_DEP_1) | instskip(NEXT) | instid1(VALU_DEP_1)
	v_dual_fmac_f32 v63, v23, v7 :: v_dual_fmac_f32 v52, v0, v8
	v_dual_add_f32 v51, v20, v63 :: v_dual_mul_f32 v20, v75, v60
	s_delay_alu instid0(VALU_DEP_1) | instskip(NEXT) | instid1(VALU_DEP_1)
	v_dual_mul_f32 v63, v25, v69 :: v_dual_fmac_f32 v20, v0, v12
	v_add_f32_e32 v20, v48, v20
	v_mul_f32_e32 v48, v76, v66
	s_delay_alu instid0(VALU_DEP_1) | instskip(NEXT) | instid1(VALU_DEP_1)
	v_dual_fmac_f32 v48, v2, v14 :: v_dual_mul_f32 v57, v25, v67
	v_fmac_f32_e32 v57, v1, v13
	s_delay_alu instid0(VALU_DEP_1) | instskip(NEXT) | instid1(VALU_DEP_1)
	v_dual_add_f32 v20, v20, v57 :: v_dual_and_b32 v23, 0xffff0000, v3
	v_mul_f32_e32 v61, v23, v64
	s_delay_alu instid0(VALU_DEP_2) | instskip(SKIP_1) | instid1(VALU_DEP_1)
	v_dual_fmac_f32 v63, v1, v9 :: v_dual_add_f32 v20, v20, v48
	v_dual_add_f32 v49, v49, v52 :: v_dual_mul_f32 v52, v76, v71
	v_dual_fmac_f32 v52, v2, v10 :: v_dual_lshlrev_b32 v3, 16, v3
	s_delay_alu instid0(VALU_DEP_1) | instskip(SKIP_2) | instid1(VALU_DEP_1)
	v_fmac_f32_e32 v61, v3, v19
	v_fmac_f32_e32 v73, v0, v4
	v_mul_f32_e32 v0, v25, v68
	v_dual_mul_f32 v57, v23, v72 :: v_dual_fmac_f32 v0, v1, v5
	s_delay_alu instid0(VALU_DEP_1) | instskip(SKIP_1) | instid1(VALU_DEP_2)
	v_fmac_f32_e32 v57, v3, v15
	v_mul_f32_e32 v1, v76, v74
	v_add_f32_e32 v48, v20, v57
	s_delay_alu instid0(VALU_DEP_2) | instskip(SKIP_1) | instid1(VALU_DEP_1)
	v_dual_fmac_f32 v1, v2, v6 :: v_dual_and_b32 v20, 0xffff0000, v37
	v_dual_mul_f32 v2, v23, v22 :: v_dual_add_f32 v49, v49, v63
	v_dual_mul_f32 v25, v20, v56 :: v_dual_fmac_f32 v2, v3, v7
	s_delay_alu instid0(VALU_DEP_2)
	v_add_f32_e32 v49, v49, v52
	v_add_f32_e32 v52, v21, v61
	v_lshlrev_b32_e32 v21, 16, v37
	v_add_f32_e32 v37, v47, v73
	v_and_b32_e32 v47, 0xffff0000, v38
	v_mul_f32_e32 v63, v23, v70
	s_delay_alu instid0(VALU_DEP_4) | instskip(NEXT) | instid1(VALU_DEP_3)
	v_dual_fmac_f32 v25, v21, v16 :: v_dual_lshlrev_b32 v16, 16, v38
	v_mul_f32_e32 v38, v47, v58
	s_delay_alu instid0(VALU_DEP_2) | instskip(NEXT) | instid1(VALU_DEP_2)
	v_dual_add_f32 v0, v37, v0 :: v_dual_add_f32 v23, v46, v25
	v_fmac_f32_e32 v38, v16, v17
	v_mul_f32_e32 v17, v20, v60
	s_waitcnt lgkmcnt(0)
	s_delay_alu instid0(VALU_DEP_3) | instskip(NEXT) | instid1(VALU_DEP_2)
	v_dual_add_f32 v0, v0, v1 :: v_dual_and_b32 v1, 0xffff0000, v35
	v_dual_fmac_f32 v17, v21, v12 :: v_dual_mul_f32 v12, v47, v67
	v_fmac_f32_e32 v63, v3, v11
	v_add_f32_e32 v3, v23, v38
	s_delay_alu instid0(VALU_DEP_3) | instskip(SKIP_1) | instid1(VALU_DEP_4)
	v_dual_fmac_f32 v12, v16, v13 :: v_dual_lshlrev_b32 v23, 16, v35
	v_mul_f32_e32 v13, v1, v66
	v_add_f32_e32 v49, v49, v63
	s_delay_alu instid0(VALU_DEP_2) | instskip(NEXT) | instid1(VALU_DEP_1)
	v_dual_fmac_f32 v13, v23, v14 :: v_dual_mul_f32 v14, v20, v65
	v_fmac_f32_e32 v14, v21, v8
	s_delay_alu instid0(VALU_DEP_1) | instskip(SKIP_1) | instid1(VALU_DEP_1)
	v_add_f32_e32 v14, v44, v14
	v_mul_f32_e32 v25, v1, v62
	v_dual_fmac_f32 v25, v23, v18 :: v_dual_lshlrev_b32 v18, 16, v36
	v_and_b32_e32 v35, 0xffff0000, v36
	s_delay_alu instid0(VALU_DEP_1) | instskip(NEXT) | instid1(VALU_DEP_1)
	v_dual_add_f32 v17, v45, v17 :: v_dual_mul_f32 v36, v35, v64
	v_dual_add_f32 v12, v17, v12 :: v_dual_mul_f32 v17, v20, v59
	v_mul_f32_e32 v8, v47, v69
	s_delay_alu instid0(VALU_DEP_2) | instskip(SKIP_1) | instid1(VALU_DEP_3)
	v_dual_fmac_f32 v36, v18, v19 :: v_dual_fmac_f32 v17, v21, v4
	v_mul_f32_e32 v4, v47, v68
	v_dual_fmac_f32 v8, v16, v9 :: v_dual_mul_f32 v9, v1, v71
	v_mul_f32_e32 v1, v1, v74
	s_delay_alu instid0(VALU_DEP_4) | instskip(NEXT) | instid1(VALU_DEP_3)
	v_add_f32_e32 v17, v43, v17
	v_dual_fmac_f32 v4, v16, v5 :: v_dual_add_f32 v5, v14, v8
	v_mul_f32_e32 v8, v35, v70
	v_fmac_f32_e32 v9, v23, v10
	v_fmac_f32_e32 v1, v23, v6
	v_mul_f32_e32 v6, v35, v22
	v_add_f32_e32 v4, v17, v4
	s_delay_alu instid0(VALU_DEP_4) | instskip(NEXT) | instid1(VALU_DEP_3)
	v_dual_fmac_f32 v8, v18, v11 :: v_dual_add_f32 v5, v5, v9
	v_dual_add_f32 v3, v3, v25 :: v_dual_fmac_f32 v6, v18, v7
	s_delay_alu instid0(VALU_DEP_3) | instskip(NEXT) | instid1(VALU_DEP_3)
	v_add_f32_e32 v1, v4, v1
	v_dual_add_f32 v47, v0, v2 :: v_dual_add_f32 v44, v5, v8
	v_dual_add_f32 v12, v12, v13 :: v_dual_mul_f32 v13, v35, v72
	s_delay_alu instid0(VALU_DEP_3) | instskip(NEXT) | instid1(VALU_DEP_2)
	v_dual_add_f32 v46, v3, v36 :: v_dual_add_f32 v43, v1, v6
	v_fmac_f32_e32 v13, v18, v15
	s_delay_alu instid0(VALU_DEP_1)
	v_add_f32_e32 v45, v12, v13
	s_cbranch_scc1 .LBB242_13
.LBB242_11:                             ;   Parent Loop BB242_8 Depth=1
                                        ; =>  This Inner Loop Header: Depth=2
	v_dual_mov_b32 v35, 0 :: v_dual_add_nc_u32 v20, s21, v39
	v_dual_mov_b32 v36, 0 :: v_dual_mov_b32 v37, 0
	v_mov_b32_e32 v38, 0
	s_delay_alu instid0(VALU_DEP_3) | instskip(SKIP_2) | instid1(VALU_DEP_3)
	v_min_u32_e32 v25, s15, v20
	v_dual_mov_b32 v22, 0 :: v_dual_mov_b32 v21, 0
	v_mov_b32_e32 v23, 0
	v_lshlrev_b64 v[0:1], 1, v[25:26]
	s_waitcnt lgkmcnt(0)
	s_delay_alu instid0(VALU_DEP_1) | instskip(NEXT) | instid1(VALU_DEP_2)
	v_add_co_u32 v6, vcc_lo, s2, v0
	v_add_co_ci_u32_e32 v7, vcc_lo, s3, v1, vcc_lo
	s_delay_alu instid0(VALU_DEP_2) | instskip(NEXT) | instid1(VALU_DEP_2)
	v_add_co_u32 v0, vcc_lo, v6, v27
	v_add_co_ci_u32_e32 v1, vcc_lo, v7, v28, vcc_lo
	v_add_co_u32 v2, vcc_lo, v6, v29
	v_add_co_ci_u32_e32 v3, vcc_lo, v7, v30, vcc_lo
	;; [unrolled: 2-line block ×4, first 2 shown]
	s_clause 0x3
	global_load_b128 v[16:19], v[0:1], off slc dlc
	global_load_b128 v[12:15], v[2:3], off slc dlc
	global_load_b128 v[8:11], v[4:5], off slc dlc
	global_load_b128 v[4:7], v[6:7], off slc dlc
	v_cmp_gt_u32_e32 vcc_lo, s4, v20
	v_dual_mov_b32 v3, 0 :: v_dual_mov_b32 v2, 0
	v_dual_mov_b32 v1, 0 :: v_dual_mov_b32 v0, 0
	v_mov_b32_e32 v20, 0
	s_and_saveexec_b32 s22, vcc_lo
	s_cbranch_execz .LBB242_10
; %bb.12:                               ;   in Loop: Header=BB242_11 Depth=2
	v_add_nc_u32_e32 v0, s6, v55
	v_add_nc_u32_e32 v25, s17, v55
	ds_load_b128 v[0:3], v0
	ds_load_2addr_b32 v[37:38], v25 offset1:1
	ds_load_b128 v[20:23], v55
	ds_load_2addr_b32 v[35:36], v25 offset0:2 offset1:3
	s_branch .LBB242_10
.LBB242_13:                             ;   in Loop: Header=BB242_8 Depth=1
	; sched_barrier mask(0x00000000)
	s_delay_alu instid0(VALU_DEP_1)
	v_cvt_i32_f32_e32 v0, v50
	s_waitcnt lgkmcnt(0)
	v_cvt_i32_f32_e32 v1, v54
	v_cvt_i32_f32_e32 v2, v53
	;; [unrolled: 1-line block ×4, first 2 shown]
	v_cvt_f32_i32_dpp v0, v0 row_shr:8 row_mask:0xf bank_mask:0xf bound_ctrl:1
	v_cvt_f32_i32_dpp v1, v1 row_shr:8 row_mask:0xf bank_mask:0xf bound_ctrl:1
	;; [unrolled: 1-line block ×4, first 2 shown]
	v_cvt_i32_f32_e32 v4, v52
	v_add_f32_e32 v0, v50, v0
	s_delay_alu instid0(VALU_DEP_4) | instskip(NEXT) | instid1(VALU_DEP_4)
	v_dual_add_f32 v1, v54, v1 :: v_dual_add_f32 v2, v53, v2
	v_add_f32_e32 v3, v51, v3
	v_cvt_i32_f32_e32 v6, v49
	s_delay_alu instid0(VALU_DEP_4) | instskip(NEXT) | instid1(VALU_DEP_4)
	v_cvt_i32_f32_e32 v7, v0
	v_cvt_i32_f32_e32 v8, v1
	v_cvt_f32_i32_dpp v5, v5 row_shr:8 row_mask:0xf bank_mask:0xf bound_ctrl:1
	v_cvt_f32_i32_dpp v4, v4 row_shr:8 row_mask:0xf bank_mask:0xf bound_ctrl:1
	;; [unrolled: 1-line block ×5, first 2 shown]
	s_delay_alu instid0(VALU_DEP_3) | instskip(NEXT) | instid1(VALU_DEP_2)
	v_dual_add_f32 v5, v48, v5 :: v_dual_add_f32 v6, v49, v6
	v_dual_add_f32 v0, v0, v7 :: v_dual_add_f32 v1, v1, v8
	v_cvt_i32_f32_e32 v7, v2
	v_cvt_i32_f32_e32 v8, v3
	s_delay_alu instid0(VALU_DEP_4) | instskip(NEXT) | instid1(VALU_DEP_4)
	v_cvt_i32_f32_e32 v12, v5
	v_cvt_i32_f32_e32 v9, v0
	;; [unrolled: 1-line block ×3, first 2 shown]
	v_cvt_f32_i32_dpp v7, v7 row_shr:4 row_mask:0xf bank_mask:0xf bound_ctrl:1
	v_cvt_f32_i32_dpp v8, v8 row_shr:4 row_mask:0xf bank_mask:0xf bound_ctrl:1
	v_cvt_i32_f32_e32 v13, v6
	v_cvt_f32_i32_dpp v9, v9 row_shr:2 row_mask:0xf bank_mask:0xf bound_ctrl:1
	v_cvt_f32_i32_dpp v10, v10 row_shr:2 row_mask:0xf bank_mask:0xf bound_ctrl:1
	v_add_f32_e32 v4, v52, v4
	s_delay_alu instid0(VALU_DEP_3) | instskip(NEXT) | instid1(VALU_DEP_3)
	v_dual_add_f32 v3, v3, v8 :: v_dual_add_f32 v0, v0, v9
	v_add_f32_e32 v1, v1, v10
	v_cvt_f32_i32_dpp v9, v12 row_shr:4 row_mask:0xf bank_mask:0xf bound_ctrl:1
	v_add_f32_e32 v2, v2, v7
	v_cvt_f32_i32_dpp v10, v13 row_shr:4 row_mask:0xf bank_mask:0xf bound_ctrl:1
	v_cvt_i32_f32_e32 v7, v0
	v_cvt_i32_f32_e32 v12, v1
	v_add_f32_e32 v5, v5, v9
	v_cvt_i32_f32_e32 v11, v4
	v_cvt_i32_f32_e32 v9, v2
	v_cvt_f32_i32_dpp v7, v7 row_shr:1 row_mask:0xf bank_mask:0xf bound_ctrl:1
	v_cvt_f32_i32_dpp v8, v12 row_shr:1 row_mask:0xf bank_mask:0xf bound_ctrl:1
	s_delay_alu instid0(VALU_DEP_4) | instskip(NEXT) | instid1(VALU_DEP_4)
	v_cvt_f32_i32_dpp v11, v11 row_shr:4 row_mask:0xf bank_mask:0xf bound_ctrl:1
	v_cvt_f32_i32_dpp v9, v9 row_shr:2 row_mask:0xf bank_mask:0xf bound_ctrl:1
	s_delay_alu instid0(VALU_DEP_4) | instskip(NEXT) | instid1(VALU_DEP_4)
	v_add_f32_e32 v28, v0, v7
	v_add_f32_e32 v0, v1, v8
	v_cvt_i32_f32_e32 v8, v5
	s_delay_alu instid0(VALU_DEP_1) | instskip(SKIP_2) | instid1(VALU_DEP_3)
	v_cvt_f32_i32_dpp v8, v8 row_shr:2 row_mask:0xf bank_mask:0xf bound_ctrl:1
	v_add_f32_e32 v6, v6, v10
	v_cvt_i32_f32_e32 v10, v3
	v_add_f32_e32 v5, v5, v8
	s_delay_alu instid0(VALU_DEP_2) | instskip(SKIP_2) | instid1(VALU_DEP_3)
	v_cvt_f32_i32_dpp v10, v10 row_shr:2 row_mask:0xf bank_mask:0xf bound_ctrl:1
	v_add_f32_e32 v4, v4, v11
	v_cvt_i32_f32_e32 v11, v6
	v_add_f32_e32 v3, v3, v10
	v_cvt_i32_f32_e32 v10, v5
	s_delay_alu instid0(VALU_DEP_3) | instskip(SKIP_1) | instid1(VALU_DEP_4)
	v_cvt_f32_i32_dpp v11, v11 row_shr:2 row_mask:0xf bank_mask:0xf bound_ctrl:1
	v_cvt_i32_f32_e32 v7, v4
	v_cvt_i32_f32_e32 v8, v3
	s_delay_alu instid0(VALU_DEP_4) | instskip(NEXT) | instid1(VALU_DEP_3)
	v_cvt_f32_i32_dpp v10, v10 row_shr:1 row_mask:0xf bank_mask:0xf bound_ctrl:1
	v_cvt_f32_i32_dpp v7, v7 row_shr:2 row_mask:0xf bank_mask:0xf bound_ctrl:1
	s_delay_alu instid0(VALU_DEP_3) | instskip(NEXT) | instid1(VALU_DEP_3)
	v_cvt_f32_i32_dpp v8, v8 row_shr:1 row_mask:0xf bank_mask:0xf bound_ctrl:1
	v_add_f32_e32 v12, v5, v10
	v_cvt_i32_f32_e32 v5, v44
	s_delay_alu instid0(VALU_DEP_3) | instskip(SKIP_1) | instid1(VALU_DEP_3)
	v_add_f32_e32 v19, v3, v8
	v_cvt_i32_f32_e32 v3, v46
	v_cvt_f32_i32_dpp v5, v5 row_shr:8 row_mask:0xf bank_mask:0xf bound_ctrl:1
	v_add_f32_e32 v6, v6, v11
	ds_bpermute_b32 v29, v41, v28
	ds_bpermute_b32 v20, v41, v19
	v_cvt_f32_i32_dpp v3, v3 row_shr:8 row_mask:0xf bank_mask:0xf bound_ctrl:1
	v_add_f32_e32 v5, v44, v5
	v_cvt_i32_f32_e32 v11, v6
	s_delay_alu instid0(VALU_DEP_3) | instskip(NEXT) | instid1(VALU_DEP_3)
	v_add_f32_e32 v3, v46, v3
	v_cvt_i32_f32_e32 v14, v5
	s_delay_alu instid0(VALU_DEP_3)
	v_cvt_f32_i32_dpp v11, v11 row_shr:1 row_mask:0xf bank_mask:0xf bound_ctrl:1
	ds_bpermute_b32 v1, v41, v0
	v_cvt_i32_f32_e32 v10, v3
	v_cvt_f32_i32_dpp v14, v14 row_shr:4 row_mask:0xf bank_mask:0xf bound_ctrl:1
	v_add_f32_e32 v4, v4, v7
	v_add_f32_e32 v8, v6, v11
	v_cvt_i32_f32_e32 v6, v43
	v_cvt_f32_i32_dpp v10, v10 row_shr:4 row_mask:0xf bank_mask:0xf bound_ctrl:1
	v_dual_add_f32 v5, v5, v14 :: v_dual_add_f32 v2, v2, v9
	v_cvt_i32_f32_e32 v9, v4
	s_delay_alu instid0(VALU_DEP_4) | instskip(NEXT) | instid1(VALU_DEP_4)
	v_cvt_f32_i32_dpp v6, v6 row_shr:8 row_mask:0xf bank_mask:0xf bound_ctrl:1
	v_add_f32_e32 v3, v3, v10
	s_delay_alu instid0(VALU_DEP_4)
	v_cvt_i32_f32_e32 v14, v5
	v_cvt_i32_f32_e32 v7, v2
	v_cvt_f32_i32_dpp v9, v9 row_shr:1 row_mask:0xf bank_mask:0xf bound_ctrl:1
	v_add_f32_e32 v6, v43, v6
	v_cvt_i32_f32_e32 v10, v3
	v_cvt_f32_i32_dpp v14, v14 row_shr:2 row_mask:0xf bank_mask:0xf bound_ctrl:1
	v_cvt_f32_i32_dpp v7, v7 row_shr:1 row_mask:0xf bank_mask:0xf bound_ctrl:1
	v_add_f32_e32 v16, v4, v9
	v_cvt_i32_f32_e32 v4, v45
	v_cvt_f32_i32_dpp v10, v10 row_shr:2 row_mask:0xf bank_mask:0xf bound_ctrl:1
	s_delay_alu instid0(VALU_DEP_4) | instskip(SKIP_1) | instid1(VALU_DEP_4)
	v_dual_add_f32 v5, v5, v14 :: v_dual_add_f32 v22, v2, v7
	v_cvt_i32_f32_e32 v2, v47
	v_cvt_f32_i32_dpp v4, v4 row_shr:8 row_mask:0xf bank_mask:0xf bound_ctrl:1
	s_delay_alu instid0(VALU_DEP_4)
	v_add_f32_e32 v3, v3, v10
	v_cvt_i32_f32_e32 v15, v6
	v_cvt_i32_f32_e32 v14, v5
	v_cvt_f32_i32_dpp v2, v2 row_shr:8 row_mask:0xf bank_mask:0xf bound_ctrl:1
	v_add_f32_e32 v4, v45, v4
	v_cvt_i32_f32_e32 v10, v3
	v_cvt_f32_i32_dpp v15, v15 row_shr:4 row_mask:0xf bank_mask:0xf bound_ctrl:1
	v_cvt_f32_i32_dpp v18, v14 row_shr:1 row_mask:0xf bank_mask:0xf bound_ctrl:1
	v_add_f32_e32 v2, v47, v2
	v_cvt_i32_f32_e32 v11, v4
	v_cvt_f32_i32_dpp v10, v10 row_shr:1 row_mask:0xf bank_mask:0xf bound_ctrl:1
	v_add_f32_e32 v6, v6, v15
	ds_bpermute_b32 v23, v41, v22
	v_cvt_i32_f32_e32 v7, v2
	v_cvt_f32_i32_dpp v11, v11 row_shr:4 row_mask:0xf bank_mask:0xf bound_ctrl:1
	v_add_f32_e32 v10, v3, v10
	v_cvt_i32_f32_e32 v15, v6
	ds_bpermute_b32 v17, v41, v16
	v_cvt_f32_i32_dpp v7, v7 row_shr:4 row_mask:0xf bank_mask:0xf bound_ctrl:1
	v_add_f32_e32 v4, v4, v11
	ds_bpermute_b32 v9, v41, v8
	v_cvt_f32_i32_dpp v15, v15 row_shr:2 row_mask:0xf bank_mask:0xf bound_ctrl:1
	v_add_f32_e32 v2, v2, v7
	v_cvt_i32_f32_e32 v11, v4
	s_delay_alu instid0(VALU_DEP_2) | instskip(NEXT) | instid1(VALU_DEP_2)
	v_cvt_i32_f32_e32 v7, v2
	v_cvt_f32_i32_dpp v11, v11 row_shr:2 row_mask:0xf bank_mask:0xf bound_ctrl:1
	s_delay_alu instid0(VALU_DEP_2) | instskip(NEXT) | instid1(VALU_DEP_2)
	v_cvt_f32_i32_dpp v7, v7 row_shr:2 row_mask:0xf bank_mask:0xf bound_ctrl:1
	v_add_f32_e32 v4, v4, v11
	s_delay_alu instid0(VALU_DEP_2) | instskip(SKIP_1) | instid1(VALU_DEP_3)
	v_add_f32_e32 v2, v2, v7
	v_add_f32_e32 v7, v6, v15
	v_cvt_i32_f32_e32 v11, v4
	ds_bpermute_b32 v13, v41, v12
	v_cvt_i32_f32_e32 v6, v2
	v_cvt_i32_f32_e32 v15, v7
	v_cvt_f32_i32_dpp v11, v11 row_shr:1 row_mask:0xf bank_mask:0xf bound_ctrl:1
	s_delay_alu instid0(VALU_DEP_3) | instskip(NEXT) | instid1(VALU_DEP_3)
	v_cvt_f32_i32_dpp v6, v6 row_shr:1 row_mask:0xf bank_mask:0xf bound_ctrl:1
	v_cvt_f32_i32_dpp v15, v15 row_shr:1 row_mask:0xf bank_mask:0xf bound_ctrl:1
	s_delay_alu instid0(VALU_DEP_2) | instskip(NEXT) | instid1(VALU_DEP_4)
	v_add_f32_e32 v14, v2, v6
	v_add_f32_e32 v6, v4, v11
	;; [unrolled: 1-line block ×3, first 2 shown]
	s_delay_alu instid0(VALU_DEP_4)
	v_add_f32_e32 v2, v7, v15
	ds_bpermute_b32 v11, v41, v10
	ds_bpermute_b32 v15, v41, v14
	ds_bpermute_b32 v7, v41, v6
	ds_bpermute_b32 v5, v41, v4
	ds_bpermute_b32 v3, v41, v2
	s_and_saveexec_b32 s21, s0
	s_cbranch_execz .LBB242_7
; %bb.14:                               ;   in Loop: Header=BB242_8 Depth=1
	v_dual_mov_b32 v37, 0 :: v_dual_mov_b32 v36, 0
	v_dual_mov_b32 v25, 0 :: v_dual_mov_b32 v34, 0
	;; [unrolled: 1-line block ×5, first 2 shown]
	v_mov_b32_e32 v27, 0
	v_mov_b32_e32 v21, 0
	s_and_not1_b32 vcc_lo, exec_lo, s19
	s_cbranch_vccnz .LBB242_16
; %bb.15:                               ;   in Loop: Header=BB242_8 Depth=1
	v_mul_hi_u32 v18, v24, v42
	v_or_b32_e32 v21, 1, v24
	v_or_b32_e32 v25, 2, v24
	;; [unrolled: 1-line block ×3, first 2 shown]
	v_mov_b32_e32 v50, v26
	v_mov_b32_e32 v54, v26
	v_mul_hi_u32 v30, v21, v42
	v_mul_hi_u32 v31, v25, v42
	v_mul_lo_u32 v18, v18, s8
	v_mul_hi_u32 v32, v27, v42
	v_mov_b32_e32 v52, v26
	v_mov_b32_e32 v56, v26
	v_mul_lo_u32 v30, v30, s8
	v_mul_lo_u32 v34, v31, s8
	v_sub_nc_u32_e32 v18, v24, v18
	v_mul_lo_u32 v32, v32, s8
	s_delay_alu instid0(VALU_DEP_2) | instskip(SKIP_4) | instid1(VALU_DEP_4)
	v_subrev_nc_u32_e32 v35, s8, v18
	v_sub_nc_u32_e32 v21, v21, v30
	v_cmp_le_u32_e32 vcc_lo, s8, v18
	v_sub_nc_u32_e32 v25, v25, v34
	v_sub_nc_u32_e32 v27, v27, v32
	v_subrev_nc_u32_e32 v30, s8, v21
	v_cndmask_b32_e32 v18, v18, v35, vcc_lo
	v_cmp_le_u32_e32 vcc_lo, s8, v21
	v_subrev_nc_u32_e32 v32, s8, v25
	v_subrev_nc_u32_e32 v34, s8, v27
	v_cndmask_b32_e32 v21, v21, v30, vcc_lo
	v_cmp_le_u32_e32 vcc_lo, s8, v25
	v_mov_b32_e32 v31, v26
	v_subrev_nc_u32_e32 v36, s8, v18
	s_delay_alu instid0(VALU_DEP_4) | instskip(SKIP_4) | instid1(VALU_DEP_2)
	v_subrev_nc_u32_e32 v30, s8, v21
	v_cndmask_b32_e32 v32, v25, v32, vcc_lo
	v_cmp_le_u32_e32 vcc_lo, s8, v27
	v_cndmask_b32_e32 v27, v27, v34, vcc_lo
	v_cmp_le_u32_e32 vcc_lo, s8, v18
	v_subrev_nc_u32_e32 v34, s8, v27
	v_cndmask_b32_e32 v25, v18, v36, vcc_lo
	v_cmp_le_u32_e32 vcc_lo, s8, v21
	v_mov_b32_e32 v33, v26
	v_subrev_nc_u32_e32 v18, s8, v32
	v_cndmask_b32_e32 v30, v21, v30, vcc_lo
	v_cmp_le_u32_e32 vcc_lo, s8, v32
	v_mov_b32_e32 v35, v26
	s_delay_alu instid0(VALU_DEP_3) | instskip(SKIP_3) | instid1(VALU_DEP_3)
	v_lshlrev_b64 v[43:44], 1, v[30:31]
	v_cndmask_b32_e32 v32, v32, v18, vcc_lo
	v_cmp_le_u32_e32 vcc_lo, s8, v27
	v_add_nc_u32_e32 v51, s16, v30
	v_lshlrev_b64 v[45:46], 1, v[32:33]
	v_cndmask_b32_e32 v34, v27, v34, vcc_lo
	v_lshlrev_b64 v[36:37], 1, v[25:26]
	v_add_nc_u32_e32 v49, s16, v25
	v_add_nc_u32_e32 v53, s16, v32
	v_lshlrev_b64 v[51:52], 1, v[51:52]
	v_lshlrev_b64 v[47:48], 1, v[34:35]
	v_add_nc_u32_e32 v55, s16, v34
	v_add_co_u32 v36, vcc_lo, s10, v36
	v_add_co_ci_u32_e32 v37, vcc_lo, s11, v37, vcc_lo
	v_add_co_u32 v43, vcc_lo, s10, v43
	v_add_co_ci_u32_e32 v44, vcc_lo, s11, v44, vcc_lo
	v_add_co_u32 v45, vcc_lo, s10, v45
	v_lshlrev_b64 v[49:50], 1, v[49:50]
	v_add_co_ci_u32_e32 v46, vcc_lo, s11, v46, vcc_lo
	v_add_co_u32 v47, vcc_lo, s10, v47
	v_add_co_ci_u32_e32 v48, vcc_lo, s11, v48, vcc_lo
	s_delay_alu instid0(VALU_DEP_4)
	v_add_co_u32 v49, vcc_lo, s10, v49
	v_lshlrev_b64 v[53:54], 1, v[53:54]
	v_add_nc_u32_e32 v25, s20, v25
	v_add_co_ci_u32_e32 v50, vcc_lo, s11, v50, vcc_lo
	v_add_co_u32 v51, vcc_lo, s10, v51
	v_lshlrev_b64 v[55:56], 1, v[55:56]
	v_add_co_ci_u32_e32 v52, vcc_lo, s11, v52, vcc_lo
	v_add_co_u32 v53, vcc_lo, s10, v53
	v_lshlrev_b64 v[57:58], 1, v[25:26]
	v_add_nc_u32_e32 v25, s20, v30
	v_add_co_ci_u32_e32 v54, vcc_lo, s11, v54, vcc_lo
	v_add_co_u32 v30, vcc_lo, s10, v55
	v_add_co_ci_u32_e32 v31, vcc_lo, s11, v56, vcc_lo
	s_delay_alu instid0(VALU_DEP_4) | instskip(SKIP_3) | instid1(VALU_DEP_3)
	v_lshlrev_b64 v[55:56], 1, v[25:26]
	v_add_nc_u32_e32 v25, s20, v32
	v_add_co_u32 v57, vcc_lo, s10, v57
	v_add_co_ci_u32_e32 v58, vcc_lo, s11, v58, vcc_lo
	v_lshlrev_b64 v[32:33], 1, v[25:26]
	v_add_nc_u32_e32 v25, s20, v34
	v_add_co_u32 v55, vcc_lo, s10, v55
	v_add_co_ci_u32_e32 v56, vcc_lo, s11, v56, vcc_lo
	s_delay_alu instid0(VALU_DEP_3) | instskip(SKIP_2) | instid1(VALU_DEP_3)
	v_lshlrev_b64 v[34:35], 1, v[25:26]
	v_add_co_u32 v59, vcc_lo, s10, v32
	v_add_co_ci_u32_e32 v60, vcc_lo, s11, v33, vcc_lo
	v_add_co_u32 v61, vcc_lo, s10, v34
	s_delay_alu instid0(VALU_DEP_4)
	v_add_co_ci_u32_e32 v62, vcc_lo, s11, v35, vcc_lo
	s_clause 0xb
	global_load_u16 v37, v[36:37], off
	global_load_u16 v25, v[43:44], off
	;; [unrolled: 1-line block ×12, first 2 shown]
.LBB242_16:                             ;   in Loop: Header=BB242_8 Depth=1
	s_waitcnt lgkmcnt(0)
	v_add_f32_e32 v28, v28, v29
	s_waitcnt vmcnt(11)
	v_lshlrev_b32_e32 v29, 16, v37
	s_delay_alu instid0(VALU_DEP_1) | instskip(NEXT) | instid1(VALU_DEP_1)
	v_add_f32_e32 v29, v28, v29
	v_and_b32_e32 v28, 0x7f800000, v29
	s_delay_alu instid0(VALU_DEP_1) | instskip(SKIP_1) | instid1(SALU_CYCLE_1)
	v_cmp_ne_u32_e32 vcc_lo, 0x7f800000, v28
                                        ; implicit-def: $vgpr28
	s_and_saveexec_b32 s22, vcc_lo
	s_xor_b32 s22, exec_lo, s22
; %bb.17:                               ;   in Loop: Header=BB242_8 Depth=1
	v_bfe_u32 v28, v29, 16, 1
	s_delay_alu instid0(VALU_DEP_1)
	v_add3_u32 v28, v29, v28, 0x7fff
                                        ; implicit-def: $vgpr29
; %bb.18:                               ;   in Loop: Header=BB242_8 Depth=1
	s_and_not1_saveexec_b32 s22, s22
; %bb.19:                               ;   in Loop: Header=BB242_8 Depth=1
	v_and_b32_e32 v28, 0xffff, v29
	v_or_b32_e32 v37, 0x10000, v29
	s_delay_alu instid0(VALU_DEP_2) | instskip(NEXT) | instid1(VALU_DEP_2)
	v_cmp_eq_u32_e32 vcc_lo, 0, v28
	v_cndmask_b32_e32 v28, v37, v29, vcc_lo
; %bb.20:                               ;   in Loop: Header=BB242_8 Depth=1
	s_or_b32 exec_lo, exec_lo, s22
	v_add_f32_e32 v0, v0, v1
	s_waitcnt vmcnt(10)
	v_lshlrev_b32_e32 v1, 16, v25
	v_mov_b32_e32 v25, v26
	s_delay_alu instid0(VALU_DEP_2) | instskip(NEXT) | instid1(VALU_DEP_2)
	v_add_f32_e32 v29, v0, v1
	v_lshlrev_b64 v[0:1], 1, v[24:25]
	s_delay_alu instid0(VALU_DEP_2) | instskip(NEXT) | instid1(VALU_DEP_2)
	v_and_b32_e32 v25, 0x7f800000, v29
	v_add_co_u32 v0, vcc_lo, s12, v0
	s_delay_alu instid0(VALU_DEP_3) | instskip(NEXT) | instid1(VALU_DEP_3)
	v_add_co_ci_u32_e32 v1, vcc_lo, s13, v1, vcc_lo
	v_cmp_ne_u32_e32 vcc_lo, 0x7f800000, v25
                                        ; implicit-def: $vgpr25
	global_store_d16_hi_b16 v[0:1], v28, off
	s_and_saveexec_b32 s22, vcc_lo
	s_delay_alu instid0(SALU_CYCLE_1)
	s_xor_b32 s22, exec_lo, s22
; %bb.21:                               ;   in Loop: Header=BB242_8 Depth=1
	v_bfe_u32 v25, v29, 16, 1
	s_delay_alu instid0(VALU_DEP_1)
	v_add3_u32 v25, v29, v25, 0x7fff
                                        ; implicit-def: $vgpr29
; %bb.22:                               ;   in Loop: Header=BB242_8 Depth=1
	s_and_not1_saveexec_b32 s22, s22
; %bb.23:                               ;   in Loop: Header=BB242_8 Depth=1
	v_and_b32_e32 v25, 0xffff, v29
	v_or_b32_e32 v28, 0x10000, v29
	s_delay_alu instid0(VALU_DEP_2) | instskip(NEXT) | instid1(VALU_DEP_2)
	v_cmp_eq_u32_e32 vcc_lo, 0, v25
	v_cndmask_b32_e32 v25, v28, v29, vcc_lo
; %bb.24:                               ;   in Loop: Header=BB242_8 Depth=1
	s_or_b32 exec_lo, exec_lo, s22
	s_waitcnt vmcnt(9)
	v_dual_add_f32 v22, v22, v23 :: v_dual_lshlrev_b32 v23, 16, v36
	global_store_d16_hi_b16 v[0:1], v25, off offset:2
	v_add_f32_e32 v23, v22, v23
	s_delay_alu instid0(VALU_DEP_1) | instskip(NEXT) | instid1(VALU_DEP_1)
	v_and_b32_e32 v22, 0x7f800000, v23
	v_cmp_ne_u32_e32 vcc_lo, 0x7f800000, v22
                                        ; implicit-def: $vgpr22
	s_and_saveexec_b32 s22, vcc_lo
	s_delay_alu instid0(SALU_CYCLE_1)
	s_xor_b32 s22, exec_lo, s22
; %bb.25:                               ;   in Loop: Header=BB242_8 Depth=1
	v_bfe_u32 v22, v23, 16, 1
	s_delay_alu instid0(VALU_DEP_1)
	v_add3_u32 v22, v23, v22, 0x7fff
                                        ; implicit-def: $vgpr23
; %bb.26:                               ;   in Loop: Header=BB242_8 Depth=1
	s_and_not1_saveexec_b32 s22, s22
; %bb.27:                               ;   in Loop: Header=BB242_8 Depth=1
	v_and_b32_e32 v22, 0xffff, v23
	v_or_b32_e32 v25, 0x10000, v23
	s_delay_alu instid0(VALU_DEP_2) | instskip(NEXT) | instid1(VALU_DEP_2)
	v_cmp_eq_u32_e32 vcc_lo, 0, v22
	v_cndmask_b32_e32 v22, v25, v23, vcc_lo
; %bb.28:                               ;   in Loop: Header=BB242_8 Depth=1
	s_or_b32 exec_lo, exec_lo, s22
	s_waitcnt vmcnt(8)
	v_dual_add_f32 v19, v19, v20 :: v_dual_lshlrev_b32 v20, 16, v35
	global_store_d16_hi_b16 v[0:1], v22, off offset:4
	v_add_f32_e32 v20, v19, v20
	s_delay_alu instid0(VALU_DEP_1) | instskip(NEXT) | instid1(VALU_DEP_1)
	v_and_b32_e32 v19, 0x7f800000, v20
	v_cmp_ne_u32_e32 vcc_lo, 0x7f800000, v19
                                        ; implicit-def: $vgpr19
	s_and_saveexec_b32 s22, vcc_lo
	s_delay_alu instid0(SALU_CYCLE_1)
	s_xor_b32 s22, exec_lo, s22
; %bb.29:                               ;   in Loop: Header=BB242_8 Depth=1
	v_bfe_u32 v19, v20, 16, 1
	s_delay_alu instid0(VALU_DEP_1)
	v_add3_u32 v19, v20, v19, 0x7fff
                                        ; implicit-def: $vgpr20
; %bb.30:                               ;   in Loop: Header=BB242_8 Depth=1
	s_and_not1_saveexec_b32 s22, s22
; %bb.31:                               ;   in Loop: Header=BB242_8 Depth=1
	v_and_b32_e32 v19, 0xffff, v20
	v_or_b32_e32 v22, 0x10000, v20
	s_delay_alu instid0(VALU_DEP_2) | instskip(NEXT) | instid1(VALU_DEP_2)
	v_cmp_eq_u32_e32 vcc_lo, 0, v19
	v_cndmask_b32_e32 v19, v22, v20, vcc_lo
; %bb.32:                               ;   in Loop: Header=BB242_8 Depth=1
	s_or_b32 exec_lo, exec_lo, s22
	s_waitcnt vmcnt(7)
	v_dual_add_f32 v16, v16, v17 :: v_dual_lshlrev_b32 v17, 16, v34
	s_mov_b32 s22, exec_lo
	global_store_d16_hi_b16 v[0:1], v19, off offset:6
                                        ; implicit-def: $vgpr0
	v_add_f32_e32 v16, v16, v17
	s_delay_alu instid0(VALU_DEP_1) | instskip(NEXT) | instid1(VALU_DEP_1)
	v_and_b32_e32 v17, 0x7f800000, v16
	v_cmpx_ne_u32_e32 0x7f800000, v17
	s_xor_b32 s22, exec_lo, s22
; %bb.33:                               ;   in Loop: Header=BB242_8 Depth=1
	v_bfe_u32 v0, v16, 16, 1
	s_delay_alu instid0(VALU_DEP_1)
	v_add3_u32 v0, v16, v0, 0x7fff
                                        ; implicit-def: $vgpr16
; %bb.34:                               ;   in Loop: Header=BB242_8 Depth=1
	s_and_not1_saveexec_b32 s22, s22
; %bb.35:                               ;   in Loop: Header=BB242_8 Depth=1
	v_and_b32_e32 v0, 0xffff, v16
	v_or_b32_e32 v1, 0x10000, v16
	s_delay_alu instid0(VALU_DEP_2) | instskip(NEXT) | instid1(VALU_DEP_2)
	v_cmp_eq_u32_e32 vcc_lo, 0, v0
	v_cndmask_b32_e32 v0, v1, v16, vcc_lo
; %bb.36:                               ;   in Loop: Header=BB242_8 Depth=1
	s_or_b32 exec_lo, exec_lo, s22
	v_add_f32_e32 v1, v12, v13
	s_waitcnt vmcnt(6)
	v_lshlrev_b32_e32 v12, 16, v33
	v_add_nc_u32_e32 v25, s7, v24
	s_mov_b32 s22, exec_lo
	s_delay_alu instid0(VALU_DEP_2) | instskip(NEXT) | instid1(VALU_DEP_2)
	v_add_f32_e32 v1, v1, v12
	v_lshlrev_b64 v[12:13], 1, v[25:26]
	s_delay_alu instid0(VALU_DEP_2) | instskip(NEXT) | instid1(VALU_DEP_2)
	v_and_b32_e32 v16, 0x7f800000, v1
	v_add_co_u32 v12, vcc_lo, s12, v12
	s_delay_alu instid0(VALU_DEP_3)
	v_add_co_ci_u32_e32 v13, vcc_lo, s13, v13, vcc_lo
	global_store_d16_hi_b16 v[12:13], v0, off
                                        ; implicit-def: $vgpr0
	v_cmpx_ne_u32_e32 0x7f800000, v16
	s_xor_b32 s22, exec_lo, s22
; %bb.37:                               ;   in Loop: Header=BB242_8 Depth=1
	v_bfe_u32 v0, v1, 16, 1
	s_delay_alu instid0(VALU_DEP_1)
	v_add3_u32 v0, v1, v0, 0x7fff
                                        ; implicit-def: $vgpr1
; %bb.38:                               ;   in Loop: Header=BB242_8 Depth=1
	s_and_not1_saveexec_b32 s22, s22
; %bb.39:                               ;   in Loop: Header=BB242_8 Depth=1
	v_and_b32_e32 v0, 0xffff, v1
	v_or_b32_e32 v12, 0x10000, v1
	s_delay_alu instid0(VALU_DEP_2) | instskip(NEXT) | instid1(VALU_DEP_2)
	v_cmp_eq_u32_e32 vcc_lo, 0, v0
	v_cndmask_b32_e32 v0, v12, v1, vcc_lo
; %bb.40:                               ;   in Loop: Header=BB242_8 Depth=1
	s_or_b32 exec_lo, exec_lo, s22
	s_waitcnt vmcnt(5)
	v_dual_add_f32 v1, v8, v9 :: v_dual_lshlrev_b32 v12, 16, v32
	v_dual_mov_b32 v9, v26 :: v_dual_add_nc_u32 v8, 1, v25
	s_mov_b32 s22, exec_lo
	s_delay_alu instid0(VALU_DEP_2) | instskip(NEXT) | instid1(VALU_DEP_2)
	v_add_f32_e32 v1, v1, v12
	v_lshlrev_b64 v[8:9], 1, v[8:9]
	s_delay_alu instid0(VALU_DEP_2) | instskip(NEXT) | instid1(VALU_DEP_2)
	v_and_b32_e32 v12, 0x7f800000, v1
	v_add_co_u32 v8, vcc_lo, s12, v8
	s_delay_alu instid0(VALU_DEP_3)
	v_add_co_ci_u32_e32 v9, vcc_lo, s13, v9, vcc_lo
	global_store_d16_hi_b16 v[8:9], v0, off
                                        ; implicit-def: $vgpr0
	v_cmpx_ne_u32_e32 0x7f800000, v12
	s_xor_b32 s22, exec_lo, s22
; %bb.41:                               ;   in Loop: Header=BB242_8 Depth=1
	v_bfe_u32 v0, v1, 16, 1
	s_delay_alu instid0(VALU_DEP_1)
	v_add3_u32 v0, v1, v0, 0x7fff
                                        ; implicit-def: $vgpr1
; %bb.42:                               ;   in Loop: Header=BB242_8 Depth=1
	s_and_not1_saveexec_b32 s22, s22
; %bb.43:                               ;   in Loop: Header=BB242_8 Depth=1
	v_and_b32_e32 v0, 0xffff, v1
	v_or_b32_e32 v8, 0x10000, v1
	s_delay_alu instid0(VALU_DEP_2) | instskip(NEXT) | instid1(VALU_DEP_2)
	v_cmp_eq_u32_e32 vcc_lo, 0, v0
	v_cndmask_b32_e32 v0, v8, v1, vcc_lo
; %bb.44:                               ;   in Loop: Header=BB242_8 Depth=1
	s_or_b32 exec_lo, exec_lo, s22
	v_dual_add_f32 v1, v14, v15 :: v_dual_add_nc_u32 v8, 2, v25
	s_waitcnt vmcnt(4)
	v_dual_mov_b32 v9, v26 :: v_dual_lshlrev_b32 v12, 16, v31
	s_mov_b32 s22, exec_lo
	s_delay_alu instid0(VALU_DEP_1) | instskip(NEXT) | instid1(VALU_DEP_2)
	v_add_f32_e32 v1, v1, v12
	v_lshlrev_b64 v[8:9], 1, v[8:9]
	s_delay_alu instid0(VALU_DEP_2) | instskip(NEXT) | instid1(VALU_DEP_2)
	v_and_b32_e32 v12, 0x7f800000, v1
	v_add_co_u32 v8, vcc_lo, s12, v8
	s_delay_alu instid0(VALU_DEP_3)
	v_add_co_ci_u32_e32 v9, vcc_lo, s13, v9, vcc_lo
	global_store_d16_hi_b16 v[8:9], v0, off
                                        ; implicit-def: $vgpr0
	v_cmpx_ne_u32_e32 0x7f800000, v12
	s_xor_b32 s22, exec_lo, s22
; %bb.45:                               ;   in Loop: Header=BB242_8 Depth=1
	v_bfe_u32 v0, v1, 16, 1
	s_delay_alu instid0(VALU_DEP_1)
	v_add3_u32 v0, v1, v0, 0x7fff
                                        ; implicit-def: $vgpr1
; %bb.46:                               ;   in Loop: Header=BB242_8 Depth=1
	s_and_not1_saveexec_b32 s22, s22
; %bb.47:                               ;   in Loop: Header=BB242_8 Depth=1
	v_and_b32_e32 v0, 0xffff, v1
	v_or_b32_e32 v8, 0x10000, v1
	s_delay_alu instid0(VALU_DEP_2) | instskip(NEXT) | instid1(VALU_DEP_2)
	v_cmp_eq_u32_e32 vcc_lo, 0, v0
	v_cndmask_b32_e32 v0, v8, v1, vcc_lo
; %bb.48:                               ;   in Loop: Header=BB242_8 Depth=1
	s_or_b32 exec_lo, exec_lo, s22
	v_dual_add_f32 v1, v10, v11 :: v_dual_add_nc_u32 v8, 3, v25
	s_waitcnt vmcnt(3)
	v_dual_mov_b32 v9, v26 :: v_dual_lshlrev_b32 v10, 16, v30
	s_mov_b32 s22, exec_lo
	s_delay_alu instid0(VALU_DEP_1) | instskip(NEXT) | instid1(VALU_DEP_2)
	v_add_f32_e32 v1, v1, v10
	v_lshlrev_b64 v[8:9], 1, v[8:9]
	s_delay_alu instid0(VALU_DEP_2) | instskip(NEXT) | instid1(VALU_DEP_2)
	v_and_b32_e32 v10, 0x7f800000, v1
	v_add_co_u32 v8, vcc_lo, s12, v8
	s_delay_alu instid0(VALU_DEP_3)
	v_add_co_ci_u32_e32 v9, vcc_lo, s13, v9, vcc_lo
	global_store_d16_hi_b16 v[8:9], v0, off
                                        ; implicit-def: $vgpr8
	v_cmpx_ne_u32_e32 0x7f800000, v10
	s_xor_b32 s22, exec_lo, s22
; %bb.49:                               ;   in Loop: Header=BB242_8 Depth=1
	v_bfe_u32 v0, v1, 16, 1
	s_delay_alu instid0(VALU_DEP_1)
	v_add3_u32 v8, v1, v0, 0x7fff
                                        ; implicit-def: $vgpr1
; %bb.50:                               ;   in Loop: Header=BB242_8 Depth=1
	s_and_not1_saveexec_b32 s22, s22
; %bb.51:                               ;   in Loop: Header=BB242_8 Depth=1
	v_and_b32_e32 v0, 0xffff, v1
	v_or_b32_e32 v8, 0x10000, v1
	s_delay_alu instid0(VALU_DEP_2) | instskip(NEXT) | instid1(VALU_DEP_2)
	v_cmp_eq_u32_e32 vcc_lo, 0, v0
	v_cndmask_b32_e32 v8, v8, v1, vcc_lo
; %bb.52:                               ;   in Loop: Header=BB242_8 Depth=1
	s_or_b32 exec_lo, exec_lo, s22
	v_dual_add_f32 v0, v6, v7 :: v_dual_add_nc_u32 v25, s7, v25
	s_waitcnt vmcnt(2)
	v_lshlrev_b32_e32 v1, 16, v27
	s_delay_alu instid0(VALU_DEP_1) | instskip(NEXT) | instid1(VALU_DEP_3)
	v_add_f32_e32 v6, v0, v1
	v_lshlrev_b64 v[0:1], 1, v[25:26]
	s_delay_alu instid0(VALU_DEP_2) | instskip(NEXT) | instid1(VALU_DEP_2)
	v_and_b32_e32 v7, 0x7f800000, v6
	v_add_co_u32 v0, vcc_lo, s12, v0
	s_delay_alu instid0(VALU_DEP_3) | instskip(NEXT) | instid1(VALU_DEP_3)
	v_add_co_ci_u32_e32 v1, vcc_lo, s13, v1, vcc_lo
	v_cmp_ne_u32_e32 vcc_lo, 0x7f800000, v7
                                        ; implicit-def: $vgpr7
	global_store_d16_hi_b16 v[0:1], v8, off
	s_and_saveexec_b32 s22, vcc_lo
	s_delay_alu instid0(SALU_CYCLE_1)
	s_xor_b32 s22, exec_lo, s22
; %bb.53:                               ;   in Loop: Header=BB242_8 Depth=1
	v_bfe_u32 v7, v6, 16, 1
	s_delay_alu instid0(VALU_DEP_1)
	v_add3_u32 v7, v6, v7, 0x7fff
                                        ; implicit-def: $vgpr6
; %bb.54:                               ;   in Loop: Header=BB242_8 Depth=1
	s_and_not1_saveexec_b32 s22, s22
; %bb.55:                               ;   in Loop: Header=BB242_8 Depth=1
	v_and_b32_e32 v7, 0xffff, v6
	v_or_b32_e32 v8, 0x10000, v6
	s_delay_alu instid0(VALU_DEP_2) | instskip(NEXT) | instid1(VALU_DEP_2)
	v_cmp_eq_u32_e32 vcc_lo, 0, v7
	v_cndmask_b32_e32 v7, v8, v6, vcc_lo
; %bb.56:                               ;   in Loop: Header=BB242_8 Depth=1
	s_or_b32 exec_lo, exec_lo, s22
	v_add_f32_e32 v4, v4, v5
	s_waitcnt vmcnt(1)
	v_lshlrev_b32_e32 v5, 16, v21
	s_mov_b32 s22, exec_lo
	global_store_d16_hi_b16 v[0:1], v7, off offset:2
                                        ; implicit-def: $vgpr0
	v_add_f32_e32 v4, v4, v5
	s_delay_alu instid0(VALU_DEP_1) | instskip(NEXT) | instid1(VALU_DEP_1)
	v_and_b32_e32 v5, 0x7f800000, v4
	v_cmpx_ne_u32_e32 0x7f800000, v5
	s_xor_b32 s22, exec_lo, s22
; %bb.57:                               ;   in Loop: Header=BB242_8 Depth=1
	v_bfe_u32 v0, v4, 16, 1
	s_delay_alu instid0(VALU_DEP_1)
	v_add3_u32 v0, v4, v0, 0x7fff
                                        ; implicit-def: $vgpr4
; %bb.58:                               ;   in Loop: Header=BB242_8 Depth=1
	s_and_not1_saveexec_b32 s22, s22
; %bb.59:                               ;   in Loop: Header=BB242_8 Depth=1
	v_and_b32_e32 v0, 0xffff, v4
	v_or_b32_e32 v1, 0x10000, v4
	s_delay_alu instid0(VALU_DEP_2) | instskip(NEXT) | instid1(VALU_DEP_2)
	v_cmp_eq_u32_e32 vcc_lo, 0, v0
	v_cndmask_b32_e32 v0, v1, v4, vcc_lo
; %bb.60:                               ;   in Loop: Header=BB242_8 Depth=1
	s_or_b32 exec_lo, exec_lo, s22
	v_dual_add_f32 v1, v2, v3 :: v_dual_add_nc_u32 v2, 2, v25
	s_waitcnt vmcnt(0)
	v_dual_mov_b32 v3, v26 :: v_dual_lshlrev_b32 v4, 16, v18
	s_mov_b32 s22, exec_lo
	s_delay_alu instid0(VALU_DEP_1) | instskip(NEXT) | instid1(VALU_DEP_2)
	v_add_f32_e32 v1, v1, v4
	v_lshlrev_b64 v[2:3], 1, v[2:3]
	s_delay_alu instid0(VALU_DEP_2) | instskip(NEXT) | instid1(VALU_DEP_2)
	v_and_b32_e32 v4, 0x7f800000, v1
	v_add_co_u32 v2, vcc_lo, s12, v2
	s_delay_alu instid0(VALU_DEP_3)
	v_add_co_ci_u32_e32 v3, vcc_lo, s13, v3, vcc_lo
	global_store_d16_hi_b16 v[2:3], v0, off
                                        ; implicit-def: $vgpr0
	v_cmpx_ne_u32_e32 0x7f800000, v4
	s_xor_b32 s22, exec_lo, s22
; %bb.61:                               ;   in Loop: Header=BB242_8 Depth=1
	v_bfe_u32 v0, v1, 16, 1
	s_delay_alu instid0(VALU_DEP_1)
	v_add3_u32 v0, v1, v0, 0x7fff
                                        ; implicit-def: $vgpr1
; %bb.62:                               ;   in Loop: Header=BB242_8 Depth=1
	s_and_not1_saveexec_b32 s22, s22
	s_cbranch_execz .LBB242_6
; %bb.63:                               ;   in Loop: Header=BB242_8 Depth=1
	v_and_b32_e32 v0, 0xffff, v1
	v_or_b32_e32 v2, 0x10000, v1
	s_delay_alu instid0(VALU_DEP_2) | instskip(NEXT) | instid1(VALU_DEP_2)
	v_cmp_eq_u32_e32 vcc_lo, 0, v0
	v_cndmask_b32_e32 v0, v2, v1, vcc_lo
	s_branch .LBB242_6
.LBB242_64:
	s_nop 0
	s_sendmsg sendmsg(MSG_DEALLOC_VGPRS)
	s_endpgm
	.section	.rodata,"a",@progbits
	.p2align	6, 0x0
	.amdhsa_kernel _Z16wvSplitK_hf_sml_I14__hip_bfloat16Li64ELi4ELi16ELi8ELi1ELi3EEviiiiiiPKT_S3_S3_PS1_ii
		.amdhsa_group_segment_fixed_size 65536
		.amdhsa_private_segment_fixed_size 0
		.amdhsa_kernarg_size 64
		.amdhsa_user_sgpr_count 15
		.amdhsa_user_sgpr_dispatch_ptr 0
		.amdhsa_user_sgpr_queue_ptr 0
		.amdhsa_user_sgpr_kernarg_segment_ptr 1
		.amdhsa_user_sgpr_dispatch_id 0
		.amdhsa_user_sgpr_private_segment_size 0
		.amdhsa_wavefront_size32 1
		.amdhsa_uses_dynamic_stack 0
		.amdhsa_enable_private_segment 0
		.amdhsa_system_sgpr_workgroup_id_x 1
		.amdhsa_system_sgpr_workgroup_id_y 0
		.amdhsa_system_sgpr_workgroup_id_z 0
		.amdhsa_system_sgpr_workgroup_info 0
		.amdhsa_system_vgpr_workitem_id 1
		.amdhsa_next_free_vgpr 77
		.amdhsa_next_free_sgpr 23
		.amdhsa_reserve_vcc 1
		.amdhsa_float_round_mode_32 0
		.amdhsa_float_round_mode_16_64 0
		.amdhsa_float_denorm_mode_32 3
		.amdhsa_float_denorm_mode_16_64 3
		.amdhsa_dx10_clamp 1
		.amdhsa_ieee_mode 1
		.amdhsa_fp16_overflow 0
		.amdhsa_workgroup_processor_mode 1
		.amdhsa_memory_ordered 1
		.amdhsa_forward_progress 0
		.amdhsa_shared_vgpr_count 0
		.amdhsa_exception_fp_ieee_invalid_op 0
		.amdhsa_exception_fp_denorm_src 0
		.amdhsa_exception_fp_ieee_div_zero 0
		.amdhsa_exception_fp_ieee_overflow 0
		.amdhsa_exception_fp_ieee_underflow 0
		.amdhsa_exception_fp_ieee_inexact 0
		.amdhsa_exception_int_div_zero 0
	.end_amdhsa_kernel
	.section	.text._Z16wvSplitK_hf_sml_I14__hip_bfloat16Li64ELi4ELi16ELi8ELi1ELi3EEviiiiiiPKT_S3_S3_PS1_ii,"axG",@progbits,_Z16wvSplitK_hf_sml_I14__hip_bfloat16Li64ELi4ELi16ELi8ELi1ELi3EEviiiiiiPKT_S3_S3_PS1_ii,comdat
.Lfunc_end242:
	.size	_Z16wvSplitK_hf_sml_I14__hip_bfloat16Li64ELi4ELi16ELi8ELi1ELi3EEviiiiiiPKT_S3_S3_PS1_ii, .Lfunc_end242-_Z16wvSplitK_hf_sml_I14__hip_bfloat16Li64ELi4ELi16ELi8ELi1ELi3EEviiiiiiPKT_S3_S3_PS1_ii
                                        ; -- End function
	.section	.AMDGPU.csdata,"",@progbits
; Kernel info:
; codeLenInByte = 5528
; NumSgprs: 25
; NumVgprs: 77
; ScratchSize: 0
; MemoryBound: 0
; FloatMode: 240
; IeeeMode: 1
; LDSByteSize: 65536 bytes/workgroup (compile time only)
; SGPRBlocks: 3
; VGPRBlocks: 9
; NumSGPRsForWavesPerEU: 25
; NumVGPRsForWavesPerEU: 77
; Occupancy: 16
; WaveLimiterHint : 0
; COMPUTE_PGM_RSRC2:SCRATCH_EN: 0
; COMPUTE_PGM_RSRC2:USER_SGPR: 15
; COMPUTE_PGM_RSRC2:TRAP_HANDLER: 0
; COMPUTE_PGM_RSRC2:TGID_X_EN: 1
; COMPUTE_PGM_RSRC2:TGID_Y_EN: 0
; COMPUTE_PGM_RSRC2:TGID_Z_EN: 0
; COMPUTE_PGM_RSRC2:TIDIG_COMP_CNT: 1
	.section	.text._Z12wvSplitK_hf_I14__hip_bfloat16Li64ELi4ELi16ELi8ELi1ELi3EEviiiiiiPKT_S3_S3_PS1_ii,"axG",@progbits,_Z12wvSplitK_hf_I14__hip_bfloat16Li64ELi4ELi16ELi8ELi1ELi3EEviiiiiiPKT_S3_S3_PS1_ii,comdat
	.protected	_Z12wvSplitK_hf_I14__hip_bfloat16Li64ELi4ELi16ELi8ELi1ELi3EEviiiiiiPKT_S3_S3_PS1_ii ; -- Begin function _Z12wvSplitK_hf_I14__hip_bfloat16Li64ELi4ELi16ELi8ELi1ELi3EEviiiiiiPKT_S3_S3_PS1_ii
	.globl	_Z12wvSplitK_hf_I14__hip_bfloat16Li64ELi4ELi16ELi8ELi1ELi3EEviiiiiiPKT_S3_S3_PS1_ii
	.p2align	8
	.type	_Z12wvSplitK_hf_I14__hip_bfloat16Li64ELi4ELi16ELi8ELi1ELi3EEviiiiiiPKT_S3_S3_PS1_ii,@function
_Z12wvSplitK_hf_I14__hip_bfloat16Li64ELi4ELi16ELi8ELi1ELi3EEviiiiiiPKT_S3_S3_PS1_ii: ; @_Z12wvSplitK_hf_I14__hip_bfloat16Li64ELi4ELi16ELi8ELi1ELi3EEviiiiiiPKT_S3_S3_PS1_ii
; %bb.0:
	s_clause 0x1
	s_load_b64 s[20:21], s[0:1], 0x38
	s_load_b128 s[8:11], s[0:1], 0x0
	v_bfe_u32 v7, v0, 10, 10
	s_clause 0x1
	s_load_b64 s[12:13], s[0:1], 0x20
	s_load_b64 s[16:17], s[0:1], 0x10
	s_mov_b32 s4, 1
	s_delay_alu instid0(SALU_CYCLE_1) | instskip(SKIP_4) | instid1(SALU_CYCLE_1)
	s_mov_b32 s5, s4
	s_mov_b32 s6, s4
	;; [unrolled: 1-line block ×3, first 2 shown]
	s_waitcnt lgkmcnt(0)
	s_mul_i32 s15, s15, s20
	v_add_lshl_u32 v33, s15, v7, 2
	s_delay_alu instid0(VALU_DEP_1) | instskip(SKIP_1) | instid1(VALU_DEP_2)
	v_add_nc_u32_e32 v1, 4, v33
	v_cmp_gt_u32_e32 vcc_lo, s11, v33
	v_cmp_le_u32_e64 s2, s11, v1
	v_dual_mov_b32 v1, s4 :: v_dual_mov_b32 v4, s7
	v_dual_mov_b32 v2, s5 :: v_dual_mov_b32 v3, s6
	s_delay_alu instid0(VALU_DEP_3) | instskip(NEXT) | instid1(SALU_CYCLE_1)
	s_and_b32 s2, vcc_lo, s2
	s_and_saveexec_b32 s14, s2
	s_cbranch_execz .LBB243_6
; %bb.1:
	v_dual_mov_b32 v1, s4 :: v_dual_mov_b32 v2, s5
	v_dual_mov_b32 v3, s6 :: v_dual_mov_b32 v4, s7
	s_add_i32 s15, s11, -4
	s_mov_b32 s18, exec_lo
	v_cmpx_ne_u32_e64 s15, v33
	s_cbranch_execz .LBB243_5
; %bb.2:
	v_subrev_nc_u32_e32 v1, s15, v33
	s_mov_b32 s19, 0
	s_mov_b64 s[2:3], 0
	s_mov_b32 s5, s4
	s_mov_b32 s6, s4
	v_cmp_lt_u32_e32 vcc_lo, 1, v1
	s_mov_b32 s7, s4
	v_cndmask_b32_e32 v5, 1, v1, vcc_lo
	.p2align	6
.LBB243_3:                              ; =>This Inner Loop Header: Depth=1
	s_cmp_lg_u32 s2, 3
	s_cselect_b32 s7, s7, 0
	s_cmp_lg_u32 s2, 2
	s_cselect_b32 s6, s6, 0
	;; [unrolled: 2-line block ×4, first 2 shown]
	s_add_u32 s2, s2, 1
	v_dual_mov_b32 v1, s4 :: v_dual_mov_b32 v2, s5
	v_cmp_eq_u32_e32 vcc_lo, s2, v5
	v_dual_mov_b32 v3, s6 :: v_dual_mov_b32 v4, s7
	s_addc_u32 s3, s3, 0
	s_or_b32 s19, vcc_lo, s19
	s_delay_alu instid0(SALU_CYCLE_1)
	s_and_not1_b32 exec_lo, exec_lo, s19
	s_cbranch_execnz .LBB243_3
; %bb.4:
	s_or_b32 exec_lo, exec_lo, s19
	v_mov_b32_e32 v33, s15
.LBB243_5:
	s_or_b32 exec_lo, exec_lo, s18
.LBB243_6:
	s_delay_alu instid0(SALU_CYCLE_1)
	s_or_b32 exec_lo, exec_lo, s14
	s_load_b64 s[6:7], s[0:1], 0x28
	v_and_b32_e32 v8, 0x3ff, v0
	s_mul_i32 s2, s10, 3
	s_mov_b32 s4, exec_lo
	s_min_u32 s3, s2, 0x8000
	s_delay_alu instid0(VALU_DEP_1) | instskip(NEXT) | instid1(VALU_DEP_1)
	v_lshlrev_b32_e32 v0, 3, v8
	v_lshl_add_u32 v9, v7, 9, v0
	s_delay_alu instid0(VALU_DEP_1)
	v_cmpx_gt_u32_e64 s3, v9
	s_cbranch_execz .LBB243_9
; %bb.7:
	v_lshlrev_b32_e32 v10, 10, v7
	v_lshlrev_b32_e32 v11, 4, v8
	s_mov_b32 s5, 0
	s_delay_alu instid0(VALU_DEP_1) | instskip(NEXT) | instid1(VALU_DEP_1)
	v_add_co_u32 v5, s2, v10, v11
	v_add_co_ci_u32_e64 v6, null, 0, 0, s2
	v_add_nc_u32_e32 v10, v10, v11
	s_delay_alu instid0(VALU_DEP_3) | instskip(NEXT) | instid1(VALU_DEP_3)
	v_add_co_u32 v5, vcc_lo, s12, v5
	v_add_co_ci_u32_e32 v6, vcc_lo, s13, v6, vcc_lo
	.p2align	6
.LBB243_8:                              ; =>This Inner Loop Header: Depth=1
	global_load_b128 v[11:14], v[5:6], off
	v_add_nc_u32_e32 v9, 0x2000, v9
	v_add_co_u32 v5, vcc_lo, 0x4000, v5
	v_add_co_ci_u32_e32 v6, vcc_lo, 0, v6, vcc_lo
	s_delay_alu instid0(VALU_DEP_3) | instskip(NEXT) | instid1(VALU_DEP_1)
	v_cmp_le_u32_e64 s2, s3, v9
	s_or_b32 s5, s2, s5
	s_waitcnt vmcnt(0)
	ds_store_b128 v10, v[11:14]
	v_add_nc_u32_e32 v10, 0x4000, v10
	s_and_not1_b32 exec_lo, exec_lo, s5
	s_cbranch_execnz .LBB243_8
.LBB243_9:
	s_or_b32 exec_lo, exec_lo, s4
	v_cmp_gt_u32_e32 vcc_lo, s20, v7
	v_cmp_gt_u32_e64 s2, s11, v33
	s_waitcnt lgkmcnt(0)
	s_barrier
	buffer_gl0_inv
	s_and_b32 s2, vcc_lo, s2
	s_delay_alu instid0(SALU_CYCLE_1)
	s_and_saveexec_b32 s3, s2
	s_cbranch_execz .LBB243_110
; %bb.10:
	s_cmp_lg_u32 s8, 0
	v_mbcnt_lo_u32_b32 v7, -1, 0
	s_cselect_b32 s22, -1, 0
	s_add_i32 s23, s8, -8
	s_add_i32 s24, s11, -1
	s_cmp_lg_u64 s[6:7], 0
	v_cvt_f32_u32_e32 v6, s16
	s_cselect_b32 s25, -1, 0
	s_abs_i32 s2, s17
	s_clause 0x1
	s_load_b64 s[14:15], s[0:1], 0x18
	s_load_b64 s[18:19], s[0:1], 0x30
	v_cvt_f32_u32_e32 v5, s2
	v_rcp_iflag_f32_e32 v6, v6
	s_mul_i32 s1, s20, s21
	s_add_i32 s21, s11, -4
	s_lshl_b32 s20, s1, 2
	v_rcp_iflag_f32_e32 v5, v5
	s_sub_i32 s1, 0, s2
	s_sub_i32 s4, 0, s16
	;; [unrolled: 1-line block ×3, first 2 shown]
	v_cmp_eq_u32_e64 s0, 63, v8
	v_lshlrev_b32_e32 v49, 4, v8
	s_mov_b32 s17, 0
	s_waitcnt_depctr 0xfff
	v_dual_mul_f32 v5, 0x4f7ffffe, v5 :: v_dual_add_nc_u32 v50, s10, v0
	s_delay_alu instid0(VALU_DEP_1) | instskip(NEXT) | instid1(VALU_DEP_1)
	v_cvt_u32_f32_e32 v5, v5
	v_readfirstlane_b32 s3, v5
	v_mul_f32_e32 v5, 0x4f7ffffe, v6
	v_xor_b32_e32 v6, 16, v7
	s_delay_alu instid0(VALU_DEP_3) | instskip(NEXT) | instid1(VALU_DEP_2)
	s_mul_i32 s1, s1, s3
	v_cvt_u32_f32_e32 v5, v5
	s_mul_hi_u32 s1, s3, s1
	s_delay_alu instid0(VALU_DEP_2)
	v_cmp_gt_i32_e32 vcc_lo, 32, v6
	s_add_i32 s3, s3, s1
	s_cmp_lt_u32 s2, 2
	v_mul_lo_u32 v9, s4, v5
	s_cselect_b32 s1, s5, 1
	v_cndmask_b32_e32 v6, v7, v6, vcc_lo
	s_sub_i32 s5, s1, s2
	s_cmp_ge_u32 s1, s2
	s_cselect_b32 s27, s5, s1
	s_lshr_b32 s1, s3, 31
	s_delay_alu instid0(VALU_DEP_2)
	v_mul_hi_u32 v7, v5, v9
	s_mul_i32 s1, s1, s2
	v_mov_b32_e32 v35, 0
	s_sub_i32 s1, 2, s1
	v_lshlrev_b32_e32 v51, 2, v6
	s_sub_i32 s3, s1, s2
	s_cmp_ge_u32 s1, s2
	s_mul_i32 s27, s27, s16
	v_add_nc_u32_e32 v52, v5, v7
	s_cselect_b32 s1, s3, s1
	s_delay_alu instid0(SALU_CYCLE_1)
	s_sub_i32 s3, s1, s2
	s_cmp_ge_u32 s1, s2
	s_cselect_b32 s28, s3, s1
	s_lshl_b32 s26, s10, 1
	s_mul_i32 s28, s28, s16
	v_add_nc_u32_e32 v53, s26, v0
	s_lshl_b32 s10, s10, 2
	s_branch .LBB243_13
.LBB243_11:                             ;   in Loop: Header=BB243_13 Depth=1
	s_or_b32 exec_lo, exec_lo, s30
	v_mov_b32_e32 v33, s21
.LBB243_12:                             ;   in Loop: Header=BB243_13 Depth=1
	s_or_b32 exec_lo, exec_lo, s29
	s_delay_alu instid0(VALU_DEP_1) | instskip(SKIP_1) | instid1(SALU_CYCLE_1)
	v_cmp_le_u32_e32 vcc_lo, s11, v33
	s_or_b32 s17, vcc_lo, s17
	s_and_not1_b32 exec_lo, exec_lo, s17
	s_cbranch_execz .LBB243_110
.LBB243_13:                             ; =>This Loop Header: Depth=1
                                        ;     Child Loop BB243_17 Depth 2
                                        ;     Child Loop BB243_108 Depth 2
	v_dual_mov_b32 v55, v35 :: v_dual_add_nc_u32 v38, 1, v33
	v_dual_mov_b32 v54, v35 :: v_dual_add_nc_u32 v37, 2, v33
	;; [unrolled: 1-line block ×3, first 2 shown]
	v_mov_b32_e32 v56, v35
	v_mov_b32_e32 v58, v35
	;; [unrolled: 1-line block ×9, first 2 shown]
	s_and_not1_b32 vcc_lo, exec_lo, s22
	s_cbranch_vccnz .LBB243_30
; %bb.14:                               ;   in Loop: Header=BB243_13 Depth=1
	v_min_u32_e32 v5, s24, v33
	s_waitcnt lgkmcnt(0)
	v_min_u32_e32 v6, s24, v38
	v_min_u32_e32 v7, s24, v37
	;; [unrolled: 1-line block ×3, first 2 shown]
	v_dual_mov_b32 v10, v35 :: v_dual_mov_b32 v63, 0
	v_mul_lo_u32 v34, v5, s9
	v_mul_lo_u32 v5, v6, s9
	;; [unrolled: 1-line block ×4, first 2 shown]
	v_dual_mov_b32 v6, v35 :: v_dual_mov_b32 v61, 0
	v_dual_mov_b32 v8, v35 :: v_dual_mov_b32 v65, 0
	s_waitcnt vmcnt(5)
	v_lshlrev_b64 v[39:40], 1, v[34:35]
	s_delay_alu instid0(VALU_DEP_3)
	v_lshlrev_b64 v[41:42], 1, v[5:6]
	v_dual_mov_b32 v66, v49 :: v_dual_mov_b32 v59, 0
	v_lshlrev_b64 v[43:44], 1, v[7:8]
	v_lshlrev_b64 v[45:46], 1, v[9:10]
	v_dual_mov_b32 v64, 0 :: v_dual_mov_b32 v57, 0
	v_dual_mov_b32 v62, 0 :: v_dual_mov_b32 v55, 0
	v_mov_b32_e32 v60, 0
	v_mov_b32_e32 v58, 0
	;; [unrolled: 1-line block ×4, first 2 shown]
	s_mov_b32 s1, 0
	s_branch .LBB243_17
.LBB243_15:                             ;   in Loop: Header=BB243_17 Depth=2
	s_or_b32 exec_lo, exec_lo, s3
.LBB243_16:                             ;   in Loop: Header=BB243_17 Depth=2
	s_delay_alu instid0(SALU_CYCLE_1)
	s_or_b32 exec_lo, exec_lo, s2
	s_waitcnt vmcnt(0) lgkmcnt(0)
	v_and_b32_e32 v70, 0xffff0000, v31
	v_and_b32_e32 v72, 0xffff0000, v32
	;; [unrolled: 1-line block ×3, first 2 shown]
	v_lshlrev_b32_e32 v22, 16, v22
	v_and_b32_e32 v73, 0xffff0000, v28
	v_and_b32_e32 v71, 0xffff0000, v27
	v_lshlrev_b32_e32 v32, 16, v32
	v_lshlrev_b32_e32 v28, 16, v28
	v_and_b32_e32 v48, 0xffff0000, v30
	v_mul_f32_e32 v74, v72, v73
	v_and_b32_e32 v47, 0xffff0000, v25
	v_lshlrev_b32_e32 v31, 16, v31
	v_lshlrev_b32_e32 v27, 16, v27
	v_and_b32_e32 v81, 0xffff0000, v24
	v_dual_fmac_f32 v74, v32, v28 :: v_dual_lshlrev_b32 v25, 16, v25
	v_and_b32_e32 v67, 0xffff0000, v26
	v_and_b32_e32 v34, 0xffff0000, v29
	v_add_nc_u32_e32 v66, 0x400, v66
	s_addk_i32 s1, 0x200
	v_and_b32_e32 v80, 0xffff0000, v15
	v_mul_f32_e32 v69, v48, v67
	v_dual_mul_f32 v68, v34, v47 :: v_dual_lshlrev_b32 v29, 16, v29
	v_lshlrev_b32_e32 v26, 16, v26
	v_and_b32_e32 v78, 0xffff0000, v14
	v_lshlrev_b32_e32 v14, 16, v14
	s_cmp_ge_u32 s1, s8
	v_fmac_f32_e32 v68, v29, v25
	s_delay_alu instid0(VALU_DEP_1) | instskip(NEXT) | instid1(VALU_DEP_1)
	v_dual_add_f32 v61, v61, v68 :: v_dual_lshlrev_b32 v30, 16, v30
	v_fmac_f32_e32 v69, v30, v26
	s_delay_alu instid0(VALU_DEP_1) | instskip(SKIP_1) | instid1(VALU_DEP_2)
	v_dual_mul_f32 v68, v70, v71 :: v_dual_add_f32 v61, v61, v69
	v_and_b32_e32 v69, 0xffff0000, v21
	v_dual_fmac_f32 v68, v31, v27 :: v_dual_lshlrev_b32 v21, 16, v21
	s_delay_alu instid0(VALU_DEP_2) | instskip(SKIP_1) | instid1(VALU_DEP_3)
	v_mul_f32_e32 v75, v34, v69
	v_and_b32_e32 v85, 0xffff0000, v19
	v_add_f32_e32 v61, v61, v68
	s_delay_alu instid0(VALU_DEP_3) | instskip(NEXT) | instid1(VALU_DEP_2)
	v_dual_mul_f32 v68, v48, v76 :: v_dual_fmac_f32 v75, v29, v21
	v_dual_mul_f32 v82, v72, v81 :: v_dual_add_f32 v61, v61, v74
	s_delay_alu instid0(VALU_DEP_2) | instskip(SKIP_2) | instid1(VALU_DEP_2)
	v_add_f32_e32 v65, v65, v75
	v_and_b32_e32 v75, 0xffff0000, v23
	v_lshlrev_b32_e32 v23, 16, v23
	v_mul_f32_e32 v79, v70, v75
	v_fmac_f32_e32 v68, v30, v22
	s_delay_alu instid0(VALU_DEP_2) | instskip(NEXT) | instid1(VALU_DEP_2)
	v_dual_fmac_f32 v79, v31, v23 :: v_dual_and_b32 v74, 0xffff0000, v13
	v_dual_add_f32 v65, v65, v68 :: v_dual_mul_f32 v68, v48, v78
	s_delay_alu instid0(VALU_DEP_2) | instskip(NEXT) | instid1(VALU_DEP_2)
	v_mul_f32_e32 v77, v34, v74
	v_dual_fmac_f32 v68, v30, v14 :: v_dual_lshlrev_b32 v13, 16, v13
	s_delay_alu instid0(VALU_DEP_1) | instskip(NEXT) | instid1(VALU_DEP_1)
	v_fmac_f32_e32 v77, v29, v13
	v_dual_add_f32 v64, v64, v77 :: v_dual_mul_f32 v77, v70, v80
	s_delay_alu instid0(VALU_DEP_1)
	v_add_f32_e32 v64, v64, v68
	v_and_b32_e32 v68, 0xffff0000, v9
	v_lshlrev_b32_e32 v24, 16, v24
	v_lshlrev_b32_e32 v15, 16, v15
	v_add_f32_e32 v65, v65, v79
	v_and_b32_e32 v79, 0xffff0000, v16
	s_delay_alu instid0(VALU_DEP_4) | instskip(NEXT) | instid1(VALU_DEP_4)
	v_dual_fmac_f32 v82, v32, v24 :: v_dual_lshlrev_b32 v9, 16, v9
	v_dual_fmac_f32 v77, v31, v15 :: v_dual_mul_f32 v34, v34, v68
	s_delay_alu instid0(VALU_DEP_1) | instskip(NEXT) | instid1(VALU_DEP_2)
	v_dual_add_f32 v65, v65, v82 :: v_dual_add_f32 v64, v64, v77
	v_dual_fmac_f32 v34, v29, v9 :: v_dual_and_b32 v77, 0xffff0000, v10
	s_delay_alu instid0(VALU_DEP_1) | instskip(NEXT) | instid1(VALU_DEP_2)
	v_dual_mul_f32 v29, v48, v77 :: v_dual_lshlrev_b32 v16, 16, v16
	v_add_f32_e32 v34, v62, v34
	v_lshlrev_b32_e32 v10, 16, v10
	v_and_b32_e32 v84, 0xffff0000, v17
	v_mul_f32_e32 v48, v72, v79
	v_lshlrev_b32_e32 v19, 16, v19
	s_delay_alu instid0(VALU_DEP_4) | instskip(NEXT) | instid1(VALU_DEP_4)
	v_fmac_f32_e32 v29, v30, v10
	v_dual_mul_f32 v62, v84, v47 :: v_dual_lshlrev_b32 v17, 16, v17
	s_delay_alu instid0(VALU_DEP_4) | instskip(NEXT) | instid1(VALU_DEP_3)
	v_dual_fmac_f32 v48, v32, v16 :: v_dual_and_b32 v83, 0xffff0000, v11
	v_dual_add_f32 v29, v34, v29 :: v_dual_and_b32 v34, 0xffff0000, v18
	s_delay_alu instid0(VALU_DEP_3) | instskip(NEXT) | instid1(VALU_DEP_3)
	v_dual_fmac_f32 v62, v17, v25 :: v_dual_lshlrev_b32 v11, 16, v11
	v_mul_f32_e32 v30, v70, v83
	s_delay_alu instid0(VALU_DEP_2) | instskip(NEXT) | instid1(VALU_DEP_2)
	v_dual_add_f32 v62, v63, v62 :: v_dual_mul_f32 v63, v85, v71
	v_dual_fmac_f32 v30, v31, v11 :: v_dual_and_b32 v31, 0xffff0000, v12
	v_lshlrev_b32_e32 v18, 16, v18
	v_mul_f32_e32 v70, v34, v67
	s_delay_alu instid0(VALU_DEP_3) | instskip(NEXT) | instid1(VALU_DEP_4)
	v_dual_add_f32 v29, v29, v30 :: v_dual_lshlrev_b32 v12, 16, v12
	v_mul_f32_e32 v72, v72, v31
	s_delay_alu instid0(VALU_DEP_3) | instskip(NEXT) | instid1(VALU_DEP_2)
	v_dual_fmac_f32 v63, v19, v27 :: v_dual_fmac_f32 v70, v18, v26
	v_fmac_f32_e32 v72, v32, v12
	s_delay_alu instid0(VALU_DEP_2) | instskip(NEXT) | instid1(VALU_DEP_2)
	v_add_f32_e32 v30, v62, v70
	v_dual_add_f32 v62, v29, v72 :: v_dual_mul_f32 v29, v84, v69
	s_delay_alu instid0(VALU_DEP_1) | instskip(NEXT) | instid1(VALU_DEP_1)
	v_dual_mul_f32 v72, v34, v78 :: v_dual_fmac_f32 v29, v17, v21
	v_dual_add_f32 v29, v59, v29 :: v_dual_and_b32 v32, 0xffff0000, v20
	v_dual_mul_f32 v59, v85, v75 :: v_dual_lshlrev_b32 v20, 16, v20
	s_delay_alu instid0(VALU_DEP_1) | instskip(NEXT) | instid1(VALU_DEP_1)
	v_dual_mul_f32 v82, v32, v81 :: v_dual_fmac_f32 v59, v19, v23
	v_fmac_f32_e32 v82, v20, v24
	v_add_f32_e32 v30, v30, v63
	v_mul_f32_e32 v63, v34, v76
	s_delay_alu instid0(VALU_DEP_1) | instskip(NEXT) | instid1(VALU_DEP_1)
	v_dual_add_f32 v64, v64, v48 :: v_dual_fmac_f32 v63, v18, v22
	v_dual_add_f32 v29, v29, v63 :: v_dual_mul_f32 v48, v84, v74
	s_delay_alu instid0(VALU_DEP_1) | instskip(NEXT) | instid1(VALU_DEP_2)
	v_dual_mul_f32 v70, v32, v73 :: v_dual_add_f32 v29, v29, v59
	v_fmac_f32_e32 v48, v17, v13
	s_delay_alu instid0(VALU_DEP_2) | instskip(SKIP_2) | instid1(VALU_DEP_2)
	v_dual_fmac_f32 v70, v20, v28 :: v_dual_add_f32 v59, v29, v82
	v_dual_fmac_f32 v72, v18, v14 :: v_dual_and_b32 v29, 0xffff0000, v5
	v_lshlrev_b32_e32 v5, 16, v5
	v_dual_add_f32 v63, v30, v70 :: v_dual_mul_f32 v30, v29, v47
	v_and_b32_e32 v47, 0xffff0000, v6
	v_lshlrev_b32_e32 v6, 16, v6
	v_mul_f32_e32 v84, v84, v68
	v_add_f32_e32 v48, v60, v48
	s_delay_alu instid0(VALU_DEP_4) | instskip(NEXT) | instid1(VALU_DEP_3)
	v_dual_fmac_f32 v30, v5, v25 :: v_dual_mul_f32 v25, v47, v67
	v_fmac_f32_e32 v84, v17, v9
	v_dual_mul_f32 v17, v34, v77 :: v_dual_mul_f32 v60, v85, v80
	s_delay_alu instid0(VALU_DEP_3) | instskip(NEXT) | instid1(VALU_DEP_4)
	v_dual_fmac_f32 v25, v6, v26 :: v_dual_mul_f32 v26, v29, v69
	v_add_f32_e32 v30, v57, v30
	s_delay_alu instid0(VALU_DEP_3) | instskip(NEXT) | instid1(VALU_DEP_3)
	v_dual_fmac_f32 v17, v18, v10 :: v_dual_fmac_f32 v60, v19, v15
	v_dual_fmac_f32 v26, v5, v21 :: v_dual_mul_f32 v21, v47, v76
	s_delay_alu instid0(VALU_DEP_1) | instskip(SKIP_1) | instid1(VALU_DEP_1)
	v_add_f32_e32 v26, v56, v26
	v_mul_f32_e32 v18, v85, v83
	v_fmac_f32_e32 v18, v19, v11
	v_dual_mul_f32 v19, v32, v31 :: v_dual_add_f32 v34, v58, v84
	v_add_f32_e32 v48, v48, v72
	v_mul_f32_e32 v72, v32, v79
	s_delay_alu instid0(VALU_DEP_3) | instskip(NEXT) | instid1(VALU_DEP_4)
	v_fmac_f32_e32 v19, v20, v12
	v_add_f32_e32 v17, v34, v17
	s_delay_alu instid0(VALU_DEP_1) | instskip(SKIP_3) | instid1(VALU_DEP_4)
	v_dual_add_f32 v17, v17, v18 :: v_dual_and_b32 v18, 0xffff0000, v7
	v_dual_add_f32 v48, v48, v60 :: v_dual_lshlrev_b32 v7, 16, v7
	v_fmac_f32_e32 v72, v20, v16
	v_add_f32_e32 v20, v30, v25
	v_mul_f32_e32 v25, v18, v71
	v_add_f32_e32 v58, v17, v19
	s_delay_alu instid0(VALU_DEP_2) | instskip(NEXT) | instid1(VALU_DEP_1)
	v_fmac_f32_e32 v25, v7, v27
	v_dual_add_f32 v20, v20, v25 :: v_dual_mul_f32 v25, v29, v68
	v_fmac_f32_e32 v21, v6, v22
	v_mul_f32_e32 v22, v18, v75
	s_delay_alu instid0(VALU_DEP_3) | instskip(SKIP_1) | instid1(VALU_DEP_3)
	v_dual_fmac_f32 v25, v5, v9 :: v_dual_and_b32 v30, 0xffff0000, v8
	v_add_f32_e32 v60, v48, v72
	v_dual_fmac_f32 v22, v7, v23 :: v_dual_mul_f32 v23, v29, v74
	s_delay_alu instid0(VALU_DEP_3) | instskip(NEXT) | instid1(VALU_DEP_2)
	v_mul_f32_e32 v27, v30, v73
	v_fmac_f32_e32 v23, v5, v13
	v_mul_f32_e32 v13, v47, v78
	v_dual_mul_f32 v5, v47, v77 :: v_dual_lshlrev_b32 v8, 16, v8
	s_delay_alu instid0(VALU_DEP_3) | instskip(NEXT) | instid1(VALU_DEP_3)
	v_add_f32_e32 v9, v55, v23
	v_fmac_f32_e32 v13, v6, v14
	s_delay_alu instid0(VALU_DEP_3)
	v_fmac_f32_e32 v5, v6, v10
	v_add_f32_e32 v23, v54, v25
	v_mul_f32_e32 v14, v18, v80
	v_mul_f32_e32 v10, v30, v79
	v_add_f32_e32 v21, v26, v21
	v_dual_mul_f32 v6, v18, v83 :: v_dual_add_f32 v9, v9, v13
	s_delay_alu instid0(VALU_DEP_3) | instskip(SKIP_1) | instid1(VALU_DEP_3)
	v_dual_add_f32 v5, v23, v5 :: v_dual_fmac_f32 v10, v8, v16
	v_fmac_f32_e32 v14, v7, v15
	v_fmac_f32_e32 v6, v7, v11
	v_mul_f32_e32 v7, v30, v31
	v_fmac_f32_e32 v27, v8, v28
	s_delay_alu instid0(VALU_DEP_4) | instskip(SKIP_3) | instid1(VALU_DEP_3)
	v_add_f32_e32 v9, v9, v14
	v_dual_add_f32 v21, v21, v22 :: v_dual_mul_f32 v22, v30, v81
	v_add_f32_e32 v5, v5, v6
	v_fmac_f32_e32 v7, v8, v12
	v_dual_add_f32 v55, v9, v10 :: v_dual_fmac_f32 v22, v8, v24
	v_add_f32_e32 v57, v20, v27
	s_delay_alu instid0(VALU_DEP_3) | instskip(NEXT) | instid1(VALU_DEP_3)
	v_add_f32_e32 v54, v5, v7
	v_add_f32_e32 v56, v21, v22
	s_cbranch_scc1 .LBB243_30
.LBB243_17:                             ;   Parent Loop BB243_13 Depth=1
                                        ; =>  This Inner Loop Header: Depth=2
	v_add_nc_u32_e32 v47, s1, v0
	v_dual_mov_b32 v19, 0 :: v_dual_mov_b32 v18, 0
	s_waitcnt vmcnt(0)
	v_dual_mov_b32 v17, 0 :: v_dual_mov_b32 v32, 0
	s_delay_alu instid0(VALU_DEP_3) | instskip(SKIP_3) | instid1(VALU_DEP_3)
	v_min_u32_e32 v34, s23, v47
	v_dual_mov_b32 v31, 0 :: v_dual_mov_b32 v30, 0
	v_mov_b32_e32 v29, 0
	s_mov_b32 s2, exec_lo
	v_lshlrev_b64 v[5:6], 1, v[34:35]
	v_mov_b32_e32 v20, 0
	s_waitcnt lgkmcnt(0)
	s_delay_alu instid0(VALU_DEP_2) | instskip(NEXT) | instid1(VALU_DEP_3)
	v_add_co_u32 v11, vcc_lo, s14, v5
	v_add_co_ci_u32_e32 v12, vcc_lo, s15, v6, vcc_lo
	s_delay_alu instid0(VALU_DEP_2) | instskip(NEXT) | instid1(VALU_DEP_2)
	v_add_co_u32 v5, vcc_lo, v11, v39
	v_add_co_ci_u32_e32 v6, vcc_lo, v12, v40, vcc_lo
	v_add_co_u32 v7, vcc_lo, v11, v41
	v_add_co_ci_u32_e32 v8, vcc_lo, v12, v42, vcc_lo
	;; [unrolled: 2-line block ×4, first 2 shown]
	s_clause 0x3
	global_load_b128 v[25:28], v[5:6], off slc dlc
	global_load_b128 v[21:24], v[7:8], off slc dlc
	;; [unrolled: 1-line block ×4, first 2 shown]
	v_dual_mov_b32 v8, 0 :: v_dual_mov_b32 v7, 0
	v_dual_mov_b32 v6, 0 :: v_dual_mov_b32 v5, 0
	v_cmpx_gt_u32_e64 s8, v47
	s_cbranch_execz .LBB243_16
; %bb.18:                               ;   in Loop: Header=BB243_17 Depth=2
	s_mov_b32 s3, exec_lo
                                        ; implicit-def: $vgpr32
	v_cmpx_lt_u32_e32 0x7fff, v47
	s_xor_b32 s3, exec_lo, s3
	s_cbranch_execz .LBB243_20
; %bb.19:                               ;   in Loop: Header=BB243_17 Depth=2
	v_mov_b32_e32 v48, v35
	s_delay_alu instid0(VALU_DEP_1) | instskip(NEXT) | instid1(VALU_DEP_1)
	v_lshlrev_b64 v[5:6], 1, v[47:48]
	v_add_co_u32 v5, vcc_lo, s12, v5
	s_delay_alu instid0(VALU_DEP_2)
	v_add_co_ci_u32_e32 v6, vcc_lo, s13, v6, vcc_lo
	global_load_b128 v[29:32], v[5:6], off
.LBB243_20:                             ;   in Loop: Header=BB243_17 Depth=2
	s_and_not1_saveexec_b32 s3, s3
	s_cbranch_execz .LBB243_22
; %bb.21:                               ;   in Loop: Header=BB243_17 Depth=2
	s_waitcnt vmcnt(0)
	ds_load_b128 v[29:32], v66
.LBB243_22:                             ;   in Loop: Header=BB243_17 Depth=2
	s_or_b32 exec_lo, exec_lo, s3
	v_add_nc_u32_e32 v34, s1, v50
	s_mov_b32 s3, exec_lo
                                        ; implicit-def: $vgpr20
	s_delay_alu instid0(VALU_DEP_1)
	v_cmpx_lt_u32_e32 0x7fff, v34
	s_xor_b32 s3, exec_lo, s3
	s_cbranch_execz .LBB243_24
; %bb.23:                               ;   in Loop: Header=BB243_17 Depth=2
	v_lshlrev_b64 v[5:6], 1, v[34:35]
	s_delay_alu instid0(VALU_DEP_1) | instskip(NEXT) | instid1(VALU_DEP_2)
	v_add_co_u32 v5, vcc_lo, s12, v5
	v_add_co_ci_u32_e32 v6, vcc_lo, s13, v6, vcc_lo
	global_load_b128 v[17:20], v[5:6], off
.LBB243_24:                             ;   in Loop: Header=BB243_17 Depth=2
	s_and_not1_saveexec_b32 s3, s3
	s_cbranch_execz .LBB243_26
; %bb.25:                               ;   in Loop: Header=BB243_17 Depth=2
	v_add_nc_u32_e32 v5, s26, v66
	s_waitcnt vmcnt(0)
	ds_load_b128 v[17:20], v5
.LBB243_26:                             ;   in Loop: Header=BB243_17 Depth=2
	s_or_b32 exec_lo, exec_lo, s3
	v_add_nc_u32_e32 v34, s1, v53
	s_mov_b32 s3, exec_lo
                                        ; implicit-def: $vgpr8
	s_delay_alu instid0(VALU_DEP_1)
	v_cmpx_lt_u32_e32 0x7fff, v34
	s_xor_b32 s3, exec_lo, s3
	s_cbranch_execz .LBB243_28
; %bb.27:                               ;   in Loop: Header=BB243_17 Depth=2
	v_lshlrev_b64 v[5:6], 1, v[34:35]
	s_delay_alu instid0(VALU_DEP_1) | instskip(NEXT) | instid1(VALU_DEP_2)
	v_add_co_u32 v5, vcc_lo, s12, v5
	v_add_co_ci_u32_e32 v6, vcc_lo, s13, v6, vcc_lo
	global_load_b128 v[5:8], v[5:6], off
.LBB243_28:                             ;   in Loop: Header=BB243_17 Depth=2
	s_and_not1_saveexec_b32 s3, s3
	s_cbranch_execz .LBB243_15
; %bb.29:                               ;   in Loop: Header=BB243_17 Depth=2
	s_waitcnt vmcnt(0)
	v_add_nc_u32_e32 v7, s10, v66
	ds_load_2addr_b32 v[5:6], v7 offset1:1
	ds_load_2addr_b32 v[7:8], v7 offset0:2 offset1:3
	s_branch .LBB243_15
.LBB243_30:                             ;   in Loop: Header=BB243_13 Depth=1
	s_waitcnt lgkmcnt(0)
	v_cvt_i32_f32_e32 v6, v65
	v_cvt_i32_f32_e32 v5, v61
	;; [unrolled: 1-line block ×5, first 2 shown]
	v_cvt_f32_i32_dpp v6, v6 row_shr:8 row_mask:0xf bank_mask:0xf bound_ctrl:1
	v_cvt_f32_i32_dpp v5, v5 row_shr:8 row_mask:0xf bank_mask:0xf bound_ctrl:1
	v_cvt_f32_i32_dpp v7, v7 row_shr:8 row_mask:0xf bank_mask:0xf bound_ctrl:1
	v_cvt_f32_i32_dpp v8, v8 row_shr:8 row_mask:0xf bank_mask:0xf bound_ctrl:1
	v_cvt_i32_f32_e32 v11, v60
	v_add_f32_e32 v6, v65, v6
	v_add_f32_e32 v5, v61, v5
	s_delay_alu instid0(VALU_DEP_4) | instskip(SKIP_1) | instid1(VALU_DEP_4)
	v_dual_add_f32 v7, v64, v7 :: v_dual_add_f32 v8, v62, v8
	v_cvt_f32_i32_dpp v10, v10 row_shr:8 row_mask:0xf bank_mask:0xf bound_ctrl:1
	v_cvt_i32_f32_e32 v13, v6
	s_delay_alu instid0(VALU_DEP_4) | instskip(SKIP_2) | instid1(VALU_DEP_4)
	v_cvt_i32_f32_e32 v12, v5
	v_cvt_f32_i32_dpp v11, v11 row_shr:8 row_mask:0xf bank_mask:0xf bound_ctrl:1
	v_cvt_i32_f32_e32 v9, v63
	v_cvt_f32_i32_dpp v13, v13 row_shr:4 row_mask:0xf bank_mask:0xf bound_ctrl:1
	s_delay_alu instid0(VALU_DEP_4) | instskip(SKIP_1) | instid1(VALU_DEP_4)
	v_cvt_f32_i32_dpp v12, v12 row_shr:4 row_mask:0xf bank_mask:0xf bound_ctrl:1
	v_add_f32_e32 v10, v59, v10
	v_cvt_f32_i32_dpp v9, v9 row_shr:8 row_mask:0xf bank_mask:0xf bound_ctrl:1
	s_delay_alu instid0(VALU_DEP_4) | instskip(NEXT) | instid1(VALU_DEP_4)
	v_dual_add_f32 v11, v60, v11 :: v_dual_add_f32 v6, v6, v13
	v_add_f32_e32 v5, v5, v12
	v_cvt_i32_f32_e32 v12, v7
	v_cvt_i32_f32_e32 v13, v8
	s_waitcnt vmcnt(0)
	v_cvt_i32_f32_e32 v17, v10
	v_cvt_i32_f32_e32 v15, v6
	;; [unrolled: 1-line block ×4, first 2 shown]
	v_cvt_f32_i32_dpp v12, v12 row_shr:4 row_mask:0xf bank_mask:0xf bound_ctrl:1
	v_cvt_f32_i32_dpp v13, v13 row_shr:4 row_mask:0xf bank_mask:0xf bound_ctrl:1
	;; [unrolled: 1-line block ×3, first 2 shown]
	v_add_f32_e32 v9, v63, v9
	v_cvt_f32_i32_dpp v14, v14 row_shr:2 row_mask:0xf bank_mask:0xf bound_ctrl:1
	s_delay_alu instid0(VALU_DEP_4) | instskip(NEXT) | instid1(VALU_DEP_4)
	v_add_f32_e32 v8, v8, v13
	v_add_f32_e32 v6, v6, v15
	s_delay_alu instid0(VALU_DEP_4) | instskip(NEXT) | instid1(VALU_DEP_4)
	v_cvt_i32_f32_e32 v16, v9
	v_add_f32_e32 v5, v5, v14
	v_cvt_f32_i32_dpp v14, v17 row_shr:4 row_mask:0xf bank_mask:0xf bound_ctrl:1
	v_cvt_f32_i32_dpp v15, v18 row_shr:4 row_mask:0xf bank_mask:0xf bound_ctrl:1
	v_cvt_i32_f32_e32 v17, v6
	v_add_f32_e32 v7, v7, v12
	v_cvt_i32_f32_e32 v12, v5
	v_add_f32_e32 v10, v10, v14
	v_cvt_f32_i32_dpp v16, v16 row_shr:4 row_mask:0xf bank_mask:0xf bound_ctrl:1
	v_cvt_f32_i32_dpp v13, v17 row_shr:1 row_mask:0xf bank_mask:0xf bound_ctrl:1
	v_cvt_i32_f32_e32 v14, v7
	v_cvt_f32_i32_dpp v12, v12 row_shr:1 row_mask:0xf bank_mask:0xf bound_ctrl:1
	v_add_f32_e32 v11, v11, v15
	v_cvt_i32_f32_e32 v15, v8
	v_add_f32_e32 v29, v6, v13
	v_cvt_i32_f32_e32 v6, v10
	v_cvt_f32_i32_dpp v13, v14 row_shr:2 row_mask:0xf bank_mask:0xf bound_ctrl:1
	v_add_f32_e32 v32, v5, v12
	v_cvt_f32_i32_dpp v14, v15 row_shr:2 row_mask:0xf bank_mask:0xf bound_ctrl:1
	v_add_f32_e32 v9, v9, v16
	v_cvt_f32_i32_dpp v6, v6 row_shr:2 row_mask:0xf bank_mask:0xf bound_ctrl:1
	v_cvt_i32_f32_e32 v12, v11
	s_delay_alu instid0(VALU_DEP_4) | instskip(NEXT) | instid1(VALU_DEP_4)
	v_dual_add_f32 v7, v7, v13 :: v_dual_add_f32 v8, v8, v14
	v_cvt_i32_f32_e32 v5, v9
	s_delay_alu instid0(VALU_DEP_4) | instskip(NEXT) | instid1(VALU_DEP_4)
	v_add_f32_e32 v6, v10, v6
	v_cvt_f32_i32_dpp v12, v12 row_shr:2 row_mask:0xf bank_mask:0xf bound_ctrl:1
	s_delay_alu instid0(VALU_DEP_4) | instskip(SKIP_4) | instid1(VALU_DEP_3)
	v_cvt_i32_f32_e32 v10, v7
	ds_bpermute_b32 v39, v51, v32
	v_cvt_f32_i32_dpp v5, v5 row_shr:2 row_mask:0xf bank_mask:0xf bound_ctrl:1
	v_cvt_i32_f32_e32 v13, v6
	v_cvt_f32_i32_dpp v10, v10 row_shr:1 row_mask:0xf bank_mask:0xf bound_ctrl:1
	v_add_f32_e32 v5, v9, v5
	s_delay_alu instid0(VALU_DEP_3) | instskip(SKIP_2) | instid1(VALU_DEP_3)
	v_cvt_f32_i32_dpp v13, v13 row_shr:1 row_mask:0xf bank_mask:0xf bound_ctrl:1
	v_add_f32_e32 v9, v11, v12
	v_cvt_i32_f32_e32 v11, v8
	v_add_f32_e32 v18, v6, v13
	v_cvt_i32_f32_e32 v6, v57
	s_delay_alu instid0(VALU_DEP_3)
	v_cvt_f32_i32_dpp v11, v11 row_shr:1 row_mask:0xf bank_mask:0xf bound_ctrl:1
	v_cvt_i32_f32_e32 v14, v9
	ds_bpermute_b32 v19, v51, v18
	v_cvt_f32_i32_dpp v6, v6 row_shr:8 row_mask:0xf bank_mask:0xf bound_ctrl:1
	v_add_f32_e32 v24, v8, v11
	v_cvt_i32_f32_e32 v8, v55
	v_cvt_f32_i32_dpp v14, v14 row_shr:1 row_mask:0xf bank_mask:0xf bound_ctrl:1
	ds_bpermute_b32 v30, v51, v29
	v_add_f32_e32 v6, v57, v6
	ds_bpermute_b32 v25, v51, v24
	v_cvt_f32_i32_dpp v8, v8 row_shr:8 row_mask:0xf bank_mask:0xf bound_ctrl:1
	v_cvt_i32_f32_e32 v11, v6
	s_delay_alu instid0(VALU_DEP_2) | instskip(SKIP_1) | instid1(VALU_DEP_3)
	v_add_f32_e32 v8, v55, v8
	v_cvt_i32_f32_e32 v12, v5
	v_cvt_f32_i32_dpp v11, v11 row_shr:4 row_mask:0xf bank_mask:0xf bound_ctrl:1
	v_add_f32_e32 v27, v7, v10
	s_delay_alu instid0(VALU_DEP_4) | instskip(NEXT) | instid1(VALU_DEP_4)
	v_cvt_i32_f32_e32 v15, v8
	v_cvt_f32_i32_dpp v12, v12 row_shr:1 row_mask:0xf bank_mask:0xf bound_ctrl:1
	v_cvt_i32_f32_e32 v7, v56
	v_add_f32_e32 v6, v6, v11
	ds_bpermute_b32 v28, v51, v27
	v_cvt_f32_i32_dpp v15, v15 row_shr:4 row_mask:0xf bank_mask:0xf bound_ctrl:1
	v_add_f32_e32 v21, v5, v12
	v_cvt_i32_f32_e32 v5, v58
	v_cvt_f32_i32_dpp v7, v7 row_shr:8 row_mask:0xf bank_mask:0xf bound_ctrl:1
	v_cvt_i32_f32_e32 v11, v6
	v_add_f32_e32 v8, v8, v15
	ds_bpermute_b32 v22, v51, v21
	v_cvt_f32_i32_dpp v5, v5 row_shr:8 row_mask:0xf bank_mask:0xf bound_ctrl:1
	v_cvt_f32_i32_dpp v11, v11 row_shr:2 row_mask:0xf bank_mask:0xf bound_ctrl:1
	v_add_f32_e32 v13, v9, v14
	v_cvt_i32_f32_e32 v9, v54
	s_delay_alu instid0(VALU_DEP_4)
	v_add_f32_e32 v5, v58, v5
	v_cvt_i32_f32_e32 v15, v8
	v_add_f32_e32 v6, v6, v11
	ds_bpermute_b32 v14, v51, v13
	v_cvt_f32_i32_dpp v9, v9 row_shr:8 row_mask:0xf bank_mask:0xf bound_ctrl:1
	v_cvt_i32_f32_e32 v10, v5
	v_cvt_f32_i32_dpp v15, v15 row_shr:2 row_mask:0xf bank_mask:0xf bound_ctrl:1
	v_cvt_i32_f32_e32 v11, v6
	s_delay_alu instid0(VALU_DEP_4) | instskip(NEXT) | instid1(VALU_DEP_4)
	v_add_f32_e32 v9, v54, v9
	v_cvt_f32_i32_dpp v10, v10 row_shr:4 row_mask:0xf bank_mask:0xf bound_ctrl:1
	s_delay_alu instid0(VALU_DEP_4) | instskip(NEXT) | instid1(VALU_DEP_4)
	v_add_f32_e32 v8, v8, v15
	v_cvt_f32_i32_dpp v11, v11 row_shr:1 row_mask:0xf bank_mask:0xf bound_ctrl:1
	s_delay_alu instid0(VALU_DEP_4) | instskip(NEXT) | instid1(VALU_DEP_4)
	v_cvt_i32_f32_e32 v16, v9
	v_add_f32_e32 v5, v5, v10
	s_delay_alu instid0(VALU_DEP_4) | instskip(NEXT) | instid1(VALU_DEP_4)
	v_cvt_i32_f32_e32 v15, v8
	v_add_f32_e32 v11, v6, v11
	s_delay_alu instid0(VALU_DEP_4) | instskip(NEXT) | instid1(VALU_DEP_4)
	v_cvt_f32_i32_dpp v16, v16 row_shr:4 row_mask:0xf bank_mask:0xf bound_ctrl:1
	v_cvt_i32_f32_e32 v10, v5
	s_delay_alu instid0(VALU_DEP_4) | instskip(NEXT) | instid1(VALU_DEP_3)
	v_cvt_f32_i32_dpp v17, v15 row_shr:1 row_mask:0xf bank_mask:0xf bound_ctrl:1
	v_add_f32_e32 v9, v9, v16
	s_delay_alu instid0(VALU_DEP_3) | instskip(NEXT) | instid1(VALU_DEP_2)
	v_cvt_f32_i32_dpp v10, v10 row_shr:2 row_mask:0xf bank_mask:0xf bound_ctrl:1
	v_cvt_i32_f32_e32 v16, v9
	s_delay_alu instid0(VALU_DEP_2) | instskip(NEXT) | instid1(VALU_DEP_2)
	v_add_f32_e32 v5, v5, v10
	v_cvt_f32_i32_dpp v16, v16 row_shr:2 row_mask:0xf bank_mask:0xf bound_ctrl:1
	s_delay_alu instid0(VALU_DEP_1) | instskip(NEXT) | instid1(VALU_DEP_1)
	v_dual_add_f32 v7, v56, v7 :: v_dual_add_f32 v10, v9, v16
	v_cvt_i32_f32_e32 v12, v7
	s_delay_alu instid0(VALU_DEP_4) | instskip(NEXT) | instid1(VALU_DEP_3)
	v_cvt_i32_f32_e32 v9, v5
	v_cvt_i32_f32_e32 v16, v10
	s_delay_alu instid0(VALU_DEP_3) | instskip(NEXT) | instid1(VALU_DEP_3)
	v_cvt_f32_i32_dpp v12, v12 row_shr:4 row_mask:0xf bank_mask:0xf bound_ctrl:1
	v_cvt_f32_i32_dpp v9, v9 row_shr:1 row_mask:0xf bank_mask:0xf bound_ctrl:1
	s_delay_alu instid0(VALU_DEP_3) | instskip(NEXT) | instid1(VALU_DEP_3)
	v_cvt_f32_i32_dpp v16, v16 row_shr:1 row_mask:0xf bank_mask:0xf bound_ctrl:1
	v_add_f32_e32 v7, v7, v12
	s_delay_alu instid0(VALU_DEP_3) | instskip(NEXT) | instid1(VALU_DEP_3)
	v_add_f32_e32 v15, v5, v9
	v_add_f32_e32 v5, v10, v16
	s_delay_alu instid0(VALU_DEP_3) | instskip(SKIP_3) | instid1(VALU_DEP_1)
	v_cvt_i32_f32_e32 v12, v7
	ds_bpermute_b32 v16, v51, v15
	ds_bpermute_b32 v6, v51, v5
	v_cvt_f32_i32_dpp v12, v12 row_shr:2 row_mask:0xf bank_mask:0xf bound_ctrl:1
	v_add_f32_e32 v7, v7, v12
	s_delay_alu instid0(VALU_DEP_1) | instskip(NEXT) | instid1(VALU_DEP_1)
	v_cvt_i32_f32_e32 v12, v7
	v_cvt_f32_i32_dpp v12, v12 row_shr:1 row_mask:0xf bank_mask:0xf bound_ctrl:1
	s_delay_alu instid0(VALU_DEP_1)
	v_add_f32_e32 v9, v7, v12
	v_add_f32_e32 v7, v8, v17
	ds_bpermute_b32 v12, v51, v11
	ds_bpermute_b32 v10, v51, v9
	;; [unrolled: 1-line block ×3, first 2 shown]
	s_and_saveexec_b32 s5, s0
	s_cbranch_execz .LBB243_105
; %bb.31:                               ;   in Loop: Header=BB243_13 Depth=1
	v_dual_mov_b32 v34, 0 :: v_dual_mov_b32 v45, 0
	v_dual_mov_b32 v44, 0 :: v_dual_mov_b32 v43, 0
	;; [unrolled: 1-line block ×6, first 2 shown]
	s_and_not1_b32 vcc_lo, exec_lo, s25
	s_cbranch_vccnz .LBB243_33
; %bb.32:                               ;   in Loop: Header=BB243_13 Depth=1
	v_mul_hi_u32 v17, v33, v52
	v_mul_hi_u32 v20, v38, v52
	v_mul_hi_u32 v23, v37, v52
	v_mul_hi_u32 v26, v36, v52
	v_mov_b32_e32 v61, v35
	v_mov_b32_e32 v63, v35
	;; [unrolled: 1-line block ×4, first 2 shown]
	v_mul_lo_u32 v17, v17, s16
	v_mul_lo_u32 v20, v20, s16
	;; [unrolled: 1-line block ×4, first 2 shown]
	s_delay_alu instid0(VALU_DEP_4) | instskip(NEXT) | instid1(VALU_DEP_4)
	v_sub_nc_u32_e32 v17, v33, v17
	v_sub_nc_u32_e32 v20, v38, v20
	s_delay_alu instid0(VALU_DEP_4) | instskip(NEXT) | instid1(VALU_DEP_4)
	v_sub_nc_u32_e32 v23, v37, v23
	v_sub_nc_u32_e32 v26, v36, v26
	s_delay_alu instid0(VALU_DEP_4)
	v_subrev_nc_u32_e32 v31, s16, v17
	v_cmp_le_u32_e32 vcc_lo, s16, v17
	v_subrev_nc_u32_e32 v34, s16, v20
	v_subrev_nc_u32_e32 v40, s16, v23
	;; [unrolled: 1-line block ×3, first 2 shown]
	v_cndmask_b32_e32 v17, v17, v31, vcc_lo
	v_cmp_le_u32_e32 vcc_lo, s16, v20
	v_mov_b32_e32 v41, v35
	s_delay_alu instid0(VALU_DEP_3)
	v_subrev_nc_u32_e32 v31, s16, v17
	v_cndmask_b32_e32 v20, v20, v34, vcc_lo
	v_cmp_le_u32_e32 vcc_lo, s16, v23
	v_cndmask_b32_e32 v23, v23, v40, vcc_lo
	v_cmp_le_u32_e32 vcc_lo, s16, v26
	v_mov_b32_e32 v43, v35
	v_subrev_nc_u32_e32 v40, s16, v20
	v_cndmask_b32_e32 v26, v26, v42, vcc_lo
	v_cmp_le_u32_e32 vcc_lo, s16, v17
	s_delay_alu instid0(VALU_DEP_2) | instskip(SKIP_3) | instid1(VALU_DEP_3)
	v_subrev_nc_u32_e32 v44, s16, v26
	v_cndmask_b32_e32 v34, v17, v31, vcc_lo
	v_cmp_le_u32_e32 vcc_lo, s16, v20
	v_subrev_nc_u32_e32 v42, s16, v23
	v_lshlrev_b64 v[46:47], 1, v[34:35]
	v_cndmask_b32_e32 v40, v20, v40, vcc_lo
	v_cmp_le_u32_e32 vcc_lo, s16, v23
	v_add_nc_u32_e32 v60, s27, v34
	v_add_nc_u32_e32 v34, s28, v34
	s_delay_alu instid0(VALU_DEP_4) | instskip(SKIP_4) | instid1(VALU_DEP_4)
	v_lshlrev_b64 v[54:55], 1, v[40:41]
	v_cndmask_b32_e32 v42, v23, v42, vcc_lo
	v_cmp_le_u32_e32 vcc_lo, s16, v26
	v_dual_mov_b32 v45, v35 :: v_dual_add_nc_u32 v62, s27, v40
	v_lshlrev_b64 v[60:61], 1, v[60:61]
	v_lshlrev_b64 v[56:57], 1, v[42:43]
	v_cndmask_b32_e32 v44, v26, v44, vcc_lo
	v_add_co_u32 v46, vcc_lo, s6, v46
	v_add_co_ci_u32_e32 v47, vcc_lo, s7, v47, vcc_lo
	v_add_co_u32 v54, vcc_lo, s6, v54
	s_delay_alu instid0(VALU_DEP_4)
	v_lshlrev_b64 v[58:59], 1, v[44:45]
	v_add_co_ci_u32_e32 v55, vcc_lo, s7, v55, vcc_lo
	v_add_co_u32 v56, vcc_lo, s6, v56
	v_add_nc_u32_e32 v64, s27, v42
	v_add_co_ci_u32_e32 v57, vcc_lo, s7, v57, vcc_lo
	v_add_co_u32 v58, vcc_lo, s6, v58
	v_lshlrev_b64 v[62:63], 1, v[62:63]
	v_add_nc_u32_e32 v66, s27, v44
	v_add_co_ci_u32_e32 v59, vcc_lo, s7, v59, vcc_lo
	v_add_co_u32 v60, vcc_lo, s6, v60
	v_lshlrev_b64 v[64:65], 1, v[64:65]
	v_add_co_ci_u32_e32 v61, vcc_lo, s7, v61, vcc_lo
	v_lshlrev_b64 v[68:69], 1, v[34:35]
	v_add_nc_u32_e32 v34, s28, v40
	v_add_co_u32 v62, vcc_lo, s6, v62
	v_lshlrev_b64 v[66:67], 1, v[66:67]
	v_add_co_ci_u32_e32 v63, vcc_lo, s7, v63, vcc_lo
	v_add_co_u32 v64, vcc_lo, s6, v64
	v_lshlrev_b64 v[40:41], 1, v[34:35]
	v_add_nc_u32_e32 v34, s28, v42
	v_add_co_ci_u32_e32 v65, vcc_lo, s7, v65, vcc_lo
	v_add_co_u32 v66, vcc_lo, s6, v66
	v_add_co_ci_u32_e32 v67, vcc_lo, s7, v67, vcc_lo
	v_add_co_u32 v68, vcc_lo, s6, v68
	v_lshlrev_b64 v[42:43], 1, v[34:35]
	v_add_nc_u32_e32 v34, s28, v44
	v_add_co_ci_u32_e32 v69, vcc_lo, s7, v69, vcc_lo
	v_add_co_u32 v70, vcc_lo, s6, v40
	v_add_co_ci_u32_e32 v71, vcc_lo, s7, v41, vcc_lo
	s_delay_alu instid0(VALU_DEP_4) | instskip(SKIP_2) | instid1(VALU_DEP_3)
	v_lshlrev_b64 v[40:41], 1, v[34:35]
	v_add_co_u32 v72, vcc_lo, s6, v42
	v_add_co_ci_u32_e32 v73, vcc_lo, s7, v43, vcc_lo
	v_add_co_u32 v74, vcc_lo, s6, v40
	s_delay_alu instid0(VALU_DEP_4)
	v_add_co_ci_u32_e32 v75, vcc_lo, s7, v41, vcc_lo
	s_clause 0xb
	global_load_u16 v34, v[46:47], off
	global_load_u16 v45, v[54:55], off
	;; [unrolled: 1-line block ×12, first 2 shown]
.LBB243_33:                             ;   in Loop: Header=BB243_13 Depth=1
	v_cmp_ne_u32_e32 vcc_lo, 0, v1
	s_and_saveexec_b32 s2, vcc_lo
	s_cbranch_execnz .LBB243_45
; %bb.34:                               ;   in Loop: Header=BB243_13 Depth=1
	s_or_b32 exec_lo, exec_lo, s2
	v_cmp_ne_u32_e64 s1, 0, v2
	s_delay_alu instid0(VALU_DEP_1)
	s_and_saveexec_b32 s3, s1
	s_cbranch_execnz .LBB243_50
.LBB243_35:                             ;   in Loop: Header=BB243_13 Depth=1
	s_or_b32 exec_lo, exec_lo, s3
	v_cmp_ne_u32_e64 s2, 0, v3
	s_delay_alu instid0(VALU_DEP_1)
	s_and_saveexec_b32 s4, s2
	s_cbranch_execnz .LBB243_55
.LBB243_36:                             ;   in Loop: Header=BB243_13 Depth=1
	s_or_b32 exec_lo, exec_lo, s4
	v_cmp_ne_u32_e64 s3, 0, v4
	s_delay_alu instid0(VALU_DEP_1)
	s_and_saveexec_b32 s29, s3
	s_cbranch_execnz .LBB243_60
.LBB243_37:                             ;   in Loop: Header=BB243_13 Depth=1
	s_or_b32 exec_lo, exec_lo, s29
	s_waitcnt vmcnt(11)
	v_add_nc_u32_e32 v34, s11, v33
	s_and_saveexec_b32 s29, vcc_lo
	s_cbranch_execnz .LBB243_65
.LBB243_38:                             ;   in Loop: Header=BB243_13 Depth=1
	s_or_b32 exec_lo, exec_lo, s29
	s_and_saveexec_b32 s29, s1
	s_cbranch_execnz .LBB243_70
.LBB243_39:                             ;   in Loop: Header=BB243_13 Depth=1
	s_or_b32 exec_lo, exec_lo, s29
	s_and_saveexec_b32 s29, s2
	s_cbranch_execnz .LBB243_75
.LBB243_40:                             ;   in Loop: Header=BB243_13 Depth=1
	s_or_b32 exec_lo, exec_lo, s29
	s_and_saveexec_b32 s29, s3
	s_cbranch_execnz .LBB243_80
.LBB243_41:                             ;   in Loop: Header=BB243_13 Depth=1
	s_or_b32 exec_lo, exec_lo, s29
	v_add_nc_u32_e32 v34, s11, v34
	s_and_saveexec_b32 s4, vcc_lo
	s_cbranch_execnz .LBB243_85
.LBB243_42:                             ;   in Loop: Header=BB243_13 Depth=1
	s_or_b32 exec_lo, exec_lo, s4
	s_and_saveexec_b32 s4, s1
	s_cbranch_execnz .LBB243_90
.LBB243_43:                             ;   in Loop: Header=BB243_13 Depth=1
	s_or_b32 exec_lo, exec_lo, s4
	s_and_saveexec_b32 s1, s2
	s_cbranch_execnz .LBB243_95
.LBB243_44:                             ;   in Loop: Header=BB243_13 Depth=1
	s_or_b32 exec_lo, exec_lo, s1
	s_delay_alu instid0(SALU_CYCLE_1)
	s_and_b32 exec_lo, exec_lo, s3
	s_cbranch_execnz .LBB243_100
	s_branch .LBB243_105
.LBB243_45:                             ;   in Loop: Header=BB243_13 Depth=1
	s_waitcnt lgkmcnt(0)
	v_add_f32_e32 v32, v32, v39
	s_waitcnt vmcnt(11)
	v_lshlrev_b32_e32 v34, 16, v34
	s_delay_alu instid0(VALU_DEP_1) | instskip(NEXT) | instid1(VALU_DEP_1)
	v_add_f32_e32 v34, v32, v34
	v_and_b32_e32 v32, 0x7f800000, v34
	s_delay_alu instid0(VALU_DEP_1) | instskip(NEXT) | instid1(VALU_DEP_1)
	v_cmp_ne_u32_e64 s1, 0x7f800000, v32
                                        ; implicit-def: $vgpr32
	s_and_saveexec_b32 s3, s1
	s_delay_alu instid0(SALU_CYCLE_1)
	s_xor_b32 s1, exec_lo, s3
; %bb.46:                               ;   in Loop: Header=BB243_13 Depth=1
	v_bfe_u32 v32, v34, 16, 1
	s_delay_alu instid0(VALU_DEP_1)
	v_add3_u32 v32, v34, v32, 0x7fff
                                        ; implicit-def: $vgpr34
; %bb.47:                               ;   in Loop: Header=BB243_13 Depth=1
	s_and_not1_saveexec_b32 s3, s1
; %bb.48:                               ;   in Loop: Header=BB243_13 Depth=1
	v_and_b32_e32 v32, 0xffff, v34
	v_or_b32_e32 v39, 0x10000, v34
	s_delay_alu instid0(VALU_DEP_2) | instskip(NEXT) | instid1(VALU_DEP_1)
	v_cmp_eq_u32_e64 s1, 0, v32
	v_cndmask_b32_e64 v32, v39, v34, s1
; %bb.49:                               ;   in Loop: Header=BB243_13 Depth=1
	s_or_b32 exec_lo, exec_lo, s3
	v_mov_b32_e32 v34, v35
	s_delay_alu instid0(VALU_DEP_1) | instskip(NEXT) | instid1(VALU_DEP_1)
	v_lshlrev_b64 v[46:47], 1, v[33:34]
	v_add_co_u32 v46, s1, s18, v46
	s_delay_alu instid0(VALU_DEP_1) | instskip(SKIP_3) | instid1(VALU_DEP_1)
	v_add_co_ci_u32_e64 v47, s1, s19, v47, s1
	global_store_d16_hi_b16 v[46:47], v32, off
	s_or_b32 exec_lo, exec_lo, s2
	v_cmp_ne_u32_e64 s1, 0, v2
	s_and_saveexec_b32 s3, s1
	s_cbranch_execz .LBB243_35
.LBB243_50:                             ;   in Loop: Header=BB243_13 Depth=1
	s_waitcnt vmcnt(10) lgkmcnt(0)
	v_dual_add_f32 v29, v29, v30 :: v_dual_lshlrev_b32 v30, 16, v45
	s_delay_alu instid0(VALU_DEP_1) | instskip(NEXT) | instid1(VALU_DEP_1)
	v_add_f32_e32 v30, v29, v30
	v_and_b32_e32 v29, 0x7f800000, v30
	s_delay_alu instid0(VALU_DEP_1) | instskip(NEXT) | instid1(VALU_DEP_1)
	v_cmp_ne_u32_e64 s2, 0x7f800000, v29
                                        ; implicit-def: $vgpr29
	s_and_saveexec_b32 s4, s2
	s_delay_alu instid0(SALU_CYCLE_1)
	s_xor_b32 s2, exec_lo, s4
; %bb.51:                               ;   in Loop: Header=BB243_13 Depth=1
	v_bfe_u32 v29, v30, 16, 1
	s_delay_alu instid0(VALU_DEP_1)
	v_add3_u32 v29, v30, v29, 0x7fff
                                        ; implicit-def: $vgpr30
; %bb.52:                               ;   in Loop: Header=BB243_13 Depth=1
	s_and_not1_saveexec_b32 s4, s2
; %bb.53:                               ;   in Loop: Header=BB243_13 Depth=1
	v_and_b32_e32 v29, 0xffff, v30
	v_or_b32_e32 v32, 0x10000, v30
	s_delay_alu instid0(VALU_DEP_2) | instskip(NEXT) | instid1(VALU_DEP_1)
	v_cmp_eq_u32_e64 s2, 0, v29
	v_cndmask_b32_e64 v29, v32, v30, s2
; %bb.54:                               ;   in Loop: Header=BB243_13 Depth=1
	s_or_b32 exec_lo, exec_lo, s4
	v_mov_b32_e32 v39, v35
	s_delay_alu instid0(VALU_DEP_1) | instskip(NEXT) | instid1(VALU_DEP_1)
	v_lshlrev_b64 v[38:39], 1, v[38:39]
	v_add_co_u32 v38, s2, s18, v38
	s_delay_alu instid0(VALU_DEP_1) | instskip(SKIP_3) | instid1(VALU_DEP_1)
	v_add_co_ci_u32_e64 v39, s2, s19, v39, s2
	global_store_d16_hi_b16 v[38:39], v29, off
	s_or_b32 exec_lo, exec_lo, s3
	v_cmp_ne_u32_e64 s2, 0, v3
	s_and_saveexec_b32 s4, s2
	s_cbranch_execz .LBB243_36
.LBB243_55:                             ;   in Loop: Header=BB243_13 Depth=1
	s_waitcnt lgkmcnt(0)
	v_add_f32_e32 v27, v27, v28
	s_waitcnt vmcnt(9)
	v_lshlrev_b32_e32 v28, 16, v44
	s_delay_alu instid0(VALU_DEP_1) | instskip(NEXT) | instid1(VALU_DEP_1)
	v_add_f32_e32 v28, v27, v28
	v_and_b32_e32 v27, 0x7f800000, v28
	s_delay_alu instid0(VALU_DEP_1) | instskip(NEXT) | instid1(VALU_DEP_1)
	v_cmp_ne_u32_e64 s3, 0x7f800000, v27
                                        ; implicit-def: $vgpr27
	s_and_saveexec_b32 s29, s3
	s_delay_alu instid0(SALU_CYCLE_1)
	s_xor_b32 s3, exec_lo, s29
; %bb.56:                               ;   in Loop: Header=BB243_13 Depth=1
	v_bfe_u32 v27, v28, 16, 1
	s_delay_alu instid0(VALU_DEP_1)
	v_add3_u32 v27, v28, v27, 0x7fff
                                        ; implicit-def: $vgpr28
; %bb.57:                               ;   in Loop: Header=BB243_13 Depth=1
	s_and_not1_saveexec_b32 s29, s3
; %bb.58:                               ;   in Loop: Header=BB243_13 Depth=1
	v_and_b32_e32 v27, 0xffff, v28
	v_or_b32_e32 v29, 0x10000, v28
	s_delay_alu instid0(VALU_DEP_2) | instskip(NEXT) | instid1(VALU_DEP_1)
	v_cmp_eq_u32_e64 s3, 0, v27
	v_cndmask_b32_e64 v27, v29, v28, s3
; %bb.59:                               ;   in Loop: Header=BB243_13 Depth=1
	s_or_b32 exec_lo, exec_lo, s29
	v_mov_b32_e32 v38, v35
	s_delay_alu instid0(VALU_DEP_1) | instskip(NEXT) | instid1(VALU_DEP_1)
	v_lshlrev_b64 v[28:29], 1, v[37:38]
	v_add_co_u32 v28, s3, s18, v28
	s_delay_alu instid0(VALU_DEP_1) | instskip(SKIP_3) | instid1(VALU_DEP_1)
	v_add_co_ci_u32_e64 v29, s3, s19, v29, s3
	global_store_d16_hi_b16 v[28:29], v27, off
	s_or_b32 exec_lo, exec_lo, s4
	v_cmp_ne_u32_e64 s3, 0, v4
	s_and_saveexec_b32 s29, s3
	s_cbranch_execz .LBB243_37
.LBB243_60:                             ;   in Loop: Header=BB243_13 Depth=1
	s_waitcnt vmcnt(8) lgkmcnt(0)
	v_dual_add_f32 v24, v24, v25 :: v_dual_lshlrev_b32 v25, 16, v43
	s_delay_alu instid0(VALU_DEP_1) | instskip(NEXT) | instid1(VALU_DEP_1)
	v_add_f32_e32 v25, v24, v25
	v_and_b32_e32 v24, 0x7f800000, v25
	s_delay_alu instid0(VALU_DEP_1) | instskip(NEXT) | instid1(VALU_DEP_1)
	v_cmp_ne_u32_e64 s4, 0x7f800000, v24
                                        ; implicit-def: $vgpr24
	s_and_saveexec_b32 s30, s4
	s_delay_alu instid0(SALU_CYCLE_1)
	s_xor_b32 s4, exec_lo, s30
; %bb.61:                               ;   in Loop: Header=BB243_13 Depth=1
	v_bfe_u32 v24, v25, 16, 1
	s_delay_alu instid0(VALU_DEP_1)
	v_add3_u32 v24, v25, v24, 0x7fff
                                        ; implicit-def: $vgpr25
; %bb.62:                               ;   in Loop: Header=BB243_13 Depth=1
	s_and_not1_saveexec_b32 s30, s4
; %bb.63:                               ;   in Loop: Header=BB243_13 Depth=1
	v_and_b32_e32 v24, 0xffff, v25
	v_or_b32_e32 v27, 0x10000, v25
	s_delay_alu instid0(VALU_DEP_2) | instskip(NEXT) | instid1(VALU_DEP_1)
	v_cmp_eq_u32_e64 s4, 0, v24
	v_cndmask_b32_e64 v24, v27, v25, s4
; %bb.64:                               ;   in Loop: Header=BB243_13 Depth=1
	s_or_b32 exec_lo, exec_lo, s30
	v_mov_b32_e32 v37, v35
	s_delay_alu instid0(VALU_DEP_1) | instskip(NEXT) | instid1(VALU_DEP_1)
	v_lshlrev_b64 v[27:28], 1, v[36:37]
	v_add_co_u32 v27, s4, s18, v27
	s_delay_alu instid0(VALU_DEP_1)
	v_add_co_ci_u32_e64 v28, s4, s19, v28, s4
	global_store_d16_hi_b16 v[27:28], v24, off
	s_or_b32 exec_lo, exec_lo, s29
	v_add_nc_u32_e32 v34, s11, v33
	s_and_saveexec_b32 s29, vcc_lo
	s_cbranch_execz .LBB243_38
.LBB243_65:                             ;   in Loop: Header=BB243_13 Depth=1
	s_waitcnt lgkmcnt(0)
	v_add_f32_e32 v21, v21, v22
	s_waitcnt vmcnt(7)
	v_lshlrev_b32_e32 v22, 16, v42
	s_delay_alu instid0(VALU_DEP_1) | instskip(NEXT) | instid1(VALU_DEP_1)
	v_add_f32_e32 v22, v21, v22
	v_and_b32_e32 v21, 0x7f800000, v22
	s_delay_alu instid0(VALU_DEP_1) | instskip(NEXT) | instid1(VALU_DEP_1)
	v_cmp_ne_u32_e64 s4, 0x7f800000, v21
                                        ; implicit-def: $vgpr21
	s_and_saveexec_b32 s30, s4
	s_delay_alu instid0(SALU_CYCLE_1)
	s_xor_b32 s4, exec_lo, s30
; %bb.66:                               ;   in Loop: Header=BB243_13 Depth=1
	v_bfe_u32 v21, v22, 16, 1
	s_delay_alu instid0(VALU_DEP_1)
	v_add3_u32 v21, v22, v21, 0x7fff
                                        ; implicit-def: $vgpr22
; %bb.67:                               ;   in Loop: Header=BB243_13 Depth=1
	s_and_not1_saveexec_b32 s30, s4
; %bb.68:                               ;   in Loop: Header=BB243_13 Depth=1
	v_and_b32_e32 v21, 0xffff, v22
	v_or_b32_e32 v24, 0x10000, v22
	s_delay_alu instid0(VALU_DEP_2) | instskip(NEXT) | instid1(VALU_DEP_1)
	v_cmp_eq_u32_e64 s4, 0, v21
	v_cndmask_b32_e64 v21, v24, v22, s4
; %bb.69:                               ;   in Loop: Header=BB243_13 Depth=1
	s_or_b32 exec_lo, exec_lo, s30
	v_lshlrev_b64 v[24:25], 1, v[34:35]
	s_delay_alu instid0(VALU_DEP_1) | instskip(NEXT) | instid1(VALU_DEP_1)
	v_add_co_u32 v24, s4, s18, v24
	v_add_co_ci_u32_e64 v25, s4, s19, v25, s4
	global_store_d16_hi_b16 v[24:25], v21, off
	s_or_b32 exec_lo, exec_lo, s29
	s_and_saveexec_b32 s29, s1
	s_cbranch_execz .LBB243_39
.LBB243_70:                             ;   in Loop: Header=BB243_13 Depth=1
	s_waitcnt vmcnt(6) lgkmcnt(0)
	v_dual_add_f32 v18, v18, v19 :: v_dual_lshlrev_b32 v19, 16, v41
	s_delay_alu instid0(VALU_DEP_1) | instskip(NEXT) | instid1(VALU_DEP_1)
	v_add_f32_e32 v19, v18, v19
	v_and_b32_e32 v18, 0x7f800000, v19
	s_delay_alu instid0(VALU_DEP_1) | instskip(NEXT) | instid1(VALU_DEP_1)
	v_cmp_ne_u32_e64 s4, 0x7f800000, v18
                                        ; implicit-def: $vgpr18
	s_and_saveexec_b32 s30, s4
	s_delay_alu instid0(SALU_CYCLE_1)
	s_xor_b32 s4, exec_lo, s30
; %bb.71:                               ;   in Loop: Header=BB243_13 Depth=1
	v_bfe_u32 v18, v19, 16, 1
	s_delay_alu instid0(VALU_DEP_1)
	v_add3_u32 v18, v19, v18, 0x7fff
                                        ; implicit-def: $vgpr19
; %bb.72:                               ;   in Loop: Header=BB243_13 Depth=1
	s_and_not1_saveexec_b32 s30, s4
; %bb.73:                               ;   in Loop: Header=BB243_13 Depth=1
	v_and_b32_e32 v18, 0xffff, v19
	v_or_b32_e32 v21, 0x10000, v19
	s_delay_alu instid0(VALU_DEP_2) | instskip(NEXT) | instid1(VALU_DEP_1)
	v_cmp_eq_u32_e64 s4, 0, v18
	v_cndmask_b32_e64 v18, v21, v19, s4
; %bb.74:                               ;   in Loop: Header=BB243_13 Depth=1
	s_or_b32 exec_lo, exec_lo, s30
	v_dual_mov_b32 v22, v35 :: v_dual_add_nc_u32 v21, 1, v34
	s_delay_alu instid0(VALU_DEP_1) | instskip(NEXT) | instid1(VALU_DEP_1)
	v_lshlrev_b64 v[21:22], 1, v[21:22]
	v_add_co_u32 v21, s4, s18, v21
	s_delay_alu instid0(VALU_DEP_1)
	v_add_co_ci_u32_e64 v22, s4, s19, v22, s4
	global_store_d16_hi_b16 v[21:22], v18, off
	s_or_b32 exec_lo, exec_lo, s29
	s_and_saveexec_b32 s29, s2
	s_cbranch_execz .LBB243_40
.LBB243_75:                             ;   in Loop: Header=BB243_13 Depth=1
	s_waitcnt vmcnt(5) lgkmcnt(0)
	v_dual_add_f32 v13, v13, v14 :: v_dual_lshlrev_b32 v14, 16, v40
	s_delay_alu instid0(VALU_DEP_1) | instskip(NEXT) | instid1(VALU_DEP_1)
	v_add_f32_e32 v14, v13, v14
	v_and_b32_e32 v13, 0x7f800000, v14
	s_delay_alu instid0(VALU_DEP_1) | instskip(NEXT) | instid1(VALU_DEP_1)
	v_cmp_ne_u32_e64 s4, 0x7f800000, v13
                                        ; implicit-def: $vgpr13
	s_and_saveexec_b32 s30, s4
	s_delay_alu instid0(SALU_CYCLE_1)
	s_xor_b32 s4, exec_lo, s30
; %bb.76:                               ;   in Loop: Header=BB243_13 Depth=1
	v_bfe_u32 v13, v14, 16, 1
	s_delay_alu instid0(VALU_DEP_1)
	v_add3_u32 v13, v14, v13, 0x7fff
                                        ; implicit-def: $vgpr14
; %bb.77:                               ;   in Loop: Header=BB243_13 Depth=1
	s_and_not1_saveexec_b32 s30, s4
; %bb.78:                               ;   in Loop: Header=BB243_13 Depth=1
	v_and_b32_e32 v13, 0xffff, v14
	v_or_b32_e32 v18, 0x10000, v14
	s_delay_alu instid0(VALU_DEP_2) | instskip(NEXT) | instid1(VALU_DEP_1)
	v_cmp_eq_u32_e64 s4, 0, v13
	v_cndmask_b32_e64 v13, v18, v14, s4
; %bb.79:                               ;   in Loop: Header=BB243_13 Depth=1
	s_or_b32 exec_lo, exec_lo, s30
	v_dual_mov_b32 v19, v35 :: v_dual_add_nc_u32 v18, 2, v34
	s_delay_alu instid0(VALU_DEP_1) | instskip(NEXT) | instid1(VALU_DEP_1)
	v_lshlrev_b64 v[18:19], 1, v[18:19]
	v_add_co_u32 v18, s4, s18, v18
	s_delay_alu instid0(VALU_DEP_1)
	v_add_co_ci_u32_e64 v19, s4, s19, v19, s4
	global_store_d16_hi_b16 v[18:19], v13, off
	s_or_b32 exec_lo, exec_lo, s29
	s_and_saveexec_b32 s29, s3
	s_cbranch_execz .LBB243_41
.LBB243_80:                             ;   in Loop: Header=BB243_13 Depth=1
	s_waitcnt vmcnt(4) lgkmcnt(0)
	v_dual_add_f32 v13, v15, v16 :: v_dual_lshlrev_b32 v14, 16, v31
	s_delay_alu instid0(VALU_DEP_1) | instskip(NEXT) | instid1(VALU_DEP_1)
	v_add_f32_e32 v14, v13, v14
	v_and_b32_e32 v13, 0x7f800000, v14
	s_delay_alu instid0(VALU_DEP_1) | instskip(NEXT) | instid1(VALU_DEP_1)
	v_cmp_ne_u32_e64 s4, 0x7f800000, v13
                                        ; implicit-def: $vgpr13
	s_and_saveexec_b32 s30, s4
	s_delay_alu instid0(SALU_CYCLE_1)
	s_xor_b32 s4, exec_lo, s30
; %bb.81:                               ;   in Loop: Header=BB243_13 Depth=1
	v_bfe_u32 v13, v14, 16, 1
	s_delay_alu instid0(VALU_DEP_1)
	v_add3_u32 v13, v14, v13, 0x7fff
                                        ; implicit-def: $vgpr14
; %bb.82:                               ;   in Loop: Header=BB243_13 Depth=1
	s_and_not1_saveexec_b32 s30, s4
; %bb.83:                               ;   in Loop: Header=BB243_13 Depth=1
	v_and_b32_e32 v13, 0xffff, v14
	v_or_b32_e32 v15, 0x10000, v14
	s_delay_alu instid0(VALU_DEP_2) | instskip(NEXT) | instid1(VALU_DEP_1)
	v_cmp_eq_u32_e64 s4, 0, v13
	v_cndmask_b32_e64 v13, v15, v14, s4
; %bb.84:                               ;   in Loop: Header=BB243_13 Depth=1
	s_or_b32 exec_lo, exec_lo, s30
	v_dual_mov_b32 v15, v35 :: v_dual_add_nc_u32 v14, 3, v34
	s_delay_alu instid0(VALU_DEP_1) | instskip(NEXT) | instid1(VALU_DEP_1)
	v_lshlrev_b64 v[14:15], 1, v[14:15]
	v_add_co_u32 v14, s4, s18, v14
	s_delay_alu instid0(VALU_DEP_1)
	v_add_co_ci_u32_e64 v15, s4, s19, v15, s4
	global_store_d16_hi_b16 v[14:15], v13, off
	s_or_b32 exec_lo, exec_lo, s29
	v_add_nc_u32_e32 v34, s11, v34
	s_and_saveexec_b32 s4, vcc_lo
	s_cbranch_execz .LBB243_42
.LBB243_85:                             ;   in Loop: Header=BB243_13 Depth=1
	s_waitcnt vmcnt(3) lgkmcnt(0)
	v_dual_add_f32 v11, v11, v12 :: v_dual_lshlrev_b32 v12, 16, v26
	s_delay_alu instid0(VALU_DEP_1) | instskip(NEXT) | instid1(VALU_DEP_1)
	v_add_f32_e32 v12, v11, v12
	v_and_b32_e32 v11, 0x7f800000, v12
	s_delay_alu instid0(VALU_DEP_1) | instskip(SKIP_1) | instid1(SALU_CYCLE_1)
	v_cmp_ne_u32_e32 vcc_lo, 0x7f800000, v11
                                        ; implicit-def: $vgpr11
	s_and_saveexec_b32 s29, vcc_lo
	s_xor_b32 s29, exec_lo, s29
; %bb.86:                               ;   in Loop: Header=BB243_13 Depth=1
	v_bfe_u32 v11, v12, 16, 1
	s_delay_alu instid0(VALU_DEP_1)
	v_add3_u32 v11, v12, v11, 0x7fff
                                        ; implicit-def: $vgpr12
; %bb.87:                               ;   in Loop: Header=BB243_13 Depth=1
	s_and_not1_saveexec_b32 s29, s29
; %bb.88:                               ;   in Loop: Header=BB243_13 Depth=1
	v_and_b32_e32 v11, 0xffff, v12
	v_or_b32_e32 v13, 0x10000, v12
	s_delay_alu instid0(VALU_DEP_2) | instskip(NEXT) | instid1(VALU_DEP_2)
	v_cmp_eq_u32_e32 vcc_lo, 0, v11
	v_cndmask_b32_e32 v11, v13, v12, vcc_lo
; %bb.89:                               ;   in Loop: Header=BB243_13 Depth=1
	s_or_b32 exec_lo, exec_lo, s29
	v_lshlrev_b64 v[12:13], 1, v[34:35]
	s_delay_alu instid0(VALU_DEP_1) | instskip(NEXT) | instid1(VALU_DEP_2)
	v_add_co_u32 v12, vcc_lo, s18, v12
	v_add_co_ci_u32_e32 v13, vcc_lo, s19, v13, vcc_lo
	global_store_d16_hi_b16 v[12:13], v11, off
	s_or_b32 exec_lo, exec_lo, s4
	s_and_saveexec_b32 s4, s1
	s_cbranch_execz .LBB243_43
.LBB243_90:                             ;   in Loop: Header=BB243_13 Depth=1
	s_waitcnt vmcnt(2) lgkmcnt(0)
	v_dual_add_f32 v9, v9, v10 :: v_dual_lshlrev_b32 v10, 16, v23
	s_delay_alu instid0(VALU_DEP_1) | instskip(NEXT) | instid1(VALU_DEP_1)
	v_add_f32_e32 v10, v9, v10
	v_and_b32_e32 v9, 0x7f800000, v10
	s_delay_alu instid0(VALU_DEP_1) | instskip(SKIP_1) | instid1(SALU_CYCLE_1)
	v_cmp_ne_u32_e32 vcc_lo, 0x7f800000, v9
                                        ; implicit-def: $vgpr9
	s_and_saveexec_b32 s1, vcc_lo
	s_xor_b32 s1, exec_lo, s1
; %bb.91:                               ;   in Loop: Header=BB243_13 Depth=1
	v_bfe_u32 v9, v10, 16, 1
	s_delay_alu instid0(VALU_DEP_1)
	v_add3_u32 v9, v10, v9, 0x7fff
                                        ; implicit-def: $vgpr10
; %bb.92:                               ;   in Loop: Header=BB243_13 Depth=1
	s_and_not1_saveexec_b32 s1, s1
; %bb.93:                               ;   in Loop: Header=BB243_13 Depth=1
	v_and_b32_e32 v9, 0xffff, v10
	v_or_b32_e32 v11, 0x10000, v10
	s_delay_alu instid0(VALU_DEP_2) | instskip(NEXT) | instid1(VALU_DEP_2)
	v_cmp_eq_u32_e32 vcc_lo, 0, v9
	v_cndmask_b32_e32 v9, v11, v10, vcc_lo
; %bb.94:                               ;   in Loop: Header=BB243_13 Depth=1
	s_or_b32 exec_lo, exec_lo, s1
	v_dual_mov_b32 v11, v35 :: v_dual_add_nc_u32 v10, 1, v34
	s_delay_alu instid0(VALU_DEP_1) | instskip(NEXT) | instid1(VALU_DEP_1)
	v_lshlrev_b64 v[10:11], 1, v[10:11]
	v_add_co_u32 v10, vcc_lo, s18, v10
	s_delay_alu instid0(VALU_DEP_2)
	v_add_co_ci_u32_e32 v11, vcc_lo, s19, v11, vcc_lo
	global_store_d16_hi_b16 v[10:11], v9, off
	s_or_b32 exec_lo, exec_lo, s4
	s_and_saveexec_b32 s1, s2
	s_cbranch_execz .LBB243_44
.LBB243_95:                             ;   in Loop: Header=BB243_13 Depth=1
	s_waitcnt lgkmcnt(0)
	v_add_f32_e32 v7, v7, v8
	s_waitcnt vmcnt(1)
	v_lshlrev_b32_e32 v8, 16, v20
	s_delay_alu instid0(VALU_DEP_1) | instskip(NEXT) | instid1(VALU_DEP_1)
	v_add_f32_e32 v8, v7, v8
	v_and_b32_e32 v7, 0x7f800000, v8
	s_delay_alu instid0(VALU_DEP_1) | instskip(SKIP_1) | instid1(SALU_CYCLE_1)
	v_cmp_ne_u32_e32 vcc_lo, 0x7f800000, v7
                                        ; implicit-def: $vgpr7
	s_and_saveexec_b32 s2, vcc_lo
	s_xor_b32 s2, exec_lo, s2
; %bb.96:                               ;   in Loop: Header=BB243_13 Depth=1
	v_bfe_u32 v7, v8, 16, 1
	s_delay_alu instid0(VALU_DEP_1)
	v_add3_u32 v7, v8, v7, 0x7fff
                                        ; implicit-def: $vgpr8
; %bb.97:                               ;   in Loop: Header=BB243_13 Depth=1
	s_and_not1_saveexec_b32 s2, s2
; %bb.98:                               ;   in Loop: Header=BB243_13 Depth=1
	v_and_b32_e32 v7, 0xffff, v8
	v_or_b32_e32 v9, 0x10000, v8
	s_delay_alu instid0(VALU_DEP_2) | instskip(NEXT) | instid1(VALU_DEP_2)
	v_cmp_eq_u32_e32 vcc_lo, 0, v7
	v_cndmask_b32_e32 v7, v9, v8, vcc_lo
; %bb.99:                               ;   in Loop: Header=BB243_13 Depth=1
	s_or_b32 exec_lo, exec_lo, s2
	v_dual_mov_b32 v9, v35 :: v_dual_add_nc_u32 v8, 2, v34
	s_delay_alu instid0(VALU_DEP_1) | instskip(NEXT) | instid1(VALU_DEP_1)
	v_lshlrev_b64 v[8:9], 1, v[8:9]
	v_add_co_u32 v8, vcc_lo, s18, v8
	s_delay_alu instid0(VALU_DEP_2) | instskip(SKIP_2) | instid1(SALU_CYCLE_1)
	v_add_co_ci_u32_e32 v9, vcc_lo, s19, v9, vcc_lo
	global_store_d16_hi_b16 v[8:9], v7, off
	s_or_b32 exec_lo, exec_lo, s1
	s_and_b32 exec_lo, exec_lo, s3
	s_cbranch_execz .LBB243_105
.LBB243_100:                            ;   in Loop: Header=BB243_13 Depth=1
	s_waitcnt vmcnt(0) lgkmcnt(0)
	v_dual_add_f32 v5, v5, v6 :: v_dual_lshlrev_b32 v6, 16, v17
	s_delay_alu instid0(VALU_DEP_1) | instskip(NEXT) | instid1(VALU_DEP_1)
	v_add_f32_e32 v6, v5, v6
	v_and_b32_e32 v5, 0x7f800000, v6
	s_delay_alu instid0(VALU_DEP_1) | instskip(SKIP_1) | instid1(SALU_CYCLE_1)
	v_cmp_ne_u32_e32 vcc_lo, 0x7f800000, v5
                                        ; implicit-def: $vgpr5
	s_and_saveexec_b32 s1, vcc_lo
	s_xor_b32 s1, exec_lo, s1
; %bb.101:                              ;   in Loop: Header=BB243_13 Depth=1
	v_bfe_u32 v5, v6, 16, 1
	s_delay_alu instid0(VALU_DEP_1)
	v_add3_u32 v5, v6, v5, 0x7fff
                                        ; implicit-def: $vgpr6
; %bb.102:                              ;   in Loop: Header=BB243_13 Depth=1
	s_and_not1_saveexec_b32 s1, s1
; %bb.103:                              ;   in Loop: Header=BB243_13 Depth=1
	v_and_b32_e32 v5, 0xffff, v6
	v_or_b32_e32 v7, 0x10000, v6
	s_delay_alu instid0(VALU_DEP_2) | instskip(NEXT) | instid1(VALU_DEP_2)
	v_cmp_eq_u32_e32 vcc_lo, 0, v5
	v_cndmask_b32_e32 v5, v7, v6, vcc_lo
; %bb.104:                              ;   in Loop: Header=BB243_13 Depth=1
	s_or_b32 exec_lo, exec_lo, s1
	v_add_nc_u32_e32 v34, 3, v34
	s_delay_alu instid0(VALU_DEP_1) | instskip(NEXT) | instid1(VALU_DEP_1)
	v_lshlrev_b64 v[6:7], 1, v[34:35]
	v_add_co_u32 v6, vcc_lo, s18, v6
	s_delay_alu instid0(VALU_DEP_2)
	v_add_co_ci_u32_e32 v7, vcc_lo, s19, v7, vcc_lo
	global_store_d16_hi_b16 v[6:7], v5, off
.LBB243_105:                            ;   in Loop: Header=BB243_13 Depth=1
	s_or_b32 exec_lo, exec_lo, s5
	v_add_nc_u32_e32 v33, s20, v33
	s_delay_alu instid0(VALU_DEP_1) | instskip(SKIP_1) | instid1(VALU_DEP_2)
	v_add_nc_u32_e32 v5, 4, v33
	v_cmp_gt_u32_e32 vcc_lo, s11, v33
	v_cmp_le_u32_e64 s1, s11, v5
	s_delay_alu instid0(VALU_DEP_1) | instskip(NEXT) | instid1(SALU_CYCLE_1)
	s_and_b32 s1, vcc_lo, s1
	s_and_saveexec_b32 s29, s1
	s_cbranch_execz .LBB243_12
; %bb.106:                              ;   in Loop: Header=BB243_13 Depth=1
	s_mov_b32 s30, exec_lo
	v_cmpx_ne_u32_e64 s21, v33
	s_cbranch_execz .LBB243_11
; %bb.107:                              ;   in Loop: Header=BB243_13 Depth=1
	v_subrev_nc_u32_e32 v5, s21, v33
	s_mov_b32 s31, 0
	s_mov_b64 s[4:5], 0
	s_delay_alu instid0(VALU_DEP_1)
	v_cmp_lt_u32_e32 vcc_lo, 1, v5
	v_cndmask_b32_e32 v5, 1, v5, vcc_lo
	.p2align	6
.LBB243_108:                            ;   Parent Loop BB243_13 Depth=1
                                        ; =>  This Inner Loop Header: Depth=2
	s_cmp_lg_u32 s4, 3
	s_cselect_b32 vcc_lo, -1, 0
	s_cmp_lg_u32 s4, 2
	v_cndmask_b32_e32 v4, 0, v4, vcc_lo
	s_cselect_b32 s1, -1, 0
	s_cmp_lg_u32 s4, 1
	v_cndmask_b32_e64 v3, 0, v3, s1
	s_cselect_b32 s2, -1, 0
	s_cmp_lg_u32 s4, 0
	v_cndmask_b32_e64 v2, 0, v2, s2
	s_cselect_b32 s3, -1, 0
	s_add_u32 s4, s4, 1
	v_cndmask_b32_e64 v1, 0, v1, s3
	v_cmp_eq_u32_e32 vcc_lo, s4, v5
	s_addc_u32 s5, s5, 0
	s_or_b32 s31, vcc_lo, s31
	s_delay_alu instid0(SALU_CYCLE_1)
	s_and_not1_b32 exec_lo, exec_lo, s31
	s_cbranch_execnz .LBB243_108
; %bb.109:                              ;   in Loop: Header=BB243_13 Depth=1
	s_or_b32 exec_lo, exec_lo, s31
	s_branch .LBB243_11
.LBB243_110:
	s_nop 0
	s_sendmsg sendmsg(MSG_DEALLOC_VGPRS)
	s_endpgm
	.section	.rodata,"a",@progbits
	.p2align	6, 0x0
	.amdhsa_kernel _Z12wvSplitK_hf_I14__hip_bfloat16Li64ELi4ELi16ELi8ELi1ELi3EEviiiiiiPKT_S3_S3_PS1_ii
		.amdhsa_group_segment_fixed_size 65536
		.amdhsa_private_segment_fixed_size 0
		.amdhsa_kernarg_size 64
		.amdhsa_user_sgpr_count 15
		.amdhsa_user_sgpr_dispatch_ptr 0
		.amdhsa_user_sgpr_queue_ptr 0
		.amdhsa_user_sgpr_kernarg_segment_ptr 1
		.amdhsa_user_sgpr_dispatch_id 0
		.amdhsa_user_sgpr_private_segment_size 0
		.amdhsa_wavefront_size32 1
		.amdhsa_uses_dynamic_stack 0
		.amdhsa_enable_private_segment 0
		.amdhsa_system_sgpr_workgroup_id_x 1
		.amdhsa_system_sgpr_workgroup_id_y 0
		.amdhsa_system_sgpr_workgroup_id_z 0
		.amdhsa_system_sgpr_workgroup_info 0
		.amdhsa_system_vgpr_workitem_id 1
		.amdhsa_next_free_vgpr 86
		.amdhsa_next_free_sgpr 32
		.amdhsa_reserve_vcc 1
		.amdhsa_float_round_mode_32 0
		.amdhsa_float_round_mode_16_64 0
		.amdhsa_float_denorm_mode_32 3
		.amdhsa_float_denorm_mode_16_64 3
		.amdhsa_dx10_clamp 1
		.amdhsa_ieee_mode 1
		.amdhsa_fp16_overflow 0
		.amdhsa_workgroup_processor_mode 1
		.amdhsa_memory_ordered 1
		.amdhsa_forward_progress 0
		.amdhsa_shared_vgpr_count 0
		.amdhsa_exception_fp_ieee_invalid_op 0
		.amdhsa_exception_fp_denorm_src 0
		.amdhsa_exception_fp_ieee_div_zero 0
		.amdhsa_exception_fp_ieee_overflow 0
		.amdhsa_exception_fp_ieee_underflow 0
		.amdhsa_exception_fp_ieee_inexact 0
		.amdhsa_exception_int_div_zero 0
	.end_amdhsa_kernel
	.section	.text._Z12wvSplitK_hf_I14__hip_bfloat16Li64ELi4ELi16ELi8ELi1ELi3EEviiiiiiPKT_S3_S3_PS1_ii,"axG",@progbits,_Z12wvSplitK_hf_I14__hip_bfloat16Li64ELi4ELi16ELi8ELi1ELi3EEviiiiiiPKT_S3_S3_PS1_ii,comdat
.Lfunc_end243:
	.size	_Z12wvSplitK_hf_I14__hip_bfloat16Li64ELi4ELi16ELi8ELi1ELi3EEviiiiiiPKT_S3_S3_PS1_ii, .Lfunc_end243-_Z12wvSplitK_hf_I14__hip_bfloat16Li64ELi4ELi16ELi8ELi1ELi3EEviiiiiiPKT_S3_S3_PS1_ii
                                        ; -- End function
	.section	.AMDGPU.csdata,"",@progbits
; Kernel info:
; codeLenInByte = 6848
; NumSgprs: 34
; NumVgprs: 86
; ScratchSize: 0
; MemoryBound: 0
; FloatMode: 240
; IeeeMode: 1
; LDSByteSize: 65536 bytes/workgroup (compile time only)
; SGPRBlocks: 4
; VGPRBlocks: 10
; NumSGPRsForWavesPerEU: 34
; NumVGPRsForWavesPerEU: 86
; Occupancy: 16
; WaveLimiterHint : 0
; COMPUTE_PGM_RSRC2:SCRATCH_EN: 0
; COMPUTE_PGM_RSRC2:USER_SGPR: 15
; COMPUTE_PGM_RSRC2:TRAP_HANDLER: 0
; COMPUTE_PGM_RSRC2:TGID_X_EN: 1
; COMPUTE_PGM_RSRC2:TGID_Y_EN: 0
; COMPUTE_PGM_RSRC2:TGID_Z_EN: 0
; COMPUTE_PGM_RSRC2:TIDIG_COMP_CNT: 1
	.section	.text._Z16wvSplitK_hf_big_I14__hip_bfloat16Li64ELi4ELi16ELi8ELi1ELi3EEviiiiiiPKT_S3_S3_PS1_ii,"axG",@progbits,_Z16wvSplitK_hf_big_I14__hip_bfloat16Li64ELi4ELi16ELi8ELi1ELi3EEviiiiiiPKT_S3_S3_PS1_ii,comdat
	.protected	_Z16wvSplitK_hf_big_I14__hip_bfloat16Li64ELi4ELi16ELi8ELi1ELi3EEviiiiiiPKT_S3_S3_PS1_ii ; -- Begin function _Z16wvSplitK_hf_big_I14__hip_bfloat16Li64ELi4ELi16ELi8ELi1ELi3EEviiiiiiPKT_S3_S3_PS1_ii
	.globl	_Z16wvSplitK_hf_big_I14__hip_bfloat16Li64ELi4ELi16ELi8ELi1ELi3EEviiiiiiPKT_S3_S3_PS1_ii
	.p2align	8
	.type	_Z16wvSplitK_hf_big_I14__hip_bfloat16Li64ELi4ELi16ELi8ELi1ELi3EEviiiiiiPKT_S3_S3_PS1_ii,@function
_Z16wvSplitK_hf_big_I14__hip_bfloat16Li64ELi4ELi16ELi8ELi1ELi3EEviiiiiiPKT_S3_S3_PS1_ii: ; @_Z16wvSplitK_hf_big_I14__hip_bfloat16Li64ELi4ELi16ELi8ELi1ELi3EEviiiiiiPKT_S3_S3_PS1_ii
; %bb.0:
	s_load_b64 s[20:21], s[0:1], 0x38
	v_bfe_u32 v5, v0, 10, 10
	s_mov_b32 s2, exec_lo
	s_waitcnt lgkmcnt(0)
	s_delay_alu instid0(VALU_DEP_1)
	v_cmpx_gt_u32_e64 s20, v5
	s_cbranch_execz .LBB244_110
; %bb.1:
	s_load_b128 s[16:19], s[0:1], 0x0
	s_mul_i32 s15, s15, s20
	s_mov_b32 s4, 1
	v_add_lshl_u32 v33, s15, v5, 2
	s_mov_b32 s5, s4
	s_mov_b32 s6, s4
	;; [unrolled: 1-line block ×3, first 2 shown]
	s_delay_alu instid0(VALU_DEP_1) | instskip(SKIP_2) | instid1(VALU_DEP_2)
	v_add_nc_u32_e32 v1, 4, v33
	s_waitcnt lgkmcnt(0)
	v_cmp_gt_u32_e32 vcc_lo, s19, v33
	v_cmp_le_u32_e64 s2, s19, v1
	v_dual_mov_b32 v1, s4 :: v_dual_mov_b32 v4, s7
	v_dual_mov_b32 v2, s5 :: v_dual_mov_b32 v3, s6
	s_delay_alu instid0(VALU_DEP_3) | instskip(NEXT) | instid1(SALU_CYCLE_1)
	s_and_b32 s2, vcc_lo, s2
	s_and_saveexec_b32 s8, s2
	s_cbranch_execz .LBB244_7
; %bb.2:
	v_dual_mov_b32 v1, s4 :: v_dual_mov_b32 v2, s5
	v_dual_mov_b32 v3, s6 :: v_dual_mov_b32 v4, s7
	s_add_i32 s9, s19, -4
	s_mov_b32 s10, exec_lo
	v_cmpx_ne_u32_e64 s9, v33
	s_cbranch_execz .LBB244_6
; %bb.3:
	v_subrev_nc_u32_e32 v1, s9, v33
	s_mov_b32 s11, 0
	s_mov_b64 s[2:3], 0
	s_mov_b32 s5, s4
	s_mov_b32 s6, s4
	v_cmp_lt_u32_e32 vcc_lo, 1, v1
	s_mov_b32 s7, s4
	v_cndmask_b32_e32 v6, 1, v1, vcc_lo
	.p2align	6
.LBB244_4:                              ; =>This Inner Loop Header: Depth=1
	s_cmp_lg_u32 s2, 3
	s_cselect_b32 s7, s7, 0
	s_cmp_lg_u32 s2, 2
	s_cselect_b32 s6, s6, 0
	;; [unrolled: 2-line block ×4, first 2 shown]
	s_add_u32 s2, s2, 1
	v_dual_mov_b32 v1, s4 :: v_dual_mov_b32 v2, s5
	v_cmp_eq_u32_e32 vcc_lo, s2, v6
	v_dual_mov_b32 v3, s6 :: v_dual_mov_b32 v4, s7
	s_addc_u32 s3, s3, 0
	s_or_b32 s11, vcc_lo, s11
	s_delay_alu instid0(SALU_CYCLE_1)
	s_and_not1_b32 exec_lo, exec_lo, s11
	s_cbranch_execnz .LBB244_4
; %bb.5:
	s_or_b32 exec_lo, exec_lo, s11
	v_mov_b32_e32 v33, s9
.LBB244_6:
	s_or_b32 exec_lo, exec_lo, s10
.LBB244_7:
	s_delay_alu instid0(SALU_CYCLE_1)
	s_or_b32 exec_lo, exec_lo, s8
	s_lshl_b32 s2, s20, 2
	s_abs_i32 s6, s19
	s_abs_i32 s3, s2
	s_mov_b32 s23, 0
	v_cvt_f32_u32_e32 v6, s3
	s_sub_i32 s5, 0, s3
	s_delay_alu instid0(VALU_DEP_1) | instskip(SKIP_2) | instid1(VALU_DEP_1)
	v_rcp_iflag_f32_e32 v6, v6
	s_waitcnt_depctr 0xfff
	v_mul_f32_e32 v6, 0x4f7ffffe, v6
	v_cvt_u32_f32_e32 v6, v6
	s_delay_alu instid0(VALU_DEP_1) | instskip(NEXT) | instid1(VALU_DEP_1)
	v_readfirstlane_b32 s4, v6
	s_mul_i32 s5, s5, s4
	s_delay_alu instid0(SALU_CYCLE_1) | instskip(NEXT) | instid1(SALU_CYCLE_1)
	s_mul_hi_u32 s5, s4, s5
	s_add_i32 s4, s4, s5
	s_ashr_i32 s5, s19, 31
	s_mul_hi_u32 s4, s6, s4
	s_delay_alu instid0(SALU_CYCLE_1) | instskip(NEXT) | instid1(SALU_CYCLE_1)
	s_mul_i32 s4, s4, s3
	s_sub_i32 s4, s6, s4
	s_delay_alu instid0(SALU_CYCLE_1) | instskip(SKIP_2) | instid1(SALU_CYCLE_1)
	s_sub_i32 s6, s4, s3
	s_cmp_ge_u32 s4, s3
	s_cselect_b32 s4, s6, s4
	s_sub_i32 s6, s4, s3
	s_cmp_ge_u32 s4, s3
	s_cselect_b32 s3, s6, s4
	s_add_i32 s2, s2, s19
	s_xor_b32 s3, s3, s5
	s_delay_alu instid0(SALU_CYCLE_1) | instskip(NEXT) | instid1(SALU_CYCLE_1)
	s_sub_i32 s3, s3, s5
	s_sub_i32 s2, s2, s3
	s_cmp_eq_u32 s3, 0
	s_cselect_b32 s22, s19, s2
	s_delay_alu instid0(SALU_CYCLE_1)
	v_cmp_gt_u32_e32 vcc_lo, s22, v33
	s_and_b32 exec_lo, exec_lo, vcc_lo
	s_cbranch_execz .LBB244_110
; %bb.8:
	s_load_b256 s[8:15], s[0:1], 0x10
	s_min_u32 s24, s18, 0x2a00
	s_cmp_lg_u32 s16, 0
	s_mul_i32 s2, s21, s20
	s_cselect_b32 s25, -1, 0
	s_cmp_lg_u32 s18, 0
	v_and_b32_e32 v8, 0x3ff, v0
	s_cselect_b32 s21, -1, 0
	s_lshl_b32 s26, s20, 9
	s_add_i32 s27, s16, -8
	s_add_i32 s28, s19, -1
	s_lshl_b32 s29, s2, 2
	s_load_b64 s[6:7], s[0:1], 0x30
	v_cmp_eq_u32_e64 s0, 63, v8
	v_mbcnt_lo_u32_b32 v0, -1, 0
	v_lshlrev_b32_e32 v45, 3, v8
	v_lshlrev_b32_e32 v8, 4, v8
	s_waitcnt lgkmcnt(0)
	s_cmp_lg_u64 s[14:15], 0
	v_cvt_f32_u32_e32 v7, s8
	s_cselect_b32 s30, -1, 0
	s_abs_i32 s2, s9
	s_add_i32 s9, s19, -4
	v_cvt_f32_u32_e32 v6, s2
	v_rcp_iflag_f32_e32 v7, v7
	s_sub_i32 s3, 0, s2
	s_sub_i32 s4, 0, s8
	;; [unrolled: 1-line block ×3, first 2 shown]
	v_rcp_iflag_f32_e32 v6, v6
	v_lshl_add_u32 v46, v5, 9, v45
	v_mov_b32_e32 v36, 0
	v_lshl_add_u32 v47, v5, 10, v8
	s_delay_alu instid0(VALU_DEP_3) | instskip(SKIP_3) | instid1(VALU_DEP_1)
	v_add_nc_u32_e32 v49, s18, v46
	v_lshl_add_u32 v48, s18, 1, v46
	s_waitcnt_depctr 0xfff
	v_mul_f32_e32 v6, 0x4f7ffffe, v6
	v_cvt_u32_f32_e32 v6, v6
	s_delay_alu instid0(VALU_DEP_1) | instskip(SKIP_1) | instid1(VALU_DEP_2)
	v_readfirstlane_b32 s1, v6
	v_mul_f32_e32 v6, 0x4f7ffffe, v7
	s_mul_i32 s3, s3, s1
	s_delay_alu instid0(VALU_DEP_1) | instskip(SKIP_1) | instid1(SALU_CYCLE_1)
	v_cvt_u32_f32_e32 v6, v6
	s_mul_hi_u32 s3, s1, s3
	s_add_i32 s1, s1, s3
	s_cmp_lt_u32 s2, 2
	s_delay_alu instid0(VALU_DEP_1) | instskip(SKIP_1) | instid1(SALU_CYCLE_1)
	v_mul_lo_u32 v7, s4, v6
	s_cselect_b32 s3, s5, 1
	s_sub_i32 s4, s3, s2
	s_cmp_ge_u32 s3, s2
	s_cselect_b32 s31, s4, s3
	s_lshr_b32 s1, s1, 31
	s_delay_alu instid0(VALU_DEP_1) | instskip(SKIP_3) | instid1(SALU_CYCLE_1)
	v_mul_hi_u32 v7, v6, v7
	s_mul_i32 s1, s1, s2
	s_mul_i32 s31, s31, s8
	s_sub_i32 s1, 2, s1
	s_sub_i32 s3, s1, s2
	s_cmp_ge_u32 s1, s2
	s_cselect_b32 s1, s3, s1
	s_delay_alu instid0(VALU_DEP_1)
	v_add_nc_u32_e32 v50, v6, v7
	s_sub_i32 s3, s1, s2
	s_cmp_ge_u32 s1, s2
	s_cselect_b32 s36, s3, s1
	s_add_u32 s33, s6, 2
	s_addc_u32 s34, s7, 0
	s_lshl_b32 s35, s24, 2
	s_lshl_b32 s20, s20, 10
	s_mul_i32 s36, s36, s8
	s_lshl_b32 s37, s24, 1
	s_branch .LBB244_12
.LBB244_9:                              ;   in Loop: Header=BB244_12 Depth=1
	s_or_b32 exec_lo, exec_lo, s40
	v_mov_b32_e32 v33, s9
.LBB244_10:                             ;   in Loop: Header=BB244_12 Depth=1
	s_or_b32 exec_lo, exec_lo, s39
.LBB244_11:                             ;   in Loop: Header=BB244_12 Depth=1
	s_delay_alu instid0(SALU_CYCLE_1) | instskip(NEXT) | instid1(VALU_DEP_1)
	s_or_b32 exec_lo, exec_lo, s38
	v_cmp_le_u32_e32 vcc_lo, s22, v33
	s_or_b32 s23, vcc_lo, s23
	s_delay_alu instid0(SALU_CYCLE_1)
	s_and_not1_b32 exec_lo, exec_lo, s23
	s_cbranch_execz .LBB244_110
.LBB244_12:                             ; =>This Loop Header: Depth=1
                                        ;     Child Loop BB244_16 Depth 2
                                        ;       Child Loop BB244_21 Depth 3
                                        ;     Child Loop BB244_108 Depth 2
	s_waitcnt vmcnt(11)
	v_mov_b32_e32 v34, v36
	v_mov_b32_e32 v51, v36
	;; [unrolled: 1-line block ×12, first 2 shown]
	s_and_not1_b32 vcc_lo, exec_lo, s25
	s_mov_b32 s3, 0
	s_cbranch_vccnz .LBB244_27
; %bb.13:                               ;   in Loop: Header=BB244_12 Depth=1
	v_dual_mov_b32 v61, 0 :: v_dual_add_nc_u32 v6, 2, v33
	v_add_nc_u32_e32 v5, 1, v33
	v_add_nc_u32_e32 v7, 3, v33
	s_waitcnt lgkmcnt(2)
	v_min_u32_e32 v8, s28, v33
	v_min_u32_e32 v6, s28, v6
	v_dual_mov_b32 v10, v36 :: v_dual_mov_b32 v57, 0
	v_cmp_gt_u32_e64 s1, s19, v33
	s_delay_alu instid0(VALU_DEP_4)
	v_mul_lo_u32 v35, v8, s17
	v_mov_b32_e32 v8, v36
	v_min_u32_e32 v9, s28, v7
	v_mul_lo_u32 v7, v6, s17
	v_mov_b32_e32 v6, v36
	v_min_u32_e32 v5, s28, v5
	v_dual_mov_b32 v58, 0 :: v_dual_mov_b32 v59, 0
	v_mul_lo_u32 v9, v9, s17
	v_lshlrev_b64 v[37:38], 1, v[35:36]
	s_delay_alu instid0(VALU_DEP_4)
	v_mul_lo_u32 v5, v5, s17
	s_waitcnt vmcnt(7)
	v_lshlrev_b64 v[41:42], 1, v[7:8]
	v_dual_mov_b32 v60, 0 :: v_dual_mov_b32 v55, 0
	v_dual_mov_b32 v56, 0 :: v_dual_mov_b32 v53, 0
	v_lshlrev_b64 v[43:44], 1, v[9:10]
	v_dual_mov_b32 v54, 0 :: v_dual_mov_b32 v51, 0
	s_waitcnt vmcnt(5)
	v_lshlrev_b64 v[39:40], 1, v[5:6]
	v_mov_b32_e32 v52, 0
	v_mov_b32_e32 v34, 0
	s_mov_b32 s4, 0
	s_branch .LBB244_16
.LBB244_14:                             ;   in Loop: Header=BB244_16 Depth=2
	s_or_b32 exec_lo, exec_lo, s5
	s_waitcnt lgkmcnt(2)
	v_and_b32_e32 v63, 0xffff0000, v30
	s_waitcnt vmcnt(3)
	v_and_b32_e32 v64, 0xffff0000, v26
	v_and_b32_e32 v35, 0xffff0000, v29
	;; [unrolled: 1-line block ×4, first 2 shown]
	s_delay_alu instid0(VALU_DEP_4)
	v_dual_mul_f32 v66, v63, v64 :: v_dual_lshlrev_b32 v27, 16, v27
	v_and_b32_e32 v67, 0xffff0000, v31
	v_and_b32_e32 v62, 0xffff0000, v25
	v_lshlrev_b32_e32 v31, 16, v31
	v_and_b32_e32 v70, 0xffff0000, v28
	v_lshlrev_b32_e32 v30, 16, v30
	s_waitcnt vmcnt(2)
	v_and_b32_e32 v73, 0xffff0000, v22
	v_dual_mul_f32 v65, v35, v62 :: v_dual_lshlrev_b32 v32, 16, v32
	v_mul_f32_e32 v71, v69, v70
	v_lshlrev_b32_e32 v22, 16, v22
	v_lshlrev_b32_e32 v28, 16, v28
	;; [unrolled: 1-line block ×3, first 2 shown]
	s_waitcnt vmcnt(1)
	v_and_b32_e32 v77, 0xffff0000, v19
	s_waitcnt lgkmcnt(1)
	v_dual_fmac_f32 v71, v32, v28 :: v_dual_and_b32 v82, 0xffff0000, v11
	v_dual_fmac_f32 v66, v30, v26 :: v_dual_lshlrev_b32 v29, 16, v29
	v_lshlrev_b32_e32 v25, 16, v25
	s_delay_alu instid0(VALU_DEP_1) | instskip(NEXT) | instid1(VALU_DEP_1)
	v_fmac_f32_e32 v65, v29, v25
	v_add_f32_e32 v58, v58, v65
	s_delay_alu instid0(VALU_DEP_1) | instskip(SKIP_1) | instid1(VALU_DEP_1)
	v_add_f32_e32 v58, v58, v66
	v_and_b32_e32 v66, 0xffff0000, v21
	v_dual_mul_f32 v72, v35, v66 :: v_dual_lshlrev_b32 v21, 16, v21
	v_mul_f32_e32 v65, v67, v68
	v_and_b32_e32 v75, 0xffff0000, v18
	v_lshlrev_b32_e32 v18, 16, v18
	s_delay_alu instid0(VALU_DEP_3) | instskip(NEXT) | instid1(VALU_DEP_1)
	v_dual_fmac_f32 v72, v29, v21 :: v_dual_fmac_f32 v65, v31, v27
	v_dual_add_f32 v61, v61, v72 :: v_dual_add_f32 v58, v58, v65
	v_and_b32_e32 v72, 0xffff0000, v23
	v_lshlrev_b32_e32 v23, 16, v23
	s_delay_alu instid0(VALU_DEP_3) | instskip(NEXT) | instid1(VALU_DEP_3)
	v_add_f32_e32 v58, v58, v71
	v_dual_mul_f32 v76, v67, v72 :: v_dual_and_b32 v71, 0xffff0000, v17
	v_mul_f32_e32 v65, v63, v73
	s_delay_alu instid0(VALU_DEP_2) | instskip(NEXT) | instid1(VALU_DEP_2)
	v_dual_fmac_f32 v76, v31, v23 :: v_dual_lshlrev_b32 v17, 16, v17
	v_dual_mul_f32 v74, v35, v71 :: v_dual_fmac_f32 v65, v30, v22
	s_delay_alu instid0(VALU_DEP_1) | instskip(NEXT) | instid1(VALU_DEP_1)
	v_fmac_f32_e32 v74, v29, v17
	v_dual_add_f32 v61, v61, v65 :: v_dual_add_f32 v60, v60, v74
	v_mul_f32_e32 v74, v67, v77
	v_mul_f32_e32 v65, v63, v75
	s_delay_alu instid0(VALU_DEP_3) | instskip(NEXT) | instid1(VALU_DEP_2)
	v_add_f32_e32 v61, v61, v76
	v_fmac_f32_e32 v65, v30, v18
	s_delay_alu instid0(VALU_DEP_1) | instskip(SKIP_1) | instid1(VALU_DEP_1)
	v_dual_add_f32 v60, v60, v65 :: v_dual_lshlrev_b32 v19, 16, v19
	s_waitcnt vmcnt(0)
	v_dual_fmac_f32 v74, v31, v19 :: v_dual_and_b32 v65, 0xffff0000, v13
	s_delay_alu instid0(VALU_DEP_1) | instskip(SKIP_1) | instid1(VALU_DEP_3)
	v_dual_mul_f32 v35, v35, v65 :: v_dual_and_b32 v78, 0xffff0000, v24
	v_lshlrev_b32_e32 v24, 16, v24
	v_add_f32_e32 v60, v60, v74
	s_delay_alu instid0(VALU_DEP_3)
	v_mul_f32_e32 v79, v69, v78
	v_and_b32_e32 v74, 0xffff0000, v14
	v_lshlrev_b32_e32 v14, 16, v14
	v_and_b32_e32 v80, 0xffff0000, v15
	v_lshlrev_b32_e32 v13, 16, v13
	v_fmac_f32_e32 v79, v32, v24
	v_and_b32_e32 v76, 0xffff0000, v20
	v_lshlrev_b32_e32 v20, 16, v20
	v_lshlrev_b32_e32 v15, 16, v15
	v_fmac_f32_e32 v35, v29, v13
	v_mul_f32_e32 v29, v63, v74
	v_add_f32_e32 v61, v61, v79
	s_delay_alu instid0(VALU_DEP_3) | instskip(NEXT) | instid1(VALU_DEP_3)
	v_add_f32_e32 v35, v57, v35
	v_dual_fmac_f32 v29, v30, v14 :: v_dual_mul_f32 v30, v67, v80
	v_mul_f32_e32 v63, v69, v76
	v_lshlrev_b32_e32 v11, 16, v11
	s_delay_alu instid0(VALU_DEP_3) | instskip(SKIP_4) | instid1(VALU_DEP_4)
	v_add_f32_e32 v29, v35, v29
	v_and_b32_e32 v35, 0xffff0000, v10
	v_lshlrev_b32_e32 v10, 16, v10
	v_dual_fmac_f32 v30, v31, v15 :: v_dual_fmac_f32 v63, v32, v20
	v_and_b32_e32 v31, 0xffff0000, v16
	v_mul_f32_e32 v67, v35, v64
	s_delay_alu instid0(VALU_DEP_3) | instskip(NEXT) | instid1(VALU_DEP_2)
	v_dual_add_f32 v29, v29, v30 :: v_dual_lshlrev_b32 v16, 16, v16
	v_dual_add_f32 v60, v60, v63 :: v_dual_fmac_f32 v67, v10, v26
	v_and_b32_e32 v81, 0xffff0000, v9
	v_lshlrev_b32_e32 v9, 16, v9
	s_delay_alu instid0(VALU_DEP_2) | instskip(NEXT) | instid1(VALU_DEP_1)
	v_mul_f32_e32 v57, v81, v62
	v_fmac_f32_e32 v57, v9, v25
	s_delay_alu instid0(VALU_DEP_1) | instskip(NEXT) | instid1(VALU_DEP_1)
	v_add_f32_e32 v57, v59, v57
	v_dual_mul_f32 v59, v82, v68 :: v_dual_add_f32 v30, v57, v67
	s_delay_alu instid0(VALU_DEP_1) | instskip(NEXT) | instid1(VALU_DEP_1)
	v_fmac_f32_e32 v59, v11, v27
	v_dual_mul_f32 v79, v81, v65 :: v_dual_add_f32 v30, v30, v59
	v_mul_f32_e32 v59, v81, v71
	v_mul_f32_e32 v63, v35, v73
	s_delay_alu instid0(VALU_DEP_3) | instskip(NEXT) | instid1(VALU_DEP_3)
	v_fmac_f32_e32 v79, v9, v13
	v_fmac_f32_e32 v59, v9, v17
	s_delay_alu instid0(VALU_DEP_1) | instskip(SKIP_1) | instid1(VALU_DEP_1)
	v_dual_fmac_f32 v63, v10, v22 :: v_dual_add_f32 v56, v56, v59
	v_mul_f32_e32 v69, v69, v31
	v_fmac_f32_e32 v69, v32, v16
	v_and_b32_e32 v32, 0xffff0000, v12
	s_delay_alu instid0(VALU_DEP_2) | instskip(SKIP_2) | instid1(VALU_DEP_2)
	v_dual_add_f32 v57, v29, v69 :: v_dual_lshlrev_b32 v12, 16, v12
	v_mul_f32_e32 v29, v81, v66
	v_mul_f32_e32 v69, v35, v75
	v_fmac_f32_e32 v29, v9, v21
	v_mul_f32_e32 v9, v35, v74
	s_delay_alu instid0(VALU_DEP_3)
	v_fmac_f32_e32 v69, v10, v18
	s_waitcnt lgkmcnt(0)
	v_dual_add_f32 v35, v54, v79 :: v_dual_and_b32 v54, 0xffff0000, v6
	v_add_f32_e32 v29, v55, v29
	v_fmac_f32_e32 v9, v10, v14
	v_mul_f32_e32 v10, v82, v80
	v_dual_add_f32 v56, v56, v69 :: v_dual_mul_f32 v55, v82, v72
	s_delay_alu instid0(VALU_DEP_3) | instskip(NEXT) | instid1(VALU_DEP_3)
	v_dual_add_f32 v9, v35, v9 :: v_dual_lshlrev_b32 v6, 16, v6
	v_fmac_f32_e32 v10, v11, v15
	s_delay_alu instid0(VALU_DEP_1) | instskip(SKIP_4) | instid1(VALU_DEP_3)
	v_dual_add_f32 v9, v9, v10 :: v_dual_and_b32 v10, 0xffff0000, v7
	v_lshlrev_b32_e32 v7, 16, v7
	v_mul_f32_e32 v59, v82, v77
	v_fmac_f32_e32 v55, v11, v23
	v_add_f32_e32 v29, v29, v63
	v_fmac_f32_e32 v59, v11, v19
	v_mul_f32_e32 v11, v32, v31
	s_delay_alu instid0(VALU_DEP_3) | instskip(NEXT) | instid1(VALU_DEP_3)
	v_add_f32_e32 v29, v29, v55
	v_add_f32_e32 v56, v56, v59
	s_delay_alu instid0(VALU_DEP_3) | instskip(SKIP_1) | instid1(VALU_DEP_1)
	v_fmac_f32_e32 v11, v12, v16
	v_mul_f32_e32 v63, v32, v78
	v_fmac_f32_e32 v63, v12, v24
	s_delay_alu instid0(VALU_DEP_1) | instskip(SKIP_3) | instid1(VALU_DEP_1)
	v_add_f32_e32 v55, v29, v63
	v_and_b32_e32 v29, 0xffff0000, v5
	v_lshlrev_b32_e32 v5, 16, v5
	v_mul_f32_e32 v67, v32, v70
	v_fmac_f32_e32 v67, v12, v28
	s_delay_alu instid0(VALU_DEP_1) | instskip(NEXT) | instid1(VALU_DEP_1)
	v_dual_add_f32 v59, v30, v67 :: v_dual_mul_f32 v30, v29, v62
	v_dual_fmac_f32 v30, v5, v25 :: v_dual_mul_f32 v25, v54, v64
	s_delay_alu instid0(VALU_DEP_1) | instskip(NEXT) | instid1(VALU_DEP_2)
	v_add_f32_e32 v30, v53, v30
	v_fmac_f32_e32 v25, v6, v26
	v_mul_f32_e32 v26, v29, v66
	s_delay_alu instid0(VALU_DEP_1) | instskip(NEXT) | instid1(VALU_DEP_1)
	v_fmac_f32_e32 v26, v5, v21
	v_dual_mul_f32 v21, v54, v73 :: v_dual_add_f32 v26, v52, v26
	s_delay_alu instid0(VALU_DEP_1) | instskip(SKIP_1) | instid1(VALU_DEP_1)
	v_fmac_f32_e32 v21, v6, v22
	v_mul_f32_e32 v22, v10, v72
	v_dual_add_f32 v21, v26, v21 :: v_dual_fmac_f32 v22, v7, v23
	v_mul_f32_e32 v23, v29, v71
	s_delay_alu instid0(VALU_DEP_2) | instskip(SKIP_1) | instid1(VALU_DEP_3)
	v_add_f32_e32 v21, v21, v22
	v_mul_f32_e32 v69, v32, v76
	v_fmac_f32_e32 v23, v5, v17
	v_mul_f32_e32 v17, v54, v75
	s_delay_alu instid0(VALU_DEP_3) | instskip(SKIP_1) | instid1(VALU_DEP_3)
	v_dual_fmac_f32 v69, v12, v20 :: v_dual_add_f32 v12, v30, v25
	v_mul_f32_e32 v25, v10, v68
	v_dual_fmac_f32 v17, v6, v18 :: v_dual_and_b32 v30, 0xffff0000, v8
	v_mul_f32_e32 v18, v10, v77
	s_delay_alu instid0(VALU_DEP_3) | instskip(NEXT) | instid1(VALU_DEP_3)
	v_dual_fmac_f32 v25, v7, v27 :: v_dual_lshlrev_b32 v8, 16, v8
	v_mul_f32_e32 v27, v30, v70
	v_mul_f32_e32 v22, v30, v78
	s_delay_alu instid0(VALU_DEP_4) | instskip(SKIP_4) | instid1(VALU_DEP_2)
	v_fmac_f32_e32 v18, v7, v19
	v_add_f32_e32 v56, v56, v69
	v_add_f32_e32 v12, v12, v25
	v_mul_f32_e32 v25, v29, v65
	v_fmac_f32_e32 v27, v8, v28
	v_dual_fmac_f32 v22, v8, v24 :: v_dual_fmac_f32 v25, v5, v13
	v_mul_f32_e32 v5, v54, v74
	s_delay_alu instid0(VALU_DEP_2) | instskip(NEXT) | instid1(VALU_DEP_3)
	v_dual_add_f32 v52, v21, v22 :: v_dual_add_f32 v13, v51, v23
	v_dual_add_f32 v54, v9, v11 :: v_dual_add_f32 v23, v34, v25
	s_delay_alu instid0(VALU_DEP_3) | instskip(SKIP_1) | instid1(VALU_DEP_4)
	v_fmac_f32_e32 v5, v6, v14
	v_mul_f32_e32 v6, v10, v80
	v_dual_add_f32 v10, v13, v17 :: v_dual_mul_f32 v13, v30, v76
	v_add_f32_e32 v53, v12, v27
	s_delay_alu instid0(VALU_DEP_4) | instskip(NEXT) | instid1(VALU_DEP_4)
	v_add_f32_e32 v5, v23, v5
	v_fmac_f32_e32 v6, v7, v15
	v_mul_f32_e32 v7, v30, v31
	v_dual_add_f32 v10, v10, v18 :: v_dual_fmac_f32 v13, v8, v20
	s_delay_alu instid0(VALU_DEP_3) | instskip(NEXT) | instid1(VALU_DEP_3)
	v_add_f32_e32 v5, v5, v6
	v_fmac_f32_e32 v7, v8, v16
	s_delay_alu instid0(VALU_DEP_1)
	v_dual_add_f32 v51, v10, v13 :: v_dual_add_f32 v34, v5, v7
.LBB244_15:                             ;   in Loop: Header=BB244_16 Depth=2
	s_or_b32 exec_lo, exec_lo, s2
	s_addk_i32 s4, 0x200
	s_delay_alu instid0(SALU_CYCLE_1)
	s_cmp_ge_u32 s4, s16
	s_cbranch_scc1 .LBB244_27
.LBB244_16:                             ;   Parent Loop BB244_12 Depth=1
                                        ; =>  This Loop Header: Depth=2
                                        ;       Child Loop BB244_21 Depth 3
	s_cmp_eq_u32 s4, 0
	s_cselect_b32 s5, -1, 0
	s_add_i32 s2, s3, s24
	s_delay_alu instid0(SALU_CYCLE_1) | instskip(SKIP_1) | instid1(SALU_CYCLE_1)
	s_cmp_eq_u32 s4, s2
	s_cselect_b32 s38, -1, 0
	s_or_b32 s38, s5, s38
	s_delay_alu instid0(SALU_CYCLE_1)
	s_and_not1_b32 vcc_lo, exec_lo, s38
	s_cbranch_vccz .LBB244_18
; %bb.17:                               ;   in Loop: Header=BB244_16 Depth=2
	s_and_saveexec_b32 s2, s1
	s_cbranch_execz .LBB244_15
	s_branch .LBB244_25
.LBB244_18:                             ;   in Loop: Header=BB244_16 Depth=2
	s_and_b32 s5, s5, exec_lo
	s_cselect_b32 s3, s3, s2
	s_and_not1_b32 vcc_lo, exec_lo, s21
	s_waitcnt vmcnt(0) lgkmcnt(0)
	s_waitcnt_vscnt null, 0x0
	s_barrier
	buffer_gl0_inv
	s_cbranch_vccnz .LBB244_24
; %bb.19:                               ;   in Loop: Header=BB244_16 Depth=2
	v_dual_mov_b32 v8, v47 :: v_dual_add_nc_u32 v5, s3, v48
	v_add_nc_u32_e32 v6, s3, v49
	v_add_nc_u32_e32 v7, s3, v46
	s_mov_b32 s5, 0
	s_mov_b32 s38, 0
                                        ; implicit-def: $sgpr39
	s_branch .LBB244_21
.LBB244_20:                             ;   in Loop: Header=BB244_21 Depth=3
	s_or_b32 exec_lo, exec_lo, s2
	s_delay_alu instid0(SALU_CYCLE_1) | instskip(NEXT) | instid1(SALU_CYCLE_1)
	s_and_b32 s2, exec_lo, s39
	s_or_b32 s5, s2, s5
	s_delay_alu instid0(SALU_CYCLE_1)
	s_and_not1_b32 exec_lo, exec_lo, s5
	s_cbranch_execz .LBB244_23
.LBB244_21:                             ;   Parent Loop BB244_12 Depth=1
                                        ;     Parent Loop BB244_16 Depth=2
                                        ; =>    This Inner Loop Header: Depth=3
	s_delay_alu instid0(VALU_DEP_1) | instskip(SKIP_2) | instid1(VALU_DEP_2)
	v_add_nc_u32_e32 v35, s38, v7
	v_add_nc_u32_e32 v9, s38, v46
	s_or_b32 s39, s39, exec_lo
	v_cmp_gt_u32_e32 vcc_lo, s18, v35
	s_delay_alu instid0(VALU_DEP_2) | instskip(NEXT) | instid1(VALU_DEP_1)
	v_cmp_gt_u32_e64 s2, s24, v9
	s_and_b32 s40, s2, vcc_lo
	s_delay_alu instid0(SALU_CYCLE_1)
	s_and_saveexec_b32 s2, s40
	s_cbranch_execz .LBB244_20
; %bb.22:                               ;   in Loop: Header=BB244_21 Depth=3
	v_lshlrev_b64 v[9:10], 1, v[35:36]
	v_add_nc_u32_e32 v35, s38, v6
	v_add_nc_u32_e32 v21, s37, v8
	;; [unrolled: 1-line block ×3, first 2 shown]
	s_delay_alu instid0(VALU_DEP_3) | instskip(SKIP_3) | instid1(VALU_DEP_3)
	v_lshlrev_b64 v[11:12], 1, v[35:36]
	v_add_nc_u32_e32 v35, s38, v5
	v_add_co_u32 v9, vcc_lo, s12, v9
	v_add_co_ci_u32_e32 v10, vcc_lo, s13, v10, vcc_lo
	v_lshlrev_b64 v[13:14], 1, v[35:36]
	v_add_co_u32 v15, vcc_lo, s12, v11
	v_add_co_ci_u32_e32 v16, vcc_lo, s13, v12, vcc_lo
	s_add_i32 s38, s38, s26
	s_delay_alu instid0(VALU_DEP_3) | instskip(NEXT) | instid1(VALU_DEP_4)
	v_add_co_u32 v17, vcc_lo, s12, v13
	v_add_co_ci_u32_e32 v18, vcc_lo, s13, v14, vcc_lo
	s_clause 0x2
	global_load_b128 v[9:12], v[9:10], off
	global_load_b128 v[13:16], v[15:16], off
	;; [unrolled: 1-line block ×3, first 2 shown]
	s_cmp_ge_u32 s38, s24
	s_cselect_b32 s40, -1, 0
	s_and_not1_b32 s39, s39, exec_lo
	s_and_b32 s40, s40, exec_lo
	s_delay_alu instid0(SALU_CYCLE_1)
	s_or_b32 s39, s39, s40
	s_waitcnt vmcnt(2)
	ds_store_b128 v8, v[9:12]
	v_add_nc_u32_e32 v8, s20, v8
	s_waitcnt vmcnt(1)
	ds_store_2addr_b64 v21, v[13:14], v[15:16] offset1:1
	s_waitcnt vmcnt(0)
	ds_store_2addr_b32 v22, v17, v18 offset1:1
	ds_store_2addr_b32 v22, v19, v20 offset0:2 offset1:3
	s_branch .LBB244_20
.LBB244_23:                             ;   in Loop: Header=BB244_16 Depth=2
	s_or_b32 exec_lo, exec_lo, s5
.LBB244_24:                             ;   in Loop: Header=BB244_16 Depth=2
	s_waitcnt lgkmcnt(0)
	s_barrier
	buffer_gl0_inv
	s_and_saveexec_b32 s2, s1
	s_cbranch_execz .LBB244_15
.LBB244_25:                             ;   in Loop: Header=BB244_16 Depth=2
	v_add_nc_u32_e32 v62, s4, v45
	s_waitcnt vmcnt(4)
	v_dual_mov_b32 v32, 0 :: v_dual_mov_b32 v29, 0
	v_mov_b32_e32 v30, 0
	s_mov_b32 s5, exec_lo
	v_min_u32_e32 v35, s27, v62
	v_mov_b32_e32 v31, 0
	s_delay_alu instid0(VALU_DEP_2) | instskip(NEXT) | instid1(VALU_DEP_1)
	v_lshlrev_b64 v[5:6], 1, v[35:36]
	v_add_co_u32 v11, vcc_lo, s10, v5
	s_waitcnt lgkmcnt(0)
	s_delay_alu instid0(VALU_DEP_2) | instskip(NEXT) | instid1(VALU_DEP_2)
	v_add_co_ci_u32_e32 v12, vcc_lo, s11, v6, vcc_lo
	v_add_co_u32 v5, vcc_lo, v11, v37
	s_delay_alu instid0(VALU_DEP_2)
	v_add_co_ci_u32_e32 v6, vcc_lo, v12, v38, vcc_lo
	v_add_co_u32 v7, vcc_lo, v11, v39
	v_add_co_ci_u32_e32 v8, vcc_lo, v12, v40, vcc_lo
	v_add_co_u32 v9, vcc_lo, v11, v41
	;; [unrolled: 2-line block ×3, first 2 shown]
	v_add_co_ci_u32_e32 v12, vcc_lo, v12, v44, vcc_lo
	s_clause 0x3
	global_load_b128 v[25:28], v[5:6], off slc dlc
	global_load_b128 v[21:24], v[7:8], off slc dlc
	;; [unrolled: 1-line block ×4, first 2 shown]
	v_dual_mov_b32 v8, 0 :: v_dual_mov_b32 v5, 0
	v_dual_mov_b32 v7, 0 :: v_dual_mov_b32 v6, 0
	;; [unrolled: 1-line block ×4, first 2 shown]
	v_cmpx_gt_u32_e64 s16, v62
	s_cbranch_execz .LBB244_14
; %bb.26:                               ;   in Loop: Header=BB244_16 Depth=2
	v_subrev_nc_u32_e32 v5, s3, v62
	s_delay_alu instid0(VALU_DEP_1) | instskip(NEXT) | instid1(VALU_DEP_1)
	v_lshlrev_b32_e32 v5, 1, v5
	v_add_nc_u32_e32 v6, s37, v5
	s_delay_alu instid0(VALU_DEP_1)
	v_add_nc_u32_e32 v7, s37, v6
	ds_load_b128 v[29:32], v5
	ds_load_b128 v[9:12], v6
	;; [unrolled: 1-line block ×3, first 2 shown]
	s_branch .LBB244_14
.LBB244_27:                             ;   in Loop: Header=BB244_12 Depth=1
	s_mov_b32 s1, exec_lo
	v_cmpx_le_u32_e64 s19, v33
	s_xor_b32 s1, exec_lo, s1
; %bb.28:                               ;   in Loop: Header=BB244_12 Depth=1
	v_add_nc_u32_e32 v33, s29, v33
                                        ; implicit-def: $vgpr34
                                        ; implicit-def: $vgpr51
                                        ; implicit-def: $vgpr52
                                        ; implicit-def: $vgpr53
                                        ; implicit-def: $vgpr54
                                        ; implicit-def: $vgpr56
                                        ; implicit-def: $vgpr55
                                        ; implicit-def: $vgpr59
                                        ; implicit-def: $vgpr57
                                        ; implicit-def: $vgpr60
                                        ; implicit-def: $vgpr61
                                        ; implicit-def: $vgpr58
; %bb.29:                               ;   in Loop: Header=BB244_12 Depth=1
	s_and_not1_saveexec_b32 s38, s1
	s_cbranch_execz .LBB244_11
; %bb.30:                               ;   in Loop: Header=BB244_12 Depth=1
	v_cvt_i32_f32_e32 v5, v58
	v_cvt_i32_f32_e32 v6, v61
	v_xor_b32_e32 v7, 16, v0
	s_waitcnt lgkmcnt(2)
	v_cvt_i32_f32_e32 v8, v60
	v_cvt_i32_f32_e32 v9, v57
	v_cvt_f32_i32_dpp v5, v5 row_shr:8 row_mask:0xf bank_mask:0xf bound_ctrl:1
	v_cvt_f32_i32_dpp v6, v6 row_shr:8 row_mask:0xf bank_mask:0xf bound_ctrl:1
	v_cmp_gt_i32_e32 vcc_lo, 32, v7
	s_waitcnt lgkmcnt(0)
	v_cvt_i32_f32_e32 v12, v56
	v_cvt_f32_i32_dpp v8, v8 row_shr:8 row_mask:0xf bank_mask:0xf bound_ctrl:1
	v_dual_add_f32 v5, v58, v5 :: v_dual_add_f32 v6, v61, v6
	v_cvt_f32_i32_dpp v9, v9 row_shr:8 row_mask:0xf bank_mask:0xf bound_ctrl:1
	s_delay_alu instid0(VALU_DEP_4) | instskip(SKIP_1) | instid1(VALU_DEP_4)
	v_cvt_f32_i32_dpp v12, v12 row_shr:8 row_mask:0xf bank_mask:0xf bound_ctrl:1
	v_cvt_i32_f32_e32 v10, v59
	v_cvt_i32_f32_e32 v13, v5
	;; [unrolled: 1-line block ×4, first 2 shown]
	v_add_f32_e32 v12, v56, v12
	v_cvt_f32_i32_dpp v10, v10 row_shr:8 row_mask:0xf bank_mask:0xf bound_ctrl:1
	v_cvt_f32_i32_dpp v13, v13 row_shr:4 row_mask:0xf bank_mask:0xf bound_ctrl:1
	;; [unrolled: 1-line block ×3, first 2 shown]
	v_cndmask_b32_e32 v7, v0, v7, vcc_lo
	v_cvt_f32_i32_dpp v11, v11 row_shr:8 row_mask:0xf bank_mask:0xf bound_ctrl:1
	s_delay_alu instid0(VALU_DEP_3) | instskip(SKIP_1) | instid1(VALU_DEP_3)
	v_dual_add_f32 v5, v5, v13 :: v_dual_add_f32 v6, v6, v14
	s_waitcnt vmcnt(0)
	v_lshlrev_b32_e32 v21, 2, v7
	s_delay_alu instid0(VALU_DEP_2) | instskip(NEXT) | instid1(VALU_DEP_1)
	v_cvt_i32_f32_e32 v13, v6
	v_cvt_f32_i32_dpp v13, v13 row_shr:2 row_mask:0xf bank_mask:0xf bound_ctrl:1
	v_dual_add_f32 v7, v60, v8 :: v_dual_add_f32 v8, v57, v9
	s_delay_alu instid0(VALU_DEP_2) | instskip(NEXT) | instid1(VALU_DEP_2)
	v_add_f32_e32 v6, v6, v13
	v_cvt_i32_f32_e32 v14, v7
	s_delay_alu instid0(VALU_DEP_3) | instskip(NEXT) | instid1(VALU_DEP_3)
	v_cvt_i32_f32_e32 v15, v8
	v_cvt_i32_f32_e32 v18, v6
	s_delay_alu instid0(VALU_DEP_3) | instskip(NEXT) | instid1(VALU_DEP_3)
	v_cvt_f32_i32_dpp v13, v14 row_shr:4 row_mask:0xf bank_mask:0xf bound_ctrl:1
	v_cvt_f32_i32_dpp v14, v15 row_shr:4 row_mask:0xf bank_mask:0xf bound_ctrl:1
	v_add_f32_e32 v11, v55, v11
	s_delay_alu instid0(VALU_DEP_4) | instskip(NEXT) | instid1(VALU_DEP_3)
	v_cvt_f32_i32_dpp v18, v18 row_shr:1 row_mask:0xf bank_mask:0xf bound_ctrl:1
	v_dual_add_f32 v7, v7, v13 :: v_dual_add_f32 v8, v8, v14
	v_add_f32_e32 v9, v59, v10
	v_cvt_i32_f32_e32 v10, v5
	v_cvt_i32_f32_e32 v17, v11
	v_add_f32_e32 v30, v6, v18
	s_delay_alu instid0(VALU_DEP_3) | instskip(NEXT) | instid1(VALU_DEP_3)
	v_cvt_f32_i32_dpp v10, v10 row_shr:2 row_mask:0xf bank_mask:0xf bound_ctrl:1
	v_cvt_f32_i32_dpp v17, v17 row_shr:4 row_mask:0xf bank_mask:0xf bound_ctrl:1
	ds_bpermute_b32 v31, v21, v30
	v_add_f32_e32 v5, v5, v10
	v_cvt_i32_f32_e32 v10, v12
	s_delay_alu instid0(VALU_DEP_2) | instskip(NEXT) | instid1(VALU_DEP_2)
	v_cvt_i32_f32_e32 v15, v5
	v_cvt_f32_i32_dpp v10, v10 row_shr:4 row_mask:0xf bank_mask:0xf bound_ctrl:1
	s_delay_alu instid0(VALU_DEP_2) | instskip(NEXT) | instid1(VALU_DEP_2)
	v_cvt_f32_i32_dpp v15, v15 row_shr:1 row_mask:0xf bank_mask:0xf bound_ctrl:1
	v_add_f32_e32 v6, v12, v10
	v_cvt_i32_f32_e32 v10, v7
	s_delay_alu instid0(VALU_DEP_3) | instskip(SKIP_4) | instid1(VALU_DEP_3)
	v_add_f32_e32 v37, v5, v15
	v_add_f32_e32 v5, v11, v17
	v_cvt_i32_f32_e32 v11, v8
	v_cvt_i32_f32_e32 v14, v6
	v_cvt_f32_i32_dpp v10, v10 row_shr:2 row_mask:0xf bank_mask:0xf bound_ctrl:1
	v_cvt_f32_i32_dpp v11, v11 row_shr:2 row_mask:0xf bank_mask:0xf bound_ctrl:1
	s_delay_alu instid0(VALU_DEP_3) | instskip(NEXT) | instid1(VALU_DEP_2)
	v_cvt_f32_i32_dpp v14, v14 row_shr:2 row_mask:0xf bank_mask:0xf bound_ctrl:1
	v_dual_add_f32 v7, v7, v10 :: v_dual_add_f32 v8, v8, v11
	v_cvt_i32_f32_e32 v16, v9
	s_delay_alu instid0(VALU_DEP_3) | instskip(NEXT) | instid1(VALU_DEP_3)
	v_add_f32_e32 v10, v6, v14
	v_cvt_i32_f32_e32 v6, v7
	ds_bpermute_b32 v38, v21, v37
	v_cvt_i32_f32_e32 v11, v8
	v_cvt_f32_i32_dpp v16, v16 row_shr:4 row_mask:0xf bank_mask:0xf bound_ctrl:1
	v_cvt_i32_f32_e32 v14, v10
	v_cvt_f32_i32_dpp v6, v6 row_shr:1 row_mask:0xf bank_mask:0xf bound_ctrl:1
	s_delay_alu instid0(VALU_DEP_4) | instskip(NEXT) | instid1(VALU_DEP_4)
	v_cvt_f32_i32_dpp v11, v11 row_shr:1 row_mask:0xf bank_mask:0xf bound_ctrl:1
	v_add_f32_e32 v9, v9, v16
	s_delay_alu instid0(VALU_DEP_4) | instskip(NEXT) | instid1(VALU_DEP_4)
	v_cvt_f32_i32_dpp v14, v14 row_shr:1 row_mask:0xf bank_mask:0xf bound_ctrl:1
	v_add_f32_e32 v27, v7, v6
	v_cvt_i32_f32_e32 v7, v53
	v_add_f32_e32 v6, v8, v11
	v_cvt_i32_f32_e32 v12, v9
	v_cvt_i32_f32_e32 v8, v52
	v_add_f32_e32 v15, v10, v14
	v_cvt_i32_f32_e32 v10, v34
	v_cvt_f32_i32_dpp v7, v7 row_shr:8 row_mask:0xf bank_mask:0xf bound_ctrl:1
	v_cvt_f32_i32_dpp v12, v12 row_shr:2 row_mask:0xf bank_mask:0xf bound_ctrl:1
	;; [unrolled: 1-line block ×3, first 2 shown]
	ds_bpermute_b32 v26, v21, v6
	v_cvt_f32_i32_dpp v10, v10 row_shr:8 row_mask:0xf bank_mask:0xf bound_ctrl:1
	v_add_f32_e32 v9, v9, v12
	v_add_f32_e32 v8, v52, v8
	s_delay_alu instid0(VALU_DEP_3) | instskip(NEXT) | instid1(VALU_DEP_3)
	v_add_f32_e32 v10, v34, v10
	v_cvt_i32_f32_e32 v12, v9
	s_delay_alu instid0(VALU_DEP_2) | instskip(NEXT) | instid1(VALU_DEP_2)
	v_cvt_i32_f32_e32 v17, v10
	v_cvt_f32_i32_dpp v12, v12 row_shr:1 row_mask:0xf bank_mask:0xf bound_ctrl:1
	s_delay_alu instid0(VALU_DEP_2) | instskip(SKIP_1) | instid1(VALU_DEP_3)
	v_cvt_f32_i32_dpp v17, v17 row_shr:4 row_mask:0xf bank_mask:0xf bound_ctrl:1
	v_add_f32_e32 v7, v53, v7
	v_add_f32_e32 v22, v9, v12
	v_cvt_i32_f32_e32 v13, v5
	v_cvt_i32_f32_e32 v9, v51
	v_add_f32_e32 v10, v10, v17
	v_cvt_i32_f32_e32 v12, v7
	ds_bpermute_b32 v24, v21, v22
	v_cvt_f32_i32_dpp v13, v13 row_shr:2 row_mask:0xf bank_mask:0xf bound_ctrl:1
	v_cvt_f32_i32_dpp v9, v9 row_shr:8 row_mask:0xf bank_mask:0xf bound_ctrl:1
	v_cvt_i32_f32_e32 v17, v10
	v_cvt_f32_i32_dpp v12, v12 row_shr:4 row_mask:0xf bank_mask:0xf bound_ctrl:1
	s_delay_alu instid0(VALU_DEP_4) | instskip(NEXT) | instid1(VALU_DEP_4)
	v_add_f32_e32 v5, v5, v13
	v_add_f32_e32 v9, v51, v9
	s_delay_alu instid0(VALU_DEP_4) | instskip(NEXT) | instid1(VALU_DEP_4)
	v_cvt_f32_i32_dpp v17, v17 row_shr:2 row_mask:0xf bank_mask:0xf bound_ctrl:1
	v_add_f32_e32 v7, v7, v12
	s_delay_alu instid0(VALU_DEP_4) | instskip(NEXT) | instid1(VALU_DEP_4)
	v_cvt_i32_f32_e32 v13, v5
	v_cvt_i32_f32_e32 v14, v9
	s_delay_alu instid0(VALU_DEP_4) | instskip(NEXT) | instid1(VALU_DEP_4)
	v_add_f32_e32 v10, v10, v17
	v_cvt_i32_f32_e32 v12, v7
	s_delay_alu instid0(VALU_DEP_4) | instskip(NEXT) | instid1(VALU_DEP_4)
	v_cvt_f32_i32_dpp v13, v13 row_shr:1 row_mask:0xf bank_mask:0xf bound_ctrl:1
	v_cvt_f32_i32_dpp v14, v14 row_shr:4 row_mask:0xf bank_mask:0xf bound_ctrl:1
	s_delay_alu instid0(VALU_DEP_4) | instskip(NEXT) | instid1(VALU_DEP_4)
	v_cvt_i32_f32_e32 v17, v10
	v_cvt_f32_i32_dpp v12, v12 row_shr:2 row_mask:0xf bank_mask:0xf bound_ctrl:1
	s_delay_alu instid0(VALU_DEP_4)
	v_add_f32_e32 v19, v5, v13
	v_cvt_i32_f32_e32 v5, v54
	v_cvt_i32_f32_e32 v13, v8
	v_add_f32_e32 v9, v9, v14
	v_add_f32_e32 v7, v7, v12
	ds_bpermute_b32 v20, v21, v19
	v_cvt_f32_i32_dpp v5, v5 row_shr:8 row_mask:0xf bank_mask:0xf bound_ctrl:1
	v_cvt_f32_i32_dpp v13, v13 row_shr:4 row_mask:0xf bank_mask:0xf bound_ctrl:1
	v_cvt_i32_f32_e32 v14, v9
	v_cvt_i32_f32_e32 v12, v7
	v_cvt_f32_i32_dpp v23, v17 row_shr:1 row_mask:0xf bank_mask:0xf bound_ctrl:1
	v_add_f32_e32 v5, v54, v5
	v_add_f32_e32 v8, v8, v13
	v_cvt_f32_i32_dpp v14, v14 row_shr:2 row_mask:0xf bank_mask:0xf bound_ctrl:1
	v_cvt_f32_i32_dpp v12, v12 row_shr:1 row_mask:0xf bank_mask:0xf bound_ctrl:1
	ds_bpermute_b32 v29, v21, v27
	v_cvt_i32_f32_e32 v11, v5
	v_cvt_i32_f32_e32 v13, v8
	v_add_f32_e32 v9, v9, v14
	s_delay_alu instid0(VALU_DEP_3) | instskip(NEXT) | instid1(VALU_DEP_3)
	v_cvt_f32_i32_dpp v11, v11 row_shr:4 row_mask:0xf bank_mask:0xf bound_ctrl:1
	v_cvt_f32_i32_dpp v13, v13 row_shr:2 row_mask:0xf bank_mask:0xf bound_ctrl:1
	s_delay_alu instid0(VALU_DEP_3) | instskip(NEXT) | instid1(VALU_DEP_2)
	v_cvt_i32_f32_e32 v14, v9
	v_dual_add_f32 v5, v5, v11 :: v_dual_add_f32 v8, v8, v13
	s_delay_alu instid0(VALU_DEP_2) | instskip(SKIP_4) | instid1(VALU_DEP_3)
	v_cvt_f32_i32_dpp v14, v14 row_shr:1 row_mask:0xf bank_mask:0xf bound_ctrl:1
	ds_bpermute_b32 v16, v21, v15
	v_cvt_i32_f32_e32 v11, v5
	v_cvt_i32_f32_e32 v13, v8
	v_add_f32_e32 v9, v9, v14
	v_cvt_f32_i32_dpp v11, v11 row_shr:2 row_mask:0xf bank_mask:0xf bound_ctrl:1
	s_delay_alu instid0(VALU_DEP_3)
	v_cvt_f32_i32_dpp v18, v13 row_shr:1 row_mask:0xf bank_mask:0xf bound_ctrl:1
	v_add_f32_e32 v13, v7, v12
	v_add_f32_e32 v7, v10, v23
	ds_bpermute_b32 v10, v21, v9
	v_add_f32_e32 v5, v5, v11
	ds_bpermute_b32 v14, v21, v13
	v_cvt_i32_f32_e32 v11, v5
	s_delay_alu instid0(VALU_DEP_1) | instskip(NEXT) | instid1(VALU_DEP_1)
	v_cvt_f32_i32_dpp v11, v11 row_shr:1 row_mask:0xf bank_mask:0xf bound_ctrl:1
	v_add_f32_e32 v17, v5, v11
	v_add_f32_e32 v11, v8, v18
	ds_bpermute_b32 v8, v21, v7
	ds_bpermute_b32 v18, v21, v17
	;; [unrolled: 1-line block ×3, first 2 shown]
	s_and_saveexec_b32 s5, s0
	s_cbranch_execz .LBB244_105
; %bb.31:                               ;   in Loop: Header=BB244_12 Depth=1
	v_dual_mov_b32 v34, 0 :: v_dual_add_nc_u32 v35, 2, v33
	v_dual_mov_b32 v44, 0 :: v_dual_add_nc_u32 v5, 3, v33
	v_dual_mov_b32 v43, 0 :: v_dual_mov_b32 v42, 0
	v_dual_mov_b32 v41, 0 :: v_dual_mov_b32 v40, 0
	;; [unrolled: 1-line block ×4, first 2 shown]
	v_mov_b32_e32 v23, 0
	v_mov_b32_e32 v21, 0
	s_and_not1_b32 vcc_lo, exec_lo, s30
	s_cbranch_vccnz .LBB244_33
; %bb.32:                               ;   in Loop: Header=BB244_12 Depth=1
	v_mul_hi_u32 v21, v33, v50
	v_dual_mov_b32 v40, v36 :: v_dual_add_nc_u32 v23, 1, v33
	v_mul_hi_u32 v25, v35, v50
	v_mul_hi_u32 v28, v5, v50
	v_mov_b32_e32 v62, v36
	s_delay_alu instid0(VALU_DEP_4)
	v_mul_hi_u32 v32, v23, v50
	v_mov_b32_e32 v66, v36
	v_mul_lo_u32 v21, v21, s8
	v_mov_b32_e32 v64, v36
	v_mov_b32_e32 v68, v36
	v_mul_lo_u32 v25, v25, s8
	v_mul_lo_u32 v28, v28, s8
	;; [unrolled: 1-line block ×3, first 2 shown]
	v_sub_nc_u32_e32 v21, v33, v21
	s_delay_alu instid0(VALU_DEP_4) | instskip(NEXT) | instid1(VALU_DEP_4)
	v_sub_nc_u32_e32 v25, v35, v25
	v_sub_nc_u32_e32 v28, v5, v28
	s_delay_alu instid0(VALU_DEP_3)
	v_subrev_nc_u32_e32 v34, s8, v21
	v_cmp_le_u32_e32 vcc_lo, s8, v21
	v_mov_b32_e32 v42, v36
	v_sub_nc_u32_e32 v23, v23, v32
	v_subrev_nc_u32_e32 v32, s8, v25
	v_subrev_nc_u32_e32 v39, s8, v28
	v_cndmask_b32_e32 v21, v21, v34, vcc_lo
	v_cmp_le_u32_e32 vcc_lo, s8, v25
	v_mov_b32_e32 v44, v36
	v_subrev_nc_u32_e32 v34, s8, v23
	v_cndmask_b32_e32 v25, v25, v32, vcc_lo
	v_cmp_le_u32_e32 vcc_lo, s8, v28
	v_subrev_nc_u32_e32 v32, s8, v21
	v_cndmask_b32_e32 v28, v28, v39, vcc_lo
	v_cmp_le_u32_e32 vcc_lo, s8, v23
	v_dual_mov_b32 v52, v36 :: v_dual_cndmask_b32 v23, v23, v34
	v_cmp_le_u32_e32 vcc_lo, s8, v21
	v_subrev_nc_u32_e32 v34, s8, v25
	v_cndmask_b32_e32 v39, v21, v32, vcc_lo
	v_cmp_le_u32_e32 vcc_lo, s8, v25
	v_subrev_nc_u32_e32 v41, s8, v28
	v_subrev_nc_u32_e32 v21, s8, v23
	s_delay_alu instid0(VALU_DEP_4) | instskip(SKIP_4) | instid1(VALU_DEP_4)
	v_lshlrev_b64 v[53:54], 1, v[39:40]
	v_cndmask_b32_e32 v43, v25, v34, vcc_lo
	v_cmp_le_u32_e32 vcc_lo, s8, v28
	v_add_nc_u32_e32 v61, s31, v39
	v_add_nc_u32_e32 v39, s36, v39
	v_lshlrev_b64 v[55:56], 1, v[43:44]
	v_cndmask_b32_e32 v51, v28, v41, vcc_lo
	v_cmp_le_u32_e32 vcc_lo, s8, v23
	v_lshlrev_b64 v[61:62], 1, v[61:62]
	v_add_nc_u32_e32 v65, s31, v43
	v_lshlrev_b64 v[39:40], 1, v[39:40]
	v_lshlrev_b64 v[57:58], 1, v[51:52]
	v_cndmask_b32_e32 v41, v23, v21, vcc_lo
	v_add_co_u32 v52, vcc_lo, s14, v53
	v_add_co_ci_u32_e32 v53, vcc_lo, s15, v54, vcc_lo
	s_delay_alu instid0(VALU_DEP_3)
	v_lshlrev_b64 v[59:60], 1, v[41:42]
	v_add_nc_u32_e32 v63, s31, v41
	v_add_nc_u32_e32 v67, s31, v51
	v_lshlrev_b64 v[65:66], 1, v[65:66]
	v_add_nc_u32_e32 v41, s36, v41
	v_add_nc_u32_e32 v43, s36, v43
	v_add_co_u32 v59, vcc_lo, s14, v59
	v_add_co_ci_u32_e32 v60, vcc_lo, s15, v60, vcc_lo
	v_add_co_u32 v54, vcc_lo, s14, v55
	v_add_co_ci_u32_e32 v55, vcc_lo, s15, v56, vcc_lo
	v_add_co_u32 v56, vcc_lo, s14, v57
	v_lshlrev_b64 v[63:64], 1, v[63:64]
	v_add_co_ci_u32_e32 v57, vcc_lo, s15, v58, vcc_lo
	v_add_co_u32 v61, vcc_lo, s14, v61
	v_add_co_ci_u32_e32 v62, vcc_lo, s15, v62, vcc_lo
	s_delay_alu instid0(VALU_DEP_4) | instskip(SKIP_4) | instid1(VALU_DEP_4)
	v_add_co_u32 v63, vcc_lo, s14, v63
	v_lshlrev_b64 v[67:68], 1, v[67:68]
	v_add_co_ci_u32_e32 v64, vcc_lo, s15, v64, vcc_lo
	v_add_co_u32 v65, vcc_lo, s14, v65
	v_add_co_ci_u32_e32 v66, vcc_lo, s15, v66, vcc_lo
	v_add_co_u32 v67, vcc_lo, s14, v67
	v_add_co_ci_u32_e32 v68, vcc_lo, s15, v68, vcc_lo
	v_lshlrev_b64 v[41:42], 1, v[41:42]
	v_add_co_u32 v69, vcc_lo, s14, v39
	v_add_co_ci_u32_e32 v70, vcc_lo, s15, v40, vcc_lo
	v_lshlrev_b64 v[39:40], 1, v[43:44]
	v_add_nc_u32_e32 v43, s36, v51
	v_add_co_u32 v71, vcc_lo, s14, v41
	v_add_co_ci_u32_e32 v72, vcc_lo, s15, v42, vcc_lo
	s_delay_alu instid0(VALU_DEP_3) | instskip(SKIP_2) | instid1(VALU_DEP_3)
	v_lshlrev_b64 v[41:42], 1, v[43:44]
	v_add_co_u32 v73, vcc_lo, s14, v39
	v_add_co_ci_u32_e32 v74, vcc_lo, s15, v40, vcc_lo
	v_add_co_u32 v75, vcc_lo, s14, v41
	s_delay_alu instid0(VALU_DEP_4)
	v_add_co_ci_u32_e32 v76, vcc_lo, s15, v42, vcc_lo
	s_clause 0xb
	global_load_u16 v34, v[52:53], off
	global_load_u16 v44, v[59:60], off
	;; [unrolled: 1-line block ×12, first 2 shown]
.LBB244_33:                             ;   in Loop: Header=BB244_12 Depth=1
	v_cmp_ne_u32_e32 vcc_lo, 0, v1
	s_and_saveexec_b32 s2, vcc_lo
	s_cbranch_execnz .LBB244_45
; %bb.34:                               ;   in Loop: Header=BB244_12 Depth=1
	s_or_b32 exec_lo, exec_lo, s2
	v_cmp_ne_u32_e64 s1, 0, v2
	s_delay_alu instid0(VALU_DEP_1)
	s_and_saveexec_b32 s3, s1
	s_cbranch_execnz .LBB244_50
.LBB244_35:                             ;   in Loop: Header=BB244_12 Depth=1
	s_or_b32 exec_lo, exec_lo, s3
	v_cmp_ne_u32_e64 s2, 0, v3
	s_delay_alu instid0(VALU_DEP_1)
	s_and_saveexec_b32 s4, s2
	s_cbranch_execnz .LBB244_55
.LBB244_36:                             ;   in Loop: Header=BB244_12 Depth=1
	s_or_b32 exec_lo, exec_lo, s4
	v_cmp_ne_u32_e64 s3, 0, v4
	s_delay_alu instid0(VALU_DEP_1)
	s_and_saveexec_b32 s39, s3
	s_cbranch_execnz .LBB244_60
.LBB244_37:                             ;   in Loop: Header=BB244_12 Depth=1
	s_or_b32 exec_lo, exec_lo, s39
	v_add_nc_u32_e32 v35, s19, v33
	s_and_saveexec_b32 s39, vcc_lo
	s_cbranch_execnz .LBB244_65
.LBB244_38:                             ;   in Loop: Header=BB244_12 Depth=1
	s_or_b32 exec_lo, exec_lo, s39
	s_and_saveexec_b32 s39, s1
	s_cbranch_execnz .LBB244_70
.LBB244_39:                             ;   in Loop: Header=BB244_12 Depth=1
	s_or_b32 exec_lo, exec_lo, s39
	s_and_saveexec_b32 s39, s2
	s_cbranch_execnz .LBB244_75
.LBB244_40:                             ;   in Loop: Header=BB244_12 Depth=1
	s_or_b32 exec_lo, exec_lo, s39
	s_and_saveexec_b32 s39, s3
	s_cbranch_execnz .LBB244_80
.LBB244_41:                             ;   in Loop: Header=BB244_12 Depth=1
	s_or_b32 exec_lo, exec_lo, s39
	v_add_nc_u32_e32 v35, s19, v35
	s_and_saveexec_b32 s4, vcc_lo
	s_cbranch_execnz .LBB244_85
.LBB244_42:                             ;   in Loop: Header=BB244_12 Depth=1
	s_or_b32 exec_lo, exec_lo, s4
	s_and_saveexec_b32 s4, s1
	s_cbranch_execnz .LBB244_90
.LBB244_43:                             ;   in Loop: Header=BB244_12 Depth=1
	s_or_b32 exec_lo, exec_lo, s4
	s_and_saveexec_b32 s1, s2
	s_cbranch_execnz .LBB244_95
.LBB244_44:                             ;   in Loop: Header=BB244_12 Depth=1
	s_or_b32 exec_lo, exec_lo, s1
	s_delay_alu instid0(SALU_CYCLE_1)
	s_and_b32 exec_lo, exec_lo, s3
	s_cbranch_execnz .LBB244_100
	s_branch .LBB244_105
.LBB244_45:                             ;   in Loop: Header=BB244_12 Depth=1
	s_waitcnt lgkmcnt(10)
	v_add_f32_e32 v37, v37, v38
	s_waitcnt vmcnt(11)
	v_lshlrev_b32_e32 v34, 16, v34
	s_delay_alu instid0(VALU_DEP_1) | instskip(NEXT) | instid1(VALU_DEP_1)
	v_add_f32_e32 v34, v37, v34
	v_and_b32_e32 v37, 0x7f800000, v34
	s_delay_alu instid0(VALU_DEP_1) | instskip(NEXT) | instid1(VALU_DEP_1)
	v_cmp_ne_u32_e64 s1, 0x7f800000, v37
                                        ; implicit-def: $vgpr37
	s_and_saveexec_b32 s3, s1
	s_delay_alu instid0(SALU_CYCLE_1)
	s_xor_b32 s1, exec_lo, s3
; %bb.46:                               ;   in Loop: Header=BB244_12 Depth=1
	v_bfe_u32 v37, v34, 16, 1
	s_delay_alu instid0(VALU_DEP_1)
	v_add3_u32 v37, v34, v37, 0x7fff
                                        ; implicit-def: $vgpr34
; %bb.47:                               ;   in Loop: Header=BB244_12 Depth=1
	s_and_not1_saveexec_b32 s3, s1
; %bb.48:                               ;   in Loop: Header=BB244_12 Depth=1
	v_and_b32_e32 v37, 0xffff, v34
	v_or_b32_e32 v38, 0x10000, v34
	s_delay_alu instid0(VALU_DEP_2) | instskip(NEXT) | instid1(VALU_DEP_1)
	v_cmp_eq_u32_e64 s1, 0, v37
	v_cndmask_b32_e64 v37, v38, v34, s1
; %bb.49:                               ;   in Loop: Header=BB244_12 Depth=1
	s_or_b32 exec_lo, exec_lo, s3
	v_mov_b32_e32 v34, v36
	s_delay_alu instid0(VALU_DEP_1) | instskip(NEXT) | instid1(VALU_DEP_1)
	v_lshlrev_b64 v[51:52], 1, v[33:34]
	v_add_co_u32 v51, s1, s6, v51
	s_delay_alu instid0(VALU_DEP_1) | instskip(SKIP_3) | instid1(VALU_DEP_1)
	v_add_co_ci_u32_e64 v52, s1, s7, v52, s1
	global_store_d16_hi_b16 v[51:52], v37, off
	s_or_b32 exec_lo, exec_lo, s2
	v_cmp_ne_u32_e64 s1, 0, v2
	s_and_saveexec_b32 s3, s1
	s_cbranch_execz .LBB244_35
.LBB244_50:                             ;   in Loop: Header=BB244_12 Depth=1
	s_waitcnt vmcnt(10) lgkmcnt(11)
	v_dual_add_f32 v30, v30, v31 :: v_dual_lshlrev_b32 v31, 16, v44
	s_delay_alu instid0(VALU_DEP_1) | instskip(NEXT) | instid1(VALU_DEP_1)
	v_add_f32_e32 v31, v30, v31
	v_and_b32_e32 v30, 0x7f800000, v31
	s_delay_alu instid0(VALU_DEP_1) | instskip(NEXT) | instid1(VALU_DEP_1)
	v_cmp_ne_u32_e64 s2, 0x7f800000, v30
                                        ; implicit-def: $vgpr30
	s_and_saveexec_b32 s4, s2
	s_delay_alu instid0(SALU_CYCLE_1)
	s_xor_b32 s2, exec_lo, s4
; %bb.51:                               ;   in Loop: Header=BB244_12 Depth=1
	v_bfe_u32 v30, v31, 16, 1
	s_delay_alu instid0(VALU_DEP_1)
	v_add3_u32 v30, v31, v30, 0x7fff
                                        ; implicit-def: $vgpr31
; %bb.52:                               ;   in Loop: Header=BB244_12 Depth=1
	s_and_not1_saveexec_b32 s4, s2
; %bb.53:                               ;   in Loop: Header=BB244_12 Depth=1
	v_and_b32_e32 v30, 0xffff, v31
	v_or_b32_e32 v34, 0x10000, v31
	s_delay_alu instid0(VALU_DEP_2) | instskip(NEXT) | instid1(VALU_DEP_1)
	v_cmp_eq_u32_e64 s2, 0, v30
	v_cndmask_b32_e64 v30, v34, v31, s2
; %bb.54:                               ;   in Loop: Header=BB244_12 Depth=1
	s_or_b32 exec_lo, exec_lo, s4
	v_mov_b32_e32 v34, v36
	s_waitcnt lgkmcnt(10)
	s_delay_alu instid0(VALU_DEP_1) | instskip(NEXT) | instid1(VALU_DEP_1)
	v_lshlrev_b64 v[37:38], 1, v[33:34]
	v_add_co_u32 v37, s2, s33, v37
	s_delay_alu instid0(VALU_DEP_1) | instskip(SKIP_3) | instid1(VALU_DEP_1)
	v_add_co_ci_u32_e64 v38, s2, s34, v38, s2
	global_store_d16_hi_b16 v[37:38], v30, off
	s_or_b32 exec_lo, exec_lo, s3
	v_cmp_ne_u32_e64 s2, 0, v3
	s_and_saveexec_b32 s4, s2
	s_cbranch_execz .LBB244_36
.LBB244_55:                             ;   in Loop: Header=BB244_12 Depth=1
	s_waitcnt lgkmcnt(6)
	v_add_f32_e32 v27, v27, v29
	s_waitcnt vmcnt(9)
	v_lshlrev_b32_e32 v29, 16, v43
	s_delay_alu instid0(VALU_DEP_1) | instskip(NEXT) | instid1(VALU_DEP_1)
	v_add_f32_e32 v29, v27, v29
	v_and_b32_e32 v27, 0x7f800000, v29
	s_delay_alu instid0(VALU_DEP_1) | instskip(NEXT) | instid1(VALU_DEP_1)
	v_cmp_ne_u32_e64 s3, 0x7f800000, v27
                                        ; implicit-def: $vgpr27
	s_and_saveexec_b32 s39, s3
	s_delay_alu instid0(SALU_CYCLE_1)
	s_xor_b32 s3, exec_lo, s39
; %bb.56:                               ;   in Loop: Header=BB244_12 Depth=1
	v_bfe_u32 v27, v29, 16, 1
	s_delay_alu instid0(VALU_DEP_1)
	v_add3_u32 v27, v29, v27, 0x7fff
                                        ; implicit-def: $vgpr29
; %bb.57:                               ;   in Loop: Header=BB244_12 Depth=1
	s_and_not1_saveexec_b32 s39, s3
; %bb.58:                               ;   in Loop: Header=BB244_12 Depth=1
	v_and_b32_e32 v27, 0xffff, v29
	v_or_b32_e32 v30, 0x10000, v29
	s_delay_alu instid0(VALU_DEP_2) | instskip(NEXT) | instid1(VALU_DEP_1)
	v_cmp_eq_u32_e64 s3, 0, v27
	v_cndmask_b32_e64 v27, v30, v29, s3
; %bb.59:                               ;   in Loop: Header=BB244_12 Depth=1
	s_or_b32 exec_lo, exec_lo, s39
	v_lshlrev_b64 v[29:30], 1, v[35:36]
	s_delay_alu instid0(VALU_DEP_1) | instskip(NEXT) | instid1(VALU_DEP_1)
	v_add_co_u32 v29, s3, s6, v29
	v_add_co_ci_u32_e64 v30, s3, s7, v30, s3
	global_store_d16_hi_b16 v[29:30], v27, off
	s_or_b32 exec_lo, exec_lo, s4
	v_cmp_ne_u32_e64 s3, 0, v4
	s_delay_alu instid0(VALU_DEP_1)
	s_and_saveexec_b32 s39, s3
	s_cbranch_execz .LBB244_37
.LBB244_60:                             ;   in Loop: Header=BB244_12 Depth=1
	s_waitcnt lgkmcnt(9)
	v_add_f32_e32 v6, v6, v26
	s_waitcnt vmcnt(8)
	v_lshlrev_b32_e32 v26, 16, v42
	s_delay_alu instid0(VALU_DEP_1) | instskip(NEXT) | instid1(VALU_DEP_1)
	v_add_f32_e32 v6, v6, v26
	v_and_b32_e32 v26, 0x7f800000, v6
	s_delay_alu instid0(VALU_DEP_1) | instskip(NEXT) | instid1(VALU_DEP_1)
	v_cmp_ne_u32_e64 s4, 0x7f800000, v26
                                        ; implicit-def: $vgpr26
	s_and_saveexec_b32 s40, s4
	s_delay_alu instid0(SALU_CYCLE_1)
	s_xor_b32 s4, exec_lo, s40
; %bb.61:                               ;   in Loop: Header=BB244_12 Depth=1
	v_bfe_u32 v26, v6, 16, 1
	s_delay_alu instid0(VALU_DEP_1)
	v_add3_u32 v26, v6, v26, 0x7fff
                                        ; implicit-def: $vgpr6
; %bb.62:                               ;   in Loop: Header=BB244_12 Depth=1
	s_and_not1_saveexec_b32 s40, s4
; %bb.63:                               ;   in Loop: Header=BB244_12 Depth=1
	v_and_b32_e32 v26, 0xffff, v6
	v_or_b32_e32 v27, 0x10000, v6
	s_delay_alu instid0(VALU_DEP_2) | instskip(NEXT) | instid1(VALU_DEP_1)
	v_cmp_eq_u32_e64 s4, 0, v26
	v_cndmask_b32_e64 v26, v27, v6, s4
; %bb.64:                               ;   in Loop: Header=BB244_12 Depth=1
	s_or_b32 exec_lo, exec_lo, s40
	v_mov_b32_e32 v6, v36
	s_delay_alu instid0(VALU_DEP_1) | instskip(NEXT) | instid1(VALU_DEP_1)
	v_lshlrev_b64 v[5:6], 1, v[5:6]
	v_add_co_u32 v5, s4, s6, v5
	s_delay_alu instid0(VALU_DEP_1)
	v_add_co_ci_u32_e64 v6, s4, s7, v6, s4
	global_store_d16_hi_b16 v[5:6], v26, off
	s_or_b32 exec_lo, exec_lo, s39
	v_add_nc_u32_e32 v35, s19, v33
	s_and_saveexec_b32 s39, vcc_lo
	s_cbranch_execz .LBB244_38
.LBB244_65:                             ;   in Loop: Header=BB244_12 Depth=1
	s_waitcnt vmcnt(7) lgkmcnt(8)
	v_dual_add_f32 v5, v22, v24 :: v_dual_lshlrev_b32 v6, 16, v41
	s_delay_alu instid0(VALU_DEP_1) | instskip(NEXT) | instid1(VALU_DEP_1)
	v_add_f32_e32 v6, v5, v6
	v_and_b32_e32 v5, 0x7f800000, v6
	s_delay_alu instid0(VALU_DEP_1) | instskip(NEXT) | instid1(VALU_DEP_1)
	v_cmp_ne_u32_e64 s4, 0x7f800000, v5
                                        ; implicit-def: $vgpr5
	s_and_saveexec_b32 s40, s4
	s_delay_alu instid0(SALU_CYCLE_1)
	s_xor_b32 s4, exec_lo, s40
; %bb.66:                               ;   in Loop: Header=BB244_12 Depth=1
	v_bfe_u32 v5, v6, 16, 1
	s_delay_alu instid0(VALU_DEP_1)
	v_add3_u32 v5, v6, v5, 0x7fff
                                        ; implicit-def: $vgpr6
; %bb.67:                               ;   in Loop: Header=BB244_12 Depth=1
	s_and_not1_saveexec_b32 s40, s4
; %bb.68:                               ;   in Loop: Header=BB244_12 Depth=1
	v_and_b32_e32 v5, 0xffff, v6
	v_or_b32_e32 v22, 0x10000, v6
	s_delay_alu instid0(VALU_DEP_2) | instskip(NEXT) | instid1(VALU_DEP_1)
	v_cmp_eq_u32_e64 s4, 0, v5
	v_cndmask_b32_e64 v5, v22, v6, s4
; %bb.69:                               ;   in Loop: Header=BB244_12 Depth=1
	s_or_b32 exec_lo, exec_lo, s40
	v_lshlrev_b64 v[26:27], 1, v[35:36]
	s_delay_alu instid0(VALU_DEP_1) | instskip(NEXT) | instid1(VALU_DEP_1)
	v_add_co_u32 v26, s4, s6, v26
	v_add_co_ci_u32_e64 v27, s4, s7, v27, s4
	global_store_d16_hi_b16 v[26:27], v5, off
	s_or_b32 exec_lo, exec_lo, s39
	s_and_saveexec_b32 s39, s1
	s_cbranch_execz .LBB244_39
.LBB244_70:                             ;   in Loop: Header=BB244_12 Depth=1
	s_waitcnt lgkmcnt(7)
	v_add_f32_e32 v5, v19, v20
	s_waitcnt vmcnt(6)
	v_lshlrev_b32_e32 v6, 16, v40
	s_delay_alu instid0(VALU_DEP_1) | instskip(NEXT) | instid1(VALU_DEP_1)
	v_add_f32_e32 v6, v5, v6
	v_and_b32_e32 v5, 0x7f800000, v6
	s_delay_alu instid0(VALU_DEP_1) | instskip(NEXT) | instid1(VALU_DEP_1)
	v_cmp_ne_u32_e64 s4, 0x7f800000, v5
                                        ; implicit-def: $vgpr5
	s_and_saveexec_b32 s40, s4
	s_delay_alu instid0(SALU_CYCLE_1)
	s_xor_b32 s4, exec_lo, s40
; %bb.71:                               ;   in Loop: Header=BB244_12 Depth=1
	v_bfe_u32 v5, v6, 16, 1
	s_delay_alu instid0(VALU_DEP_1)
	v_add3_u32 v5, v6, v5, 0x7fff
                                        ; implicit-def: $vgpr6
; %bb.72:                               ;   in Loop: Header=BB244_12 Depth=1
	s_and_not1_saveexec_b32 s40, s4
; %bb.73:                               ;   in Loop: Header=BB244_12 Depth=1
	v_and_b32_e32 v5, 0xffff, v6
	v_or_b32_e32 v19, 0x10000, v6
	s_delay_alu instid0(VALU_DEP_2) | instskip(NEXT) | instid1(VALU_DEP_1)
	v_cmp_eq_u32_e64 s4, 0, v5
	v_cndmask_b32_e64 v5, v19, v6, s4
; %bb.74:                               ;   in Loop: Header=BB244_12 Depth=1
	s_or_b32 exec_lo, exec_lo, s40
	v_dual_mov_b32 v20, v36 :: v_dual_add_nc_u32 v19, 1, v35
	s_delay_alu instid0(VALU_DEP_1) | instskip(NEXT) | instid1(VALU_DEP_1)
	v_lshlrev_b64 v[19:20], 1, v[19:20]
	v_add_co_u32 v19, s4, s6, v19
	s_delay_alu instid0(VALU_DEP_1)
	v_add_co_ci_u32_e64 v20, s4, s7, v20, s4
	global_store_d16_hi_b16 v[19:20], v5, off
	s_or_b32 exec_lo, exec_lo, s39
	s_and_saveexec_b32 s39, s2
	s_cbranch_execz .LBB244_40
.LBB244_75:                             ;   in Loop: Header=BB244_12 Depth=1
	s_waitcnt vmcnt(5) lgkmcnt(5)
	v_dual_add_f32 v5, v15, v16 :: v_dual_lshlrev_b32 v6, 16, v39
	s_delay_alu instid0(VALU_DEP_1) | instskip(NEXT) | instid1(VALU_DEP_1)
	v_add_f32_e32 v6, v5, v6
	v_and_b32_e32 v5, 0x7f800000, v6
	s_delay_alu instid0(VALU_DEP_1) | instskip(NEXT) | instid1(VALU_DEP_1)
	v_cmp_ne_u32_e64 s4, 0x7f800000, v5
                                        ; implicit-def: $vgpr5
	s_and_saveexec_b32 s40, s4
	s_delay_alu instid0(SALU_CYCLE_1)
	s_xor_b32 s4, exec_lo, s40
; %bb.76:                               ;   in Loop: Header=BB244_12 Depth=1
	v_bfe_u32 v5, v6, 16, 1
	s_delay_alu instid0(VALU_DEP_1)
	v_add3_u32 v5, v6, v5, 0x7fff
                                        ; implicit-def: $vgpr6
; %bb.77:                               ;   in Loop: Header=BB244_12 Depth=1
	s_and_not1_saveexec_b32 s40, s4
; %bb.78:                               ;   in Loop: Header=BB244_12 Depth=1
	v_and_b32_e32 v5, 0xffff, v6
	v_or_b32_e32 v15, 0x10000, v6
	s_delay_alu instid0(VALU_DEP_2) | instskip(NEXT) | instid1(VALU_DEP_1)
	v_cmp_eq_u32_e64 s4, 0, v5
	v_cndmask_b32_e64 v5, v15, v6, s4
; %bb.79:                               ;   in Loop: Header=BB244_12 Depth=1
	s_or_b32 exec_lo, exec_lo, s40
	v_dual_mov_b32 v16, v36 :: v_dual_add_nc_u32 v15, 2, v35
	s_delay_alu instid0(VALU_DEP_1) | instskip(NEXT) | instid1(VALU_DEP_1)
	v_lshlrev_b64 v[15:16], 1, v[15:16]
	v_add_co_u32 v15, s4, s6, v15
	s_delay_alu instid0(VALU_DEP_1)
	v_add_co_ci_u32_e64 v16, s4, s7, v16, s4
	global_store_d16_hi_b16 v[15:16], v5, off
	s_or_b32 exec_lo, exec_lo, s39
	s_and_saveexec_b32 s39, s3
	s_cbranch_execz .LBB244_41
.LBB244_80:                             ;   in Loop: Header=BB244_12 Depth=1
	s_waitcnt vmcnt(4) lgkmcnt(1)
	v_dual_add_f32 v5, v17, v18 :: v_dual_lshlrev_b32 v6, 16, v32
	s_delay_alu instid0(VALU_DEP_1) | instskip(NEXT) | instid1(VALU_DEP_1)
	v_add_f32_e32 v6, v5, v6
	v_and_b32_e32 v5, 0x7f800000, v6
	s_delay_alu instid0(VALU_DEP_1) | instskip(NEXT) | instid1(VALU_DEP_1)
	v_cmp_ne_u32_e64 s4, 0x7f800000, v5
                                        ; implicit-def: $vgpr5
	s_and_saveexec_b32 s40, s4
	s_delay_alu instid0(SALU_CYCLE_1)
	s_xor_b32 s4, exec_lo, s40
; %bb.81:                               ;   in Loop: Header=BB244_12 Depth=1
	v_bfe_u32 v5, v6, 16, 1
	s_delay_alu instid0(VALU_DEP_1)
	v_add3_u32 v5, v6, v5, 0x7fff
                                        ; implicit-def: $vgpr6
; %bb.82:                               ;   in Loop: Header=BB244_12 Depth=1
	s_and_not1_saveexec_b32 s40, s4
; %bb.83:                               ;   in Loop: Header=BB244_12 Depth=1
	v_and_b32_e32 v5, 0xffff, v6
	v_or_b32_e32 v15, 0x10000, v6
	s_delay_alu instid0(VALU_DEP_2) | instskip(NEXT) | instid1(VALU_DEP_1)
	v_cmp_eq_u32_e64 s4, 0, v5
	v_cndmask_b32_e64 v5, v15, v6, s4
; %bb.84:                               ;   in Loop: Header=BB244_12 Depth=1
	s_or_b32 exec_lo, exec_lo, s40
	v_dual_mov_b32 v16, v36 :: v_dual_add_nc_u32 v15, 3, v35
	s_delay_alu instid0(VALU_DEP_1) | instskip(NEXT) | instid1(VALU_DEP_1)
	v_lshlrev_b64 v[15:16], 1, v[15:16]
	v_add_co_u32 v15, s4, s6, v15
	s_delay_alu instid0(VALU_DEP_1)
	v_add_co_ci_u32_e64 v16, s4, s7, v16, s4
	global_store_d16_hi_b16 v[15:16], v5, off
	s_or_b32 exec_lo, exec_lo, s39
	v_add_nc_u32_e32 v35, s19, v35
	s_and_saveexec_b32 s4, vcc_lo
	s_cbranch_execz .LBB244_42
.LBB244_85:                             ;   in Loop: Header=BB244_12 Depth=1
	s_waitcnt vmcnt(3) lgkmcnt(3)
	v_dual_add_f32 v5, v13, v14 :: v_dual_lshlrev_b32 v6, 16, v28
	s_delay_alu instid0(VALU_DEP_1) | instskip(NEXT) | instid1(VALU_DEP_1)
	v_add_f32_e32 v6, v5, v6
	v_and_b32_e32 v5, 0x7f800000, v6
	s_delay_alu instid0(VALU_DEP_1) | instskip(SKIP_1) | instid1(SALU_CYCLE_1)
	v_cmp_ne_u32_e32 vcc_lo, 0x7f800000, v5
                                        ; implicit-def: $vgpr5
	s_and_saveexec_b32 s39, vcc_lo
	s_xor_b32 s39, exec_lo, s39
; %bb.86:                               ;   in Loop: Header=BB244_12 Depth=1
	v_bfe_u32 v5, v6, 16, 1
	s_delay_alu instid0(VALU_DEP_1)
	v_add3_u32 v5, v6, v5, 0x7fff
                                        ; implicit-def: $vgpr6
; %bb.87:                               ;   in Loop: Header=BB244_12 Depth=1
	s_and_not1_saveexec_b32 s39, s39
; %bb.88:                               ;   in Loop: Header=BB244_12 Depth=1
	v_and_b32_e32 v5, 0xffff, v6
	v_or_b32_e32 v13, 0x10000, v6
	s_delay_alu instid0(VALU_DEP_2) | instskip(NEXT) | instid1(VALU_DEP_2)
	v_cmp_eq_u32_e32 vcc_lo, 0, v5
	v_cndmask_b32_e32 v5, v13, v6, vcc_lo
; %bb.89:                               ;   in Loop: Header=BB244_12 Depth=1
	s_or_b32 exec_lo, exec_lo, s39
	v_lshlrev_b64 v[13:14], 1, v[35:36]
	s_delay_alu instid0(VALU_DEP_1) | instskip(NEXT) | instid1(VALU_DEP_2)
	v_add_co_u32 v13, vcc_lo, s6, v13
	v_add_co_ci_u32_e32 v14, vcc_lo, s7, v14, vcc_lo
	global_store_d16_hi_b16 v[13:14], v5, off
	s_or_b32 exec_lo, exec_lo, s4
	s_and_saveexec_b32 s4, s1
	s_cbranch_execz .LBB244_43
.LBB244_90:                             ;   in Loop: Header=BB244_12 Depth=1
	s_waitcnt vmcnt(2) lgkmcnt(0)
	v_dual_add_f32 v5, v11, v12 :: v_dual_lshlrev_b32 v6, 16, v25
	s_delay_alu instid0(VALU_DEP_1) | instskip(NEXT) | instid1(VALU_DEP_1)
	v_add_f32_e32 v6, v5, v6
	v_and_b32_e32 v5, 0x7f800000, v6
	s_delay_alu instid0(VALU_DEP_1) | instskip(SKIP_1) | instid1(SALU_CYCLE_1)
	v_cmp_ne_u32_e32 vcc_lo, 0x7f800000, v5
                                        ; implicit-def: $vgpr5
	s_and_saveexec_b32 s1, vcc_lo
	s_xor_b32 s1, exec_lo, s1
; %bb.91:                               ;   in Loop: Header=BB244_12 Depth=1
	v_bfe_u32 v5, v6, 16, 1
	s_delay_alu instid0(VALU_DEP_1)
	v_add3_u32 v5, v6, v5, 0x7fff
                                        ; implicit-def: $vgpr6
; %bb.92:                               ;   in Loop: Header=BB244_12 Depth=1
	s_and_not1_saveexec_b32 s1, s1
; %bb.93:                               ;   in Loop: Header=BB244_12 Depth=1
	v_and_b32_e32 v5, 0xffff, v6
	v_or_b32_e32 v11, 0x10000, v6
	s_delay_alu instid0(VALU_DEP_2) | instskip(NEXT) | instid1(VALU_DEP_2)
	v_cmp_eq_u32_e32 vcc_lo, 0, v5
	v_cndmask_b32_e32 v5, v11, v6, vcc_lo
; %bb.94:                               ;   in Loop: Header=BB244_12 Depth=1
	s_or_b32 exec_lo, exec_lo, s1
	v_dual_mov_b32 v12, v36 :: v_dual_add_nc_u32 v11, 1, v35
	s_delay_alu instid0(VALU_DEP_1) | instskip(NEXT) | instid1(VALU_DEP_1)
	v_lshlrev_b64 v[11:12], 1, v[11:12]
	v_add_co_u32 v11, vcc_lo, s6, v11
	s_delay_alu instid0(VALU_DEP_2)
	v_add_co_ci_u32_e32 v12, vcc_lo, s7, v12, vcc_lo
	global_store_d16_hi_b16 v[11:12], v5, off
	s_or_b32 exec_lo, exec_lo, s4
	s_and_saveexec_b32 s1, s2
	s_cbranch_execz .LBB244_44
.LBB244_95:                             ;   in Loop: Header=BB244_12 Depth=1
	s_waitcnt vmcnt(1) lgkmcnt(4)
	v_dual_add_f32 v5, v9, v10 :: v_dual_lshlrev_b32 v6, 16, v23
	s_delay_alu instid0(VALU_DEP_1) | instskip(NEXT) | instid1(VALU_DEP_1)
	v_add_f32_e32 v6, v5, v6
	v_and_b32_e32 v5, 0x7f800000, v6
	s_delay_alu instid0(VALU_DEP_1) | instskip(SKIP_1) | instid1(SALU_CYCLE_1)
	v_cmp_ne_u32_e32 vcc_lo, 0x7f800000, v5
                                        ; implicit-def: $vgpr5
	s_and_saveexec_b32 s2, vcc_lo
	s_xor_b32 s2, exec_lo, s2
; %bb.96:                               ;   in Loop: Header=BB244_12 Depth=1
	v_bfe_u32 v5, v6, 16, 1
	s_delay_alu instid0(VALU_DEP_1)
	v_add3_u32 v5, v6, v5, 0x7fff
                                        ; implicit-def: $vgpr6
; %bb.97:                               ;   in Loop: Header=BB244_12 Depth=1
	s_and_not1_saveexec_b32 s2, s2
; %bb.98:                               ;   in Loop: Header=BB244_12 Depth=1
	v_and_b32_e32 v5, 0xffff, v6
	v_or_b32_e32 v9, 0x10000, v6
	s_delay_alu instid0(VALU_DEP_2) | instskip(NEXT) | instid1(VALU_DEP_2)
	v_cmp_eq_u32_e32 vcc_lo, 0, v5
	v_cndmask_b32_e32 v5, v9, v6, vcc_lo
; %bb.99:                               ;   in Loop: Header=BB244_12 Depth=1
	s_or_b32 exec_lo, exec_lo, s2
	v_dual_mov_b32 v10, v36 :: v_dual_add_nc_u32 v9, 2, v35
	s_delay_alu instid0(VALU_DEP_1) | instskip(NEXT) | instid1(VALU_DEP_1)
	v_lshlrev_b64 v[9:10], 1, v[9:10]
	v_add_co_u32 v9, vcc_lo, s6, v9
	s_delay_alu instid0(VALU_DEP_2) | instskip(SKIP_2) | instid1(SALU_CYCLE_1)
	v_add_co_ci_u32_e32 v10, vcc_lo, s7, v10, vcc_lo
	global_store_d16_hi_b16 v[9:10], v5, off
	s_or_b32 exec_lo, exec_lo, s1
	s_and_b32 exec_lo, exec_lo, s3
	s_cbranch_execz .LBB244_105
.LBB244_100:                            ;   in Loop: Header=BB244_12 Depth=1
	s_waitcnt vmcnt(0) lgkmcnt(2)
	v_dual_add_f32 v5, v7, v8 :: v_dual_lshlrev_b32 v6, 16, v21
	s_delay_alu instid0(VALU_DEP_1) | instskip(NEXT) | instid1(VALU_DEP_1)
	v_add_f32_e32 v6, v5, v6
	v_and_b32_e32 v5, 0x7f800000, v6
	s_delay_alu instid0(VALU_DEP_1) | instskip(SKIP_1) | instid1(SALU_CYCLE_1)
	v_cmp_ne_u32_e32 vcc_lo, 0x7f800000, v5
                                        ; implicit-def: $vgpr5
	s_and_saveexec_b32 s1, vcc_lo
	s_xor_b32 s1, exec_lo, s1
; %bb.101:                              ;   in Loop: Header=BB244_12 Depth=1
	v_bfe_u32 v5, v6, 16, 1
	s_delay_alu instid0(VALU_DEP_1)
	v_add3_u32 v5, v6, v5, 0x7fff
                                        ; implicit-def: $vgpr6
; %bb.102:                              ;   in Loop: Header=BB244_12 Depth=1
	s_and_not1_saveexec_b32 s1, s1
; %bb.103:                              ;   in Loop: Header=BB244_12 Depth=1
	v_and_b32_e32 v5, 0xffff, v6
	v_or_b32_e32 v7, 0x10000, v6
	s_delay_alu instid0(VALU_DEP_2) | instskip(NEXT) | instid1(VALU_DEP_2)
	v_cmp_eq_u32_e32 vcc_lo, 0, v5
	v_cndmask_b32_e32 v5, v7, v6, vcc_lo
; %bb.104:                              ;   in Loop: Header=BB244_12 Depth=1
	s_or_b32 exec_lo, exec_lo, s1
	v_add_nc_u32_e32 v35, 3, v35
	s_delay_alu instid0(VALU_DEP_1) | instskip(NEXT) | instid1(VALU_DEP_1)
	v_lshlrev_b64 v[6:7], 1, v[35:36]
	v_add_co_u32 v6, vcc_lo, s6, v6
	s_delay_alu instid0(VALU_DEP_2)
	v_add_co_ci_u32_e32 v7, vcc_lo, s7, v7, vcc_lo
	global_store_d16_hi_b16 v[6:7], v5, off
.LBB244_105:                            ;   in Loop: Header=BB244_12 Depth=1
	s_or_b32 exec_lo, exec_lo, s5
	v_add_nc_u32_e32 v33, s29, v33
	s_delay_alu instid0(VALU_DEP_1) | instskip(SKIP_1) | instid1(VALU_DEP_2)
	v_add_nc_u32_e32 v5, 4, v33
	v_cmp_gt_u32_e32 vcc_lo, s19, v33
	v_cmp_le_u32_e64 s1, s19, v5
	s_delay_alu instid0(VALU_DEP_1) | instskip(NEXT) | instid1(SALU_CYCLE_1)
	s_and_b32 s1, vcc_lo, s1
	s_and_saveexec_b32 s39, s1
	s_cbranch_execz .LBB244_10
; %bb.106:                              ;   in Loop: Header=BB244_12 Depth=1
	s_mov_b32 s40, exec_lo
	v_cmpx_ne_u32_e64 s9, v33
	s_cbranch_execz .LBB244_9
; %bb.107:                              ;   in Loop: Header=BB244_12 Depth=1
	v_subrev_nc_u32_e32 v5, s9, v33
	s_mov_b32 s41, 0
	s_mov_b64 s[4:5], 0
	s_delay_alu instid0(VALU_DEP_1)
	v_cmp_lt_u32_e32 vcc_lo, 1, v5
	v_cndmask_b32_e32 v5, 1, v5, vcc_lo
	.p2align	6
.LBB244_108:                            ;   Parent Loop BB244_12 Depth=1
                                        ; =>  This Inner Loop Header: Depth=2
	s_cmp_lg_u32 s4, 3
	s_cselect_b32 vcc_lo, -1, 0
	s_cmp_lg_u32 s4, 2
	v_cndmask_b32_e32 v4, 0, v4, vcc_lo
	s_cselect_b32 s1, -1, 0
	s_cmp_lg_u32 s4, 1
	v_cndmask_b32_e64 v3, 0, v3, s1
	s_cselect_b32 s2, -1, 0
	s_cmp_lg_u32 s4, 0
	v_cndmask_b32_e64 v2, 0, v2, s2
	s_cselect_b32 s3, -1, 0
	s_add_u32 s4, s4, 1
	v_cndmask_b32_e64 v1, 0, v1, s3
	v_cmp_eq_u32_e32 vcc_lo, s4, v5
	s_addc_u32 s5, s5, 0
	s_or_b32 s41, vcc_lo, s41
	s_delay_alu instid0(SALU_CYCLE_1)
	s_and_not1_b32 exec_lo, exec_lo, s41
	s_cbranch_execnz .LBB244_108
; %bb.109:                              ;   in Loop: Header=BB244_12 Depth=1
	s_or_b32 exec_lo, exec_lo, s41
	s_branch .LBB244_9
.LBB244_110:
	s_nop 0
	s_sendmsg sendmsg(MSG_DEALLOC_VGPRS)
	s_endpgm
	.section	.rodata,"a",@progbits
	.p2align	6, 0x0
	.amdhsa_kernel _Z16wvSplitK_hf_big_I14__hip_bfloat16Li64ELi4ELi16ELi8ELi1ELi3EEviiiiiiPKT_S3_S3_PS1_ii
		.amdhsa_group_segment_fixed_size 65536
		.amdhsa_private_segment_fixed_size 0
		.amdhsa_kernarg_size 64
		.amdhsa_user_sgpr_count 15
		.amdhsa_user_sgpr_dispatch_ptr 0
		.amdhsa_user_sgpr_queue_ptr 0
		.amdhsa_user_sgpr_kernarg_segment_ptr 1
		.amdhsa_user_sgpr_dispatch_id 0
		.amdhsa_user_sgpr_private_segment_size 0
		.amdhsa_wavefront_size32 1
		.amdhsa_uses_dynamic_stack 0
		.amdhsa_enable_private_segment 0
		.amdhsa_system_sgpr_workgroup_id_x 1
		.amdhsa_system_sgpr_workgroup_id_y 0
		.amdhsa_system_sgpr_workgroup_id_z 0
		.amdhsa_system_sgpr_workgroup_info 0
		.amdhsa_system_vgpr_workitem_id 1
		.amdhsa_next_free_vgpr 83
		.amdhsa_next_free_sgpr 42
		.amdhsa_reserve_vcc 1
		.amdhsa_float_round_mode_32 0
		.amdhsa_float_round_mode_16_64 0
		.amdhsa_float_denorm_mode_32 3
		.amdhsa_float_denorm_mode_16_64 3
		.amdhsa_dx10_clamp 1
		.amdhsa_ieee_mode 1
		.amdhsa_fp16_overflow 0
		.amdhsa_workgroup_processor_mode 1
		.amdhsa_memory_ordered 1
		.amdhsa_forward_progress 0
		.amdhsa_shared_vgpr_count 0
		.amdhsa_exception_fp_ieee_invalid_op 0
		.amdhsa_exception_fp_denorm_src 0
		.amdhsa_exception_fp_ieee_div_zero 0
		.amdhsa_exception_fp_ieee_overflow 0
		.amdhsa_exception_fp_ieee_underflow 0
		.amdhsa_exception_fp_ieee_inexact 0
		.amdhsa_exception_int_div_zero 0
	.end_amdhsa_kernel
	.section	.text._Z16wvSplitK_hf_big_I14__hip_bfloat16Li64ELi4ELi16ELi8ELi1ELi3EEviiiiiiPKT_S3_S3_PS1_ii,"axG",@progbits,_Z16wvSplitK_hf_big_I14__hip_bfloat16Li64ELi4ELi16ELi8ELi1ELi3EEviiiiiiPKT_S3_S3_PS1_ii,comdat
.Lfunc_end244:
	.size	_Z16wvSplitK_hf_big_I14__hip_bfloat16Li64ELi4ELi16ELi8ELi1ELi3EEviiiiiiPKT_S3_S3_PS1_ii, .Lfunc_end244-_Z16wvSplitK_hf_big_I14__hip_bfloat16Li64ELi4ELi16ELi8ELi1ELi3EEviiiiiiPKT_S3_S3_PS1_ii
                                        ; -- End function
	.section	.AMDGPU.csdata,"",@progbits
; Kernel info:
; codeLenInByte = 7116
; NumSgprs: 44
; NumVgprs: 83
; ScratchSize: 0
; MemoryBound: 0
; FloatMode: 240
; IeeeMode: 1
; LDSByteSize: 65536 bytes/workgroup (compile time only)
; SGPRBlocks: 5
; VGPRBlocks: 10
; NumSGPRsForWavesPerEU: 44
; NumVGPRsForWavesPerEU: 83
; Occupancy: 16
; WaveLimiterHint : 0
; COMPUTE_PGM_RSRC2:SCRATCH_EN: 0
; COMPUTE_PGM_RSRC2:USER_SGPR: 15
; COMPUTE_PGM_RSRC2:TRAP_HANDLER: 0
; COMPUTE_PGM_RSRC2:TGID_X_EN: 1
; COMPUTE_PGM_RSRC2:TGID_Y_EN: 0
; COMPUTE_PGM_RSRC2:TGID_Z_EN: 0
; COMPUTE_PGM_RSRC2:TIDIG_COMP_CNT: 1
	.section	.text._Z16wvSplitK_hf_sml_I14__hip_bfloat16Li64ELi4ELi16ELi8ELi2ELi3EEviiiiiiPKT_S3_S3_PS1_ii,"axG",@progbits,_Z16wvSplitK_hf_sml_I14__hip_bfloat16Li64ELi4ELi16ELi8ELi2ELi3EEviiiiiiPKT_S3_S3_PS1_ii,comdat
	.protected	_Z16wvSplitK_hf_sml_I14__hip_bfloat16Li64ELi4ELi16ELi8ELi2ELi3EEviiiiiiPKT_S3_S3_PS1_ii ; -- Begin function _Z16wvSplitK_hf_sml_I14__hip_bfloat16Li64ELi4ELi16ELi8ELi2ELi3EEviiiiiiPKT_S3_S3_PS1_ii
	.globl	_Z16wvSplitK_hf_sml_I14__hip_bfloat16Li64ELi4ELi16ELi8ELi2ELi3EEviiiiiiPKT_S3_S3_PS1_ii
	.p2align	8
	.type	_Z16wvSplitK_hf_sml_I14__hip_bfloat16Li64ELi4ELi16ELi8ELi2ELi3EEviiiiiiPKT_S3_S3_PS1_ii,@function
_Z16wvSplitK_hf_sml_I14__hip_bfloat16Li64ELi4ELi16ELi8ELi2ELi3EEviiiiiiPKT_S3_S3_PS1_ii: ; @_Z16wvSplitK_hf_sml_I14__hip_bfloat16Li64ELi4ELi16ELi8ELi2ELi3EEviiiiiiPKT_S3_S3_PS1_ii
; %bb.0:
	s_clause 0x2
	s_load_b128 s[4:7], s[0:1], 0x0
	s_load_b64 s[8:9], s[0:1], 0x10
	s_load_b64 s[10:11], s[0:1], 0x28
	v_and_b32_e32 v2, 0x3ff, v0
	v_bfe_u32 v3, v0, 10, 10
	s_mov_b32 s12, exec_lo
	s_delay_alu instid0(VALU_DEP_2) | instskip(NEXT) | instid1(VALU_DEP_1)
	v_lshlrev_b32_e32 v67, 3, v2
	v_lshl_add_u32 v4, v3, 9, v67
	s_waitcnt lgkmcnt(0)
	s_mul_i32 s2, s6, 3
	s_delay_alu instid0(SALU_CYCLE_1)
	s_min_u32 s3, s2, 0x8000
	s_delay_alu instid0(VALU_DEP_1) | instid1(SALU_CYCLE_1)
	v_cmpx_gt_u32_e64 s3, v4
	s_cbranch_execz .LBB245_3
; %bb.1:
	s_load_b64 s[16:17], s[0:1], 0x20
	v_lshlrev_b32_e32 v5, 10, v3
	v_lshlrev_b32_e32 v6, 4, v2
	s_mov_b32 s13, 0
	s_delay_alu instid0(VALU_DEP_1) | instskip(NEXT) | instid1(VALU_DEP_1)
	v_add_co_u32 v0, s2, v5, v6
	v_add_co_ci_u32_e64 v1, null, 0, 0, s2
	v_add_nc_u32_e32 v5, v5, v6
	s_waitcnt lgkmcnt(0)
	s_delay_alu instid0(VALU_DEP_3) | instskip(NEXT) | instid1(VALU_DEP_3)
	v_add_co_u32 v0, vcc_lo, s16, v0
	v_add_co_ci_u32_e32 v1, vcc_lo, s17, v1, vcc_lo
	.p2align	6
.LBB245_2:                              ; =>This Inner Loop Header: Depth=1
	global_load_b128 v[6:9], v[0:1], off
	v_add_nc_u32_e32 v4, 0x2000, v4
	v_add_co_u32 v0, vcc_lo, 0x4000, v0
	v_add_co_ci_u32_e32 v1, vcc_lo, 0, v1, vcc_lo
	s_delay_alu instid0(VALU_DEP_3) | instskip(NEXT) | instid1(VALU_DEP_1)
	v_cmp_le_u32_e64 s2, s3, v4
	s_or_b32 s13, s2, s13
	s_waitcnt vmcnt(0)
	ds_store_b128 v5, v[6:9]
	v_add_nc_u32_e32 v5, 0x4000, v5
	s_and_not1_b32 exec_lo, exec_lo, s13
	s_cbranch_execnz .LBB245_2
.LBB245_3:
	s_or_b32 exec_lo, exec_lo, s12
	s_load_b64 s[16:17], s[0:1], 0x38
	s_waitcnt lgkmcnt(0)
	s_barrier
	buffer_gl0_inv
	s_mov_b32 s2, exec_lo
	v_cmpx_gt_u32_e64 s16, v3
	s_cbranch_execz .LBB245_66
; %bb.4:
	s_mul_i32 s15, s15, s16
	s_delay_alu instid0(SALU_CYCLE_1) | instskip(NEXT) | instid1(VALU_DEP_1)
	v_add_lshl_u32 v48, s15, v3, 2
	v_cmp_gt_u32_e32 vcc_lo, s7, v48
	s_and_b32 exec_lo, exec_lo, vcc_lo
	s_cbranch_execz .LBB245_66
; %bb.5:
	s_cmp_lg_u32 s4, 0
	v_mbcnt_lo_u32_b32 v3, -1, 0
	s_cselect_b32 s14, -1, 0
	s_add_i32 s15, s4, -8
	s_add_i32 s18, s7, -1
	s_cmp_lg_u64 s[10:11], 0
	s_clause 0x1
	s_load_b64 s[2:3], s[0:1], 0x18
	s_load_b64 s[12:13], s[0:1], 0x30
	s_cselect_b32 s19, -1, 0
	s_abs_i32 s20, s9
	v_cmp_eq_u32_e64 s0, 63, v2
	v_cvt_f32_u32_e32 v0, s20
	v_lshlrev_b32_e32 v68, 4, v2
	v_xor_b32_e32 v2, 16, v3
	v_cvt_f32_u32_e32 v1, s8
	s_mul_i32 s9, s16, s17
	v_rcp_iflag_f32_e32 v0, v0
	s_sub_i32 s17, 0, s20
	v_cmp_gt_i32_e32 vcc_lo, 32, v2
	v_rcp_iflag_f32_e32 v1, v1
	s_lshl_b32 s9, s9, 2
	s_sub_i32 s21, 0, s8
	s_sub_i32 s22, 1, s20
	v_cndmask_b32_e32 v2, v3, v2, vcc_lo
	v_mov_b32_e32 v50, 0
	s_mov_b32 s1, 0
	s_waitcnt_depctr 0xfff
	v_dual_mul_f32 v0, 0x4f7ffffe, v0 :: v_dual_lshlrev_b32 v69, 2, v2
	s_delay_alu instid0(VALU_DEP_1) | instskip(NEXT) | instid1(VALU_DEP_1)
	v_cvt_u32_f32_e32 v0, v0
	v_readfirstlane_b32 s16, v0
	v_mul_f32_e32 v0, 0x4f7ffffe, v1
	s_delay_alu instid0(VALU_DEP_2) | instskip(NEXT) | instid1(VALU_DEP_1)
	s_mul_i32 s17, s17, s16
	v_cvt_u32_f32_e32 v0, v0
	s_mul_hi_u32 s17, s16, s17
	s_delay_alu instid0(SALU_CYCLE_1) | instskip(SKIP_1) | instid1(VALU_DEP_1)
	s_add_i32 s16, s16, s17
	s_cmp_lt_u32 s20, 2
	v_mul_lo_u32 v1, s21, v0
	s_cselect_b32 s17, s22, 1
	s_delay_alu instid0(SALU_CYCLE_1) | instskip(SKIP_3) | instid1(VALU_DEP_1)
	s_sub_i32 s21, s17, s20
	s_cmp_ge_u32 s17, s20
	s_cselect_b32 s17, s21, s17
	s_lshr_b32 s16, s16, 31
	v_mul_hi_u32 v1, v0, v1
	s_mul_i32 s16, s16, s20
	s_delay_alu instid0(SALU_CYCLE_1) | instskip(NEXT) | instid1(SALU_CYCLE_1)
	s_sub_i32 s16, 2, s16
	s_sub_i32 s21, s16, s20
	s_cmp_ge_u32 s16, s20
	s_cselect_b32 s21, s21, s16
	s_delay_alu instid0(VALU_DEP_1)
	v_add_nc_u32_e32 v70, v0, v1
	s_sub_i32 s22, s21, s20
	s_cmp_ge_u32 s21, s20
	s_mul_i32 s16, s17, s8
	s_cselect_b32 s20, s22, s21
	s_lshl_b32 s17, s6, 2
	s_mul_i32 s20, s20, s8
	s_lshl_b32 s6, s6, 1
	s_branch .LBB245_8
.LBB245_6:                              ;   in Loop: Header=BB245_8 Depth=1
	s_or_b32 exec_lo, exec_lo, s22
	v_add_nc_u32_e32 v49, 3, v49
	s_delay_alu instid0(VALU_DEP_1) | instskip(NEXT) | instid1(VALU_DEP_1)
	v_lshlrev_b64 v[1:2], 1, v[49:50]
	v_add_co_u32 v1, vcc_lo, s12, v1
	s_delay_alu instid0(VALU_DEP_2)
	v_add_co_ci_u32_e32 v2, vcc_lo, s13, v2, vcc_lo
	global_store_d16_hi_b16 v[1:2], v0, off
.LBB245_7:                              ;   in Loop: Header=BB245_8 Depth=1
	s_or_b32 exec_lo, exec_lo, s21
	v_add_nc_u32_e32 v48, s9, v48
	s_delay_alu instid0(VALU_DEP_1) | instskip(SKIP_1) | instid1(SALU_CYCLE_1)
	v_cmp_le_u32_e32 vcc_lo, s7, v48
	s_or_b32 s1, vcc_lo, s1
	s_and_not1_b32 exec_lo, exec_lo, s1
	s_cbranch_execz .LBB245_66
.LBB245_8:                              ; =>This Loop Header: Depth=1
                                        ;     Child Loop BB245_12 Depth 2
	v_mov_b32_e32 v72, v50
	v_mov_b32_e32 v73, v50
	;; [unrolled: 1-line block ×12, first 2 shown]
	s_and_not1_b32 vcc_lo, exec_lo, s14
	s_cbranch_vccnz .LBB245_15
; %bb.9:                                ;   in Loop: Header=BB245_8 Depth=1
	v_or_b32_e32 v0, 1, v48
	s_waitcnt lgkmcnt(0)
	v_or_b32_e32 v1, 2, v48
	v_or_b32_e32 v2, 3, v48
	v_min_u32_e32 v3, s18, v48
	v_dual_mov_b32 v5, v50 :: v_dual_mov_b32 v78, 0
	v_min_u32_e32 v0, s18, v0
	v_min_u32_e32 v1, s18, v1
	;; [unrolled: 1-line block ×3, first 2 shown]
	v_mul_lo_u32 v49, v3, s5
	v_dual_mov_b32 v3, v50 :: v_dual_mov_b32 v80, 0
	v_mul_lo_u32 v0, v0, s5
	v_mul_lo_u32 v2, v1, s5
	;; [unrolled: 1-line block ×3, first 2 shown]
	v_dual_mov_b32 v1, v50 :: v_dual_mov_b32 v82, 0
	v_lshlrev_b64 v[51:52], 1, v[49:50]
	v_dual_mov_b32 v81, 0 :: v_dual_mov_b32 v76, 0
	s_delay_alu instid0(VALU_DEP_3)
	v_lshlrev_b64 v[53:54], 1, v[0:1]
	v_lshlrev_b64 v[55:56], 1, v[2:3]
	;; [unrolled: 1-line block ×3, first 2 shown]
	v_dual_mov_b32 v71, v68 :: v_dual_mov_b32 v74, 0
	v_dual_mov_b32 v83, 0 :: v_dual_mov_b32 v72, 0
	v_mov_b32_e32 v79, 0
	v_mov_b32_e32 v77, 0
	;; [unrolled: 1-line block ×4, first 2 shown]
	s_mov_b32 s21, 0
	s_branch .LBB245_12
.LBB245_10:                             ;   in Loop: Header=BB245_12 Depth=2
	s_or_b32 exec_lo, exec_lo, s23
.LBB245_11:                             ;   in Loop: Header=BB245_12 Depth=2
	s_delay_alu instid0(SALU_CYCLE_1)
	s_or_b32 exec_lo, exec_lo, s22
	s_waitcnt lgkmcnt(1)
	v_lshlrev_b32_e32 v91, 16, v45
	v_and_b32_e32 v88, 0xffff0000, v44
	v_and_b32_e32 v92, 0xffff0000, v46
	v_lshlrev_b32_e32 v93, 16, v46
	v_and_b32_e32 v94, 0xffff0000, v47
	s_waitcnt vmcnt(7)
	v_and_b32_e32 v46, 0xffff0000, v42
	v_and_b32_e32 v49, 0xffff0000, v40
	s_addk_i32 s21, 0x400
	v_add_nc_u32_e32 v71, 0x800, v71
	s_cmp_ge_u32 s21, s4
	v_dual_mul_f32 v86, v92, v46 :: v_dual_lshlrev_b32 v89, 16, v44
	v_and_b32_e32 v90, 0xffff0000, v45
	v_lshlrev_b32_e32 v45, 16, v42
	s_waitcnt vmcnt(5)
	v_lshlrev_b32_e32 v100, 16, v33
	v_lshlrev_b32_e32 v96, 16, v47
	v_and_b32_e32 v42, 0xffff0000, v37
	v_and_b32_e32 v44, 0xffff0000, v41
	v_lshlrev_b32_e32 v41, 16, v41
	s_delay_alu instid0(VALU_DEP_2) | instskip(NEXT) | instid1(VALU_DEP_1)
	v_dual_fmac_f32 v86, v93, v45 :: v_dual_mul_f32 v85, v90, v44
	v_dual_fmac_f32 v85, v91, v41 :: v_dual_lshlrev_b32 v40, 16, v40
	v_mul_f32_e32 v84, v88, v49
	s_delay_alu instid0(VALU_DEP_1) | instskip(NEXT) | instid1(VALU_DEP_1)
	v_fmac_f32_e32 v84, v89, v40
	v_add_f32_e32 v84, v81, v84
	s_delay_alu instid0(VALU_DEP_1) | instskip(SKIP_2) | instid1(VALU_DEP_2)
	v_add_f32_e32 v85, v84, v85
	v_and_b32_e32 v81, 0xffff0000, v36
	v_lshlrev_b32_e32 v36, 16, v36
	v_dual_add_f32 v98, v85, v86 :: v_dual_mul_f32 v87, v88, v81
	v_lshlrev_b32_e32 v86, 16, v32
	s_delay_alu instid0(VALU_DEP_2) | instskip(NEXT) | instid1(VALU_DEP_1)
	v_fmac_f32_e32 v87, v89, v36
	v_add_f32_e32 v47, v83, v87
	v_and_b32_e32 v87, 0xffff0000, v33
	s_delay_alu instid0(VALU_DEP_1) | instskip(NEXT) | instid1(VALU_DEP_1)
	v_mul_f32_e32 v101, v90, v87
	v_fmac_f32_e32 v101, v91, v100
	v_and_b32_e32 v85, 0xffff0000, v32
	s_delay_alu instid0(VALU_DEP_1)
	v_mul_f32_e32 v32, v88, v85
	v_and_b32_e32 v84, 0xffff0000, v43
	v_lshlrev_b32_e32 v37, 16, v37
	v_lshlrev_b32_e32 v43, 16, v43
	s_waitcnt vmcnt(4)
	v_lshlrev_b32_e32 v102, 16, v28
	v_dual_fmac_f32 v32, v89, v86 :: v_dual_mul_f32 v97, v94, v84
	s_delay_alu instid0(VALU_DEP_1) | instskip(SKIP_1) | instid1(VALU_DEP_2)
	v_dual_add_f32 v82, v82, v32 :: v_dual_fmac_f32 v97, v96, v43
	v_mul_f32_e32 v95, v90, v42
	v_add_f32_e32 v82, v82, v101
	s_delay_alu instid0(VALU_DEP_3) | instskip(NEXT) | instid1(VALU_DEP_3)
	v_add_f32_e32 v32, v98, v97
	v_fmac_f32_e32 v95, v91, v37
	v_and_b32_e32 v97, 0xffff0000, v34
	v_and_b32_e32 v98, 0xffff0000, v28
	;; [unrolled: 1-line block ×3, first 2 shown]
	s_delay_alu instid0(VALU_DEP_4) | instskip(NEXT) | instid1(VALU_DEP_2)
	v_dual_add_f32 v95, v47, v95 :: v_dual_lshlrev_b32 v34, 16, v34
	v_dual_mul_f32 v28, v88, v98 :: v_dual_mul_f32 v103, v94, v101
	v_and_b32_e32 v88, 0xffff0000, v29
	v_and_b32_e32 v47, 0xffff0000, v38
	v_lshlrev_b32_e32 v38, 16, v38
	s_delay_alu instid0(VALU_DEP_4) | instskip(NEXT) | instid1(VALU_DEP_3)
	v_dual_fmac_f32 v28, v89, v102 :: v_dual_and_b32 v83, 0xffff0000, v39
	v_dual_mul_f32 v90, v90, v88 :: v_dual_mul_f32 v99, v92, v47
	v_lshlrev_b32_e32 v89, 16, v29
	v_lshlrev_b32_e32 v33, 16, v39
	s_delay_alu instid0(VALU_DEP_4) | instskip(SKIP_1) | instid1(VALU_DEP_4)
	v_mul_f32_e32 v39, v94, v83
	v_add_f32_e32 v79, v79, v28
	v_dual_fmac_f32 v99, v93, v38 :: v_dual_fmac_f32 v90, v91, v89
	s_delay_alu instid0(VALU_DEP_1) | instskip(SKIP_1) | instid1(VALU_DEP_1)
	v_add_f32_e32 v95, v95, v99
	v_mul_f32_e32 v99, v92, v97
	v_fmac_f32_e32 v99, v93, v34
	s_delay_alu instid0(VALU_DEP_1) | instskip(NEXT) | instid1(VALU_DEP_1)
	v_dual_add_f32 v82, v82, v99 :: v_dual_and_b32 v99, 0xffff0000, v30
	v_dual_mul_f32 v91, v92, v99 :: v_dual_lshlrev_b32 v30, 16, v30
	v_dual_add_f32 v79, v79, v90 :: v_dual_and_b32 v92, 0xffff0000, v25
	v_lshlrev_b32_e32 v90, 16, v24
	v_lshlrev_b32_e32 v35, 16, v35
	s_delay_alu instid0(VALU_DEP_4) | instskip(NEXT) | instid1(VALU_DEP_2)
	v_fmac_f32_e32 v91, v93, v30
	v_fmac_f32_e32 v103, v96, v35
	s_delay_alu instid0(VALU_DEP_1) | instskip(SKIP_1) | instid1(VALU_DEP_2)
	v_dual_fmac_f32 v39, v96, v33 :: v_dual_add_f32 v28, v82, v103
	v_and_b32_e32 v82, 0xffff0000, v31
	v_add_f32_e32 v29, v95, v39
	v_lshlrev_b32_e32 v31, 16, v31
	s_delay_alu instid0(VALU_DEP_3) | instskip(SKIP_2) | instid1(VALU_DEP_3)
	v_mul_f32_e32 v93, v94, v82
	v_and_b32_e32 v94, 0xffff0000, v26
	v_and_b32_e32 v39, 0xffff0000, v24
	v_dual_fmac_f32 v93, v96, v31 :: v_dual_lshlrev_b32 v26, 16, v26
	s_delay_alu instid0(VALU_DEP_2) | instskip(SKIP_1) | instid1(VALU_DEP_2)
	v_dual_mul_f32 v96, v94, v46 :: v_dual_mul_f32 v95, v39, v81
	v_mul_f32_e32 v24, v39, v49
	v_fmac_f32_e32 v96, v26, v45
	s_delay_alu instid0(VALU_DEP_3) | instskip(NEXT) | instid1(VALU_DEP_3)
	v_fmac_f32_e32 v95, v90, v36
	v_dual_fmac_f32 v24, v90, v40 :: v_dual_lshlrev_b32 v25, 16, v25
	s_delay_alu instid0(VALU_DEP_2) | instskip(NEXT) | instid1(VALU_DEP_2)
	v_add_f32_e32 v78, v78, v95
	v_dual_add_f32 v79, v79, v91 :: v_dual_add_f32 v80, v80, v24
	v_mul_f32_e32 v95, v39, v85
	v_mul_f32_e32 v39, v39, v98
	s_delay_alu instid0(VALU_DEP_3) | instskip(SKIP_1) | instid1(VALU_DEP_3)
	v_dual_add_f32 v24, v79, v93 :: v_dual_mul_f32 v79, v92, v42
	v_mul_f32_e32 v93, v94, v47
	v_fmac_f32_e32 v39, v90, v102
	s_delay_alu instid0(VALU_DEP_3) | instskip(SKIP_1) | instid1(VALU_DEP_3)
	v_fmac_f32_e32 v79, v25, v37
	v_mul_f32_e32 v91, v92, v44
	v_dual_add_f32 v39, v76, v39 :: v_dual_and_b32 v76, 0xffff0000, v65
	s_delay_alu instid0(VALU_DEP_3) | instskip(NEXT) | instid1(VALU_DEP_3)
	v_dual_add_f32 v78, v78, v79 :: v_dual_lshlrev_b32 v65, 16, v65
	v_fmac_f32_e32 v91, v25, v41
	s_delay_alu instid0(VALU_DEP_3) | instskip(NEXT) | instid1(VALU_DEP_1)
	v_mul_f32_e32 v49, v76, v49
	v_dual_add_f32 v80, v80, v91 :: v_dual_fmac_f32 v49, v65, v40
	v_lshlrev_b32_e32 v40, 16, v66
	v_fmac_f32_e32 v95, v90, v86
	s_delay_alu instid0(VALU_DEP_3) | instskip(SKIP_1) | instid1(VALU_DEP_3)
	v_add_f32_e32 v79, v80, v96
	v_mul_f32_e32 v80, v92, v87
	v_add_f32_e32 v77, v77, v95
	s_delay_alu instid0(VALU_DEP_2) | instskip(NEXT) | instid1(VALU_DEP_1)
	v_dual_mul_f32 v95, v94, v97 :: v_dual_fmac_f32 v80, v25, v100
	v_fmac_f32_e32 v95, v26, v34
	s_delay_alu instid0(VALU_DEP_2) | instskip(SKIP_1) | instid1(VALU_DEP_1)
	v_add_f32_e32 v77, v77, v80
	v_dual_mul_f32 v80, v92, v88 :: v_dual_and_b32 v91, 0xffff0000, v27
	v_dual_fmac_f32 v80, v25, v89 :: v_dual_mul_f32 v25, v94, v99
	s_delay_alu instid0(VALU_DEP_2) | instskip(NEXT) | instid1(VALU_DEP_2)
	v_dual_mul_f32 v90, v91, v101 :: v_dual_lshlrev_b32 v27, 16, v27
	v_dual_add_f32 v39, v39, v80 :: v_dual_and_b32 v80, 0xffff0000, v66
	v_fmac_f32_e32 v93, v26, v38
	s_delay_alu instid0(VALU_DEP_4)
	v_fmac_f32_e32 v25, v26, v30
	v_mul_f32_e32 v26, v91, v82
	v_fmac_f32_e32 v90, v27, v35
	v_mul_f32_e32 v44, v80, v44
	v_dual_mul_f32 v103, v91, v84 :: v_dual_add_f32 v78, v78, v93
	v_mul_f32_e32 v93, v91, v83
	v_add_f32_e32 v25, v39, v25
	s_waitcnt lgkmcnt(0)
	v_and_b32_e32 v39, 0xffff0000, v63
	v_fmac_f32_e32 v26, v27, v31
	v_fmac_f32_e32 v44, v40, v41
	;; [unrolled: 1-line block ×3, first 2 shown]
	s_delay_alu instid0(VALU_DEP_4) | instskip(SKIP_3) | instid1(VALU_DEP_4)
	v_dual_mul_f32 v46, v39, v46 :: v_dual_lshlrev_b32 v41, 16, v63
	v_fmac_f32_e32 v103, v27, v43
	v_add_f32_e32 v27, v75, v49
	v_dual_add_f32 v25, v25, v26 :: v_dual_and_b32 v26, 0xffff0000, v64
	v_dual_fmac_f32 v46, v41, v45 :: v_dual_lshlrev_b32 v45, 16, v64
	s_delay_alu instid0(VALU_DEP_3) | instskip(NEXT) | instid1(VALU_DEP_3)
	v_dual_add_f32 v27, v27, v44 :: v_dual_mul_f32 v44, v76, v81
	v_dual_mul_f32 v64, v76, v85 :: v_dual_mul_f32 v63, v26, v84
	s_waitcnt vmcnt(0)
	v_and_b32_e32 v66, 0xffff0000, v6
	s_delay_alu instid0(VALU_DEP_3) | instskip(SKIP_3) | instid1(VALU_DEP_3)
	v_dual_add_f32 v27, v27, v46 :: v_dual_fmac_f32 v44, v65, v36
	v_mul_f32_e32 v36, v80, v42
	v_mul_f32_e32 v42, v80, v87
	v_dual_fmac_f32 v63, v45, v43 :: v_dual_lshlrev_b32 v6, 16, v6
	v_dual_add_f32 v43, v74, v44 :: v_dual_fmac_f32 v36, v40, v37
	v_mul_f32_e32 v37, v39, v47
	s_delay_alu instid0(VALU_DEP_4) | instskip(NEXT) | instid1(VALU_DEP_2)
	v_dual_add_f32 v77, v77, v95 :: v_dual_fmac_f32 v42, v40, v100
	v_dual_add_f32 v78, v78, v93 :: v_dual_fmac_f32 v37, v41, v38
	v_mul_f32_e32 v38, v26, v83
	v_dual_add_f32 v79, v79, v103 :: v_dual_fmac_f32 v64, v65, v86
	s_delay_alu instid0(VALU_DEP_2) | instskip(SKIP_1) | instid1(VALU_DEP_3)
	v_fmac_f32_e32 v38, v45, v33
	v_mul_f32_e32 v46, v39, v97
	v_dual_add_f32 v44, v73, v64 :: v_dual_mul_f32 v39, v39, v99
	v_and_b32_e32 v64, 0xffff0000, v15
	s_delay_alu instid0(VALU_DEP_3) | instskip(NEXT) | instid1(VALU_DEP_3)
	v_fmac_f32_e32 v46, v41, v34
	v_add_f32_e32 v42, v44, v42
	v_mul_f32_e32 v34, v26, v101
	v_mul_f32_e32 v26, v26, v82
	s_delay_alu instid0(VALU_DEP_3) | instskip(SKIP_3) | instid1(VALU_DEP_2)
	v_dual_add_f32 v33, v42, v46 :: v_dual_and_b32 v44, 0xffff0000, v12
	v_and_b32_e32 v42, 0xffff0000, v17
	v_add_f32_e32 v36, v43, v36
	v_fmac_f32_e32 v34, v45, v35
	v_dual_add_f32 v36, v36, v37 :: v_dual_and_b32 v37, 0xffff0000, v20
	s_delay_alu instid0(VALU_DEP_1) | instskip(SKIP_3) | instid1(VALU_DEP_3)
	v_dual_add_f32 v35, v36, v38 :: v_dual_lshlrev_b32 v20, 16, v20
	v_mul_f32_e32 v36, v80, v88
	v_and_b32_e32 v38, 0xffff0000, v16
	v_lshlrev_b32_e32 v16, 16, v16
	v_dual_mul_f32 v47, v37, v44 :: v_dual_fmac_f32 v36, v40, v89
	s_delay_alu instid0(VALU_DEP_3)
	v_mul_f32_e32 v40, v37, v38
	v_fmac_f32_e32 v39, v41, v30
	v_mul_f32_e32 v43, v76, v98
	v_and_b32_e32 v41, 0xffff0000, v18
	v_lshlrev_b32_e32 v18, 16, v18
	v_dual_fmac_f32 v40, v20, v16 :: v_dual_lshlrev_b32 v17, 16, v17
	s_delay_alu instid0(VALU_DEP_4) | instskip(NEXT) | instid1(VALU_DEP_2)
	v_fmac_f32_e32 v43, v65, v102
	v_dual_add_f32 v49, v77, v90 :: v_dual_add_f32 v32, v32, v40
	s_delay_alu instid0(VALU_DEP_2) | instskip(NEXT) | instid1(VALU_DEP_1)
	v_dual_add_f32 v33, v33, v34 :: v_dual_add_f32 v34, v72, v43
	v_dual_add_f32 v34, v34, v36 :: v_dual_and_b32 v43, 0xffff0000, v19
	v_and_b32_e32 v36, 0xffff0000, v21
	v_lshlrev_b32_e32 v21, 16, v21
	s_delay_alu instid0(VALU_DEP_2) | instskip(SKIP_2) | instid1(VALU_DEP_3)
	v_dual_mul_f32 v30, v36, v42 :: v_dual_lshlrev_b32 v19, 16, v19
	v_add_f32_e32 v27, v27, v63
	v_fmac_f32_e32 v26, v45, v31
	v_fmac_f32_e32 v30, v21, v17
	s_delay_alu instid0(VALU_DEP_1) | instskip(SKIP_1) | instid1(VALU_DEP_1)
	v_add_f32_e32 v30, v32, v30
	v_and_b32_e32 v32, 0xffff0000, v23
	v_mul_f32_e32 v46, v32, v43
	v_dual_add_f32 v34, v34, v39 :: v_dual_and_b32 v39, 0xffff0000, v22
	v_lshlrev_b32_e32 v22, 16, v22
	v_and_b32_e32 v31, 0xffff0000, v13
	s_delay_alu instid0(VALU_DEP_3) | instskip(NEXT) | instid1(VALU_DEP_4)
	v_dual_add_f32 v26, v34, v26 :: v_dual_lshlrev_b32 v13, 16, v13
	v_mul_f32_e32 v40, v39, v41
	v_dual_mul_f32 v65, v32, v64 :: v_dual_and_b32 v34, 0xffff0000, v14
	s_delay_alu instid0(VALU_DEP_2) | instskip(NEXT) | instid1(VALU_DEP_1)
	v_fmac_f32_e32 v40, v22, v18
	v_add_f32_e32 v30, v30, v40
	v_mul_f32_e32 v40, v36, v31
	s_delay_alu instid0(VALU_DEP_1) | instskip(NEXT) | instid1(VALU_DEP_1)
	v_dual_fmac_f32 v40, v21, v13 :: v_dual_lshlrev_b32 v23, 16, v23
	v_fmac_f32_e32 v46, v23, v19
	s_delay_alu instid0(VALU_DEP_1) | instskip(NEXT) | instid1(VALU_DEP_1)
	v_dual_add_f32 v81, v30, v46 :: v_dual_lshlrev_b32 v12, 16, v12
	v_fmac_f32_e32 v47, v20, v12
	v_and_b32_e32 v30, 0xffff0000, v8
	s_delay_alu instid0(VALU_DEP_2) | instskip(SKIP_1) | instid1(VALU_DEP_3)
	v_dual_add_f32 v29, v29, v47 :: v_dual_and_b32 v46, 0xffff0000, v9
	v_dual_mul_f32 v47, v39, v34 :: v_dual_lshlrev_b32 v8, 16, v8
	v_mul_f32_e32 v45, v37, v30
	s_delay_alu instid0(VALU_DEP_3) | instskip(NEXT) | instid1(VALU_DEP_4)
	v_dual_add_f32 v29, v29, v40 :: v_dual_lshlrev_b32 v14, 16, v14
	v_mul_f32_e32 v40, v36, v46
	s_delay_alu instid0(VALU_DEP_3) | instskip(NEXT) | instid1(VALU_DEP_1)
	v_fmac_f32_e32 v45, v20, v8
	v_dual_fmac_f32 v47, v22, v14 :: v_dual_add_f32 v28, v28, v45
	v_lshlrev_b32_e32 v9, 16, v9
	v_and_b32_e32 v63, 0xffff0000, v10
	s_delay_alu instid0(VALU_DEP_3) | instskip(NEXT) | instid1(VALU_DEP_3)
	v_add_f32_e32 v29, v29, v47
	v_dual_fmac_f32 v40, v21, v9 :: v_dual_and_b32 v47, 0xffff0000, v11
	s_delay_alu instid0(VALU_DEP_3) | instskip(NEXT) | instid1(VALU_DEP_2)
	v_dual_mul_f32 v45, v39, v63 :: v_dual_lshlrev_b32 v10, 16, v10
	v_add_f32_e32 v28, v28, v40
	s_delay_alu instid0(VALU_DEP_2) | instskip(SKIP_2) | instid1(VALU_DEP_3)
	v_dual_fmac_f32 v45, v22, v10 :: v_dual_and_b32 v40, 0xffff0000, v4
	v_lshlrev_b32_e32 v4, 16, v4
	v_lshlrev_b32_e32 v15, 16, v15
	v_dual_mul_f32 v37, v37, v40 :: v_dual_add_f32 v28, v28, v45
	s_delay_alu instid0(VALU_DEP_1) | instskip(NEXT) | instid1(VALU_DEP_1)
	v_fmac_f32_e32 v37, v20, v4
	v_add_f32_e32 v24, v24, v37
	v_and_b32_e32 v45, 0xffff0000, v5
	v_fmac_f32_e32 v65, v23, v15
	v_lshlrev_b32_e32 v5, 16, v5
	s_delay_alu instid0(VALU_DEP_3) | instskip(NEXT) | instid1(VALU_DEP_3)
	v_dual_mul_f32 v20, v36, v45 :: v_dual_lshlrev_b32 v11, 16, v11
	v_dual_mul_f32 v36, v32, v47 :: v_dual_add_f32 v83, v29, v65
	s_delay_alu instid0(VALU_DEP_2) | instskip(NEXT) | instid1(VALU_DEP_2)
	v_dual_fmac_f32 v20, v21, v5 :: v_dual_mul_f32 v21, v39, v66
	v_fmac_f32_e32 v36, v23, v11
	s_delay_alu instid0(VALU_DEP_2) | instskip(SKIP_4) | instid1(VALU_DEP_4)
	v_dual_add_f32 v20, v24, v20 :: v_dual_fmac_f32 v21, v22, v6
	v_and_b32_e32 v22, 0xffff0000, v7
	v_and_b32_e32 v37, 0xffff0000, v0
	v_lshlrev_b32_e32 v0, 16, v0
	v_and_b32_e32 v24, 0xffff0000, v1
	v_dual_mul_f32 v32, v32, v22 :: v_dual_lshlrev_b32 v1, 16, v1
	s_delay_alu instid0(VALU_DEP_4) | instskip(SKIP_1) | instid1(VALU_DEP_4)
	v_mul_f32_e32 v39, v37, v38
	v_dual_add_f32 v20, v20, v21 :: v_dual_and_b32 v73, 0xffff0000, v2
	v_dual_mul_f32 v72, v24, v42 :: v_dual_lshlrev_b32 v7, 16, v7
	s_delay_alu instid0(VALU_DEP_3) | instskip(NEXT) | instid1(VALU_DEP_3)
	v_dual_fmac_f32 v39, v0, v16 :: v_dual_lshlrev_b32 v2, 16, v2
	v_mul_f32_e32 v74, v73, v41
	s_delay_alu instid0(VALU_DEP_3) | instskip(NEXT) | instid1(VALU_DEP_4)
	v_fmac_f32_e32 v72, v1, v17
	v_fmac_f32_e32 v32, v23, v7
	s_delay_alu instid0(VALU_DEP_4) | instskip(NEXT) | instid1(VALU_DEP_4)
	v_add_f32_e32 v39, v79, v39
	v_dual_fmac_f32 v74, v2, v18 :: v_dual_and_b32 v23, 0xffff0000, v3
	s_delay_alu instid0(VALU_DEP_3) | instskip(NEXT) | instid1(VALU_DEP_3)
	v_add_f32_e32 v79, v20, v32
	v_add_f32_e32 v21, v39, v72
	;; [unrolled: 1-line block ×3, first 2 shown]
	v_mul_f32_e32 v20, v37, v44
	v_dual_mul_f32 v28, v37, v30 :: v_dual_lshlrev_b32 v3, 16, v3
	v_mul_f32_e32 v36, v24, v46
	s_delay_alu instid0(VALU_DEP_3) | instskip(SKIP_1) | instid1(VALU_DEP_4)
	v_dual_mul_f32 v39, v73, v34 :: v_dual_fmac_f32 v20, v0, v12
	v_mul_f32_e32 v29, v24, v31
	v_fmac_f32_e32 v28, v0, v8
	v_mul_f32_e32 v37, v37, v40
	s_delay_alu instid0(VALU_DEP_4)
	v_fmac_f32_e32 v39, v2, v14
	v_add_f32_e32 v20, v78, v20
	v_dual_mul_f32 v32, v23, v43 :: v_dual_fmac_f32 v29, v1, v13
	v_add_f32_e32 v28, v49, v28
	v_mul_f32_e32 v49, v73, v63
	v_fmac_f32_e32 v36, v1, v9
	s_delay_alu instid0(VALU_DEP_4) | instskip(SKIP_1) | instid1(VALU_DEP_3)
	v_fmac_f32_e32 v32, v3, v19
	v_dual_add_f32 v20, v20, v29 :: v_dual_mul_f32 v29, v23, v64
	v_dual_fmac_f32 v49, v2, v10 :: v_dual_add_f32 v28, v28, v36
	v_dual_mul_f32 v36, v23, v47 :: v_dual_fmac_f32 v37, v0, v4
	s_delay_alu instid0(VALU_DEP_3) | instskip(NEXT) | instid1(VALU_DEP_3)
	v_dual_add_f32 v21, v21, v74 :: v_dual_add_f32 v20, v20, v39
	v_dual_fmac_f32 v29, v3, v15 :: v_dual_add_f32 v28, v28, v49
	s_delay_alu instid0(VALU_DEP_3) | instskip(SKIP_1) | instid1(VALU_DEP_1)
	v_dual_fmac_f32 v36, v3, v11 :: v_dual_add_f32 v25, v25, v37
	v_mul_f32_e32 v0, v24, v45
	v_fmac_f32_e32 v0, v1, v5
	v_mul_f32_e32 v1, v73, v66
	s_delay_alu instid0(VALU_DEP_4) | instskip(SKIP_1) | instid1(VALU_DEP_3)
	v_dual_add_f32 v77, v28, v36 :: v_dual_and_b32 v28, 0xffff0000, v62
	v_dual_add_f32 v80, v21, v32 :: v_dual_lshlrev_b32 v21, 16, v61
	v_dual_add_f32 v78, v20, v29 :: v_dual_fmac_f32 v1, v2, v6
	s_delay_alu instid0(VALU_DEP_3) | instskip(SKIP_1) | instid1(VALU_DEP_2)
	v_dual_mul_f32 v29, v28, v42 :: v_dual_and_b32 v20, 0xffff0000, v61
	v_mul_f32_e32 v2, v23, v22
	v_mul_f32_e32 v24, v20, v38
	s_delay_alu instid0(VALU_DEP_1) | instskip(SKIP_1) | instid1(VALU_DEP_1)
	v_fmac_f32_e32 v24, v21, v16
	v_lshlrev_b32_e32 v16, 16, v62
	v_fmac_f32_e32 v29, v16, v17
	s_delay_alu instid0(VALU_DEP_3) | instskip(SKIP_3) | instid1(VALU_DEP_4)
	v_add_f32_e32 v23, v27, v24
	v_mul_f32_e32 v17, v20, v44
	v_add_f32_e32 v0, v25, v0
	v_dual_fmac_f32 v2, v3, v7 :: v_dual_and_b32 v25, 0xffff0000, v60
	v_add_f32_e32 v3, v23, v29
	s_delay_alu instid0(VALU_DEP_4) | instskip(NEXT) | instid1(VALU_DEP_4)
	v_dual_fmac_f32 v17, v21, v12 :: v_dual_mul_f32 v12, v28, v31
	v_dual_add_f32 v0, v0, v1 :: v_dual_lshlrev_b32 v23, 16, v59
	v_and_b32_e32 v1, 0xffff0000, v59
	s_delay_alu instid0(VALU_DEP_3) | instskip(NEXT) | instid1(VALU_DEP_4)
	v_add_f32_e32 v17, v35, v17
	v_dual_fmac_f32 v12, v16, v13 :: v_dual_mul_f32 v27, v25, v43
	s_delay_alu instid0(VALU_DEP_3) | instskip(SKIP_1) | instid1(VALU_DEP_3)
	v_mul_f32_e32 v13, v1, v34
	v_mul_f32_e32 v24, v1, v41
	v_add_f32_e32 v12, v17, v12
	v_mul_f32_e32 v17, v20, v40
	v_add_f32_e32 v76, v0, v2
	v_fmac_f32_e32 v13, v23, v14
	v_fmac_f32_e32 v24, v23, v18
	s_delay_alu instid0(VALU_DEP_4) | instskip(SKIP_2) | instid1(VALU_DEP_3)
	v_dual_mul_f32 v14, v20, v30 :: v_dual_fmac_f32 v17, v21, v4
	v_lshlrev_b32_e32 v18, 16, v60
	v_mul_f32_e32 v4, v28, v45
	v_fmac_f32_e32 v14, v21, v8
	s_delay_alu instid0(VALU_DEP_4) | instskip(SKIP_1) | instid1(VALU_DEP_2)
	v_dual_mul_f32 v8, v28, v46 :: v_dual_add_f32 v17, v26, v17
	v_dual_add_f32 v12, v12, v13 :: v_dual_mul_f32 v13, v25, v64
	v_dual_fmac_f32 v8, v16, v9 :: v_dual_mul_f32 v9, v1, v63
	v_mul_f32_e32 v1, v1, v66
	v_fmac_f32_e32 v27, v18, v19
	v_add_f32_e32 v3, v3, v24
	v_fmac_f32_e32 v13, v18, v15
	v_fmac_f32_e32 v9, v23, v10
	;; [unrolled: 1-line block ×3, first 2 shown]
	v_add_f32_e32 v14, v33, v14
	v_fmac_f32_e32 v4, v16, v5
	v_dual_mul_f32 v6, v25, v22 :: v_dual_add_f32 v75, v3, v27
	s_delay_alu instid0(VALU_DEP_3) | instskip(NEXT) | instid1(VALU_DEP_3)
	v_dual_add_f32 v74, v12, v13 :: v_dual_add_f32 v5, v14, v8
	v_add_f32_e32 v4, v17, v4
	s_delay_alu instid0(VALU_DEP_1) | instskip(NEXT) | instid1(VALU_DEP_1)
	v_dual_mul_f32 v8, v25, v47 :: v_dual_add_f32 v1, v4, v1
	v_dual_add_f32 v5, v5, v9 :: v_dual_fmac_f32 v8, v18, v11
	s_delay_alu instid0(VALU_DEP_1) | instskip(NEXT) | instid1(VALU_DEP_1)
	v_dual_fmac_f32 v6, v18, v7 :: v_dual_add_f32 v73, v5, v8
	v_add_f32_e32 v72, v1, v6
	s_cbranch_scc1 .LBB245_15
.LBB245_12:                             ;   Parent Loop BB245_8 Depth=1
                                        ; =>  This Inner Loop Header: Depth=2
	v_dual_mov_b32 v59, 0 :: v_dual_add_nc_u32 v22, s21, v67
	v_mov_b32_e32 v60, 0
	v_mov_b32_e32 v62, 0
	v_dual_mov_b32 v64, 0 :: v_dual_mov_b32 v27, 0
	s_delay_alu instid0(VALU_DEP_4) | instskip(SKIP_2) | instid1(VALU_DEP_3)
	v_min_u32_e32 v49, s15, v22
	v_dual_mov_b32 v61, 0 :: v_dual_add_nc_u32 v84, 0x200, v22
	v_dual_mov_b32 v66, 0 :: v_dual_mov_b32 v25, 0
	v_lshlrev_b64 v[0:1], 1, v[49:50]
	s_delay_alu instid0(VALU_DEP_3) | instskip(SKIP_3) | instid1(VALU_DEP_4)
	v_min_u32_e32 v49, s15, v84
	v_dual_mov_b32 v26, 0 :: v_dual_mov_b32 v47, 0
	v_dual_mov_b32 v24, 0 :: v_dual_mov_b32 v45, 0
	s_waitcnt lgkmcnt(0)
	v_add_co_u32 v8, vcc_lo, s2, v0
	v_add_co_ci_u32_e32 v9, vcc_lo, s3, v1, vcc_lo
	v_lshlrev_b64 v[0:1], 1, v[49:50]
	s_delay_alu instid0(VALU_DEP_3) | instskip(NEXT) | instid1(VALU_DEP_3)
	v_add_co_u32 v2, vcc_lo, v8, v51
	v_add_co_ci_u32_e32 v3, vcc_lo, v9, v52, vcc_lo
	v_add_co_u32 v4, vcc_lo, v8, v53
	v_add_co_ci_u32_e32 v5, vcc_lo, v9, v54, vcc_lo
	;; [unrolled: 2-line block ×5, first 2 shown]
	s_clause 0x1
	global_load_b128 v[40:43], v[2:3], off slc dlc
	global_load_b128 v[36:39], v[4:5], off slc dlc
	v_add_co_u32 v2, vcc_lo, v10, v51
	v_add_co_ci_u32_e32 v3, vcc_lo, v11, v52, vcc_lo
	v_add_co_u32 v4, vcc_lo, v10, v53
	v_add_co_ci_u32_e32 v5, vcc_lo, v11, v54, vcc_lo
	v_add_co_u32 v8, vcc_lo, v10, v55
	v_add_co_ci_u32_e32 v9, vcc_lo, v11, v56, vcc_lo
	v_add_co_u32 v20, vcc_lo, v10, v57
	v_add_co_ci_u32_e32 v21, vcc_lo, v11, v58, vcc_lo
	s_clause 0x5
	global_load_b128 v[32:35], v[6:7], off slc dlc
	global_load_b128 v[28:31], v[0:1], off slc dlc
	;; [unrolled: 1-line block ×6, first 2 shown]
	v_cmp_gt_u32_e32 vcc_lo, s4, v22
	v_dual_mov_b32 v3, 0 :: v_dual_mov_b32 v2, 0
	v_mov_b32_e32 v23, 0
	v_dual_mov_b32 v1, 0 :: v_dual_mov_b32 v0, 0
	v_dual_mov_b32 v21, 0 :: v_dual_mov_b32 v22, 0
	;; [unrolled: 1-line block ×4, first 2 shown]
	v_mov_b32_e32 v44, 0
	s_and_saveexec_b32 s22, vcc_lo
	s_cbranch_execz .LBB245_11
; %bb.13:                               ;   in Loop: Header=BB245_12 Depth=2
	v_dual_mov_b32 v20, 0 :: v_dual_add_nc_u32 v49, s6, v71
	v_dual_mov_b32 v22, 0 :: v_dual_add_nc_u32 v85, s17, v71
	v_dual_mov_b32 v21, 0 :: v_dual_mov_b32 v0, 0
	ds_load_b128 v[24:27], v49
	ds_load_2addr_b32 v[65:66], v85 offset1:1
	ds_load_b128 v[44:47], v71
	ds_load_2addr_b32 v[63:64], v85 offset0:2 offset1:3
	v_dual_mov_b32 v23, 0 :: v_dual_mov_b32 v2, 0
	v_dual_mov_b32 v1, 0 :: v_dual_mov_b32 v62, 0
	;; [unrolled: 1-line block ×3, first 2 shown]
	v_mov_b32_e32 v61, 0
	v_mov_b32_e32 v59, 0
	s_mov_b32 s23, exec_lo
	v_cmpx_gt_u32_e64 s4, v84
	s_cbranch_execz .LBB245_10
; %bb.14:                               ;   in Loop: Header=BB245_12 Depth=2
	v_add_nc_u32_e32 v20, 0x400, v85
	v_add_nc_u32_e32 v59, 0x408, v85
	ds_load_b128 v[0:3], v49 offset:1024
	ds_load_2addr_b32 v[61:62], v20 offset1:1
	ds_load_b128 v[20:23], v71 offset:1024
	ds_load_2addr_b32 v[59:60], v59 offset1:1
	s_branch .LBB245_10
.LBB245_15:                             ;   in Loop: Header=BB245_8 Depth=1
	; sched_barrier mask(0x00000000)
	s_delay_alu instid0(VALU_DEP_1)
	v_cvt_i32_f32_e32 v0, v81
	s_waitcnt lgkmcnt(0)
	v_cvt_i32_f32_e32 v1, v83
	v_cvt_i32_f32_e32 v2, v82
	;; [unrolled: 1-line block ×4, first 2 shown]
	v_cvt_f32_i32_dpp v0, v0 row_shr:8 row_mask:0xf bank_mask:0xf bound_ctrl:1
	v_cvt_f32_i32_dpp v1, v1 row_shr:8 row_mask:0xf bank_mask:0xf bound_ctrl:1
	;; [unrolled: 1-line block ×4, first 2 shown]
	v_cvt_i32_f32_e32 v5, v78
	s_delay_alu instid0(VALU_DEP_4) | instskip(SKIP_1) | instid1(VALU_DEP_4)
	v_dual_add_f32 v0, v81, v0 :: v_dual_add_f32 v1, v83, v1
	v_cvt_i32_f32_e32 v6, v77
	v_dual_add_f32 v2, v82, v2 :: v_dual_add_f32 v3, v79, v3
	s_delay_alu instid0(VALU_DEP_3) | instskip(NEXT) | instid1(VALU_DEP_4)
	v_cvt_i32_f32_e32 v7, v0
	v_cvt_i32_f32_e32 v8, v1
	v_cvt_f32_i32_dpp v4, v4 row_shr:8 row_mask:0xf bank_mask:0xf bound_ctrl:1
	v_cvt_f32_i32_dpp v5, v5 row_shr:8 row_mask:0xf bank_mask:0xf bound_ctrl:1
	;; [unrolled: 1-line block ×5, first 2 shown]
	s_delay_alu instid0(VALU_DEP_4) | instskip(NEXT) | instid1(VALU_DEP_2)
	v_dual_add_f32 v4, v80, v4 :: v_dual_add_f32 v5, v78, v5
	v_dual_add_f32 v0, v0, v7 :: v_dual_add_f32 v1, v1, v8
	v_cvt_i32_f32_e32 v8, v3
	v_cvt_i32_f32_e32 v7, v2
	s_delay_alu instid0(VALU_DEP_4) | instskip(NEXT) | instid1(VALU_DEP_4)
	v_cvt_i32_f32_e32 v12, v5
	v_cvt_i32_f32_e32 v9, v0
	;; [unrolled: 1-line block ×3, first 2 shown]
	v_cvt_f32_i32_dpp v8, v8 row_shr:4 row_mask:0xf bank_mask:0xf bound_ctrl:1
	v_add_f32_e32 v6, v77, v6
	v_cvt_f32_i32_dpp v7, v7 row_shr:4 row_mask:0xf bank_mask:0xf bound_ctrl:1
	v_cvt_f32_i32_dpp v9, v9 row_shr:2 row_mask:0xf bank_mask:0xf bound_ctrl:1
	;; [unrolled: 1-line block ×3, first 2 shown]
	v_add_f32_e32 v3, v3, v8
	v_cvt_i32_f32_e32 v13, v6
	v_cvt_i32_f32_e32 v11, v4
	s_delay_alu instid0(VALU_DEP_4) | instskip(SKIP_1) | instid1(VALU_DEP_4)
	v_dual_add_f32 v0, v0, v9 :: v_dual_add_f32 v1, v1, v10
	v_cvt_f32_i32_dpp v9, v12 row_shr:4 row_mask:0xf bank_mask:0xf bound_ctrl:1
	v_cvt_f32_i32_dpp v10, v13 row_shr:4 row_mask:0xf bank_mask:0xf bound_ctrl:1
	v_add_f32_e32 v2, v2, v7
	s_delay_alu instid0(VALU_DEP_4)
	v_cvt_i32_f32_e32 v7, v0
	v_cvt_i32_f32_e32 v12, v1
	v_add_f32_e32 v5, v5, v9
	v_cvt_f32_i32_dpp v11, v11 row_shr:4 row_mask:0xf bank_mask:0xf bound_ctrl:1
	v_cvt_i32_f32_e32 v9, v2
	v_cvt_f32_i32_dpp v7, v7 row_shr:1 row_mask:0xf bank_mask:0xf bound_ctrl:1
	v_cvt_f32_i32_dpp v8, v12 row_shr:1 row_mask:0xf bank_mask:0xf bound_ctrl:1
	v_add_f32_e32 v6, v6, v10
	v_cvt_i32_f32_e32 v10, v3
	v_cvt_f32_i32_dpp v9, v9 row_shr:2 row_mask:0xf bank_mask:0xf bound_ctrl:1
	s_delay_alu instid0(VALU_DEP_4) | instskip(SKIP_1) | instid1(VALU_DEP_4)
	v_dual_add_f32 v25, v0, v7 :: v_dual_add_f32 v0, v1, v8
	v_cvt_i32_f32_e32 v8, v5
	v_cvt_f32_i32_dpp v10, v10 row_shr:2 row_mask:0xf bank_mask:0xf bound_ctrl:1
	v_add_f32_e32 v4, v4, v11
	v_cvt_i32_f32_e32 v11, v6
	ds_bpermute_b32 v26, v69, v25
	v_cvt_f32_i32_dpp v8, v8 row_shr:2 row_mask:0xf bank_mask:0xf bound_ctrl:1
	v_add_f32_e32 v3, v3, v10
	v_cvt_i32_f32_e32 v7, v4
	v_add_f32_e32 v2, v2, v9
	v_cvt_f32_i32_dpp v11, v11 row_shr:2 row_mask:0xf bank_mask:0xf bound_ctrl:1
	v_add_f32_e32 v5, v5, v8
	v_cvt_i32_f32_e32 v8, v3
	v_cvt_f32_i32_dpp v7, v7 row_shr:2 row_mask:0xf bank_mask:0xf bound_ctrl:1
	s_delay_alu instid0(VALU_DEP_3) | instskip(NEXT) | instid1(VALU_DEP_3)
	v_cvt_i32_f32_e32 v10, v5
	v_cvt_f32_i32_dpp v8, v8 row_shr:1 row_mask:0xf bank_mask:0xf bound_ctrl:1
	s_delay_alu instid0(VALU_DEP_3) | instskip(SKIP_1) | instid1(VALU_DEP_4)
	v_add_f32_e32 v4, v4, v7
	v_cvt_i32_f32_e32 v7, v2
	v_cvt_f32_i32_dpp v10, v10 row_shr:1 row_mask:0xf bank_mask:0xf bound_ctrl:1
	s_delay_alu instid0(VALU_DEP_4) | instskip(SKIP_1) | instid1(VALU_DEP_4)
	v_add_f32_e32 v19, v3, v8
	v_cvt_i32_f32_e32 v3, v75
	v_cvt_f32_i32_dpp v7, v7 row_shr:1 row_mask:0xf bank_mask:0xf bound_ctrl:1
	v_cvt_i32_f32_e32 v9, v4
	v_add_f32_e32 v12, v5, v10
	v_cvt_i32_f32_e32 v5, v73
	v_cvt_f32_i32_dpp v3, v3 row_shr:8 row_mask:0xf bank_mask:0xf bound_ctrl:1
	ds_bpermute_b32 v20, v69, v19
	v_cvt_f32_i32_dpp v9, v9 row_shr:1 row_mask:0xf bank_mask:0xf bound_ctrl:1
	v_cvt_f32_i32_dpp v5, v5 row_shr:8 row_mask:0xf bank_mask:0xf bound_ctrl:1
	v_add_f32_e32 v3, v75, v3
	v_add_f32_e32 v6, v6, v11
	ds_bpermute_b32 v1, v69, v0
	v_add_f32_e32 v5, v73, v5
	v_cvt_i32_f32_e32 v10, v3
	v_cvt_i32_f32_e32 v11, v6
	s_delay_alu instid0(VALU_DEP_3) | instskip(NEXT) | instid1(VALU_DEP_3)
	v_cvt_i32_f32_e32 v14, v5
	v_cvt_f32_i32_dpp v10, v10 row_shr:4 row_mask:0xf bank_mask:0xf bound_ctrl:1
	v_add_f32_e32 v22, v2, v7
	s_delay_alu instid0(VALU_DEP_4) | instskip(SKIP_4) | instid1(VALU_DEP_4)
	v_cvt_f32_i32_dpp v11, v11 row_shr:1 row_mask:0xf bank_mask:0xf bound_ctrl:1
	v_cvt_i32_f32_e32 v2, v76
	v_cvt_f32_i32_dpp v14, v14 row_shr:4 row_mask:0xf bank_mask:0xf bound_ctrl:1
	v_dual_add_f32 v3, v3, v10 :: v_dual_add_f32 v16, v4, v9
	v_cvt_i32_f32_e32 v4, v74
	v_cvt_f32_i32_dpp v2, v2 row_shr:8 row_mask:0xf bank_mask:0xf bound_ctrl:1
	s_delay_alu instid0(VALU_DEP_4) | instskip(NEXT) | instid1(VALU_DEP_4)
	v_add_f32_e32 v5, v5, v14
	v_cvt_i32_f32_e32 v10, v3
	ds_bpermute_b32 v23, v69, v22
	v_cvt_f32_i32_dpp v4, v4 row_shr:8 row_mask:0xf bank_mask:0xf bound_ctrl:1
	v_add_f32_e32 v2, v76, v2
	v_cvt_i32_f32_e32 v14, v5
	v_cvt_f32_i32_dpp v10, v10 row_shr:2 row_mask:0xf bank_mask:0xf bound_ctrl:1
	v_add_f32_e32 v8, v6, v11
	v_cvt_i32_f32_e32 v6, v72
	v_cvt_i32_f32_e32 v7, v2
	v_cvt_f32_i32_dpp v14, v14 row_shr:2 row_mask:0xf bank_mask:0xf bound_ctrl:1
	v_dual_add_f32 v3, v3, v10 :: v_dual_add_f32 v4, v74, v4
	s_delay_alu instid0(VALU_DEP_4) | instskip(NEXT) | instid1(VALU_DEP_4)
	v_cvt_f32_i32_dpp v6, v6 row_shr:8 row_mask:0xf bank_mask:0xf bound_ctrl:1
	v_cvt_f32_i32_dpp v7, v7 row_shr:4 row_mask:0xf bank_mask:0xf bound_ctrl:1
	s_delay_alu instid0(VALU_DEP_4) | instskip(NEXT) | instid1(VALU_DEP_4)
	v_add_f32_e32 v5, v5, v14
	v_cvt_i32_f32_e32 v10, v3
	v_cvt_i32_f32_e32 v11, v4
	v_add_f32_e32 v6, v72, v6
	v_add_f32_e32 v2, v2, v7
	v_cvt_i32_f32_e32 v14, v5
	v_cvt_f32_i32_dpp v10, v10 row_shr:1 row_mask:0xf bank_mask:0xf bound_ctrl:1
	v_cvt_f32_i32_dpp v11, v11 row_shr:4 row_mask:0xf bank_mask:0xf bound_ctrl:1
	v_cvt_i32_f32_e32 v15, v6
	v_cvt_i32_f32_e32 v7, v2
	v_cvt_f32_i32_dpp v18, v14 row_shr:1 row_mask:0xf bank_mask:0xf bound_ctrl:1
	v_add_f32_e32 v10, v3, v10
	v_add_f32_e32 v4, v4, v11
	v_cvt_f32_i32_dpp v15, v15 row_shr:4 row_mask:0xf bank_mask:0xf bound_ctrl:1
	v_cvt_f32_i32_dpp v7, v7 row_shr:2 row_mask:0xf bank_mask:0xf bound_ctrl:1
	ds_bpermute_b32 v17, v69, v16
	ds_bpermute_b32 v9, v69, v8
	v_cvt_i32_f32_e32 v11, v4
	v_add_f32_e32 v6, v6, v15
	v_add_f32_e32 v2, v2, v7
	s_delay_alu instid0(VALU_DEP_3) | instskip(NEXT) | instid1(VALU_DEP_3)
	v_cvt_f32_i32_dpp v11, v11 row_shr:2 row_mask:0xf bank_mask:0xf bound_ctrl:1
	v_cvt_i32_f32_e32 v15, v6
	s_delay_alu instid0(VALU_DEP_2) | instskip(NEXT) | instid1(VALU_DEP_2)
	v_add_f32_e32 v4, v4, v11
	v_cvt_f32_i32_dpp v15, v15 row_shr:2 row_mask:0xf bank_mask:0xf bound_ctrl:1
	s_delay_alu instid0(VALU_DEP_2) | instskip(NEXT) | instid1(VALU_DEP_2)
	v_cvt_i32_f32_e32 v11, v4
	v_add_f32_e32 v7, v6, v15
	v_cvt_i32_f32_e32 v6, v2
	ds_bpermute_b32 v13, v69, v12
	v_cvt_f32_i32_dpp v11, v11 row_shr:1 row_mask:0xf bank_mask:0xf bound_ctrl:1
	v_cvt_i32_f32_e32 v15, v7
	v_cvt_f32_i32_dpp v6, v6 row_shr:1 row_mask:0xf bank_mask:0xf bound_ctrl:1
	s_delay_alu instid0(VALU_DEP_2) | instskip(NEXT) | instid1(VALU_DEP_2)
	v_cvt_f32_i32_dpp v15, v15 row_shr:1 row_mask:0xf bank_mask:0xf bound_ctrl:1
	v_add_f32_e32 v14, v2, v6
	v_add_f32_e32 v6, v4, v11
	;; [unrolled: 1-line block ×3, first 2 shown]
	ds_bpermute_b32 v11, v69, v10
	v_add_f32_e32 v2, v7, v15
	ds_bpermute_b32 v15, v69, v14
	ds_bpermute_b32 v7, v69, v6
	;; [unrolled: 1-line block ×4, first 2 shown]
	s_and_saveexec_b32 s21, s0
	s_cbranch_execz .LBB245_7
; %bb.16:                               ;   in Loop: Header=BB245_8 Depth=1
	v_dual_mov_b32 v35, 0 :: v_dual_mov_b32 v34, 0
	v_dual_mov_b32 v33, 0 :: v_dual_mov_b32 v32, 0
	;; [unrolled: 1-line block ×6, first 2 shown]
	s_and_not1_b32 vcc_lo, exec_lo, s19
	s_cbranch_vccnz .LBB245_18
; %bb.17:                               ;   in Loop: Header=BB245_8 Depth=1
	v_mul_hi_u32 v18, v48, v70
	v_or_b32_e32 v21, 1, v48
	v_or_b32_e32 v24, 2, v48
	;; [unrolled: 1-line block ×3, first 2 shown]
	v_mov_b32_e32 v44, v50
	v_mov_b32_e32 v52, v50
	v_mul_hi_u32 v28, v21, v70
	v_mul_hi_u32 v29, v24, v70
	v_mul_lo_u32 v18, v18, s8
	v_mul_hi_u32 v30, v27, v70
	v_mov_b32_e32 v42, v50
	v_mul_lo_u32 v31, v28, s8
	v_mul_lo_u32 v29, v29, s8
	v_sub_nc_u32_e32 v18, v48, v18
	v_mul_lo_u32 v32, v30, s8
	s_delay_alu instid0(VALU_DEP_2) | instskip(SKIP_4) | instid1(VALU_DEP_4)
	v_subrev_nc_u32_e32 v33, s8, v18
	v_sub_nc_u32_e32 v21, v21, v31
	v_cmp_le_u32_e32 vcc_lo, s8, v18
	v_sub_nc_u32_e32 v24, v24, v29
	v_sub_nc_u32_e32 v27, v27, v32
	v_subrev_nc_u32_e32 v29, s8, v21
	v_cndmask_b32_e32 v18, v18, v33, vcc_lo
	v_cmp_le_u32_e32 vcc_lo, s8, v21
	v_mov_b32_e32 v28, v50
	v_subrev_nc_u32_e32 v31, s8, v24
	v_subrev_nc_u32_e32 v33, s8, v27
	;; [unrolled: 1-line block ×3, first 2 shown]
	v_cndmask_b32_e32 v21, v21, v29, vcc_lo
	v_cmp_le_u32_e32 vcc_lo, s8, v24
	v_cndmask_b32_e32 v24, v24, v31, vcc_lo
	v_cmp_le_u32_e32 vcc_lo, s8, v27
	v_dual_mov_b32 v30, v50 :: v_dual_cndmask_b32 v31, v27, v33
	v_cmp_le_u32_e32 vcc_lo, s8, v18
	v_subrev_nc_u32_e32 v27, s8, v21
	s_delay_alu instid0(VALU_DEP_3) | instskip(SKIP_3) | instid1(VALU_DEP_3)
	v_subrev_nc_u32_e32 v35, s8, v31
	v_cndmask_b32_e32 v49, v18, v34, vcc_lo
	v_cmp_le_u32_e32 vcc_lo, s8, v21
	v_subrev_nc_u32_e32 v18, s8, v24
	v_lshlrev_b64 v[33:34], 1, v[49:50]
	v_cndmask_b32_e32 v27, v21, v27, vcc_lo
	v_cmp_le_u32_e32 vcc_lo, s8, v24
	v_dual_mov_b32 v32, v50 :: v_dual_add_nc_u32 v41, s16, v49
	v_add_nc_u32_e32 v49, s20, v49
	s_delay_alu instid0(VALU_DEP_4) | instskip(SKIP_3) | instid1(VALU_DEP_3)
	v_add_nc_u32_e32 v43, s16, v27
	v_cndmask_b32_e32 v29, v24, v18, vcc_lo
	v_cmp_le_u32_e32 vcc_lo, s8, v31
	v_lshlrev_b64 v[41:42], 1, v[41:42]
	v_lshlrev_b64 v[37:38], 1, v[29:30]
	v_cndmask_b32_e32 v31, v31, v35, vcc_lo
	v_lshlrev_b64 v[35:36], 1, v[27:28]
	v_add_co_u32 v33, vcc_lo, s10, v33
	v_add_co_ci_u32_e32 v34, vcc_lo, s11, v34, vcc_lo
	s_delay_alu instid0(VALU_DEP_4) | instskip(NEXT) | instid1(VALU_DEP_4)
	v_add_nc_u32_e32 v51, s16, v31
	v_add_co_u32 v39, vcc_lo, s10, v35
	v_add_co_ci_u32_e32 v40, vcc_lo, s11, v36, vcc_lo
	v_lshlrev_b64 v[35:36], 1, v[31:32]
	v_add_co_u32 v37, vcc_lo, s10, v37
	v_add_co_ci_u32_e32 v38, vcc_lo, s11, v38, vcc_lo
	s_delay_alu instid0(VALU_DEP_3) | instskip(NEXT) | instid1(VALU_DEP_4)
	v_add_co_u32 v45, vcc_lo, s10, v35
	v_add_co_ci_u32_e32 v46, vcc_lo, s11, v36, vcc_lo
	v_lshlrev_b64 v[35:36], 1, v[43:44]
	v_add_nc_u32_e32 v43, s16, v29
	v_add_co_u32 v41, vcc_lo, s10, v41
	v_add_co_ci_u32_e32 v42, vcc_lo, s11, v42, vcc_lo
	s_delay_alu instid0(VALU_DEP_3) | instskip(SKIP_3) | instid1(VALU_DEP_4)
	v_lshlrev_b64 v[43:44], 1, v[43:44]
	v_add_co_u32 v53, vcc_lo, s10, v35
	v_add_co_ci_u32_e32 v54, vcc_lo, s11, v36, vcc_lo
	v_lshlrev_b64 v[35:36], 1, v[51:52]
	v_add_co_u32 v43, vcc_lo, s10, v43
	v_lshlrev_b64 v[51:52], 1, v[49:50]
	v_add_nc_u32_e32 v49, s20, v27
	v_add_co_ci_u32_e32 v44, vcc_lo, s11, v44, vcc_lo
	v_add_co_u32 v27, vcc_lo, s10, v35
	v_add_co_ci_u32_e32 v28, vcc_lo, s11, v36, vcc_lo
	s_delay_alu instid0(VALU_DEP_4) | instskip(SKIP_3) | instid1(VALU_DEP_3)
	v_lshlrev_b64 v[35:36], 1, v[49:50]
	v_add_nc_u32_e32 v49, s20, v29
	v_add_co_u32 v51, vcc_lo, s10, v51
	v_add_co_ci_u32_e32 v52, vcc_lo, s11, v52, vcc_lo
	v_lshlrev_b64 v[29:30], 1, v[49:50]
	v_add_nc_u32_e32 v49, s20, v31
	v_add_co_u32 v55, vcc_lo, s10, v35
	v_add_co_ci_u32_e32 v56, vcc_lo, s11, v36, vcc_lo
	s_delay_alu instid0(VALU_DEP_3) | instskip(SKIP_2) | instid1(VALU_DEP_3)
	v_lshlrev_b64 v[31:32], 1, v[49:50]
	v_add_co_u32 v57, vcc_lo, s10, v29
	v_add_co_ci_u32_e32 v58, vcc_lo, s11, v30, vcc_lo
	v_add_co_u32 v59, vcc_lo, s10, v31
	s_delay_alu instid0(VALU_DEP_4)
	v_add_co_ci_u32_e32 v60, vcc_lo, s11, v32, vcc_lo
	s_clause 0xb
	global_load_u16 v35, v[33:34], off
	global_load_u16 v34, v[39:40], off
	;; [unrolled: 1-line block ×12, first 2 shown]
.LBB245_18:                             ;   in Loop: Header=BB245_8 Depth=1
	s_waitcnt vmcnt(11) lgkmcnt(0)
	v_dual_add_f32 v25, v25, v26 :: v_dual_lshlrev_b32 v26, 16, v35
	s_delay_alu instid0(VALU_DEP_1) | instskip(NEXT) | instid1(VALU_DEP_1)
	v_add_f32_e32 v26, v25, v26
	v_and_b32_e32 v25, 0x7f800000, v26
	s_delay_alu instid0(VALU_DEP_1) | instskip(SKIP_1) | instid1(SALU_CYCLE_1)
	v_cmp_ne_u32_e32 vcc_lo, 0x7f800000, v25
                                        ; implicit-def: $vgpr25
	s_and_saveexec_b32 s22, vcc_lo
	s_xor_b32 s22, exec_lo, s22
; %bb.19:                               ;   in Loop: Header=BB245_8 Depth=1
	v_bfe_u32 v25, v26, 16, 1
	s_delay_alu instid0(VALU_DEP_1)
	v_add3_u32 v25, v26, v25, 0x7fff
                                        ; implicit-def: $vgpr26
; %bb.20:                               ;   in Loop: Header=BB245_8 Depth=1
	s_and_not1_saveexec_b32 s22, s22
; %bb.21:                               ;   in Loop: Header=BB245_8 Depth=1
	v_and_b32_e32 v25, 0xffff, v26
	v_or_b32_e32 v35, 0x10000, v26
	s_delay_alu instid0(VALU_DEP_2) | instskip(NEXT) | instid1(VALU_DEP_2)
	v_cmp_eq_u32_e32 vcc_lo, 0, v25
	v_cndmask_b32_e32 v25, v35, v26, vcc_lo
; %bb.22:                               ;   in Loop: Header=BB245_8 Depth=1
	s_or_b32 exec_lo, exec_lo, s22
	s_waitcnt vmcnt(10)
	v_dual_add_f32 v0, v0, v1 :: v_dual_lshlrev_b32 v1, 16, v34
	v_mov_b32_e32 v49, v50
	s_mov_b32 s22, exec_lo
	s_delay_alu instid0(VALU_DEP_2) | instskip(NEXT) | instid1(VALU_DEP_2)
	v_add_f32_e32 v26, v0, v1
	v_lshlrev_b64 v[0:1], 1, v[48:49]
	s_delay_alu instid0(VALU_DEP_2) | instskip(NEXT) | instid1(VALU_DEP_2)
	v_and_b32_e32 v34, 0x7f800000, v26
	v_add_co_u32 v0, vcc_lo, s12, v0
	s_delay_alu instid0(VALU_DEP_3)
	v_add_co_ci_u32_e32 v1, vcc_lo, s13, v1, vcc_lo
	global_store_d16_hi_b16 v[0:1], v25, off
                                        ; implicit-def: $vgpr25
	v_cmpx_ne_u32_e32 0x7f800000, v34
	s_xor_b32 s22, exec_lo, s22
; %bb.23:                               ;   in Loop: Header=BB245_8 Depth=1
	v_bfe_u32 v25, v26, 16, 1
	s_delay_alu instid0(VALU_DEP_1)
	v_add3_u32 v25, v26, v25, 0x7fff
                                        ; implicit-def: $vgpr26
; %bb.24:                               ;   in Loop: Header=BB245_8 Depth=1
	s_and_not1_saveexec_b32 s22, s22
; %bb.25:                               ;   in Loop: Header=BB245_8 Depth=1
	v_and_b32_e32 v25, 0xffff, v26
	v_or_b32_e32 v34, 0x10000, v26
	s_delay_alu instid0(VALU_DEP_2) | instskip(NEXT) | instid1(VALU_DEP_2)
	v_cmp_eq_u32_e32 vcc_lo, 0, v25
	v_cndmask_b32_e32 v25, v34, v26, vcc_lo
; %bb.26:                               ;   in Loop: Header=BB245_8 Depth=1
	s_or_b32 exec_lo, exec_lo, s22
	s_waitcnt vmcnt(9)
	v_dual_add_f32 v22, v22, v23 :: v_dual_lshlrev_b32 v23, 16, v33
	global_store_d16_hi_b16 v[0:1], v25, off offset:2
	v_add_f32_e32 v23, v22, v23
	s_delay_alu instid0(VALU_DEP_1) | instskip(NEXT) | instid1(VALU_DEP_1)
	v_and_b32_e32 v22, 0x7f800000, v23
	v_cmp_ne_u32_e32 vcc_lo, 0x7f800000, v22
                                        ; implicit-def: $vgpr22
	s_and_saveexec_b32 s22, vcc_lo
	s_delay_alu instid0(SALU_CYCLE_1)
	s_xor_b32 s22, exec_lo, s22
; %bb.27:                               ;   in Loop: Header=BB245_8 Depth=1
	v_bfe_u32 v22, v23, 16, 1
	s_delay_alu instid0(VALU_DEP_1)
	v_add3_u32 v22, v23, v22, 0x7fff
                                        ; implicit-def: $vgpr23
; %bb.28:                               ;   in Loop: Header=BB245_8 Depth=1
	s_and_not1_saveexec_b32 s22, s22
; %bb.29:                               ;   in Loop: Header=BB245_8 Depth=1
	v_and_b32_e32 v22, 0xffff, v23
	v_or_b32_e32 v25, 0x10000, v23
	s_delay_alu instid0(VALU_DEP_2) | instskip(NEXT) | instid1(VALU_DEP_2)
	v_cmp_eq_u32_e32 vcc_lo, 0, v22
	v_cndmask_b32_e32 v22, v25, v23, vcc_lo
; %bb.30:                               ;   in Loop: Header=BB245_8 Depth=1
	s_or_b32 exec_lo, exec_lo, s22
	v_add_f32_e32 v19, v19, v20
	s_waitcnt vmcnt(8)
	v_lshlrev_b32_e32 v20, 16, v32
	global_store_d16_hi_b16 v[0:1], v22, off offset:4
	v_add_f32_e32 v20, v19, v20
	s_delay_alu instid0(VALU_DEP_1) | instskip(NEXT) | instid1(VALU_DEP_1)
	v_and_b32_e32 v19, 0x7f800000, v20
	v_cmp_ne_u32_e32 vcc_lo, 0x7f800000, v19
                                        ; implicit-def: $vgpr19
	s_and_saveexec_b32 s22, vcc_lo
	s_delay_alu instid0(SALU_CYCLE_1)
	s_xor_b32 s22, exec_lo, s22
; %bb.31:                               ;   in Loop: Header=BB245_8 Depth=1
	v_bfe_u32 v19, v20, 16, 1
	s_delay_alu instid0(VALU_DEP_1)
	v_add3_u32 v19, v20, v19, 0x7fff
                                        ; implicit-def: $vgpr20
; %bb.32:                               ;   in Loop: Header=BB245_8 Depth=1
	s_and_not1_saveexec_b32 s22, s22
; %bb.33:                               ;   in Loop: Header=BB245_8 Depth=1
	v_and_b32_e32 v19, 0xffff, v20
	v_or_b32_e32 v22, 0x10000, v20
	s_delay_alu instid0(VALU_DEP_2) | instskip(NEXT) | instid1(VALU_DEP_2)
	v_cmp_eq_u32_e32 vcc_lo, 0, v19
	v_cndmask_b32_e32 v19, v22, v20, vcc_lo
; %bb.34:                               ;   in Loop: Header=BB245_8 Depth=1
	s_or_b32 exec_lo, exec_lo, s22
	s_waitcnt vmcnt(7)
	v_dual_add_f32 v16, v16, v17 :: v_dual_lshlrev_b32 v17, 16, v31
	s_mov_b32 s22, exec_lo
	global_store_d16_hi_b16 v[0:1], v19, off offset:6
                                        ; implicit-def: $vgpr0
	v_add_f32_e32 v16, v16, v17
	s_delay_alu instid0(VALU_DEP_1) | instskip(NEXT) | instid1(VALU_DEP_1)
	v_and_b32_e32 v17, 0x7f800000, v16
	v_cmpx_ne_u32_e32 0x7f800000, v17
	s_xor_b32 s22, exec_lo, s22
; %bb.35:                               ;   in Loop: Header=BB245_8 Depth=1
	v_bfe_u32 v0, v16, 16, 1
	s_delay_alu instid0(VALU_DEP_1)
	v_add3_u32 v0, v16, v0, 0x7fff
                                        ; implicit-def: $vgpr16
; %bb.36:                               ;   in Loop: Header=BB245_8 Depth=1
	s_and_not1_saveexec_b32 s22, s22
; %bb.37:                               ;   in Loop: Header=BB245_8 Depth=1
	v_and_b32_e32 v0, 0xffff, v16
	v_or_b32_e32 v1, 0x10000, v16
	s_delay_alu instid0(VALU_DEP_2) | instskip(NEXT) | instid1(VALU_DEP_2)
	v_cmp_eq_u32_e32 vcc_lo, 0, v0
	v_cndmask_b32_e32 v0, v1, v16, vcc_lo
; %bb.38:                               ;   in Loop: Header=BB245_8 Depth=1
	s_or_b32 exec_lo, exec_lo, s22
	s_waitcnt vmcnt(6)
	v_dual_add_f32 v1, v12, v13 :: v_dual_lshlrev_b32 v12, 16, v30
	v_add_nc_u32_e32 v49, s7, v48
	s_mov_b32 s22, exec_lo
	s_delay_alu instid0(VALU_DEP_2) | instskip(NEXT) | instid1(VALU_DEP_2)
	v_add_f32_e32 v1, v1, v12
	v_lshlrev_b64 v[12:13], 1, v[49:50]
	s_delay_alu instid0(VALU_DEP_2) | instskip(NEXT) | instid1(VALU_DEP_2)
	v_and_b32_e32 v16, 0x7f800000, v1
	v_add_co_u32 v12, vcc_lo, s12, v12
	s_delay_alu instid0(VALU_DEP_3)
	v_add_co_ci_u32_e32 v13, vcc_lo, s13, v13, vcc_lo
	global_store_d16_hi_b16 v[12:13], v0, off
                                        ; implicit-def: $vgpr0
	v_cmpx_ne_u32_e32 0x7f800000, v16
	s_xor_b32 s22, exec_lo, s22
; %bb.39:                               ;   in Loop: Header=BB245_8 Depth=1
	v_bfe_u32 v0, v1, 16, 1
	s_delay_alu instid0(VALU_DEP_1)
	v_add3_u32 v0, v1, v0, 0x7fff
                                        ; implicit-def: $vgpr1
; %bb.40:                               ;   in Loop: Header=BB245_8 Depth=1
	s_and_not1_saveexec_b32 s22, s22
; %bb.41:                               ;   in Loop: Header=BB245_8 Depth=1
	v_and_b32_e32 v0, 0xffff, v1
	v_or_b32_e32 v12, 0x10000, v1
	s_delay_alu instid0(VALU_DEP_2) | instskip(NEXT) | instid1(VALU_DEP_2)
	v_cmp_eq_u32_e32 vcc_lo, 0, v0
	v_cndmask_b32_e32 v0, v12, v1, vcc_lo
; %bb.42:                               ;   in Loop: Header=BB245_8 Depth=1
	s_or_b32 exec_lo, exec_lo, s22
	v_add_f32_e32 v1, v8, v9
	v_dual_mov_b32 v9, v50 :: v_dual_add_nc_u32 v8, 1, v49
	s_waitcnt vmcnt(5)
	v_lshlrev_b32_e32 v12, 16, v29
	s_mov_b32 s22, exec_lo
	s_delay_alu instid0(VALU_DEP_2) | instskip(NEXT) | instid1(VALU_DEP_2)
	v_lshlrev_b64 v[8:9], 1, v[8:9]
	v_add_f32_e32 v1, v1, v12
	s_delay_alu instid0(VALU_DEP_1) | instskip(NEXT) | instid1(VALU_DEP_3)
	v_and_b32_e32 v12, 0x7f800000, v1
	v_add_co_u32 v8, vcc_lo, s12, v8
	s_delay_alu instid0(VALU_DEP_4)
	v_add_co_ci_u32_e32 v9, vcc_lo, s13, v9, vcc_lo
	global_store_d16_hi_b16 v[8:9], v0, off
                                        ; implicit-def: $vgpr0
	v_cmpx_ne_u32_e32 0x7f800000, v12
	s_xor_b32 s22, exec_lo, s22
; %bb.43:                               ;   in Loop: Header=BB245_8 Depth=1
	v_bfe_u32 v0, v1, 16, 1
	s_delay_alu instid0(VALU_DEP_1)
	v_add3_u32 v0, v1, v0, 0x7fff
                                        ; implicit-def: $vgpr1
; %bb.44:                               ;   in Loop: Header=BB245_8 Depth=1
	s_and_not1_saveexec_b32 s22, s22
; %bb.45:                               ;   in Loop: Header=BB245_8 Depth=1
	v_and_b32_e32 v0, 0xffff, v1
	v_or_b32_e32 v8, 0x10000, v1
	s_delay_alu instid0(VALU_DEP_2) | instskip(NEXT) | instid1(VALU_DEP_2)
	v_cmp_eq_u32_e32 vcc_lo, 0, v0
	v_cndmask_b32_e32 v0, v8, v1, vcc_lo
; %bb.46:                               ;   in Loop: Header=BB245_8 Depth=1
	s_or_b32 exec_lo, exec_lo, s22
	v_dual_add_f32 v1, v14, v15 :: v_dual_add_nc_u32 v8, 2, v49
	s_waitcnt vmcnt(4)
	v_dual_mov_b32 v9, v50 :: v_dual_lshlrev_b32 v12, 16, v28
	s_mov_b32 s22, exec_lo
	s_delay_alu instid0(VALU_DEP_1) | instskip(NEXT) | instid1(VALU_DEP_2)
	v_add_f32_e32 v1, v1, v12
	v_lshlrev_b64 v[8:9], 1, v[8:9]
	s_delay_alu instid0(VALU_DEP_2) | instskip(NEXT) | instid1(VALU_DEP_2)
	v_and_b32_e32 v12, 0x7f800000, v1
	v_add_co_u32 v8, vcc_lo, s12, v8
	s_delay_alu instid0(VALU_DEP_3)
	v_add_co_ci_u32_e32 v9, vcc_lo, s13, v9, vcc_lo
	global_store_d16_hi_b16 v[8:9], v0, off
                                        ; implicit-def: $vgpr0
	v_cmpx_ne_u32_e32 0x7f800000, v12
	s_xor_b32 s22, exec_lo, s22
; %bb.47:                               ;   in Loop: Header=BB245_8 Depth=1
	v_bfe_u32 v0, v1, 16, 1
	s_delay_alu instid0(VALU_DEP_1)
	v_add3_u32 v0, v1, v0, 0x7fff
                                        ; implicit-def: $vgpr1
; %bb.48:                               ;   in Loop: Header=BB245_8 Depth=1
	s_and_not1_saveexec_b32 s22, s22
; %bb.49:                               ;   in Loop: Header=BB245_8 Depth=1
	v_and_b32_e32 v0, 0xffff, v1
	v_or_b32_e32 v8, 0x10000, v1
	s_delay_alu instid0(VALU_DEP_2) | instskip(NEXT) | instid1(VALU_DEP_2)
	v_cmp_eq_u32_e32 vcc_lo, 0, v0
	v_cndmask_b32_e32 v0, v8, v1, vcc_lo
; %bb.50:                               ;   in Loop: Header=BB245_8 Depth=1
	s_or_b32 exec_lo, exec_lo, s22
	v_dual_add_f32 v1, v10, v11 :: v_dual_add_nc_u32 v8, 3, v49
	s_waitcnt vmcnt(3)
	v_dual_mov_b32 v9, v50 :: v_dual_lshlrev_b32 v10, 16, v27
	s_mov_b32 s22, exec_lo
	s_delay_alu instid0(VALU_DEP_1) | instskip(NEXT) | instid1(VALU_DEP_2)
	v_add_f32_e32 v1, v1, v10
	v_lshlrev_b64 v[8:9], 1, v[8:9]
	s_delay_alu instid0(VALU_DEP_2) | instskip(NEXT) | instid1(VALU_DEP_2)
	v_and_b32_e32 v10, 0x7f800000, v1
	v_add_co_u32 v8, vcc_lo, s12, v8
	s_delay_alu instid0(VALU_DEP_3)
	v_add_co_ci_u32_e32 v9, vcc_lo, s13, v9, vcc_lo
	global_store_d16_hi_b16 v[8:9], v0, off
                                        ; implicit-def: $vgpr8
	v_cmpx_ne_u32_e32 0x7f800000, v10
	s_xor_b32 s22, exec_lo, s22
; %bb.51:                               ;   in Loop: Header=BB245_8 Depth=1
	v_bfe_u32 v0, v1, 16, 1
	s_delay_alu instid0(VALU_DEP_1)
	v_add3_u32 v8, v1, v0, 0x7fff
                                        ; implicit-def: $vgpr1
; %bb.52:                               ;   in Loop: Header=BB245_8 Depth=1
	s_and_not1_saveexec_b32 s22, s22
; %bb.53:                               ;   in Loop: Header=BB245_8 Depth=1
	v_and_b32_e32 v0, 0xffff, v1
	v_or_b32_e32 v8, 0x10000, v1
	s_delay_alu instid0(VALU_DEP_2) | instskip(NEXT) | instid1(VALU_DEP_2)
	v_cmp_eq_u32_e32 vcc_lo, 0, v0
	v_cndmask_b32_e32 v8, v8, v1, vcc_lo
; %bb.54:                               ;   in Loop: Header=BB245_8 Depth=1
	s_or_b32 exec_lo, exec_lo, s22
	s_waitcnt vmcnt(2)
	v_dual_add_f32 v0, v6, v7 :: v_dual_lshlrev_b32 v1, 16, v24
	v_add_nc_u32_e32 v49, s7, v49
	s_delay_alu instid0(VALU_DEP_2) | instskip(NEXT) | instid1(VALU_DEP_2)
	v_add_f32_e32 v6, v0, v1
	v_lshlrev_b64 v[0:1], 1, v[49:50]
	s_delay_alu instid0(VALU_DEP_2) | instskip(NEXT) | instid1(VALU_DEP_2)
	v_and_b32_e32 v7, 0x7f800000, v6
	v_add_co_u32 v0, vcc_lo, s12, v0
	s_delay_alu instid0(VALU_DEP_3) | instskip(NEXT) | instid1(VALU_DEP_3)
	v_add_co_ci_u32_e32 v1, vcc_lo, s13, v1, vcc_lo
	v_cmp_ne_u32_e32 vcc_lo, 0x7f800000, v7
                                        ; implicit-def: $vgpr7
	global_store_d16_hi_b16 v[0:1], v8, off
	s_and_saveexec_b32 s22, vcc_lo
	s_delay_alu instid0(SALU_CYCLE_1)
	s_xor_b32 s22, exec_lo, s22
; %bb.55:                               ;   in Loop: Header=BB245_8 Depth=1
	v_bfe_u32 v7, v6, 16, 1
	s_delay_alu instid0(VALU_DEP_1)
	v_add3_u32 v7, v6, v7, 0x7fff
                                        ; implicit-def: $vgpr6
; %bb.56:                               ;   in Loop: Header=BB245_8 Depth=1
	s_and_not1_saveexec_b32 s22, s22
; %bb.57:                               ;   in Loop: Header=BB245_8 Depth=1
	v_and_b32_e32 v7, 0xffff, v6
	v_or_b32_e32 v8, 0x10000, v6
	s_delay_alu instid0(VALU_DEP_2) | instskip(NEXT) | instid1(VALU_DEP_2)
	v_cmp_eq_u32_e32 vcc_lo, 0, v7
	v_cndmask_b32_e32 v7, v8, v6, vcc_lo
; %bb.58:                               ;   in Loop: Header=BB245_8 Depth=1
	s_or_b32 exec_lo, exec_lo, s22
	v_add_f32_e32 v4, v4, v5
	s_waitcnt vmcnt(1)
	v_lshlrev_b32_e32 v5, 16, v21
	s_mov_b32 s22, exec_lo
	global_store_d16_hi_b16 v[0:1], v7, off offset:2
                                        ; implicit-def: $vgpr0
	v_add_f32_e32 v4, v4, v5
	s_delay_alu instid0(VALU_DEP_1) | instskip(NEXT) | instid1(VALU_DEP_1)
	v_and_b32_e32 v5, 0x7f800000, v4
	v_cmpx_ne_u32_e32 0x7f800000, v5
	s_xor_b32 s22, exec_lo, s22
; %bb.59:                               ;   in Loop: Header=BB245_8 Depth=1
	v_bfe_u32 v0, v4, 16, 1
	s_delay_alu instid0(VALU_DEP_1)
	v_add3_u32 v0, v4, v0, 0x7fff
                                        ; implicit-def: $vgpr4
; %bb.60:                               ;   in Loop: Header=BB245_8 Depth=1
	s_and_not1_saveexec_b32 s22, s22
; %bb.61:                               ;   in Loop: Header=BB245_8 Depth=1
	v_and_b32_e32 v0, 0xffff, v4
	v_or_b32_e32 v1, 0x10000, v4
	s_delay_alu instid0(VALU_DEP_2) | instskip(NEXT) | instid1(VALU_DEP_2)
	v_cmp_eq_u32_e32 vcc_lo, 0, v0
	v_cndmask_b32_e32 v0, v1, v4, vcc_lo
; %bb.62:                               ;   in Loop: Header=BB245_8 Depth=1
	s_or_b32 exec_lo, exec_lo, s22
	v_dual_add_f32 v1, v2, v3 :: v_dual_add_nc_u32 v2, 2, v49
	s_waitcnt vmcnt(0)
	v_dual_mov_b32 v3, v50 :: v_dual_lshlrev_b32 v4, 16, v18
	s_mov_b32 s22, exec_lo
	s_delay_alu instid0(VALU_DEP_1) | instskip(NEXT) | instid1(VALU_DEP_2)
	v_add_f32_e32 v1, v1, v4
	v_lshlrev_b64 v[2:3], 1, v[2:3]
	s_delay_alu instid0(VALU_DEP_2) | instskip(NEXT) | instid1(VALU_DEP_2)
	v_and_b32_e32 v4, 0x7f800000, v1
	v_add_co_u32 v2, vcc_lo, s12, v2
	s_delay_alu instid0(VALU_DEP_3)
	v_add_co_ci_u32_e32 v3, vcc_lo, s13, v3, vcc_lo
	global_store_d16_hi_b16 v[2:3], v0, off
                                        ; implicit-def: $vgpr0
	v_cmpx_ne_u32_e32 0x7f800000, v4
	s_xor_b32 s22, exec_lo, s22
; %bb.63:                               ;   in Loop: Header=BB245_8 Depth=1
	v_bfe_u32 v0, v1, 16, 1
	s_delay_alu instid0(VALU_DEP_1)
	v_add3_u32 v0, v1, v0, 0x7fff
                                        ; implicit-def: $vgpr1
; %bb.64:                               ;   in Loop: Header=BB245_8 Depth=1
	s_and_not1_saveexec_b32 s22, s22
	s_cbranch_execz .LBB245_6
; %bb.65:                               ;   in Loop: Header=BB245_8 Depth=1
	v_and_b32_e32 v0, 0xffff, v1
	v_or_b32_e32 v2, 0x10000, v1
	s_delay_alu instid0(VALU_DEP_2) | instskip(NEXT) | instid1(VALU_DEP_2)
	v_cmp_eq_u32_e32 vcc_lo, 0, v0
	v_cndmask_b32_e32 v0, v2, v1, vcc_lo
	s_branch .LBB245_6
.LBB245_66:
	s_nop 0
	s_sendmsg sendmsg(MSG_DEALLOC_VGPRS)
	s_endpgm
	.section	.rodata,"a",@progbits
	.p2align	6, 0x0
	.amdhsa_kernel _Z16wvSplitK_hf_sml_I14__hip_bfloat16Li64ELi4ELi16ELi8ELi2ELi3EEviiiiiiPKT_S3_S3_PS1_ii
		.amdhsa_group_segment_fixed_size 65536
		.amdhsa_private_segment_fixed_size 0
		.amdhsa_kernarg_size 64
		.amdhsa_user_sgpr_count 15
		.amdhsa_user_sgpr_dispatch_ptr 0
		.amdhsa_user_sgpr_queue_ptr 0
		.amdhsa_user_sgpr_kernarg_segment_ptr 1
		.amdhsa_user_sgpr_dispatch_id 0
		.amdhsa_user_sgpr_private_segment_size 0
		.amdhsa_wavefront_size32 1
		.amdhsa_uses_dynamic_stack 0
		.amdhsa_enable_private_segment 0
		.amdhsa_system_sgpr_workgroup_id_x 1
		.amdhsa_system_sgpr_workgroup_id_y 0
		.amdhsa_system_sgpr_workgroup_id_z 0
		.amdhsa_system_sgpr_workgroup_info 0
		.amdhsa_system_vgpr_workitem_id 1
		.amdhsa_next_free_vgpr 104
		.amdhsa_next_free_sgpr 24
		.amdhsa_reserve_vcc 1
		.amdhsa_float_round_mode_32 0
		.amdhsa_float_round_mode_16_64 0
		.amdhsa_float_denorm_mode_32 3
		.amdhsa_float_denorm_mode_16_64 3
		.amdhsa_dx10_clamp 1
		.amdhsa_ieee_mode 1
		.amdhsa_fp16_overflow 0
		.amdhsa_workgroup_processor_mode 1
		.amdhsa_memory_ordered 1
		.amdhsa_forward_progress 0
		.amdhsa_shared_vgpr_count 0
		.amdhsa_exception_fp_ieee_invalid_op 0
		.amdhsa_exception_fp_denorm_src 0
		.amdhsa_exception_fp_ieee_div_zero 0
		.amdhsa_exception_fp_ieee_overflow 0
		.amdhsa_exception_fp_ieee_underflow 0
		.amdhsa_exception_fp_ieee_inexact 0
		.amdhsa_exception_int_div_zero 0
	.end_amdhsa_kernel
	.section	.text._Z16wvSplitK_hf_sml_I14__hip_bfloat16Li64ELi4ELi16ELi8ELi2ELi3EEviiiiiiPKT_S3_S3_PS1_ii,"axG",@progbits,_Z16wvSplitK_hf_sml_I14__hip_bfloat16Li64ELi4ELi16ELi8ELi2ELi3EEviiiiiiPKT_S3_S3_PS1_ii,comdat
.Lfunc_end245:
	.size	_Z16wvSplitK_hf_sml_I14__hip_bfloat16Li64ELi4ELi16ELi8ELi2ELi3EEviiiiiiPKT_S3_S3_PS1_ii, .Lfunc_end245-_Z16wvSplitK_hf_sml_I14__hip_bfloat16Li64ELi4ELi16ELi8ELi2ELi3EEviiiiiiPKT_S3_S3_PS1_ii
                                        ; -- End function
	.section	.AMDGPU.csdata,"",@progbits
; Kernel info:
; codeLenInByte = 6840
; NumSgprs: 26
; NumVgprs: 104
; ScratchSize: 0
; MemoryBound: 0
; FloatMode: 240
; IeeeMode: 1
; LDSByteSize: 65536 bytes/workgroup (compile time only)
; SGPRBlocks: 3
; VGPRBlocks: 12
; NumSGPRsForWavesPerEU: 26
; NumVGPRsForWavesPerEU: 104
; Occupancy: 12
; WaveLimiterHint : 0
; COMPUTE_PGM_RSRC2:SCRATCH_EN: 0
; COMPUTE_PGM_RSRC2:USER_SGPR: 15
; COMPUTE_PGM_RSRC2:TRAP_HANDLER: 0
; COMPUTE_PGM_RSRC2:TGID_X_EN: 1
; COMPUTE_PGM_RSRC2:TGID_Y_EN: 0
; COMPUTE_PGM_RSRC2:TGID_Z_EN: 0
; COMPUTE_PGM_RSRC2:TIDIG_COMP_CNT: 1
	.section	.text._Z12wvSplitK_hf_I14__hip_bfloat16Li64ELi4ELi16ELi8ELi2ELi3EEviiiiiiPKT_S3_S3_PS1_ii,"axG",@progbits,_Z12wvSplitK_hf_I14__hip_bfloat16Li64ELi4ELi16ELi8ELi2ELi3EEviiiiiiPKT_S3_S3_PS1_ii,comdat
	.protected	_Z12wvSplitK_hf_I14__hip_bfloat16Li64ELi4ELi16ELi8ELi2ELi3EEviiiiiiPKT_S3_S3_PS1_ii ; -- Begin function _Z12wvSplitK_hf_I14__hip_bfloat16Li64ELi4ELi16ELi8ELi2ELi3EEviiiiiiPKT_S3_S3_PS1_ii
	.globl	_Z12wvSplitK_hf_I14__hip_bfloat16Li64ELi4ELi16ELi8ELi2ELi3EEviiiiiiPKT_S3_S3_PS1_ii
	.p2align	8
	.type	_Z12wvSplitK_hf_I14__hip_bfloat16Li64ELi4ELi16ELi8ELi2ELi3EEviiiiiiPKT_S3_S3_PS1_ii,@function
_Z12wvSplitK_hf_I14__hip_bfloat16Li64ELi4ELi16ELi8ELi2ELi3EEviiiiiiPKT_S3_S3_PS1_ii: ; @_Z12wvSplitK_hf_I14__hip_bfloat16Li64ELi4ELi16ELi8ELi2ELi3EEviiiiiiPKT_S3_S3_PS1_ii
; %bb.0:
	s_clause 0x1
	s_load_b64 s[20:21], s[0:1], 0x38
	s_load_b128 s[8:11], s[0:1], 0x0
	v_bfe_u32 v7, v0, 10, 10
	s_clause 0x1
	s_load_b64 s[12:13], s[0:1], 0x20
	s_load_b64 s[16:17], s[0:1], 0x10
	s_mov_b32 s4, 1
	s_delay_alu instid0(SALU_CYCLE_1) | instskip(SKIP_4) | instid1(SALU_CYCLE_1)
	s_mov_b32 s5, s4
	s_mov_b32 s6, s4
	;; [unrolled: 1-line block ×3, first 2 shown]
	s_waitcnt lgkmcnt(0)
	s_mul_i32 s15, s15, s20
	v_add_lshl_u32 v61, s15, v7, 2
	s_delay_alu instid0(VALU_DEP_1) | instskip(SKIP_1) | instid1(VALU_DEP_2)
	v_add_nc_u32_e32 v1, 4, v61
	v_cmp_gt_u32_e32 vcc_lo, s11, v61
	v_cmp_le_u32_e64 s2, s11, v1
	v_dual_mov_b32 v1, s4 :: v_dual_mov_b32 v4, s7
	v_dual_mov_b32 v2, s5 :: v_dual_mov_b32 v3, s6
	s_delay_alu instid0(VALU_DEP_3) | instskip(NEXT) | instid1(SALU_CYCLE_1)
	s_and_b32 s2, vcc_lo, s2
	s_and_saveexec_b32 s14, s2
	s_cbranch_execz .LBB246_6
; %bb.1:
	v_dual_mov_b32 v1, s4 :: v_dual_mov_b32 v2, s5
	v_dual_mov_b32 v3, s6 :: v_dual_mov_b32 v4, s7
	s_add_i32 s15, s11, -4
	s_mov_b32 s18, exec_lo
	v_cmpx_ne_u32_e64 s15, v61
	s_cbranch_execz .LBB246_5
; %bb.2:
	v_subrev_nc_u32_e32 v1, s15, v61
	s_mov_b32 s19, 0
	s_mov_b64 s[2:3], 0
	s_mov_b32 s5, s4
	s_mov_b32 s6, s4
	v_cmp_lt_u32_e32 vcc_lo, 1, v1
	s_mov_b32 s7, s4
	v_cndmask_b32_e32 v5, 1, v1, vcc_lo
	.p2align	6
.LBB246_3:                              ; =>This Inner Loop Header: Depth=1
	s_cmp_lg_u32 s2, 3
	s_cselect_b32 s7, s7, 0
	s_cmp_lg_u32 s2, 2
	s_cselect_b32 s6, s6, 0
	;; [unrolled: 2-line block ×4, first 2 shown]
	s_add_u32 s2, s2, 1
	v_dual_mov_b32 v1, s4 :: v_dual_mov_b32 v2, s5
	v_cmp_eq_u32_e32 vcc_lo, s2, v5
	v_dual_mov_b32 v3, s6 :: v_dual_mov_b32 v4, s7
	s_addc_u32 s3, s3, 0
	s_or_b32 s19, vcc_lo, s19
	s_delay_alu instid0(SALU_CYCLE_1)
	s_and_not1_b32 exec_lo, exec_lo, s19
	s_cbranch_execnz .LBB246_3
; %bb.4:
	s_or_b32 exec_lo, exec_lo, s19
	v_mov_b32_e32 v61, s15
.LBB246_5:
	s_or_b32 exec_lo, exec_lo, s18
.LBB246_6:
	s_delay_alu instid0(SALU_CYCLE_1)
	s_or_b32 exec_lo, exec_lo, s14
	s_load_b64 s[6:7], s[0:1], 0x28
	v_and_b32_e32 v8, 0x3ff, v0
	s_mul_i32 s2, s10, 3
	s_mov_b32 s4, exec_lo
	s_min_u32 s3, s2, 0x8000
	s_delay_alu instid0(VALU_DEP_1) | instskip(NEXT) | instid1(VALU_DEP_1)
	v_lshlrev_b32_e32 v0, 3, v8
	v_lshl_add_u32 v9, v7, 9, v0
	s_delay_alu instid0(VALU_DEP_1)
	v_cmpx_gt_u32_e64 s3, v9
	s_cbranch_execz .LBB246_9
; %bb.7:
	v_lshlrev_b32_e32 v10, 10, v7
	v_lshlrev_b32_e32 v11, 4, v8
	s_mov_b32 s5, 0
	s_delay_alu instid0(VALU_DEP_1) | instskip(NEXT) | instid1(VALU_DEP_1)
	v_add_co_u32 v5, s2, v10, v11
	v_add_co_ci_u32_e64 v6, null, 0, 0, s2
	v_add_nc_u32_e32 v10, v10, v11
	s_delay_alu instid0(VALU_DEP_3) | instskip(NEXT) | instid1(VALU_DEP_3)
	v_add_co_u32 v5, vcc_lo, s12, v5
	v_add_co_ci_u32_e32 v6, vcc_lo, s13, v6, vcc_lo
	.p2align	6
.LBB246_8:                              ; =>This Inner Loop Header: Depth=1
	global_load_b128 v[11:14], v[5:6], off
	v_add_nc_u32_e32 v9, 0x2000, v9
	v_add_co_u32 v5, vcc_lo, 0x4000, v5
	v_add_co_ci_u32_e32 v6, vcc_lo, 0, v6, vcc_lo
	s_delay_alu instid0(VALU_DEP_3) | instskip(NEXT) | instid1(VALU_DEP_1)
	v_cmp_le_u32_e64 s2, s3, v9
	s_or_b32 s5, s2, s5
	s_waitcnt vmcnt(0)
	ds_store_b128 v10, v[11:14]
	v_add_nc_u32_e32 v10, 0x4000, v10
	s_and_not1_b32 exec_lo, exec_lo, s5
	s_cbranch_execnz .LBB246_8
.LBB246_9:
	s_or_b32 exec_lo, exec_lo, s4
	v_cmp_gt_u32_e32 vcc_lo, s20, v7
	v_cmp_gt_u32_e64 s2, s11, v61
	s_waitcnt lgkmcnt(0)
	s_barrier
	buffer_gl0_inv
	s_and_b32 s2, vcc_lo, s2
	s_delay_alu instid0(SALU_CYCLE_1)
	s_and_saveexec_b32 s3, s2
	s_cbranch_execz .LBB246_124
; %bb.10:
	s_cmp_lg_u32 s8, 0
	v_mbcnt_lo_u32_b32 v7, -1, 0
	s_cselect_b32 s22, -1, 0
	s_add_i32 s23, s8, -8
	s_add_i32 s24, s11, -1
	s_cmp_lg_u64 s[6:7], 0
	v_cvt_f32_u32_e32 v6, s16
	s_cselect_b32 s25, -1, 0
	s_abs_i32 s2, s17
	s_clause 0x1
	s_load_b64 s[14:15], s[0:1], 0x18
	s_load_b64 s[18:19], s[0:1], 0x30
	v_cvt_f32_u32_e32 v5, s2
	v_rcp_iflag_f32_e32 v6, v6
	s_mul_i32 s1, s20, s21
	s_add_i32 s21, s11, -4
	s_lshl_b32 s20, s1, 2
	v_rcp_iflag_f32_e32 v5, v5
	s_sub_i32 s1, 0, s2
	s_sub_i32 s4, 0, s16
	;; [unrolled: 1-line block ×3, first 2 shown]
	v_cmp_eq_u32_e64 s0, 63, v8
	v_lshlrev_b32_e32 v79, 4, v8
	s_mov_b32 s17, 0
	s_waitcnt_depctr 0xfff
	v_dual_mul_f32 v5, 0x4f7ffffe, v5 :: v_dual_add_nc_u32 v80, s10, v0
	s_delay_alu instid0(VALU_DEP_1) | instskip(NEXT) | instid1(VALU_DEP_1)
	v_cvt_u32_f32_e32 v5, v5
	v_readfirstlane_b32 s3, v5
	v_mul_f32_e32 v5, 0x4f7ffffe, v6
	v_xor_b32_e32 v6, 16, v7
	s_delay_alu instid0(VALU_DEP_3) | instskip(NEXT) | instid1(VALU_DEP_2)
	s_mul_i32 s1, s1, s3
	v_cvt_u32_f32_e32 v5, v5
	s_mul_hi_u32 s1, s3, s1
	s_delay_alu instid0(VALU_DEP_2)
	v_cmp_gt_i32_e32 vcc_lo, 32, v6
	s_add_i32 s3, s3, s1
	s_cmp_lt_u32 s2, 2
	v_mul_lo_u32 v9, s4, v5
	s_cselect_b32 s1, s5, 1
	v_cndmask_b32_e32 v6, v7, v6, vcc_lo
	s_sub_i32 s5, s1, s2
	s_cmp_ge_u32 s1, s2
	s_cselect_b32 s27, s5, s1
	s_lshr_b32 s1, s3, 31
	s_delay_alu instid0(VALU_DEP_2)
	v_mul_hi_u32 v7, v5, v9
	s_mul_i32 s1, s1, s2
	v_mov_b32_e32 v63, 0
	s_sub_i32 s1, 2, s1
	v_lshlrev_b32_e32 v81, 2, v6
	s_sub_i32 s3, s1, s2
	s_cmp_ge_u32 s1, s2
	s_mul_i32 s27, s27, s16
	v_add_nc_u32_e32 v82, v5, v7
	s_cselect_b32 s1, s3, s1
	s_delay_alu instid0(SALU_CYCLE_1)
	s_sub_i32 s3, s1, s2
	s_cmp_ge_u32 s1, s2
	s_cselect_b32 s28, s3, s1
	s_lshl_b32 s26, s10, 1
	s_mul_i32 s28, s28, s16
	v_add_nc_u32_e32 v83, s26, v0
	s_lshl_b32 s10, s10, 2
	s_branch .LBB246_13
.LBB246_11:                             ;   in Loop: Header=BB246_13 Depth=1
	s_or_b32 exec_lo, exec_lo, s30
	v_mov_b32_e32 v61, s21
.LBB246_12:                             ;   in Loop: Header=BB246_13 Depth=1
	s_or_b32 exec_lo, exec_lo, s29
	s_delay_alu instid0(VALU_DEP_1) | instskip(SKIP_1) | instid1(SALU_CYCLE_1)
	v_cmp_le_u32_e32 vcc_lo, s11, v61
	s_or_b32 s17, vcc_lo, s17
	s_and_not1_b32 exec_lo, exec_lo, s17
	s_cbranch_execz .LBB246_124
.LBB246_13:                             ; =>This Loop Header: Depth=1
                                        ;     Child Loop BB246_18 Depth 2
                                        ;     Child Loop BB246_122 Depth 2
	v_dual_mov_b32 v85, v63 :: v_dual_add_nc_u32 v66, 1, v61
	v_dual_mov_b32 v84, v63 :: v_dual_add_nc_u32 v65, 2, v61
	;; [unrolled: 1-line block ×3, first 2 shown]
	v_mov_b32_e32 v88, v63
	v_mov_b32_e32 v96, v63
	;; [unrolled: 1-line block ×9, first 2 shown]
	s_and_not1_b32 vcc_lo, exec_lo, s22
	s_cbranch_vccnz .LBB246_44
; %bb.14:                               ;   in Loop: Header=BB246_13 Depth=1
	v_min_u32_e32 v5, s24, v61
	s_waitcnt lgkmcnt(0)
	v_min_u32_e32 v6, s24, v66
	v_min_u32_e32 v7, s24, v65
	;; [unrolled: 1-line block ×3, first 2 shown]
	v_dual_mov_b32 v10, v63 :: v_dual_mov_b32 v93, 0
	v_mul_lo_u32 v62, v5, s9
	v_mul_lo_u32 v5, v6, s9
	v_mul_lo_u32 v7, v7, s9
	v_mul_lo_u32 v9, v8, s9
	v_dual_mov_b32 v6, v63 :: v_dual_mov_b32 v89, 0
	v_dual_mov_b32 v8, v63 :: v_dual_mov_b32 v91, 0
	v_lshlrev_b64 v[67:68], 1, v[62:63]
	s_delay_alu instid0(VALU_DEP_3) | instskip(SKIP_1) | instid1(VALU_DEP_4)
	v_lshlrev_b64 v[69:70], 1, v[5:6]
	v_dual_mov_b32 v86, v79 :: v_dual_mov_b32 v95, 0
	v_lshlrev_b64 v[71:72], 1, v[7:8]
	v_lshlrev_b64 v[73:74], 1, v[9:10]
	v_dual_mov_b32 v92, 0 :: v_dual_mov_b32 v87, 0
	v_dual_mov_b32 v90, 0 :: v_dual_mov_b32 v85, 0
	v_mov_b32_e32 v94, 0
	v_mov_b32_e32 v96, 0
	;; [unrolled: 1-line block ×4, first 2 shown]
	s_mov_b32 s1, 0
	s_branch .LBB246_18
.LBB246_15:                             ;   in Loop: Header=BB246_18 Depth=2
	s_or_b32 exec_lo, exec_lo, s4
.LBB246_16:                             ;   in Loop: Header=BB246_18 Depth=2
	s_delay_alu instid0(SALU_CYCLE_1)
	s_or_b32 exec_lo, exec_lo, s3
.LBB246_17:                             ;   in Loop: Header=BB246_18 Depth=2
	s_delay_alu instid0(SALU_CYCLE_1)
	s_or_b32 exec_lo, exec_lo, s2
	s_waitcnt vmcnt(0) lgkmcnt(0)
	v_and_b32_e32 v105, 0xffff0000, v58
	v_lshlrev_b32_e32 v106, 16, v58
	v_and_b32_e32 v107, 0xffff0000, v59
	v_and_b32_e32 v58, 0xffff0000, v51
	v_lshlrev_b32_e32 v62, 16, v49
	v_lshlrev_b32_e32 v108, 16, v59
	v_and_b32_e32 v76, 0xffff0000, v45
	v_and_b32_e32 v59, 0xffff0000, v52
	;; [unrolled: 1-line block ×4, first 2 shown]
	v_lshlrev_b32_e32 v46, 16, v46
	v_lshlrev_b32_e32 v51, 16, v51
	v_and_b32_e32 v78, 0xffff0000, v50
	v_lshlrev_b32_e32 v104, 16, v57
	v_and_b32_e32 v102, 0xffff0000, v57
	v_and_b32_e32 v77, 0xffff0000, v49
	v_lshlrev_b32_e32 v50, 16, v50
	v_dual_mul_f32 v57, v105, v78 :: v_dual_and_b32 v100, 0xffff0000, v41
	v_lshlrev_b32_e32 v99, 16, v37
	s_delay_alu instid0(VALU_DEP_4) | instskip(SKIP_3) | instid1(VALU_DEP_3)
	v_dual_mul_f32 v49, v102, v77 :: v_dual_and_b32 v120, 0xffff0000, v56
	v_add_nc_u32_e32 v86, 0x800, v86
	s_addk_i32 s1, 0x400
	v_lshlrev_b32_e32 v37, 16, v44
	v_dual_fmac_f32 v49, v104, v62 :: v_dual_mul_f32 v98, v102, v76
	v_mul_f32_e32 v113, v102, v103
	s_cmp_ge_u32 s1, s8
	v_lshlrev_b32_e32 v101, 16, v43
	s_delay_alu instid0(VALU_DEP_3)
	v_add_f32_e32 v49, v89, v49
	v_fmac_f32_e32 v57, v106, v50
	v_fmac_f32_e32 v113, v104, v99
	v_lshlrev_b32_e32 v115, 16, v53
	v_lshlrev_b32_e32 v117, 16, v54
	;; [unrolled: 1-line block ×3, first 2 shown]
	v_add_f32_e32 v97, v49, v57
	v_lshlrev_b32_e32 v57, 16, v45
	v_dual_add_f32 v91, v91, v113 :: v_dual_lshlrev_b32 v110, 16, v60
	s_delay_alu instid0(VALU_DEP_2) | instskip(NEXT) | instid1(VALU_DEP_1)
	v_fmac_f32_e32 v98, v104, v57
	v_dual_add_f32 v92, v92, v98 :: v_dual_and_b32 v49, 0xffff0000, v47
	v_and_b32_e32 v109, 0xffff0000, v60
	v_mul_f32_e32 v89, v107, v58
	s_delay_alu instid0(VALU_DEP_3) | instskip(NEXT) | instid1(VALU_DEP_3)
	v_dual_mul_f32 v98, v107, v49 :: v_dual_lshlrev_b32 v47, 16, v47
	v_dual_mul_f32 v52, v109, v59 :: v_dual_lshlrev_b32 v45, 16, v52
	v_mul_f32_e32 v60, v105, v75
	v_and_b32_e32 v114, 0xffff0000, v53
	s_delay_alu instid0(VALU_DEP_2) | instskip(SKIP_1) | instid1(VALU_DEP_1)
	v_dual_fmac_f32 v60, v106, v46 :: v_dual_lshlrev_b32 v53, 16, v33
	v_fmac_f32_e32 v89, v108, v51
	v_dual_add_f32 v60, v92, v60 :: v_dual_add_f32 v89, v97, v89
	v_mul_f32_e32 v92, v102, v100
	v_fmac_f32_e32 v98, v108, v47
	v_fmac_f32_e32 v52, v110, v45
	v_and_b32_e32 v102, 0xffff0000, v38
	s_delay_alu instid0(VALU_DEP_3) | instskip(NEXT) | instid1(VALU_DEP_3)
	v_add_f32_e32 v111, v60, v98
	v_dual_add_f32 v89, v89, v52 :: v_dual_lshlrev_b32 v52, 16, v41
	v_and_b32_e32 v97, 0xffff0000, v42
	v_and_b32_e32 v60, 0xffff0000, v48
	s_delay_alu instid0(VALU_DEP_3)
	v_fmac_f32_e32 v92, v104, v52
	v_lshlrev_b32_e32 v41, 16, v48
	v_lshlrev_b32_e32 v48, 16, v42
	v_mul_f32_e32 v42, v105, v97
	v_mul_f32_e32 v104, v105, v102
	v_add_f32_e32 v90, v90, v92
	s_delay_alu instid0(VALU_DEP_3) | instskip(NEXT) | instid1(VALU_DEP_1)
	v_fmac_f32_e32 v42, v106, v48
	v_add_f32_e32 v90, v90, v42
	v_and_b32_e32 v42, 0xffff0000, v44
	v_and_b32_e32 v44, 0xffff0000, v39
	;; [unrolled: 1-line block ×3, first 2 shown]
	v_lshlrev_b32_e32 v43, 16, v38
	s_delay_alu instid0(VALU_DEP_4) | instskip(SKIP_1) | instid1(VALU_DEP_3)
	v_mul_f32_e32 v105, v109, v42
	v_mul_f32_e32 v112, v109, v60
	v_fmac_f32_e32 v104, v106, v43
	v_and_b32_e32 v106, 0xffff0000, v33
	s_delay_alu instid0(VALU_DEP_4) | instskip(NEXT) | instid1(VALU_DEP_3)
	v_fmac_f32_e32 v105, v110, v37
	v_dual_fmac_f32 v112, v110, v41 :: v_dual_add_f32 v91, v91, v104
	s_delay_alu instid0(VALU_DEP_3) | instskip(SKIP_3) | instid1(VALU_DEP_4)
	v_dual_mul_f32 v33, v114, v106 :: v_dual_lshlrev_b32 v38, 16, v39
	v_mul_f32_e32 v39, v107, v44
	v_mul_f32_e32 v92, v107, v98
	v_and_b32_e32 v107, 0xffff0000, v34
	v_fmac_f32_e32 v33, v115, v53
	s_delay_alu instid0(VALU_DEP_4) | instskip(NEXT) | instid1(VALU_DEP_4)
	v_fmac_f32_e32 v39, v108, v38
	v_fmac_f32_e32 v92, v108, v101
	s_delay_alu instid0(VALU_DEP_2) | instskip(NEXT) | instid1(VALU_DEP_2)
	v_dual_add_f32 v91, v91, v39 :: v_dual_and_b32 v108, 0xffff0000, v29
	v_add_f32_e32 v90, v90, v92
	s_delay_alu instid0(VALU_DEP_1)
	v_dual_add_f32 v90, v90, v105 :: v_dual_lshlrev_b32 v105, 16, v40
	v_and_b32_e32 v116, 0xffff0000, v54
	v_dual_add_f32 v54, v89, v33 :: v_dual_lshlrev_b32 v33, 16, v35
	v_and_b32_e32 v118, 0xffff0000, v55
	v_and_b32_e32 v104, 0xffff0000, v40
	v_lshlrev_b32_e32 v40, 16, v34
	v_and_b32_e32 v34, 0xffff0000, v35
	s_delay_alu instid0(VALU_DEP_1) | instskip(NEXT) | instid1(VALU_DEP_4)
	v_dual_add_f32 v92, v111, v112 :: v_dual_mul_f32 v55, v118, v34
	v_mul_f32_e32 v111, v109, v104
	s_delay_alu instid0(VALU_DEP_2) | instskip(NEXT) | instid1(VALU_DEP_2)
	v_fmac_f32_e32 v55, v119, v33
	v_fmac_f32_e32 v111, v110, v105
	v_mul_f32_e32 v39, v116, v107
	s_delay_alu instid0(VALU_DEP_2) | instskip(NEXT) | instid1(VALU_DEP_2)
	v_add_f32_e32 v91, v91, v111
	v_fmac_f32_e32 v39, v117, v40
	s_delay_alu instid0(VALU_DEP_1) | instskip(SKIP_2) | instid1(VALU_DEP_2)
	v_dual_add_f32 v89, v54, v39 :: v_dual_lshlrev_b32 v54, 16, v29
	v_mul_f32_e32 v29, v114, v108
	v_and_b32_e32 v39, 0xffff0000, v36
	v_fmac_f32_e32 v29, v115, v54
	v_lshlrev_b32_e32 v121, 16, v56
	v_dual_add_f32 v56, v89, v55 :: v_dual_and_b32 v109, 0xffff0000, v30
	s_delay_alu instid0(VALU_DEP_1) | instskip(SKIP_1) | instid1(VALU_DEP_2)
	v_dual_mul_f32 v30, v116, v109 :: v_dual_lshlrev_b32 v55, 16, v30
	v_dual_mul_f32 v36, v120, v39 :: v_dual_lshlrev_b32 v35, 16, v36
	v_fmac_f32_e32 v30, v117, v55
	s_delay_alu instid0(VALU_DEP_2) | instskip(NEXT) | instid1(VALU_DEP_1)
	v_fmac_f32_e32 v36, v121, v35
	v_add_f32_e32 v89, v56, v36
	v_add_f32_e32 v36, v92, v29
	s_delay_alu instid0(VALU_DEP_1) | instskip(SKIP_2) | instid1(VALU_DEP_3)
	v_dual_add_f32 v113, v36, v30 :: v_dual_and_b32 v110, 0xffff0000, v31
	v_and_b32_e32 v36, 0xffff0000, v32
	v_and_b32_e32 v56, 0xffff0000, v21
	v_dual_mul_f32 v92, v118, v110 :: v_dual_lshlrev_b32 v111, 16, v31
	v_lshlrev_b32_e32 v29, 16, v21
	s_delay_alu instid0(VALU_DEP_4) | instskip(NEXT) | instid1(VALU_DEP_4)
	v_mul_f32_e32 v123, v120, v36
	v_mul_f32_e32 v112, v114, v56
	s_delay_alu instid0(VALU_DEP_4) | instskip(SKIP_2) | instid1(VALU_DEP_4)
	v_dual_fmac_f32 v92, v119, v111 :: v_dual_lshlrev_b32 v21, 16, v32
	v_and_b32_e32 v30, 0xffff0000, v22
	v_lshlrev_b32_e32 v22, 16, v22
	v_fmac_f32_e32 v112, v115, v29
	s_delay_alu instid0(VALU_DEP_4) | instskip(NEXT) | instid1(VALU_DEP_4)
	v_fmac_f32_e32 v123, v121, v21
	v_dual_mul_f32 v122, v116, v30 :: v_dual_and_b32 v31, 0xffff0000, v23
	v_dual_add_f32 v92, v113, v92 :: v_dual_and_b32 v113, 0xffff0000, v17
	s_delay_alu instid0(VALU_DEP_4) | instskip(NEXT) | instid1(VALU_DEP_3)
	v_dual_add_f32 v32, v90, v112 :: v_dual_lshlrev_b32 v23, 16, v23
	v_fmac_f32_e32 v122, v117, v22
	v_lshlrev_b32_e32 v112, 16, v17
	s_delay_alu instid0(VALU_DEP_4) | instskip(SKIP_1) | instid1(VALU_DEP_2)
	v_mul_f32_e32 v114, v114, v113
	v_dual_mul_f32 v90, v118, v31 :: v_dual_lshlrev_b32 v17, 16, v24
	v_fmac_f32_e32 v114, v115, v112
	s_delay_alu instid0(VALU_DEP_1)
	v_add_f32_e32 v91, v91, v114
	v_add_f32_e32 v122, v32, v122
	v_and_b32_e32 v114, 0xffff0000, v19
	v_and_b32_e32 v32, 0xffff0000, v24
	;; [unrolled: 1-line block ×3, first 2 shown]
	v_lshlrev_b32_e32 v18, 16, v18
	v_lshlrev_b32_e32 v19, 16, v19
	s_delay_alu instid0(VALU_DEP_3) | instskip(NEXT) | instid1(VALU_DEP_1)
	v_dual_mul_f32 v115, v116, v24 :: v_dual_fmac_f32 v90, v119, v23
	v_fmac_f32_e32 v115, v117, v18
	v_dual_mul_f32 v117, v118, v114 :: v_dual_mul_f32 v124, v120, v32
	s_delay_alu instid0(VALU_DEP_2) | instskip(NEXT) | instid1(VALU_DEP_2)
	v_add_f32_e32 v91, v91, v115
	v_fmac_f32_e32 v117, v119, v19
	v_and_b32_e32 v119, 0xffff0000, v26
	v_and_b32_e32 v116, 0xffff0000, v25
	v_dual_add_f32 v90, v122, v90 :: v_dual_lshlrev_b32 v25, 16, v25
	s_delay_alu instid0(VALU_DEP_4)
	v_add_f32_e32 v91, v91, v117
	v_and_b32_e32 v117, 0xffff0000, v27
	v_lshlrev_b32_e32 v26, 16, v26
	v_mul_f32_e32 v118, v116, v77
	v_mul_f32_e32 v122, v119, v78
	v_dual_fmac_f32 v124, v121, v17 :: v_dual_lshlrev_b32 v27, 16, v27
	s_delay_alu instid0(VALU_DEP_3) | instskip(SKIP_1) | instid1(VALU_DEP_4)
	v_dual_fmac_f32 v118, v25, v62 :: v_dual_and_b32 v115, 0xffff0000, v20
	v_add_f32_e32 v92, v92, v123
	v_fmac_f32_e32 v122, v26, v50
	v_dual_mul_f32 v123, v119, v75 :: v_dual_lshlrev_b32 v20, 16, v20
	s_delay_alu instid0(VALU_DEP_4) | instskip(SKIP_2) | instid1(VALU_DEP_3)
	v_add_f32_e32 v93, v93, v118
	v_mul_f32_e32 v118, v117, v58
	v_add_f32_e32 v90, v90, v124
	v_dual_mul_f32 v124, v119, v97 :: v_dual_add_f32 v93, v93, v122
	s_delay_alu instid0(VALU_DEP_3) | instskip(NEXT) | instid1(VALU_DEP_1)
	v_fmac_f32_e32 v118, v27, v51
	v_dual_mul_f32 v120, v120, v115 :: v_dual_add_f32 v93, v93, v118
	s_delay_alu instid0(VALU_DEP_1) | instskip(SKIP_1) | instid1(VALU_DEP_1)
	v_fmac_f32_e32 v120, v121, v20
	v_mul_f32_e32 v121, v116, v76
	v_fmac_f32_e32 v121, v25, v57
	s_delay_alu instid0(VALU_DEP_1) | instskip(SKIP_3) | instid1(VALU_DEP_3)
	v_add_f32_e32 v95, v95, v121
	v_mul_f32_e32 v121, v117, v49
	v_dual_fmac_f32 v123, v26, v46 :: v_dual_mul_f32 v118, v116, v100
	v_mul_f32_e32 v116, v116, v103
	v_fmac_f32_e32 v121, v27, v47
	s_delay_alu instid0(VALU_DEP_3)
	v_add_f32_e32 v95, v95, v123
	v_add_f32_e32 v91, v91, v120
	v_and_b32_e32 v120, 0xffff0000, v28
	v_lshlrev_b32_e32 v28, 16, v28
	v_fmac_f32_e32 v118, v25, v52
	v_dual_fmac_f32 v116, v25, v99 :: v_dual_mul_f32 v25, v119, v102
	s_delay_alu instid0(VALU_DEP_4) | instskip(NEXT) | instid1(VALU_DEP_2)
	v_dual_mul_f32 v122, v120, v59 :: v_dual_and_b32 v119, 0xffff0000, v13
	v_dual_add_f32 v96, v96, v116 :: v_dual_lshlrev_b32 v13, 16, v13
	s_delay_alu instid0(VALU_DEP_2)
	v_dual_fmac_f32 v25, v26, v43 :: v_dual_fmac_f32 v122, v28, v45
	v_add_f32_e32 v94, v94, v118
	v_mul_f32_e32 v118, v117, v98
	v_mul_f32_e32 v117, v117, v44
	v_add_f32_e32 v95, v95, v121
	v_add_f32_e32 v93, v93, v122
	v_mul_f32_e32 v121, v120, v60
	v_mul_f32_e32 v116, v120, v42
	v_add_f32_e32 v25, v96, v25
	v_dual_fmac_f32 v117, v27, v38 :: v_dual_mul_f32 v120, v120, v104
	s_delay_alu instid0(VALU_DEP_4) | instskip(NEXT) | instid1(VALU_DEP_2)
	v_fmac_f32_e32 v121, v28, v41
	v_add_f32_e32 v25, v25, v117
	s_delay_alu instid0(VALU_DEP_3) | instskip(SKIP_2) | instid1(VALU_DEP_3)
	v_fmac_f32_e32 v120, v28, v105
	v_dual_fmac_f32 v118, v27, v101 :: v_dual_and_b32 v27, 0xffff0000, v15
	v_dual_fmac_f32 v124, v26, v48 :: v_dual_lshlrev_b32 v15, 16, v15
	v_dual_mul_f32 v26, v119, v106 :: v_dual_add_f32 v25, v25, v120
	s_delay_alu instid0(VALU_DEP_3) | instskip(NEXT) | instid1(VALU_DEP_3)
	v_mul_f32_e32 v120, v27, v110
	v_add_f32_e32 v94, v94, v124
	s_delay_alu instid0(VALU_DEP_3) | instskip(NEXT) | instid1(VALU_DEP_3)
	v_fmac_f32_e32 v26, v13, v53
	v_fmac_f32_e32 v120, v15, v111
	s_delay_alu instid0(VALU_DEP_2) | instskip(SKIP_3) | instid1(VALU_DEP_3)
	v_add_f32_e32 v26, v93, v26
	v_mul_f32_e32 v93, v27, v34
	v_add_f32_e32 v94, v94, v118
	v_and_b32_e32 v118, 0xffff0000, v14
	v_dual_fmac_f32 v93, v15, v33 :: v_dual_lshlrev_b32 v14, 16, v14
	s_delay_alu instid0(VALU_DEP_2) | instskip(NEXT) | instid1(VALU_DEP_1)
	v_mul_f32_e32 v96, v118, v107
	v_fmac_f32_e32 v96, v14, v40
	s_delay_alu instid0(VALU_DEP_1) | instskip(SKIP_2) | instid1(VALU_DEP_2)
	v_add_f32_e32 v26, v26, v96
	v_and_b32_e32 v96, 0xffff0000, v16
	v_lshlrev_b32_e32 v16, 16, v16
	v_dual_add_f32 v26, v26, v93 :: v_dual_mul_f32 v117, v96, v39
	s_delay_alu instid0(VALU_DEP_1) | instskip(SKIP_1) | instid1(VALU_DEP_1)
	v_fmac_f32_e32 v117, v16, v35
	v_mul_f32_e32 v93, v118, v109
	v_dual_fmac_f32 v93, v14, v55 :: v_dual_fmac_f32 v116, v28, v37
	v_add_f32_e32 v28, v95, v121
	v_mul_f32_e32 v95, v119, v108
	s_delay_alu instid0(VALU_DEP_1) | instskip(NEXT) | instid1(VALU_DEP_1)
	v_fmac_f32_e32 v95, v13, v54
	v_dual_add_f32 v28, v28, v95 :: v_dual_mul_f32 v95, v118, v30
	s_delay_alu instid0(VALU_DEP_1) | instskip(SKIP_1) | instid1(VALU_DEP_2)
	v_add_f32_e32 v28, v28, v93
	v_dual_add_f32 v93, v26, v117 :: v_dual_mul_f32 v26, v96, v36
	v_dual_fmac_f32 v95, v14, v22 :: v_dual_add_f32 v28, v28, v120
	s_delay_alu instid0(VALU_DEP_2) | instskip(SKIP_3) | instid1(VALU_DEP_2)
	v_fmac_f32_e32 v26, v16, v21
	v_add_f32_e32 v94, v94, v116
	v_mul_f32_e32 v116, v119, v56
	v_mul_f32_e32 v119, v119, v113
	v_fmac_f32_e32 v116, v13, v29
	s_delay_alu instid0(VALU_DEP_2) | instskip(NEXT) | instid1(VALU_DEP_2)
	v_fmac_f32_e32 v119, v13, v112
	v_add_f32_e32 v94, v94, v116
	v_mul_f32_e32 v116, v27, v31
	s_delay_alu instid0(VALU_DEP_3) | instskip(NEXT) | instid1(VALU_DEP_3)
	v_add_f32_e32 v25, v25, v119
	v_dual_mul_f32 v27, v27, v114 :: v_dual_add_f32 v94, v94, v95
	v_dual_add_f32 v95, v28, v26 :: v_dual_mul_f32 v28, v118, v24
	s_delay_alu instid0(VALU_DEP_2) | instskip(SKIP_1) | instid1(VALU_DEP_3)
	v_dual_fmac_f32 v27, v15, v19 :: v_dual_and_b32 v26, 0xffff0000, v10
	v_lshlrev_b32_e32 v10, 16, v10
	v_fmac_f32_e32 v28, v14, v18
	v_and_b32_e32 v14, 0xffff0000, v11
	v_lshlrev_b32_e32 v11, 16, v11
	s_delay_alu instid0(VALU_DEP_3) | instskip(NEXT) | instid1(VALU_DEP_1)
	v_add_f32_e32 v25, v25, v28
	v_add_f32_e32 v25, v25, v27
	v_mul_f32_e32 v27, v26, v75
	s_delay_alu instid0(VALU_DEP_1) | instskip(NEXT) | instid1(VALU_DEP_1)
	v_dual_fmac_f32 v116, v15, v23 :: v_dual_fmac_f32 v27, v10, v46
	v_add_f32_e32 v94, v94, v116
	v_and_b32_e32 v116, 0xffff0000, v9
	v_lshlrev_b32_e32 v9, 16, v9
	v_mul_f32_e32 v46, v14, v49
	s_delay_alu instid0(VALU_DEP_3) | instskip(SKIP_2) | instid1(VALU_DEP_3)
	v_mul_f32_e32 v13, v116, v77
	v_mul_f32_e32 v117, v96, v32
	;; [unrolled: 1-line block ×3, first 2 shown]
	v_dual_fmac_f32 v46, v11, v47 :: v_dual_fmac_f32 v13, v9, v62
	s_delay_alu instid0(VALU_DEP_1) | instskip(NEXT) | instid1(VALU_DEP_1)
	v_dual_mul_f32 v62, v26, v78 :: v_dual_add_f32 v13, v88, v13
	v_fmac_f32_e32 v62, v10, v50
	v_dual_mul_f32 v50, v14, v58 :: v_dual_fmac_f32 v117, v16, v17
	v_fmac_f32_e32 v15, v16, v20
	s_delay_alu instid0(VALU_DEP_3) | instskip(NEXT) | instid1(VALU_DEP_3)
	v_dual_add_f32 v13, v13, v62 :: v_dual_and_b32 v16, 0xffff0000, v12
	v_dual_fmac_f32 v50, v11, v51 :: v_dual_mul_f32 v51, v116, v100
	v_lshlrev_b32_e32 v12, 16, v12
	s_delay_alu instid0(VALU_DEP_4) | instskip(NEXT) | instid1(VALU_DEP_3)
	v_add_f32_e32 v96, v25, v15
	v_dual_add_f32 v13, v13, v50 :: v_dual_mul_f32 v50, v16, v59
	s_delay_alu instid0(VALU_DEP_1) | instskip(SKIP_1) | instid1(VALU_DEP_2)
	v_dual_fmac_f32 v51, v9, v52 :: v_dual_fmac_f32 v50, v12, v45
	v_mul_f32_e32 v45, v26, v97
	v_dual_add_f32 v47, v85, v51 :: v_dual_mul_f32 v28, v116, v76
	v_mul_f32_e32 v49, v116, v103
	s_delay_alu instid0(VALU_DEP_2) | instskip(NEXT) | instid1(VALU_DEP_2)
	v_dual_fmac_f32 v45, v10, v48 :: v_dual_fmac_f32 v28, v9, v57
	v_fmac_f32_e32 v49, v9, v99
	v_add_f32_e32 v9, v13, v50
	v_mul_f32_e32 v13, v26, v102
	v_mul_f32_e32 v48, v14, v98
	v_add_f32_e32 v28, v87, v28
	v_mul_f32_e32 v14, v14, v44
	s_delay_alu instid0(VALU_DEP_3) | instskip(NEXT) | instid1(VALU_DEP_3)
	v_dual_fmac_f32 v13, v10, v43 :: v_dual_fmac_f32 v48, v11, v101
	v_dual_add_f32 v27, v28, v27 :: v_dual_add_f32 v94, v94, v117
	v_mul_f32_e32 v28, v16, v60
	s_delay_alu instid0(VALU_DEP_4) | instskip(NEXT) | instid1(VALU_DEP_2)
	v_fmac_f32_e32 v14, v11, v38
	v_dual_add_f32 v27, v27, v46 :: v_dual_fmac_f32 v28, v12, v41
	v_add_f32_e32 v41, v47, v45
	s_delay_alu instid0(VALU_DEP_2) | instskip(NEXT) | instid1(VALU_DEP_2)
	v_add_f32_e32 v26, v27, v28
	v_dual_add_f32 v28, v84, v49 :: v_dual_add_f32 v27, v41, v48
	v_and_b32_e32 v41, 0xffff0000, v5
	v_lshlrev_b32_e32 v5, 16, v5
	s_delay_alu instid0(VALU_DEP_3) | instskip(SKIP_2) | instid1(VALU_DEP_3)
	v_add_f32_e32 v13, v28, v13
	v_mul_f32_e32 v11, v16, v104
	v_mul_f32_e32 v10, v16, v42
	v_add_f32_e32 v13, v13, v14
	s_delay_alu instid0(VALU_DEP_3) | instskip(NEXT) | instid1(VALU_DEP_3)
	v_fmac_f32_e32 v11, v12, v105
	v_fmac_f32_e32 v10, v12, v37
	v_mul_f32_e32 v12, v41, v108
	s_delay_alu instid0(VALU_DEP_3) | instskip(SKIP_1) | instid1(VALU_DEP_4)
	v_dual_add_f32 v11, v13, v11 :: v_dual_and_b32 v28, 0xffff0000, v6
	v_mul_f32_e32 v42, v41, v106
	v_dual_add_f32 v10, v27, v10 :: v_dual_and_b32 v27, 0xffff0000, v8
	v_lshlrev_b32_e32 v6, 16, v6
	s_delay_alu instid0(VALU_DEP_4) | instskip(NEXT) | instid1(VALU_DEP_4)
	v_mul_f32_e32 v16, v28, v107
	v_dual_fmac_f32 v42, v5, v53 :: v_dual_and_b32 v13, 0xffff0000, v7
	v_lshlrev_b32_e32 v8, 16, v8
	s_delay_alu instid0(VALU_DEP_3) | instskip(NEXT) | instid1(VALU_DEP_3)
	v_dual_fmac_f32 v16, v6, v40 :: v_dual_lshlrev_b32 v7, 16, v7
	v_add_f32_e32 v9, v9, v42
	v_fmac_f32_e32 v12, v5, v54
	s_delay_alu instid0(VALU_DEP_2) | instskip(SKIP_1) | instid1(VALU_DEP_1)
	v_add_f32_e32 v9, v9, v16
	v_mul_f32_e32 v16, v13, v34
	v_fmac_f32_e32 v16, v7, v33
	v_mul_f32_e32 v33, v27, v39
	s_delay_alu instid0(VALU_DEP_2) | instskip(NEXT) | instid1(VALU_DEP_2)
	v_add_f32_e32 v9, v9, v16
	v_dual_mul_f32 v16, v41, v113 :: v_dual_fmac_f32 v33, v8, v35
	v_add_f32_e32 v12, v26, v12
	v_mul_f32_e32 v26, v13, v110
	s_delay_alu instid0(VALU_DEP_3) | instskip(NEXT) | instid1(VALU_DEP_4)
	v_fmac_f32_e32 v16, v5, v112
	v_add_f32_e32 v88, v9, v33
	s_delay_alu instid0(VALU_DEP_3) | instskip(NEXT) | instid1(VALU_DEP_3)
	v_fmac_f32_e32 v26, v7, v111
	v_dual_add_f32 v11, v11, v16 :: v_dual_mul_f32 v14, v28, v109
	s_delay_alu instid0(VALU_DEP_1) | instskip(NEXT) | instid1(VALU_DEP_1)
	v_fmac_f32_e32 v14, v6, v55
	v_add_f32_e32 v12, v12, v14
	v_mul_f32_e32 v14, v41, v56
	s_delay_alu instid0(VALU_DEP_2) | instskip(NEXT) | instid1(VALU_DEP_2)
	v_add_f32_e32 v12, v12, v26
	v_fmac_f32_e32 v14, v5, v29
	v_mul_f32_e32 v26, v28, v30
	v_mul_f32_e32 v5, v28, v24
	s_delay_alu instid0(VALU_DEP_3) | instskip(NEXT) | instid1(VALU_DEP_3)
	v_dual_mul_f32 v29, v27, v36 :: v_dual_add_f32 v10, v10, v14
	v_fmac_f32_e32 v26, v6, v22
	s_delay_alu instid0(VALU_DEP_3) | instskip(SKIP_1) | instid1(VALU_DEP_3)
	v_dual_mul_f32 v14, v13, v31 :: v_dual_fmac_f32 v5, v6, v18
	v_dual_mul_f32 v6, v13, v114 :: v_dual_mul_f32 v13, v27, v32
	v_add_f32_e32 v10, v10, v26
	s_delay_alu instid0(VALU_DEP_3) | instskip(NEXT) | instid1(VALU_DEP_4)
	v_fmac_f32_e32 v14, v7, v23
	v_add_f32_e32 v5, v11, v5
	s_delay_alu instid0(VALU_DEP_4) | instskip(SKIP_1) | instid1(VALU_DEP_4)
	v_fmac_f32_e32 v6, v7, v19
	v_mul_f32_e32 v7, v27, v115
	v_dual_fmac_f32 v29, v8, v21 :: v_dual_add_f32 v10, v10, v14
	v_fmac_f32_e32 v13, v8, v17
	s_delay_alu instid0(VALU_DEP_4) | instskip(NEXT) | instid1(VALU_DEP_4)
	v_add_f32_e32 v5, v5, v6
	v_fmac_f32_e32 v7, v8, v20
	s_delay_alu instid0(VALU_DEP_4) | instskip(NEXT) | instid1(VALU_DEP_2)
	v_add_f32_e32 v87, v12, v29
	v_dual_add_f32 v85, v10, v13 :: v_dual_add_f32 v84, v5, v7
	s_cbranch_scc1 .LBB246_44
.LBB246_18:                             ;   Parent Loop BB246_13 Depth=1
                                        ; =>  This Inner Loop Header: Depth=2
	v_add_nc_u32_e32 v76, s1, v0
	v_dual_mov_b32 v56, 0 :: v_dual_mov_b32 v55, 0
	v_dual_mov_b32 v54, 0 :: v_dual_mov_b32 v53, 0
	s_delay_alu instid0(VALU_DEP_3)
	v_min_u32_e32 v62, s23, v76
	v_dual_mov_b32 v28, 0 :: v_dual_add_nc_u32 v75, 0x200, v76
	s_waitcnt vmcnt(3)
	v_dual_mov_b32 v27, 0 :: v_dual_mov_b32 v26, 0
	v_mov_b32_e32 v25, 0
	v_lshlrev_b64 v[5:6], 1, v[62:63]
	v_min_u32_e32 v62, s23, v75
	v_dual_mov_b32 v60, 0 :: v_dual_mov_b32 v59, 0
	v_dual_mov_b32 v58, 0 :: v_dual_mov_b32 v57, 0
	s_waitcnt lgkmcnt(0)
	s_delay_alu instid0(VALU_DEP_4) | instskip(SKIP_2) | instid1(VALU_DEP_3)
	v_add_co_u32 v13, vcc_lo, s14, v5
	v_add_co_ci_u32_e32 v14, vcc_lo, s15, v6, vcc_lo
	v_lshlrev_b64 v[5:6], 1, v[62:63]
	v_add_co_u32 v7, vcc_lo, v13, v67
	s_delay_alu instid0(VALU_DEP_3)
	v_add_co_ci_u32_e32 v8, vcc_lo, v14, v68, vcc_lo
	v_add_co_u32 v9, vcc_lo, v13, v69
	v_add_co_ci_u32_e32 v10, vcc_lo, v14, v70, vcc_lo
	v_add_co_u32 v11, vcc_lo, v13, v71
	;; [unrolled: 2-line block ×4, first 2 shown]
	v_add_co_ci_u32_e32 v6, vcc_lo, v14, v74, vcc_lo
	s_clause 0x1
	global_load_b128 v[49:52], v[7:8], off slc dlc
	global_load_b128 v[45:48], v[9:10], off slc dlc
	v_add_co_u32 v7, vcc_lo, v15, v67
	v_add_co_ci_u32_e32 v8, vcc_lo, v16, v68, vcc_lo
	v_add_co_u32 v9, vcc_lo, v15, v69
	v_add_co_ci_u32_e32 v10, vcc_lo, v16, v70, vcc_lo
	;; [unrolled: 2-line block ×4, first 2 shown]
	s_clause 0x5
	global_load_b128 v[41:44], v[11:12], off slc dlc
	global_load_b128 v[37:40], v[5:6], off slc dlc
	global_load_b128 v[33:36], v[7:8], off slc dlc
	global_load_b128 v[29:32], v[9:10], off slc dlc
	global_load_b128 v[21:24], v[13:14], off slc dlc
	global_load_b128 v[17:20], v[15:16], off slc dlc
	v_dual_mov_b32 v8, 0 :: v_dual_mov_b32 v7, 0
	v_cmp_gt_u32_e32 vcc_lo, s8, v76
	v_dual_mov_b32 v6, 0 :: v_dual_mov_b32 v5, 0
	v_dual_mov_b32 v16, 0 :: v_dual_mov_b32 v15, 0
	v_dual_mov_b32 v14, 0 :: v_dual_mov_b32 v13, 0
	v_dual_mov_b32 v12, 0 :: v_dual_mov_b32 v11, 0
	v_dual_mov_b32 v10, 0 :: v_dual_mov_b32 v9, 0
	s_and_saveexec_b32 s2, vcc_lo
	s_cbranch_execz .LBB246_17
; %bb.19:                               ;   in Loop: Header=BB246_18 Depth=2
	s_mov_b32 s3, exec_lo
                                        ; implicit-def: $vgpr60
	v_cmpx_lt_u32_e32 0x7fff, v76
	s_xor_b32 s3, exec_lo, s3
	s_cbranch_execz .LBB246_21
; %bb.20:                               ;   in Loop: Header=BB246_18 Depth=2
	v_mov_b32_e32 v77, v63
	s_delay_alu instid0(VALU_DEP_1) | instskip(NEXT) | instid1(VALU_DEP_1)
	v_lshlrev_b64 v[5:6], 1, v[76:77]
	v_add_co_u32 v5, vcc_lo, s12, v5
	s_delay_alu instid0(VALU_DEP_2)
	v_add_co_ci_u32_e32 v6, vcc_lo, s13, v6, vcc_lo
	global_load_b128 v[57:60], v[5:6], off
.LBB246_21:                             ;   in Loop: Header=BB246_18 Depth=2
	s_and_not1_saveexec_b32 s3, s3
	s_cbranch_execz .LBB246_23
; %bb.22:                               ;   in Loop: Header=BB246_18 Depth=2
	s_waitcnt vmcnt(0)
	ds_load_b128 v[57:60], v86
.LBB246_23:                             ;   in Loop: Header=BB246_18 Depth=2
	s_or_b32 exec_lo, exec_lo, s3
	v_add_nc_u32_e32 v62, s1, v80
	s_mov_b32 s3, exec_lo
                                        ; implicit-def: $vgpr28
	s_delay_alu instid0(VALU_DEP_1)
	v_cmpx_lt_u32_e32 0x7fff, v62
	s_xor_b32 s3, exec_lo, s3
	s_cbranch_execz .LBB246_25
; %bb.24:                               ;   in Loop: Header=BB246_18 Depth=2
	v_lshlrev_b64 v[5:6], 1, v[62:63]
	s_delay_alu instid0(VALU_DEP_1) | instskip(NEXT) | instid1(VALU_DEP_2)
	v_add_co_u32 v5, vcc_lo, s12, v5
	v_add_co_ci_u32_e32 v6, vcc_lo, s13, v6, vcc_lo
	global_load_b128 v[25:28], v[5:6], off
.LBB246_25:                             ;   in Loop: Header=BB246_18 Depth=2
	s_and_not1_saveexec_b32 s3, s3
	s_cbranch_execz .LBB246_27
; %bb.26:                               ;   in Loop: Header=BB246_18 Depth=2
	v_add_nc_u32_e32 v5, s26, v86
	s_waitcnt vmcnt(0)
	ds_load_b128 v[25:28], v5
.LBB246_27:                             ;   in Loop: Header=BB246_18 Depth=2
	s_or_b32 exec_lo, exec_lo, s3
	v_add_nc_u32_e32 v77, s1, v83
	s_mov_b32 s3, exec_lo
                                        ; implicit-def: $vgpr12
	s_delay_alu instid0(VALU_DEP_1)
	v_cmpx_lt_u32_e32 0x7fff, v77
	s_xor_b32 s3, exec_lo, s3
	s_cbranch_execz .LBB246_29
; %bb.28:                               ;   in Loop: Header=BB246_18 Depth=2
	v_mov_b32_e32 v78, v63
	s_delay_alu instid0(VALU_DEP_1) | instskip(NEXT) | instid1(VALU_DEP_1)
	v_lshlrev_b64 v[5:6], 1, v[77:78]
	v_add_co_u32 v5, vcc_lo, s12, v5
	s_delay_alu instid0(VALU_DEP_2)
	v_add_co_ci_u32_e32 v6, vcc_lo, s13, v6, vcc_lo
	global_load_b128 v[9:12], v[5:6], off
.LBB246_29:                             ;   in Loop: Header=BB246_18 Depth=2
	s_and_not1_saveexec_b32 s3, s3
	s_cbranch_execz .LBB246_31
; %bb.30:                               ;   in Loop: Header=BB246_18 Depth=2
	v_add_nc_u32_e32 v5, s10, v86
	s_waitcnt vmcnt(0)
	ds_load_2addr_b32 v[9:10], v5 offset1:1
	ds_load_2addr_b32 v[11:12], v5 offset0:2 offset1:3
.LBB246_31:                             ;   in Loop: Header=BB246_18 Depth=2
	s_or_b32 exec_lo, exec_lo, s3
	v_dual_mov_b32 v8, 0 :: v_dual_mov_b32 v7, 0
	v_dual_mov_b32 v6, 0 :: v_dual_mov_b32 v5, 0
	v_dual_mov_b32 v16, 0 :: v_dual_mov_b32 v15, 0
	v_dual_mov_b32 v14, 0 :: v_dual_mov_b32 v13, 0
	v_dual_mov_b32 v56, 0 :: v_dual_mov_b32 v55, 0
	v_dual_mov_b32 v54, 0 :: v_dual_mov_b32 v53, 0
	s_mov_b32 s3, exec_lo
	v_cmpx_gt_u32_e64 s8, v75
	s_cbranch_execz .LBB246_16
; %bb.32:                               ;   in Loop: Header=BB246_18 Depth=2
	s_mov_b32 s4, exec_lo
                                        ; implicit-def: $vgpr56
	v_cmpx_lt_u32_e32 0x7fff, v75
	s_xor_b32 s4, exec_lo, s4
	s_cbranch_execz .LBB246_34
; %bb.33:                               ;   in Loop: Header=BB246_18 Depth=2
	v_mov_b32_e32 v76, v63
	s_delay_alu instid0(VALU_DEP_1) | instskip(NEXT) | instid1(VALU_DEP_1)
	v_lshlrev_b64 v[5:6], 1, v[75:76]
	v_add_co_u32 v5, vcc_lo, s12, v5
	s_delay_alu instid0(VALU_DEP_2)
	v_add_co_ci_u32_e32 v6, vcc_lo, s13, v6, vcc_lo
	global_load_b128 v[53:56], v[5:6], off
.LBB246_34:                             ;   in Loop: Header=BB246_18 Depth=2
	s_and_not1_saveexec_b32 s4, s4
	s_cbranch_execz .LBB246_36
; %bb.35:                               ;   in Loop: Header=BB246_18 Depth=2
	s_waitcnt vmcnt(0)
	ds_load_b128 v[53:56], v86 offset:1024
.LBB246_36:                             ;   in Loop: Header=BB246_18 Depth=2
	s_or_b32 exec_lo, exec_lo, s4
	v_add_nc_u32_e32 v62, 0x200, v62
	s_mov_b32 s4, exec_lo
                                        ; implicit-def: $vgpr16
	s_delay_alu instid0(VALU_DEP_1)
	v_cmpx_lt_u32_e32 0x7fff, v62
	s_xor_b32 s4, exec_lo, s4
	s_cbranch_execz .LBB246_38
; %bb.37:                               ;   in Loop: Header=BB246_18 Depth=2
	v_lshlrev_b64 v[5:6], 1, v[62:63]
	s_delay_alu instid0(VALU_DEP_1) | instskip(NEXT) | instid1(VALU_DEP_2)
	v_add_co_u32 v5, vcc_lo, s12, v5
	v_add_co_ci_u32_e32 v6, vcc_lo, s13, v6, vcc_lo
	global_load_b128 v[13:16], v[5:6], off
.LBB246_38:                             ;   in Loop: Header=BB246_18 Depth=2
	s_and_not1_saveexec_b32 s4, s4
	s_cbranch_execz .LBB246_40
; %bb.39:                               ;   in Loop: Header=BB246_18 Depth=2
	v_add_nc_u32_e32 v5, s26, v86
	s_waitcnt vmcnt(0)
	ds_load_b128 v[13:16], v5 offset:1024
.LBB246_40:                             ;   in Loop: Header=BB246_18 Depth=2
	s_or_b32 exec_lo, exec_lo, s4
	v_add_nc_u32_e32 v62, 0x200, v77
	s_mov_b32 s4, exec_lo
                                        ; implicit-def: $vgpr8
	s_delay_alu instid0(VALU_DEP_1)
	v_cmpx_lt_u32_e32 0x7fff, v62
	s_xor_b32 s4, exec_lo, s4
	s_cbranch_execz .LBB246_42
; %bb.41:                               ;   in Loop: Header=BB246_18 Depth=2
	v_lshlrev_b64 v[5:6], 1, v[62:63]
	s_delay_alu instid0(VALU_DEP_1) | instskip(NEXT) | instid1(VALU_DEP_2)
	v_add_co_u32 v5, vcc_lo, s12, v5
	v_add_co_ci_u32_e32 v6, vcc_lo, s13, v6, vcc_lo
	global_load_b128 v[5:8], v[5:6], off
.LBB246_42:                             ;   in Loop: Header=BB246_18 Depth=2
	s_and_not1_saveexec_b32 s4, s4
	s_cbranch_execz .LBB246_15
; %bb.43:                               ;   in Loop: Header=BB246_18 Depth=2
	s_waitcnt vmcnt(0)
	v_add_nc_u32_e32 v5, s10, v86
	s_delay_alu instid0(VALU_DEP_1)
	v_add_nc_u32_e32 v6, 0x400, v5
	v_add_nc_u32_e32 v7, 0x408, v5
	ds_load_2addr_b32 v[5:6], v6 offset1:1
	ds_load_2addr_b32 v[7:8], v7 offset1:1
	s_branch .LBB246_15
.LBB246_44:                             ;   in Loop: Header=BB246_13 Depth=1
	s_delay_alu instid0(VALU_DEP_1)
	v_cvt_i32_f32_e32 v5, v89
	s_waitcnt lgkmcnt(0)
	v_cvt_i32_f32_e32 v6, v92
	v_cvt_i32_f32_e32 v7, v90
	;; [unrolled: 1-line block ×4, first 2 shown]
	v_cvt_f32_i32_dpp v5, v5 row_shr:8 row_mask:0xf bank_mask:0xf bound_ctrl:1
	v_cvt_f32_i32_dpp v6, v6 row_shr:8 row_mask:0xf bank_mask:0xf bound_ctrl:1
	v_cvt_i32_f32_e32 v10, v95
	v_cvt_f32_i32_dpp v7, v7 row_shr:8 row_mask:0xf bank_mask:0xf bound_ctrl:1
	v_cvt_f32_i32_dpp v8, v8 row_shr:8 row_mask:0xf bank_mask:0xf bound_ctrl:1
	s_delay_alu instid0(VALU_DEP_4) | instskip(SKIP_2) | instid1(VALU_DEP_4)
	v_dual_add_f32 v5, v89, v5 :: v_dual_add_f32 v6, v92, v6
	v_cvt_f32_i32_dpp v9, v9 row_shr:8 row_mask:0xf bank_mask:0xf bound_ctrl:1
	v_cvt_f32_i32_dpp v10, v10 row_shr:8 row_mask:0xf bank_mask:0xf bound_ctrl:1
	v_dual_add_f32 v7, v90, v7 :: v_dual_add_f32 v8, v91, v8
	s_delay_alu instid0(VALU_DEP_4) | instskip(SKIP_1) | instid1(VALU_DEP_4)
	v_cvt_i32_f32_e32 v12, v5
	v_cvt_i32_f32_e32 v13, v6
	v_dual_add_f32 v9, v93, v9 :: v_dual_add_f32 v10, v95, v10
	v_cvt_i32_f32_e32 v11, v94
	s_delay_alu instid0(VALU_DEP_4) | instskip(NEXT) | instid1(VALU_DEP_4)
	v_cvt_f32_i32_dpp v12, v12 row_shr:4 row_mask:0xf bank_mask:0xf bound_ctrl:1
	v_cvt_f32_i32_dpp v13, v13 row_shr:4 row_mask:0xf bank_mask:0xf bound_ctrl:1
	s_delay_alu instid0(VALU_DEP_4)
	v_cvt_i32_f32_e32 v16, v9
	s_waitcnt vmcnt(0)
	v_cvt_i32_f32_e32 v17, v10
	v_cvt_f32_i32_dpp v11, v11 row_shr:8 row_mask:0xf bank_mask:0xf bound_ctrl:1
	v_dual_add_f32 v5, v5, v12 :: v_dual_add_f32 v6, v6, v13
	v_cvt_i32_f32_e32 v12, v7
	v_cvt_i32_f32_e32 v13, v8
	v_cvt_f32_i32_dpp v16, v16 row_shr:4 row_mask:0xf bank_mask:0xf bound_ctrl:1
	s_delay_alu instid0(VALU_DEP_4)
	v_cvt_i32_f32_e32 v14, v5
	v_cvt_i32_f32_e32 v15, v6
	v_cvt_f32_i32_dpp v12, v12 row_shr:4 row_mask:0xf bank_mask:0xf bound_ctrl:1
	v_cvt_f32_i32_dpp v13, v13 row_shr:4 row_mask:0xf bank_mask:0xf bound_ctrl:1
	v_add_f32_e32 v11, v94, v11
	v_cvt_f32_i32_dpp v14, v14 row_shr:2 row_mask:0xf bank_mask:0xf bound_ctrl:1
	v_cvt_f32_i32_dpp v15, v15 row_shr:2 row_mask:0xf bank_mask:0xf bound_ctrl:1
	s_delay_alu instid0(VALU_DEP_4) | instskip(NEXT) | instid1(VALU_DEP_4)
	v_add_f32_e32 v8, v8, v13
	v_cvt_i32_f32_e32 v18, v11
	s_delay_alu instid0(VALU_DEP_3) | instskip(SKIP_2) | instid1(VALU_DEP_4)
	v_dual_add_f32 v5, v5, v14 :: v_dual_add_f32 v6, v6, v15
	v_cvt_f32_i32_dpp v14, v17 row_shr:4 row_mask:0xf bank_mask:0xf bound_ctrl:1
	v_add_f32_e32 v7, v7, v12
	v_cvt_f32_i32_dpp v15, v18 row_shr:4 row_mask:0xf bank_mask:0xf bound_ctrl:1
	s_delay_alu instid0(VALU_DEP_4) | instskip(SKIP_3) | instid1(VALU_DEP_4)
	v_cvt_i32_f32_e32 v12, v5
	v_cvt_i32_f32_e32 v17, v6
	v_add_f32_e32 v10, v10, v14
	v_cvt_i32_f32_e32 v14, v7
	v_cvt_f32_i32_dpp v12, v12 row_shr:1 row_mask:0xf bank_mask:0xf bound_ctrl:1
	s_delay_alu instid0(VALU_DEP_4) | instskip(SKIP_2) | instid1(VALU_DEP_3)
	v_cvt_f32_i32_dpp v13, v17 row_shr:1 row_mask:0xf bank_mask:0xf bound_ctrl:1
	v_add_f32_e32 v11, v11, v15
	v_cvt_i32_f32_e32 v15, v8
	v_dual_add_f32 v32, v5, v12 :: v_dual_add_f32 v29, v6, v13
	v_cvt_i32_f32_e32 v6, v10
	v_cvt_f32_i32_dpp v13, v14 row_shr:2 row_mask:0xf bank_mask:0xf bound_ctrl:1
	s_delay_alu instid0(VALU_DEP_4) | instskip(SKIP_3) | instid1(VALU_DEP_4)
	v_cvt_f32_i32_dpp v14, v15 row_shr:2 row_mask:0xf bank_mask:0xf bound_ctrl:1
	v_add_f32_e32 v9, v9, v16
	v_cvt_i32_f32_e32 v12, v11
	v_cvt_f32_i32_dpp v6, v6 row_shr:2 row_mask:0xf bank_mask:0xf bound_ctrl:1
	v_dual_add_f32 v7, v7, v13 :: v_dual_add_f32 v8, v8, v14
	s_delay_alu instid0(VALU_DEP_4) | instskip(NEXT) | instid1(VALU_DEP_4)
	v_cvt_i32_f32_e32 v5, v9
	v_cvt_f32_i32_dpp v12, v12 row_shr:2 row_mask:0xf bank_mask:0xf bound_ctrl:1
	s_delay_alu instid0(VALU_DEP_4) | instskip(NEXT) | instid1(VALU_DEP_4)
	v_add_f32_e32 v6, v10, v6
	v_cvt_i32_f32_e32 v10, v7
	ds_bpermute_b32 v33, v81, v32
	v_cvt_f32_i32_dpp v5, v5 row_shr:2 row_mask:0xf bank_mask:0xf bound_ctrl:1
	v_cvt_i32_f32_e32 v13, v6
	v_cvt_f32_i32_dpp v10, v10 row_shr:1 row_mask:0xf bank_mask:0xf bound_ctrl:1
	s_delay_alu instid0(VALU_DEP_2) | instskip(NEXT) | instid1(VALU_DEP_2)
	v_cvt_f32_i32_dpp v13, v13 row_shr:1 row_mask:0xf bank_mask:0xf bound_ctrl:1
	v_add_f32_e32 v27, v7, v10
	v_cvt_i32_f32_e32 v7, v87
	s_delay_alu instid0(VALU_DEP_3) | instskip(SKIP_1) | instid1(VALU_DEP_3)
	v_add_f32_e32 v18, v6, v13
	v_cvt_i32_f32_e32 v6, v88
	v_cvt_f32_i32_dpp v7, v7 row_shr:8 row_mask:0xf bank_mask:0xf bound_ctrl:1
	ds_bpermute_b32 v28, v81, v27
	ds_bpermute_b32 v19, v81, v18
	v_cvt_f32_i32_dpp v6, v6 row_shr:8 row_mask:0xf bank_mask:0xf bound_ctrl:1
	s_delay_alu instid0(VALU_DEP_1) | instskip(SKIP_2) | instid1(VALU_DEP_3)
	v_dual_add_f32 v5, v9, v5 :: v_dual_add_f32 v6, v88, v6
	v_add_f32_e32 v9, v11, v12
	v_cvt_i32_f32_e32 v11, v8
	v_cvt_i32_f32_e32 v12, v5
	s_delay_alu instid0(VALU_DEP_2) | instskip(NEXT) | instid1(VALU_DEP_2)
	v_cvt_f32_i32_dpp v11, v11 row_shr:1 row_mask:0xf bank_mask:0xf bound_ctrl:1
	v_cvt_f32_i32_dpp v12, v12 row_shr:1 row_mask:0xf bank_mask:0xf bound_ctrl:1
	s_delay_alu instid0(VALU_DEP_2)
	v_add_f32_e32 v24, v8, v11
	v_cvt_i32_f32_e32 v11, v6
	v_cvt_i32_f32_e32 v8, v85
	ds_bpermute_b32 v30, v81, v29
	ds_bpermute_b32 v25, v81, v24
	v_cvt_f32_i32_dpp v11, v11 row_shr:4 row_mask:0xf bank_mask:0xf bound_ctrl:1
	v_cvt_f32_i32_dpp v8, v8 row_shr:8 row_mask:0xf bank_mask:0xf bound_ctrl:1
	v_add_f32_e32 v7, v87, v7
	s_delay_alu instid0(VALU_DEP_3) | instskip(NEXT) | instid1(VALU_DEP_3)
	v_add_f32_e32 v6, v6, v11
	v_add_f32_e32 v8, v85, v8
	v_cvt_i32_f32_e32 v14, v9
	s_delay_alu instid0(VALU_DEP_3) | instskip(NEXT) | instid1(VALU_DEP_3)
	v_cvt_i32_f32_e32 v11, v6
	v_cvt_i32_f32_e32 v15, v8
	s_delay_alu instid0(VALU_DEP_3) | instskip(NEXT) | instid1(VALU_DEP_3)
	v_cvt_f32_i32_dpp v14, v14 row_shr:1 row_mask:0xf bank_mask:0xf bound_ctrl:1
	v_cvt_f32_i32_dpp v11, v11 row_shr:2 row_mask:0xf bank_mask:0xf bound_ctrl:1
	s_delay_alu instid0(VALU_DEP_3) | instskip(NEXT) | instid1(VALU_DEP_3)
	v_cvt_f32_i32_dpp v15, v15 row_shr:4 row_mask:0xf bank_mask:0xf bound_ctrl:1
	v_add_f32_e32 v13, v9, v14
	v_cvt_i32_f32_e32 v9, v84
	v_add_f32_e32 v21, v5, v12
	v_cvt_i32_f32_e32 v5, v96
	;; [unrolled: 2-line block ×3, first 2 shown]
	v_cvt_f32_i32_dpp v9, v9 row_shr:8 row_mask:0xf bank_mask:0xf bound_ctrl:1
	v_add_f32_e32 v6, v6, v11
	v_cvt_f32_i32_dpp v5, v5 row_shr:8 row_mask:0xf bank_mask:0xf bound_ctrl:1
	v_cvt_i32_f32_e32 v15, v8
	v_cvt_f32_i32_dpp v12, v12 row_shr:4 row_mask:0xf bank_mask:0xf bound_ctrl:1
	v_add_f32_e32 v9, v84, v9
	v_cvt_i32_f32_e32 v11, v6
	ds_bpermute_b32 v22, v81, v21
	v_cvt_f32_i32_dpp v15, v15 row_shr:2 row_mask:0xf bank_mask:0xf bound_ctrl:1
	v_add_f32_e32 v7, v7, v12
	v_cvt_i32_f32_e32 v16, v9
	v_cvt_f32_i32_dpp v11, v11 row_shr:1 row_mask:0xf bank_mask:0xf bound_ctrl:1
	ds_bpermute_b32 v14, v81, v13
	v_add_f32_e32 v8, v8, v15
	v_cvt_i32_f32_e32 v12, v7
	v_cvt_f32_i32_dpp v16, v16 row_shr:4 row_mask:0xf bank_mask:0xf bound_ctrl:1
	v_add_f32_e32 v11, v6, v11
	s_delay_alu instid0(VALU_DEP_4) | instskip(NEXT) | instid1(VALU_DEP_4)
	v_cvt_i32_f32_e32 v15, v8
	v_cvt_f32_i32_dpp v12, v12 row_shr:2 row_mask:0xf bank_mask:0xf bound_ctrl:1
	s_delay_alu instid0(VALU_DEP_4) | instskip(NEXT) | instid1(VALU_DEP_3)
	v_add_f32_e32 v9, v9, v16
	v_cvt_f32_i32_dpp v17, v15 row_shr:1 row_mask:0xf bank_mask:0xf bound_ctrl:1
	s_delay_alu instid0(VALU_DEP_3) | instskip(NEXT) | instid1(VALU_DEP_3)
	v_add_f32_e32 v7, v7, v12
	v_cvt_i32_f32_e32 v16, v9
	s_delay_alu instid0(VALU_DEP_2) | instskip(NEXT) | instid1(VALU_DEP_2)
	v_cvt_i32_f32_e32 v12, v7
	v_cvt_f32_i32_dpp v16, v16 row_shr:2 row_mask:0xf bank_mask:0xf bound_ctrl:1
	v_add_f32_e32 v5, v96, v5
	s_delay_alu instid0(VALU_DEP_3) | instskip(NEXT) | instid1(VALU_DEP_2)
	v_cvt_f32_i32_dpp v12, v12 row_shr:1 row_mask:0xf bank_mask:0xf bound_ctrl:1
	v_cvt_i32_f32_e32 v10, v5
	s_delay_alu instid0(VALU_DEP_1) | instskip(NEXT) | instid1(VALU_DEP_1)
	v_cvt_f32_i32_dpp v10, v10 row_shr:4 row_mask:0xf bank_mask:0xf bound_ctrl:1
	v_add_f32_e32 v5, v5, v10
	s_delay_alu instid0(VALU_DEP_1) | instskip(NEXT) | instid1(VALU_DEP_1)
	v_cvt_i32_f32_e32 v10, v5
	v_cvt_f32_i32_dpp v10, v10 row_shr:2 row_mask:0xf bank_mask:0xf bound_ctrl:1
	s_delay_alu instid0(VALU_DEP_1) | instskip(SKIP_1) | instid1(VALU_DEP_2)
	v_add_f32_e32 v5, v5, v10
	v_add_f32_e32 v10, v9, v16
	v_cvt_i32_f32_e32 v9, v5
	s_delay_alu instid0(VALU_DEP_2) | instskip(NEXT) | instid1(VALU_DEP_2)
	v_cvt_i32_f32_e32 v16, v10
	v_cvt_f32_i32_dpp v9, v9 row_shr:1 row_mask:0xf bank_mask:0xf bound_ctrl:1
	s_delay_alu instid0(VALU_DEP_2) | instskip(NEXT) | instid1(VALU_DEP_2)
	v_cvt_f32_i32_dpp v16, v16 row_shr:1 row_mask:0xf bank_mask:0xf bound_ctrl:1
	v_add_f32_e32 v15, v5, v9
	v_add_f32_e32 v9, v7, v12
	;; [unrolled: 1-line block ×3, first 2 shown]
	s_delay_alu instid0(VALU_DEP_4)
	v_add_f32_e32 v5, v10, v16
	ds_bpermute_b32 v12, v81, v11
	ds_bpermute_b32 v16, v81, v15
	;; [unrolled: 1-line block ×5, first 2 shown]
	s_and_saveexec_b32 s5, s0
	s_cbranch_execz .LBB246_119
; %bb.45:                               ;   in Loop: Header=BB246_13 Depth=1
	v_dual_mov_b32 v40, 0 :: v_dual_mov_b32 v39, 0
	v_dual_mov_b32 v38, 0 :: v_dual_mov_b32 v37, 0
	v_dual_mov_b32 v36, 0 :: v_dual_mov_b32 v35, 0
	v_dual_mov_b32 v34, 0 :: v_dual_mov_b32 v31, 0
	v_dual_mov_b32 v26, 0 :: v_dual_mov_b32 v23, 0
	v_dual_mov_b32 v20, 0 :: v_dual_mov_b32 v17, 0
	s_and_not1_b32 vcc_lo, exec_lo, s25
	s_cbranch_vccnz .LBB246_47
; %bb.46:                               ;   in Loop: Header=BB246_13 Depth=1
	v_mul_hi_u32 v17, v61, v82
	v_mul_hi_u32 v20, v66, v82
	;; [unrolled: 1-line block ×4, first 2 shown]
	v_mov_b32_e32 v49, v63
	v_mov_b32_e32 v51, v63
	;; [unrolled: 1-line block ×4, first 2 shown]
	v_mul_lo_u32 v17, v17, s16
	v_mul_lo_u32 v20, v20, s16
	;; [unrolled: 1-line block ×4, first 2 shown]
	s_delay_alu instid0(VALU_DEP_4) | instskip(NEXT) | instid1(VALU_DEP_4)
	v_sub_nc_u32_e32 v17, v61, v17
	v_sub_nc_u32_e32 v20, v66, v20
	s_delay_alu instid0(VALU_DEP_4) | instskip(NEXT) | instid1(VALU_DEP_4)
	v_sub_nc_u32_e32 v23, v65, v23
	v_sub_nc_u32_e32 v26, v64, v26
	s_delay_alu instid0(VALU_DEP_4)
	v_subrev_nc_u32_e32 v31, s16, v17
	v_cmp_le_u32_e32 vcc_lo, s16, v17
	v_subrev_nc_u32_e32 v34, s16, v20
	v_subrev_nc_u32_e32 v36, s16, v23
	;; [unrolled: 1-line block ×3, first 2 shown]
	v_cndmask_b32_e32 v17, v17, v31, vcc_lo
	v_cmp_le_u32_e32 vcc_lo, s16, v20
	v_mov_b32_e32 v35, v63
	s_delay_alu instid0(VALU_DEP_3) | instskip(SKIP_2) | instid1(VALU_DEP_2)
	v_subrev_nc_u32_e32 v31, s16, v17
	v_cndmask_b32_e32 v20, v20, v34, vcc_lo
	v_cmp_le_u32_e32 vcc_lo, s16, v23
	v_subrev_nc_u32_e32 v34, s16, v20
	v_cndmask_b32_e32 v23, v23, v36, vcc_lo
	v_cmp_le_u32_e32 vcc_lo, s16, v26
	v_dual_mov_b32 v37, v63 :: v_dual_cndmask_b32 v26, v26, v38
	v_cmp_le_u32_e32 vcc_lo, s16, v17
	s_delay_alu instid0(VALU_DEP_2) | instskip(SKIP_3) | instid1(VALU_DEP_3)
	v_subrev_nc_u32_e32 v38, s16, v26
	v_cndmask_b32_e32 v62, v17, v31, vcc_lo
	v_cmp_le_u32_e32 vcc_lo, s16, v20
	v_subrev_nc_u32_e32 v36, s16, v23
	v_lshlrev_b64 v[40:41], 1, v[62:63]
	v_cndmask_b32_e32 v34, v20, v34, vcc_lo
	v_cmp_le_u32_e32 vcc_lo, s16, v23
	v_add_nc_u32_e32 v48, s27, v62
	v_add_nc_u32_e32 v62, s28, v62
	s_delay_alu instid0(VALU_DEP_4) | instskip(SKIP_4) | instid1(VALU_DEP_4)
	v_lshlrev_b64 v[42:43], 1, v[34:35]
	v_cndmask_b32_e32 v36, v23, v36, vcc_lo
	v_cmp_le_u32_e32 vcc_lo, s16, v26
	v_dual_mov_b32 v39, v63 :: v_dual_add_nc_u32 v50, s27, v34
	v_lshlrev_b64 v[48:49], 1, v[48:49]
	v_lshlrev_b64 v[44:45], 1, v[36:37]
	v_cndmask_b32_e32 v38, v26, v38, vcc_lo
	v_add_co_u32 v40, vcc_lo, s6, v40
	v_add_co_ci_u32_e32 v41, vcc_lo, s7, v41, vcc_lo
	v_add_co_u32 v42, vcc_lo, s6, v42
	s_delay_alu instid0(VALU_DEP_4)
	v_lshlrev_b64 v[46:47], 1, v[38:39]
	v_add_co_ci_u32_e32 v43, vcc_lo, s7, v43, vcc_lo
	v_add_co_u32 v44, vcc_lo, s6, v44
	v_add_nc_u32_e32 v52, s27, v36
	v_add_co_ci_u32_e32 v45, vcc_lo, s7, v45, vcc_lo
	v_add_co_u32 v46, vcc_lo, s6, v46
	v_lshlrev_b64 v[50:51], 1, v[50:51]
	v_add_nc_u32_e32 v54, s27, v38
	v_add_co_ci_u32_e32 v47, vcc_lo, s7, v47, vcc_lo
	v_add_co_u32 v48, vcc_lo, s6, v48
	v_lshlrev_b64 v[52:53], 1, v[52:53]
	v_add_co_ci_u32_e32 v49, vcc_lo, s7, v49, vcc_lo
	v_lshlrev_b64 v[56:57], 1, v[62:63]
	v_add_nc_u32_e32 v62, s28, v34
	v_add_co_u32 v50, vcc_lo, s6, v50
	v_lshlrev_b64 v[54:55], 1, v[54:55]
	v_add_co_ci_u32_e32 v51, vcc_lo, s7, v51, vcc_lo
	v_add_co_u32 v52, vcc_lo, s6, v52
	v_lshlrev_b64 v[34:35], 1, v[62:63]
	v_add_nc_u32_e32 v62, s28, v36
	v_add_co_ci_u32_e32 v53, vcc_lo, s7, v53, vcc_lo
	v_add_co_u32 v54, vcc_lo, s6, v54
	v_add_co_ci_u32_e32 v55, vcc_lo, s7, v55, vcc_lo
	v_add_co_u32 v56, vcc_lo, s6, v56
	v_lshlrev_b64 v[36:37], 1, v[62:63]
	v_add_nc_u32_e32 v62, s28, v38
	v_add_co_ci_u32_e32 v57, vcc_lo, s7, v57, vcc_lo
	v_add_co_u32 v58, vcc_lo, s6, v34
	v_add_co_ci_u32_e32 v59, vcc_lo, s7, v35, vcc_lo
	s_delay_alu instid0(VALU_DEP_4) | instskip(SKIP_2) | instid1(VALU_DEP_3)
	v_lshlrev_b64 v[34:35], 1, v[62:63]
	v_add_co_u32 v67, vcc_lo, s6, v36
	v_add_co_ci_u32_e32 v68, vcc_lo, s7, v37, vcc_lo
	v_add_co_u32 v69, vcc_lo, s6, v34
	s_delay_alu instid0(VALU_DEP_4)
	v_add_co_ci_u32_e32 v70, vcc_lo, s7, v35, vcc_lo
	s_clause 0xb
	global_load_u16 v40, v[40:41], off
	global_load_u16 v39, v[42:43], off
	;; [unrolled: 1-line block ×12, first 2 shown]
.LBB246_47:                             ;   in Loop: Header=BB246_13 Depth=1
	v_cmp_ne_u32_e32 vcc_lo, 0, v1
	s_and_saveexec_b32 s2, vcc_lo
	s_cbranch_execnz .LBB246_59
; %bb.48:                               ;   in Loop: Header=BB246_13 Depth=1
	s_or_b32 exec_lo, exec_lo, s2
	v_cmp_ne_u32_e64 s1, 0, v2
	s_delay_alu instid0(VALU_DEP_1)
	s_and_saveexec_b32 s3, s1
	s_cbranch_execnz .LBB246_64
.LBB246_49:                             ;   in Loop: Header=BB246_13 Depth=1
	s_or_b32 exec_lo, exec_lo, s3
	v_cmp_ne_u32_e64 s2, 0, v3
	s_delay_alu instid0(VALU_DEP_1)
	s_and_saveexec_b32 s4, s2
	s_cbranch_execnz .LBB246_69
.LBB246_50:                             ;   in Loop: Header=BB246_13 Depth=1
	s_or_b32 exec_lo, exec_lo, s4
	v_cmp_ne_u32_e64 s3, 0, v4
	s_delay_alu instid0(VALU_DEP_1)
	s_and_saveexec_b32 s29, s3
	s_cbranch_execnz .LBB246_74
.LBB246_51:                             ;   in Loop: Header=BB246_13 Depth=1
	s_or_b32 exec_lo, exec_lo, s29
	v_add_nc_u32_e32 v62, s11, v61
	s_and_saveexec_b32 s29, vcc_lo
	s_cbranch_execnz .LBB246_79
.LBB246_52:                             ;   in Loop: Header=BB246_13 Depth=1
	s_or_b32 exec_lo, exec_lo, s29
	s_and_saveexec_b32 s29, s1
	s_cbranch_execnz .LBB246_84
.LBB246_53:                             ;   in Loop: Header=BB246_13 Depth=1
	s_or_b32 exec_lo, exec_lo, s29
	s_and_saveexec_b32 s29, s2
	s_cbranch_execnz .LBB246_89
.LBB246_54:                             ;   in Loop: Header=BB246_13 Depth=1
	s_or_b32 exec_lo, exec_lo, s29
	s_and_saveexec_b32 s29, s3
	s_cbranch_execnz .LBB246_94
.LBB246_55:                             ;   in Loop: Header=BB246_13 Depth=1
	s_or_b32 exec_lo, exec_lo, s29
	v_add_nc_u32_e32 v62, s11, v62
	s_and_saveexec_b32 s4, vcc_lo
	s_cbranch_execnz .LBB246_99
.LBB246_56:                             ;   in Loop: Header=BB246_13 Depth=1
	s_or_b32 exec_lo, exec_lo, s4
	s_and_saveexec_b32 s4, s1
	s_cbranch_execnz .LBB246_104
.LBB246_57:                             ;   in Loop: Header=BB246_13 Depth=1
	s_or_b32 exec_lo, exec_lo, s4
	s_and_saveexec_b32 s1, s2
	s_cbranch_execnz .LBB246_109
.LBB246_58:                             ;   in Loop: Header=BB246_13 Depth=1
	s_or_b32 exec_lo, exec_lo, s1
	s_delay_alu instid0(SALU_CYCLE_1)
	s_and_b32 exec_lo, exec_lo, s3
	s_cbranch_execnz .LBB246_114
	s_branch .LBB246_119
.LBB246_59:                             ;   in Loop: Header=BB246_13 Depth=1
	s_waitcnt vmcnt(11) lgkmcnt(0)
	v_dual_add_f32 v32, v32, v33 :: v_dual_lshlrev_b32 v33, 16, v40
	s_delay_alu instid0(VALU_DEP_1) | instskip(NEXT) | instid1(VALU_DEP_1)
	v_add_f32_e32 v33, v32, v33
	v_and_b32_e32 v32, 0x7f800000, v33
	s_delay_alu instid0(VALU_DEP_1) | instskip(NEXT) | instid1(VALU_DEP_1)
	v_cmp_ne_u32_e64 s1, 0x7f800000, v32
                                        ; implicit-def: $vgpr32
	s_and_saveexec_b32 s3, s1
	s_delay_alu instid0(SALU_CYCLE_1)
	s_xor_b32 s1, exec_lo, s3
; %bb.60:                               ;   in Loop: Header=BB246_13 Depth=1
	v_bfe_u32 v32, v33, 16, 1
	s_delay_alu instid0(VALU_DEP_1)
	v_add3_u32 v32, v33, v32, 0x7fff
                                        ; implicit-def: $vgpr33
; %bb.61:                               ;   in Loop: Header=BB246_13 Depth=1
	s_and_not1_saveexec_b32 s3, s1
; %bb.62:                               ;   in Loop: Header=BB246_13 Depth=1
	v_and_b32_e32 v32, 0xffff, v33
	v_or_b32_e32 v40, 0x10000, v33
	s_delay_alu instid0(VALU_DEP_2) | instskip(NEXT) | instid1(VALU_DEP_1)
	v_cmp_eq_u32_e64 s1, 0, v32
	v_cndmask_b32_e64 v32, v40, v33, s1
; %bb.63:                               ;   in Loop: Header=BB246_13 Depth=1
	s_or_b32 exec_lo, exec_lo, s3
	v_mov_b32_e32 v62, v63
	s_delay_alu instid0(VALU_DEP_1) | instskip(NEXT) | instid1(VALU_DEP_1)
	v_lshlrev_b64 v[40:41], 1, v[61:62]
	v_add_co_u32 v40, s1, s18, v40
	s_delay_alu instid0(VALU_DEP_1) | instskip(SKIP_3) | instid1(VALU_DEP_1)
	v_add_co_ci_u32_e64 v41, s1, s19, v41, s1
	global_store_d16_hi_b16 v[40:41], v32, off
	s_or_b32 exec_lo, exec_lo, s2
	v_cmp_ne_u32_e64 s1, 0, v2
	s_and_saveexec_b32 s3, s1
	s_cbranch_execz .LBB246_49
.LBB246_64:                             ;   in Loop: Header=BB246_13 Depth=1
	s_waitcnt vmcnt(10) lgkmcnt(0)
	v_dual_add_f32 v29, v29, v30 :: v_dual_lshlrev_b32 v30, 16, v39
	s_delay_alu instid0(VALU_DEP_1) | instskip(NEXT) | instid1(VALU_DEP_1)
	v_add_f32_e32 v30, v29, v30
	v_and_b32_e32 v29, 0x7f800000, v30
	s_delay_alu instid0(VALU_DEP_1) | instskip(NEXT) | instid1(VALU_DEP_1)
	v_cmp_ne_u32_e64 s2, 0x7f800000, v29
                                        ; implicit-def: $vgpr29
	s_and_saveexec_b32 s4, s2
	s_delay_alu instid0(SALU_CYCLE_1)
	s_xor_b32 s2, exec_lo, s4
; %bb.65:                               ;   in Loop: Header=BB246_13 Depth=1
	v_bfe_u32 v29, v30, 16, 1
	s_delay_alu instid0(VALU_DEP_1)
	v_add3_u32 v29, v30, v29, 0x7fff
                                        ; implicit-def: $vgpr30
; %bb.66:                               ;   in Loop: Header=BB246_13 Depth=1
	s_and_not1_saveexec_b32 s4, s2
; %bb.67:                               ;   in Loop: Header=BB246_13 Depth=1
	v_and_b32_e32 v29, 0xffff, v30
	v_or_b32_e32 v32, 0x10000, v30
	s_delay_alu instid0(VALU_DEP_2) | instskip(NEXT) | instid1(VALU_DEP_1)
	v_cmp_eq_u32_e64 s2, 0, v29
	v_cndmask_b32_e64 v29, v32, v30, s2
; %bb.68:                               ;   in Loop: Header=BB246_13 Depth=1
	s_or_b32 exec_lo, exec_lo, s4
	v_mov_b32_e32 v67, v63
	s_delay_alu instid0(VALU_DEP_1) | instskip(NEXT) | instid1(VALU_DEP_1)
	v_lshlrev_b64 v[32:33], 1, v[66:67]
	v_add_co_u32 v32, s2, s18, v32
	s_delay_alu instid0(VALU_DEP_1) | instskip(SKIP_3) | instid1(VALU_DEP_1)
	v_add_co_ci_u32_e64 v33, s2, s19, v33, s2
	global_store_d16_hi_b16 v[32:33], v29, off
	s_or_b32 exec_lo, exec_lo, s3
	v_cmp_ne_u32_e64 s2, 0, v3
	s_and_saveexec_b32 s4, s2
	s_cbranch_execz .LBB246_50
.LBB246_69:                             ;   in Loop: Header=BB246_13 Depth=1
	s_waitcnt vmcnt(9) lgkmcnt(0)
	v_dual_add_f32 v27, v27, v28 :: v_dual_lshlrev_b32 v28, 16, v38
	s_delay_alu instid0(VALU_DEP_1) | instskip(NEXT) | instid1(VALU_DEP_1)
	v_add_f32_e32 v28, v27, v28
	v_and_b32_e32 v27, 0x7f800000, v28
	s_delay_alu instid0(VALU_DEP_1) | instskip(NEXT) | instid1(VALU_DEP_1)
	v_cmp_ne_u32_e64 s3, 0x7f800000, v27
                                        ; implicit-def: $vgpr27
	s_and_saveexec_b32 s29, s3
	s_delay_alu instid0(SALU_CYCLE_1)
	s_xor_b32 s3, exec_lo, s29
; %bb.70:                               ;   in Loop: Header=BB246_13 Depth=1
	v_bfe_u32 v27, v28, 16, 1
	s_delay_alu instid0(VALU_DEP_1)
	v_add3_u32 v27, v28, v27, 0x7fff
                                        ; implicit-def: $vgpr28
; %bb.71:                               ;   in Loop: Header=BB246_13 Depth=1
	s_and_not1_saveexec_b32 s29, s3
; %bb.72:                               ;   in Loop: Header=BB246_13 Depth=1
	v_and_b32_e32 v27, 0xffff, v28
	v_or_b32_e32 v29, 0x10000, v28
	s_delay_alu instid0(VALU_DEP_2) | instskip(NEXT) | instid1(VALU_DEP_1)
	v_cmp_eq_u32_e64 s3, 0, v27
	v_cndmask_b32_e64 v27, v29, v28, s3
; %bb.73:                               ;   in Loop: Header=BB246_13 Depth=1
	s_or_b32 exec_lo, exec_lo, s29
	v_mov_b32_e32 v66, v63
	s_delay_alu instid0(VALU_DEP_1) | instskip(NEXT) | instid1(VALU_DEP_1)
	v_lshlrev_b64 v[28:29], 1, v[65:66]
	v_add_co_u32 v28, s3, s18, v28
	s_delay_alu instid0(VALU_DEP_1) | instskip(SKIP_3) | instid1(VALU_DEP_1)
	v_add_co_ci_u32_e64 v29, s3, s19, v29, s3
	global_store_d16_hi_b16 v[28:29], v27, off
	s_or_b32 exec_lo, exec_lo, s4
	v_cmp_ne_u32_e64 s3, 0, v4
	s_and_saveexec_b32 s29, s3
	s_cbranch_execz .LBB246_51
.LBB246_74:                             ;   in Loop: Header=BB246_13 Depth=1
	s_waitcnt lgkmcnt(0)
	v_add_f32_e32 v24, v24, v25
	s_waitcnt vmcnt(8)
	v_lshlrev_b32_e32 v25, 16, v37
	s_delay_alu instid0(VALU_DEP_1) | instskip(NEXT) | instid1(VALU_DEP_1)
	v_add_f32_e32 v25, v24, v25
	v_and_b32_e32 v24, 0x7f800000, v25
	s_delay_alu instid0(VALU_DEP_1) | instskip(NEXT) | instid1(VALU_DEP_1)
	v_cmp_ne_u32_e64 s4, 0x7f800000, v24
                                        ; implicit-def: $vgpr24
	s_and_saveexec_b32 s30, s4
	s_delay_alu instid0(SALU_CYCLE_1)
	s_xor_b32 s4, exec_lo, s30
; %bb.75:                               ;   in Loop: Header=BB246_13 Depth=1
	v_bfe_u32 v24, v25, 16, 1
	s_delay_alu instid0(VALU_DEP_1)
	v_add3_u32 v24, v25, v24, 0x7fff
                                        ; implicit-def: $vgpr25
; %bb.76:                               ;   in Loop: Header=BB246_13 Depth=1
	s_and_not1_saveexec_b32 s30, s4
; %bb.77:                               ;   in Loop: Header=BB246_13 Depth=1
	v_and_b32_e32 v24, 0xffff, v25
	v_or_b32_e32 v27, 0x10000, v25
	s_delay_alu instid0(VALU_DEP_2) | instskip(NEXT) | instid1(VALU_DEP_1)
	v_cmp_eq_u32_e64 s4, 0, v24
	v_cndmask_b32_e64 v24, v27, v25, s4
; %bb.78:                               ;   in Loop: Header=BB246_13 Depth=1
	s_or_b32 exec_lo, exec_lo, s30
	v_mov_b32_e32 v65, v63
	s_delay_alu instid0(VALU_DEP_1) | instskip(NEXT) | instid1(VALU_DEP_1)
	v_lshlrev_b64 v[27:28], 1, v[64:65]
	v_add_co_u32 v27, s4, s18, v27
	s_delay_alu instid0(VALU_DEP_1)
	v_add_co_ci_u32_e64 v28, s4, s19, v28, s4
	global_store_d16_hi_b16 v[27:28], v24, off
	s_or_b32 exec_lo, exec_lo, s29
	v_add_nc_u32_e32 v62, s11, v61
	s_and_saveexec_b32 s29, vcc_lo
	s_cbranch_execz .LBB246_52
.LBB246_79:                             ;   in Loop: Header=BB246_13 Depth=1
	s_waitcnt vmcnt(7) lgkmcnt(0)
	v_dual_add_f32 v21, v21, v22 :: v_dual_lshlrev_b32 v22, 16, v36
	s_delay_alu instid0(VALU_DEP_1) | instskip(NEXT) | instid1(VALU_DEP_1)
	v_add_f32_e32 v22, v21, v22
	v_and_b32_e32 v21, 0x7f800000, v22
	s_delay_alu instid0(VALU_DEP_1) | instskip(NEXT) | instid1(VALU_DEP_1)
	v_cmp_ne_u32_e64 s4, 0x7f800000, v21
                                        ; implicit-def: $vgpr21
	s_and_saveexec_b32 s30, s4
	s_delay_alu instid0(SALU_CYCLE_1)
	s_xor_b32 s4, exec_lo, s30
; %bb.80:                               ;   in Loop: Header=BB246_13 Depth=1
	v_bfe_u32 v21, v22, 16, 1
	s_delay_alu instid0(VALU_DEP_1)
	v_add3_u32 v21, v22, v21, 0x7fff
                                        ; implicit-def: $vgpr22
; %bb.81:                               ;   in Loop: Header=BB246_13 Depth=1
	s_and_not1_saveexec_b32 s30, s4
; %bb.82:                               ;   in Loop: Header=BB246_13 Depth=1
	v_and_b32_e32 v21, 0xffff, v22
	v_or_b32_e32 v24, 0x10000, v22
	s_delay_alu instid0(VALU_DEP_2) | instskip(NEXT) | instid1(VALU_DEP_1)
	v_cmp_eq_u32_e64 s4, 0, v21
	v_cndmask_b32_e64 v21, v24, v22, s4
; %bb.83:                               ;   in Loop: Header=BB246_13 Depth=1
	s_or_b32 exec_lo, exec_lo, s30
	v_lshlrev_b64 v[24:25], 1, v[62:63]
	s_delay_alu instid0(VALU_DEP_1) | instskip(NEXT) | instid1(VALU_DEP_1)
	v_add_co_u32 v24, s4, s18, v24
	v_add_co_ci_u32_e64 v25, s4, s19, v25, s4
	global_store_d16_hi_b16 v[24:25], v21, off
	s_or_b32 exec_lo, exec_lo, s29
	s_and_saveexec_b32 s29, s1
	s_cbranch_execz .LBB246_53
.LBB246_84:                             ;   in Loop: Header=BB246_13 Depth=1
	s_waitcnt lgkmcnt(0)
	v_add_f32_e32 v18, v18, v19
	s_waitcnt vmcnt(6)
	v_lshlrev_b32_e32 v19, 16, v35
	s_delay_alu instid0(VALU_DEP_1) | instskip(NEXT) | instid1(VALU_DEP_1)
	v_add_f32_e32 v19, v18, v19
	v_and_b32_e32 v18, 0x7f800000, v19
	s_delay_alu instid0(VALU_DEP_1) | instskip(NEXT) | instid1(VALU_DEP_1)
	v_cmp_ne_u32_e64 s4, 0x7f800000, v18
                                        ; implicit-def: $vgpr18
	s_and_saveexec_b32 s30, s4
	s_delay_alu instid0(SALU_CYCLE_1)
	s_xor_b32 s4, exec_lo, s30
; %bb.85:                               ;   in Loop: Header=BB246_13 Depth=1
	v_bfe_u32 v18, v19, 16, 1
	s_delay_alu instid0(VALU_DEP_1)
	v_add3_u32 v18, v19, v18, 0x7fff
                                        ; implicit-def: $vgpr19
; %bb.86:                               ;   in Loop: Header=BB246_13 Depth=1
	s_and_not1_saveexec_b32 s30, s4
; %bb.87:                               ;   in Loop: Header=BB246_13 Depth=1
	v_and_b32_e32 v18, 0xffff, v19
	v_or_b32_e32 v21, 0x10000, v19
	s_delay_alu instid0(VALU_DEP_2) | instskip(NEXT) | instid1(VALU_DEP_1)
	v_cmp_eq_u32_e64 s4, 0, v18
	v_cndmask_b32_e64 v18, v21, v19, s4
; %bb.88:                               ;   in Loop: Header=BB246_13 Depth=1
	s_or_b32 exec_lo, exec_lo, s30
	v_dual_mov_b32 v22, v63 :: v_dual_add_nc_u32 v21, 1, v62
	s_delay_alu instid0(VALU_DEP_1) | instskip(NEXT) | instid1(VALU_DEP_1)
	v_lshlrev_b64 v[21:22], 1, v[21:22]
	v_add_co_u32 v21, s4, s18, v21
	s_delay_alu instid0(VALU_DEP_1)
	v_add_co_ci_u32_e64 v22, s4, s19, v22, s4
	global_store_d16_hi_b16 v[21:22], v18, off
	s_or_b32 exec_lo, exec_lo, s29
	s_and_saveexec_b32 s29, s2
	s_cbranch_execz .LBB246_54
.LBB246_89:                             ;   in Loop: Header=BB246_13 Depth=1
	s_waitcnt lgkmcnt(0)
	v_add_f32_e32 v13, v13, v14
	s_waitcnt vmcnt(5)
	v_lshlrev_b32_e32 v14, 16, v34
	s_delay_alu instid0(VALU_DEP_1) | instskip(NEXT) | instid1(VALU_DEP_1)
	v_add_f32_e32 v14, v13, v14
	v_and_b32_e32 v13, 0x7f800000, v14
	s_delay_alu instid0(VALU_DEP_1) | instskip(NEXT) | instid1(VALU_DEP_1)
	v_cmp_ne_u32_e64 s4, 0x7f800000, v13
                                        ; implicit-def: $vgpr13
	s_and_saveexec_b32 s30, s4
	s_delay_alu instid0(SALU_CYCLE_1)
	s_xor_b32 s4, exec_lo, s30
; %bb.90:                               ;   in Loop: Header=BB246_13 Depth=1
	v_bfe_u32 v13, v14, 16, 1
	s_delay_alu instid0(VALU_DEP_1)
	v_add3_u32 v13, v14, v13, 0x7fff
                                        ; implicit-def: $vgpr14
; %bb.91:                               ;   in Loop: Header=BB246_13 Depth=1
	s_and_not1_saveexec_b32 s30, s4
; %bb.92:                               ;   in Loop: Header=BB246_13 Depth=1
	v_and_b32_e32 v13, 0xffff, v14
	v_or_b32_e32 v18, 0x10000, v14
	s_delay_alu instid0(VALU_DEP_2) | instskip(NEXT) | instid1(VALU_DEP_1)
	v_cmp_eq_u32_e64 s4, 0, v13
	v_cndmask_b32_e64 v13, v18, v14, s4
; %bb.93:                               ;   in Loop: Header=BB246_13 Depth=1
	s_or_b32 exec_lo, exec_lo, s30
	v_dual_mov_b32 v19, v63 :: v_dual_add_nc_u32 v18, 2, v62
	s_delay_alu instid0(VALU_DEP_1) | instskip(NEXT) | instid1(VALU_DEP_1)
	v_lshlrev_b64 v[18:19], 1, v[18:19]
	v_add_co_u32 v18, s4, s18, v18
	s_delay_alu instid0(VALU_DEP_1)
	v_add_co_ci_u32_e64 v19, s4, s19, v19, s4
	global_store_d16_hi_b16 v[18:19], v13, off
	s_or_b32 exec_lo, exec_lo, s29
	s_and_saveexec_b32 s29, s3
	s_cbranch_execz .LBB246_55
.LBB246_94:                             ;   in Loop: Header=BB246_13 Depth=1
	s_waitcnt vmcnt(4) lgkmcnt(0)
	v_dual_add_f32 v13, v15, v16 :: v_dual_lshlrev_b32 v14, 16, v31
	s_delay_alu instid0(VALU_DEP_1) | instskip(NEXT) | instid1(VALU_DEP_1)
	v_add_f32_e32 v14, v13, v14
	v_and_b32_e32 v13, 0x7f800000, v14
	s_delay_alu instid0(VALU_DEP_1) | instskip(NEXT) | instid1(VALU_DEP_1)
	v_cmp_ne_u32_e64 s4, 0x7f800000, v13
                                        ; implicit-def: $vgpr13
	s_and_saveexec_b32 s30, s4
	s_delay_alu instid0(SALU_CYCLE_1)
	s_xor_b32 s4, exec_lo, s30
; %bb.95:                               ;   in Loop: Header=BB246_13 Depth=1
	v_bfe_u32 v13, v14, 16, 1
	s_delay_alu instid0(VALU_DEP_1)
	v_add3_u32 v13, v14, v13, 0x7fff
                                        ; implicit-def: $vgpr14
; %bb.96:                               ;   in Loop: Header=BB246_13 Depth=1
	s_and_not1_saveexec_b32 s30, s4
; %bb.97:                               ;   in Loop: Header=BB246_13 Depth=1
	v_and_b32_e32 v13, 0xffff, v14
	v_or_b32_e32 v15, 0x10000, v14
	s_delay_alu instid0(VALU_DEP_2) | instskip(NEXT) | instid1(VALU_DEP_1)
	v_cmp_eq_u32_e64 s4, 0, v13
	v_cndmask_b32_e64 v13, v15, v14, s4
; %bb.98:                               ;   in Loop: Header=BB246_13 Depth=1
	s_or_b32 exec_lo, exec_lo, s30
	v_dual_mov_b32 v15, v63 :: v_dual_add_nc_u32 v14, 3, v62
	s_delay_alu instid0(VALU_DEP_1) | instskip(NEXT) | instid1(VALU_DEP_1)
	v_lshlrev_b64 v[14:15], 1, v[14:15]
	v_add_co_u32 v14, s4, s18, v14
	s_delay_alu instid0(VALU_DEP_1)
	v_add_co_ci_u32_e64 v15, s4, s19, v15, s4
	global_store_d16_hi_b16 v[14:15], v13, off
	s_or_b32 exec_lo, exec_lo, s29
	v_add_nc_u32_e32 v62, s11, v62
	s_and_saveexec_b32 s4, vcc_lo
	s_cbranch_execz .LBB246_56
.LBB246_99:                             ;   in Loop: Header=BB246_13 Depth=1
	s_waitcnt vmcnt(3) lgkmcnt(0)
	v_dual_add_f32 v11, v11, v12 :: v_dual_lshlrev_b32 v12, 16, v26
	s_delay_alu instid0(VALU_DEP_1) | instskip(NEXT) | instid1(VALU_DEP_1)
	v_add_f32_e32 v12, v11, v12
	v_and_b32_e32 v11, 0x7f800000, v12
	s_delay_alu instid0(VALU_DEP_1) | instskip(SKIP_1) | instid1(SALU_CYCLE_1)
	v_cmp_ne_u32_e32 vcc_lo, 0x7f800000, v11
                                        ; implicit-def: $vgpr11
	s_and_saveexec_b32 s29, vcc_lo
	s_xor_b32 s29, exec_lo, s29
; %bb.100:                              ;   in Loop: Header=BB246_13 Depth=1
	v_bfe_u32 v11, v12, 16, 1
	s_delay_alu instid0(VALU_DEP_1)
	v_add3_u32 v11, v12, v11, 0x7fff
                                        ; implicit-def: $vgpr12
; %bb.101:                              ;   in Loop: Header=BB246_13 Depth=1
	s_and_not1_saveexec_b32 s29, s29
; %bb.102:                              ;   in Loop: Header=BB246_13 Depth=1
	v_and_b32_e32 v11, 0xffff, v12
	v_or_b32_e32 v13, 0x10000, v12
	s_delay_alu instid0(VALU_DEP_2) | instskip(NEXT) | instid1(VALU_DEP_2)
	v_cmp_eq_u32_e32 vcc_lo, 0, v11
	v_cndmask_b32_e32 v11, v13, v12, vcc_lo
; %bb.103:                              ;   in Loop: Header=BB246_13 Depth=1
	s_or_b32 exec_lo, exec_lo, s29
	v_lshlrev_b64 v[12:13], 1, v[62:63]
	s_delay_alu instid0(VALU_DEP_1) | instskip(NEXT) | instid1(VALU_DEP_2)
	v_add_co_u32 v12, vcc_lo, s18, v12
	v_add_co_ci_u32_e32 v13, vcc_lo, s19, v13, vcc_lo
	global_store_d16_hi_b16 v[12:13], v11, off
	s_or_b32 exec_lo, exec_lo, s4
	s_and_saveexec_b32 s4, s1
	s_cbranch_execz .LBB246_57
.LBB246_104:                            ;   in Loop: Header=BB246_13 Depth=1
	s_waitcnt vmcnt(2) lgkmcnt(0)
	v_dual_add_f32 v9, v9, v10 :: v_dual_lshlrev_b32 v10, 16, v23
	s_delay_alu instid0(VALU_DEP_1) | instskip(NEXT) | instid1(VALU_DEP_1)
	v_add_f32_e32 v10, v9, v10
	v_and_b32_e32 v9, 0x7f800000, v10
	s_delay_alu instid0(VALU_DEP_1) | instskip(SKIP_1) | instid1(SALU_CYCLE_1)
	v_cmp_ne_u32_e32 vcc_lo, 0x7f800000, v9
                                        ; implicit-def: $vgpr9
	s_and_saveexec_b32 s1, vcc_lo
	s_xor_b32 s1, exec_lo, s1
; %bb.105:                              ;   in Loop: Header=BB246_13 Depth=1
	v_bfe_u32 v9, v10, 16, 1
	s_delay_alu instid0(VALU_DEP_1)
	v_add3_u32 v9, v10, v9, 0x7fff
                                        ; implicit-def: $vgpr10
; %bb.106:                              ;   in Loop: Header=BB246_13 Depth=1
	s_and_not1_saveexec_b32 s1, s1
; %bb.107:                              ;   in Loop: Header=BB246_13 Depth=1
	v_and_b32_e32 v9, 0xffff, v10
	v_or_b32_e32 v11, 0x10000, v10
	s_delay_alu instid0(VALU_DEP_2) | instskip(NEXT) | instid1(VALU_DEP_2)
	v_cmp_eq_u32_e32 vcc_lo, 0, v9
	v_cndmask_b32_e32 v9, v11, v10, vcc_lo
; %bb.108:                              ;   in Loop: Header=BB246_13 Depth=1
	s_or_b32 exec_lo, exec_lo, s1
	v_dual_mov_b32 v11, v63 :: v_dual_add_nc_u32 v10, 1, v62
	s_delay_alu instid0(VALU_DEP_1) | instskip(NEXT) | instid1(VALU_DEP_1)
	v_lshlrev_b64 v[10:11], 1, v[10:11]
	v_add_co_u32 v10, vcc_lo, s18, v10
	s_delay_alu instid0(VALU_DEP_2)
	v_add_co_ci_u32_e32 v11, vcc_lo, s19, v11, vcc_lo
	global_store_d16_hi_b16 v[10:11], v9, off
	s_or_b32 exec_lo, exec_lo, s4
	s_and_saveexec_b32 s1, s2
	s_cbranch_execz .LBB246_58
.LBB246_109:                            ;   in Loop: Header=BB246_13 Depth=1
	s_waitcnt lgkmcnt(0)
	v_add_f32_e32 v7, v7, v8
	s_waitcnt vmcnt(1)
	v_lshlrev_b32_e32 v8, 16, v20
	s_delay_alu instid0(VALU_DEP_1) | instskip(NEXT) | instid1(VALU_DEP_1)
	v_add_f32_e32 v8, v7, v8
	v_and_b32_e32 v7, 0x7f800000, v8
	s_delay_alu instid0(VALU_DEP_1) | instskip(SKIP_1) | instid1(SALU_CYCLE_1)
	v_cmp_ne_u32_e32 vcc_lo, 0x7f800000, v7
                                        ; implicit-def: $vgpr7
	s_and_saveexec_b32 s2, vcc_lo
	s_xor_b32 s2, exec_lo, s2
; %bb.110:                              ;   in Loop: Header=BB246_13 Depth=1
	v_bfe_u32 v7, v8, 16, 1
	s_delay_alu instid0(VALU_DEP_1)
	v_add3_u32 v7, v8, v7, 0x7fff
                                        ; implicit-def: $vgpr8
; %bb.111:                              ;   in Loop: Header=BB246_13 Depth=1
	s_and_not1_saveexec_b32 s2, s2
; %bb.112:                              ;   in Loop: Header=BB246_13 Depth=1
	v_and_b32_e32 v7, 0xffff, v8
	v_or_b32_e32 v9, 0x10000, v8
	s_delay_alu instid0(VALU_DEP_2) | instskip(NEXT) | instid1(VALU_DEP_2)
	v_cmp_eq_u32_e32 vcc_lo, 0, v7
	v_cndmask_b32_e32 v7, v9, v8, vcc_lo
; %bb.113:                              ;   in Loop: Header=BB246_13 Depth=1
	s_or_b32 exec_lo, exec_lo, s2
	v_dual_mov_b32 v9, v63 :: v_dual_add_nc_u32 v8, 2, v62
	s_delay_alu instid0(VALU_DEP_1) | instskip(NEXT) | instid1(VALU_DEP_1)
	v_lshlrev_b64 v[8:9], 1, v[8:9]
	v_add_co_u32 v8, vcc_lo, s18, v8
	s_delay_alu instid0(VALU_DEP_2) | instskip(SKIP_2) | instid1(SALU_CYCLE_1)
	v_add_co_ci_u32_e32 v9, vcc_lo, s19, v9, vcc_lo
	global_store_d16_hi_b16 v[8:9], v7, off
	s_or_b32 exec_lo, exec_lo, s1
	s_and_b32 exec_lo, exec_lo, s3
	s_cbranch_execz .LBB246_119
.LBB246_114:                            ;   in Loop: Header=BB246_13 Depth=1
	s_waitcnt vmcnt(0) lgkmcnt(0)
	v_dual_add_f32 v5, v5, v6 :: v_dual_lshlrev_b32 v6, 16, v17
	s_delay_alu instid0(VALU_DEP_1) | instskip(NEXT) | instid1(VALU_DEP_1)
	v_add_f32_e32 v6, v5, v6
	v_and_b32_e32 v5, 0x7f800000, v6
	s_delay_alu instid0(VALU_DEP_1) | instskip(SKIP_1) | instid1(SALU_CYCLE_1)
	v_cmp_ne_u32_e32 vcc_lo, 0x7f800000, v5
                                        ; implicit-def: $vgpr5
	s_and_saveexec_b32 s1, vcc_lo
	s_xor_b32 s1, exec_lo, s1
; %bb.115:                              ;   in Loop: Header=BB246_13 Depth=1
	v_bfe_u32 v5, v6, 16, 1
	s_delay_alu instid0(VALU_DEP_1)
	v_add3_u32 v5, v6, v5, 0x7fff
                                        ; implicit-def: $vgpr6
; %bb.116:                              ;   in Loop: Header=BB246_13 Depth=1
	s_and_not1_saveexec_b32 s1, s1
; %bb.117:                              ;   in Loop: Header=BB246_13 Depth=1
	v_and_b32_e32 v5, 0xffff, v6
	v_or_b32_e32 v7, 0x10000, v6
	s_delay_alu instid0(VALU_DEP_2) | instskip(NEXT) | instid1(VALU_DEP_2)
	v_cmp_eq_u32_e32 vcc_lo, 0, v5
	v_cndmask_b32_e32 v5, v7, v6, vcc_lo
; %bb.118:                              ;   in Loop: Header=BB246_13 Depth=1
	s_or_b32 exec_lo, exec_lo, s1
	v_add_nc_u32_e32 v62, 3, v62
	s_delay_alu instid0(VALU_DEP_1) | instskip(NEXT) | instid1(VALU_DEP_1)
	v_lshlrev_b64 v[6:7], 1, v[62:63]
	v_add_co_u32 v6, vcc_lo, s18, v6
	s_delay_alu instid0(VALU_DEP_2)
	v_add_co_ci_u32_e32 v7, vcc_lo, s19, v7, vcc_lo
	global_store_d16_hi_b16 v[6:7], v5, off
.LBB246_119:                            ;   in Loop: Header=BB246_13 Depth=1
	s_or_b32 exec_lo, exec_lo, s5
	v_add_nc_u32_e32 v61, s20, v61
	s_delay_alu instid0(VALU_DEP_1) | instskip(SKIP_1) | instid1(VALU_DEP_2)
	v_add_nc_u32_e32 v5, 4, v61
	v_cmp_gt_u32_e32 vcc_lo, s11, v61
	v_cmp_le_u32_e64 s1, s11, v5
	s_delay_alu instid0(VALU_DEP_1) | instskip(NEXT) | instid1(SALU_CYCLE_1)
	s_and_b32 s1, vcc_lo, s1
	s_and_saveexec_b32 s29, s1
	s_cbranch_execz .LBB246_12
; %bb.120:                              ;   in Loop: Header=BB246_13 Depth=1
	s_mov_b32 s30, exec_lo
	v_cmpx_ne_u32_e64 s21, v61
	s_cbranch_execz .LBB246_11
; %bb.121:                              ;   in Loop: Header=BB246_13 Depth=1
	v_subrev_nc_u32_e32 v5, s21, v61
	s_mov_b32 s31, 0
	s_mov_b64 s[4:5], 0
	s_delay_alu instid0(VALU_DEP_1)
	v_cmp_lt_u32_e32 vcc_lo, 1, v5
	v_cndmask_b32_e32 v5, 1, v5, vcc_lo
	.p2align	6
.LBB246_122:                            ;   Parent Loop BB246_13 Depth=1
                                        ; =>  This Inner Loop Header: Depth=2
	s_cmp_lg_u32 s4, 3
	s_cselect_b32 vcc_lo, -1, 0
	s_cmp_lg_u32 s4, 2
	v_cndmask_b32_e32 v4, 0, v4, vcc_lo
	s_cselect_b32 s1, -1, 0
	s_cmp_lg_u32 s4, 1
	v_cndmask_b32_e64 v3, 0, v3, s1
	s_cselect_b32 s2, -1, 0
	s_cmp_lg_u32 s4, 0
	v_cndmask_b32_e64 v2, 0, v2, s2
	s_cselect_b32 s3, -1, 0
	s_add_u32 s4, s4, 1
	v_cndmask_b32_e64 v1, 0, v1, s3
	v_cmp_eq_u32_e32 vcc_lo, s4, v5
	s_addc_u32 s5, s5, 0
	s_or_b32 s31, vcc_lo, s31
	s_delay_alu instid0(SALU_CYCLE_1)
	s_and_not1_b32 exec_lo, exec_lo, s31
	s_cbranch_execnz .LBB246_122
; %bb.123:                              ;   in Loop: Header=BB246_13 Depth=1
	s_or_b32 exec_lo, exec_lo, s31
	s_branch .LBB246_11
.LBB246_124:
	s_nop 0
	s_sendmsg sendmsg(MSG_DEALLOC_VGPRS)
	s_endpgm
	.section	.rodata,"a",@progbits
	.p2align	6, 0x0
	.amdhsa_kernel _Z12wvSplitK_hf_I14__hip_bfloat16Li64ELi4ELi16ELi8ELi2ELi3EEviiiiiiPKT_S3_S3_PS1_ii
		.amdhsa_group_segment_fixed_size 65536
		.amdhsa_private_segment_fixed_size 0
		.amdhsa_kernarg_size 64
		.amdhsa_user_sgpr_count 15
		.amdhsa_user_sgpr_dispatch_ptr 0
		.amdhsa_user_sgpr_queue_ptr 0
		.amdhsa_user_sgpr_kernarg_segment_ptr 1
		.amdhsa_user_sgpr_dispatch_id 0
		.amdhsa_user_sgpr_private_segment_size 0
		.amdhsa_wavefront_size32 1
		.amdhsa_uses_dynamic_stack 0
		.amdhsa_enable_private_segment 0
		.amdhsa_system_sgpr_workgroup_id_x 1
		.amdhsa_system_sgpr_workgroup_id_y 0
		.amdhsa_system_sgpr_workgroup_id_z 0
		.amdhsa_system_sgpr_workgroup_info 0
		.amdhsa_system_vgpr_workitem_id 1
		.amdhsa_next_free_vgpr 125
		.amdhsa_next_free_sgpr 32
		.amdhsa_reserve_vcc 1
		.amdhsa_float_round_mode_32 0
		.amdhsa_float_round_mode_16_64 0
		.amdhsa_float_denorm_mode_32 3
		.amdhsa_float_denorm_mode_16_64 3
		.amdhsa_dx10_clamp 1
		.amdhsa_ieee_mode 1
		.amdhsa_fp16_overflow 0
		.amdhsa_workgroup_processor_mode 1
		.amdhsa_memory_ordered 1
		.amdhsa_forward_progress 0
		.amdhsa_shared_vgpr_count 0
		.amdhsa_exception_fp_ieee_invalid_op 0
		.amdhsa_exception_fp_denorm_src 0
		.amdhsa_exception_fp_ieee_div_zero 0
		.amdhsa_exception_fp_ieee_overflow 0
		.amdhsa_exception_fp_ieee_underflow 0
		.amdhsa_exception_fp_ieee_inexact 0
		.amdhsa_exception_int_div_zero 0
	.end_amdhsa_kernel
	.section	.text._Z12wvSplitK_hf_I14__hip_bfloat16Li64ELi4ELi16ELi8ELi2ELi3EEviiiiiiPKT_S3_S3_PS1_ii,"axG",@progbits,_Z12wvSplitK_hf_I14__hip_bfloat16Li64ELi4ELi16ELi8ELi2ELi3EEviiiiiiPKT_S3_S3_PS1_ii,comdat
.Lfunc_end246:
	.size	_Z12wvSplitK_hf_I14__hip_bfloat16Li64ELi4ELi16ELi8ELi2ELi3EEviiiiiiPKT_S3_S3_PS1_ii, .Lfunc_end246-_Z12wvSplitK_hf_I14__hip_bfloat16Li64ELi4ELi16ELi8ELi2ELi3EEviiiiiiPKT_S3_S3_PS1_ii
                                        ; -- End function
	.section	.AMDGPU.csdata,"",@progbits
; Kernel info:
; codeLenInByte = 8468
; NumSgprs: 34
; NumVgprs: 125
; ScratchSize: 0
; MemoryBound: 0
; FloatMode: 240
; IeeeMode: 1
; LDSByteSize: 65536 bytes/workgroup (compile time only)
; SGPRBlocks: 4
; VGPRBlocks: 15
; NumSGPRsForWavesPerEU: 34
; NumVGPRsForWavesPerEU: 125
; Occupancy: 10
; WaveLimiterHint : 0
; COMPUTE_PGM_RSRC2:SCRATCH_EN: 0
; COMPUTE_PGM_RSRC2:USER_SGPR: 15
; COMPUTE_PGM_RSRC2:TRAP_HANDLER: 0
; COMPUTE_PGM_RSRC2:TGID_X_EN: 1
; COMPUTE_PGM_RSRC2:TGID_Y_EN: 0
; COMPUTE_PGM_RSRC2:TGID_Z_EN: 0
; COMPUTE_PGM_RSRC2:TIDIG_COMP_CNT: 1
	.section	.text._Z16wvSplitK_hf_big_I14__hip_bfloat16Li64ELi4ELi16ELi8ELi2ELi3EEviiiiiiPKT_S3_S3_PS1_ii,"axG",@progbits,_Z16wvSplitK_hf_big_I14__hip_bfloat16Li64ELi4ELi16ELi8ELi2ELi3EEviiiiiiPKT_S3_S3_PS1_ii,comdat
	.protected	_Z16wvSplitK_hf_big_I14__hip_bfloat16Li64ELi4ELi16ELi8ELi2ELi3EEviiiiiiPKT_S3_S3_PS1_ii ; -- Begin function _Z16wvSplitK_hf_big_I14__hip_bfloat16Li64ELi4ELi16ELi8ELi2ELi3EEviiiiiiPKT_S3_S3_PS1_ii
	.globl	_Z16wvSplitK_hf_big_I14__hip_bfloat16Li64ELi4ELi16ELi8ELi2ELi3EEviiiiiiPKT_S3_S3_PS1_ii
	.p2align	8
	.type	_Z16wvSplitK_hf_big_I14__hip_bfloat16Li64ELi4ELi16ELi8ELi2ELi3EEviiiiiiPKT_S3_S3_PS1_ii,@function
_Z16wvSplitK_hf_big_I14__hip_bfloat16Li64ELi4ELi16ELi8ELi2ELi3EEviiiiiiPKT_S3_S3_PS1_ii: ; @_Z16wvSplitK_hf_big_I14__hip_bfloat16Li64ELi4ELi16ELi8ELi2ELi3EEviiiiiiPKT_S3_S3_PS1_ii
; %bb.0:
	s_load_b64 s[20:21], s[0:1], 0x38
	v_bfe_u32 v5, v0, 10, 10
	s_mov_b32 s2, exec_lo
	s_waitcnt lgkmcnt(0)
	s_delay_alu instid0(VALU_DEP_1)
	v_cmpx_gt_u32_e64 s20, v5
	s_cbranch_execz .LBB247_112
; %bb.1:
	s_load_b128 s[16:19], s[0:1], 0x0
	s_mul_i32 s15, s15, s20
	s_mov_b32 s4, 1
	v_add_lshl_u32 v61, s15, v5, 2
	s_mov_b32 s5, s4
	s_mov_b32 s6, s4
	;; [unrolled: 1-line block ×3, first 2 shown]
	s_delay_alu instid0(VALU_DEP_1) | instskip(SKIP_2) | instid1(VALU_DEP_2)
	v_add_nc_u32_e32 v1, 4, v61
	s_waitcnt lgkmcnt(0)
	v_cmp_gt_u32_e32 vcc_lo, s19, v61
	v_cmp_le_u32_e64 s2, s19, v1
	v_dual_mov_b32 v1, s4 :: v_dual_mov_b32 v4, s7
	v_dual_mov_b32 v2, s5 :: v_dual_mov_b32 v3, s6
	s_delay_alu instid0(VALU_DEP_3) | instskip(NEXT) | instid1(SALU_CYCLE_1)
	s_and_b32 s2, vcc_lo, s2
	s_and_saveexec_b32 s8, s2
	s_cbranch_execz .LBB247_7
; %bb.2:
	v_dual_mov_b32 v1, s4 :: v_dual_mov_b32 v2, s5
	v_dual_mov_b32 v3, s6 :: v_dual_mov_b32 v4, s7
	s_add_i32 s9, s19, -4
	s_mov_b32 s10, exec_lo
	v_cmpx_ne_u32_e64 s9, v61
	s_cbranch_execz .LBB247_6
; %bb.3:
	v_subrev_nc_u32_e32 v1, s9, v61
	s_mov_b32 s11, 0
	s_mov_b64 s[2:3], 0
	s_mov_b32 s5, s4
	s_mov_b32 s6, s4
	v_cmp_lt_u32_e32 vcc_lo, 1, v1
	s_mov_b32 s7, s4
	v_cndmask_b32_e32 v6, 1, v1, vcc_lo
	.p2align	6
.LBB247_4:                              ; =>This Inner Loop Header: Depth=1
	s_cmp_lg_u32 s2, 3
	s_cselect_b32 s7, s7, 0
	s_cmp_lg_u32 s2, 2
	s_cselect_b32 s6, s6, 0
	s_cmp_lg_u32 s2, 1
	s_cselect_b32 s5, s5, 0
	s_cmp_lg_u32 s2, 0
	s_cselect_b32 s4, s4, 0
	s_add_u32 s2, s2, 1
	v_dual_mov_b32 v1, s4 :: v_dual_mov_b32 v2, s5
	v_cmp_eq_u32_e32 vcc_lo, s2, v6
	v_dual_mov_b32 v3, s6 :: v_dual_mov_b32 v4, s7
	s_addc_u32 s3, s3, 0
	s_or_b32 s11, vcc_lo, s11
	s_delay_alu instid0(SALU_CYCLE_1)
	s_and_not1_b32 exec_lo, exec_lo, s11
	s_cbranch_execnz .LBB247_4
; %bb.5:
	s_or_b32 exec_lo, exec_lo, s11
	v_mov_b32_e32 v61, s9
.LBB247_6:
	s_or_b32 exec_lo, exec_lo, s10
.LBB247_7:
	s_delay_alu instid0(SALU_CYCLE_1)
	s_or_b32 exec_lo, exec_lo, s8
	s_lshl_b32 s2, s20, 2
	s_abs_i32 s6, s19
	s_abs_i32 s3, s2
	s_mov_b32 s23, 0
	v_cvt_f32_u32_e32 v6, s3
	s_sub_i32 s5, 0, s3
	s_delay_alu instid0(VALU_DEP_1) | instskip(SKIP_2) | instid1(VALU_DEP_1)
	v_rcp_iflag_f32_e32 v6, v6
	s_waitcnt_depctr 0xfff
	v_mul_f32_e32 v6, 0x4f7ffffe, v6
	v_cvt_u32_f32_e32 v6, v6
	s_delay_alu instid0(VALU_DEP_1) | instskip(NEXT) | instid1(VALU_DEP_1)
	v_readfirstlane_b32 s4, v6
	s_mul_i32 s5, s5, s4
	s_delay_alu instid0(SALU_CYCLE_1) | instskip(NEXT) | instid1(SALU_CYCLE_1)
	s_mul_hi_u32 s5, s4, s5
	s_add_i32 s4, s4, s5
	s_ashr_i32 s5, s19, 31
	s_mul_hi_u32 s4, s6, s4
	s_delay_alu instid0(SALU_CYCLE_1) | instskip(NEXT) | instid1(SALU_CYCLE_1)
	s_mul_i32 s4, s4, s3
	s_sub_i32 s4, s6, s4
	s_delay_alu instid0(SALU_CYCLE_1) | instskip(SKIP_2) | instid1(SALU_CYCLE_1)
	s_sub_i32 s6, s4, s3
	s_cmp_ge_u32 s4, s3
	s_cselect_b32 s4, s6, s4
	s_sub_i32 s6, s4, s3
	s_cmp_ge_u32 s4, s3
	s_cselect_b32 s3, s6, s4
	s_add_i32 s2, s2, s19
	s_xor_b32 s3, s3, s5
	s_delay_alu instid0(SALU_CYCLE_1) | instskip(NEXT) | instid1(SALU_CYCLE_1)
	s_sub_i32 s3, s3, s5
	s_sub_i32 s2, s2, s3
	s_cmp_eq_u32 s3, 0
	s_cselect_b32 s22, s19, s2
	s_delay_alu instid0(SALU_CYCLE_1)
	v_cmp_gt_u32_e32 vcc_lo, s22, v61
	s_and_b32 exec_lo, exec_lo, vcc_lo
	s_cbranch_execz .LBB247_112
; %bb.8:
	s_load_b256 s[8:15], s[0:1], 0x10
	s_min_u32 s24, s18, 0x2800
	s_cmp_lg_u32 s16, 0
	s_mul_i32 s2, s21, s20
	s_cselect_b32 s25, -1, 0
	s_cmp_lg_u32 s18, 0
	v_and_b32_e32 v8, 0x3ff, v0
	s_cselect_b32 s21, -1, 0
	s_lshl_b32 s26, s20, 9
	s_add_i32 s27, s16, -8
	s_add_i32 s28, s19, -1
	s_lshl_b32 s29, s2, 2
	s_load_b64 s[6:7], s[0:1], 0x30
	v_cmp_eq_u32_e64 s0, 63, v8
	v_mbcnt_lo_u32_b32 v0, -1, 0
	v_lshlrev_b32_e32 v73, 3, v8
	v_lshlrev_b32_e32 v8, 4, v8
	s_waitcnt lgkmcnt(0)
	s_cmp_lg_u64 s[14:15], 0
	v_cvt_f32_u32_e32 v7, s8
	s_cselect_b32 s30, -1, 0
	s_abs_i32 s2, s9
	s_add_i32 s9, s19, -4
	v_cvt_f32_u32_e32 v6, s2
	v_rcp_iflag_f32_e32 v7, v7
	s_sub_i32 s3, 0, s2
	s_sub_i32 s4, 0, s8
	;; [unrolled: 1-line block ×3, first 2 shown]
	v_rcp_iflag_f32_e32 v6, v6
	v_lshl_add_u32 v74, v5, 9, v73
	v_mov_b32_e32 v64, 0
	v_lshl_add_u32 v75, v5, 10, v8
	s_delay_alu instid0(VALU_DEP_3) | instskip(SKIP_3) | instid1(VALU_DEP_1)
	v_add_nc_u32_e32 v77, s18, v74
	v_lshl_add_u32 v76, s18, 1, v74
	s_waitcnt_depctr 0xfff
	v_mul_f32_e32 v6, 0x4f7ffffe, v6
	v_cvt_u32_f32_e32 v6, v6
	s_delay_alu instid0(VALU_DEP_1) | instskip(SKIP_1) | instid1(VALU_DEP_2)
	v_readfirstlane_b32 s1, v6
	v_mul_f32_e32 v6, 0x4f7ffffe, v7
	s_mul_i32 s3, s3, s1
	s_delay_alu instid0(VALU_DEP_1) | instskip(SKIP_1) | instid1(SALU_CYCLE_1)
	v_cvt_u32_f32_e32 v6, v6
	s_mul_hi_u32 s3, s1, s3
	s_add_i32 s1, s1, s3
	s_cmp_lt_u32 s2, 2
	s_delay_alu instid0(VALU_DEP_1) | instskip(SKIP_1) | instid1(SALU_CYCLE_1)
	v_mul_lo_u32 v7, s4, v6
	s_cselect_b32 s3, s5, 1
	s_sub_i32 s4, s3, s2
	s_cmp_ge_u32 s3, s2
	s_cselect_b32 s31, s4, s3
	s_lshr_b32 s1, s1, 31
	s_delay_alu instid0(VALU_DEP_1) | instskip(SKIP_3) | instid1(SALU_CYCLE_1)
	v_mul_hi_u32 v7, v6, v7
	s_mul_i32 s1, s1, s2
	s_mul_i32 s31, s31, s8
	s_sub_i32 s1, 2, s1
	s_sub_i32 s3, s1, s2
	s_cmp_ge_u32 s1, s2
	s_cselect_b32 s1, s3, s1
	s_delay_alu instid0(VALU_DEP_1)
	v_add_nc_u32_e32 v78, v6, v7
	s_sub_i32 s3, s1, s2
	s_cmp_ge_u32 s1, s2
	s_cselect_b32 s36, s3, s1
	s_add_u32 s33, s6, 2
	s_addc_u32 s34, s7, 0
	s_lshl_b32 s35, s24, 2
	s_lshl_b32 s20, s20, 10
	s_mul_i32 s36, s36, s8
	s_lshl_b32 s37, s24, 1
	s_branch .LBB247_12
.LBB247_9:                              ;   in Loop: Header=BB247_12 Depth=1
	s_or_b32 exec_lo, exec_lo, s40
	v_mov_b32_e32 v61, s9
.LBB247_10:                             ;   in Loop: Header=BB247_12 Depth=1
	s_or_b32 exec_lo, exec_lo, s39
.LBB247_11:                             ;   in Loop: Header=BB247_12 Depth=1
	s_delay_alu instid0(SALU_CYCLE_1) | instskip(NEXT) | instid1(VALU_DEP_1)
	s_or_b32 exec_lo, exec_lo, s38
	v_cmp_le_u32_e32 vcc_lo, s22, v61
	s_or_b32 s23, vcc_lo, s23
	s_delay_alu instid0(SALU_CYCLE_1)
	s_and_not1_b32 exec_lo, exec_lo, s23
	s_cbranch_execz .LBB247_112
.LBB247_12:                             ; =>This Loop Header: Depth=1
                                        ;     Child Loop BB247_17 Depth 2
                                        ;       Child Loop BB247_22 Depth 3
                                        ;     Child Loop BB247_110 Depth 2
	v_mov_b32_e32 v62, v64
	v_mov_b32_e32 v79, v64
	;; [unrolled: 1-line block ×12, first 2 shown]
	s_and_not1_b32 vcc_lo, exec_lo, s25
	s_mov_b32 s3, 0
	s_cbranch_vccnz .LBB247_29
; %bb.13:                               ;   in Loop: Header=BB247_12 Depth=1
	v_dual_mov_b32 v87, 0 :: v_dual_add_nc_u32 v6, 2, v61
	v_add_nc_u32_e32 v5, 1, v61
	v_add_nc_u32_e32 v7, 3, v61
	s_waitcnt lgkmcnt(2)
	v_min_u32_e32 v8, s28, v61
	v_min_u32_e32 v6, s28, v6
	v_dual_mov_b32 v10, v64 :: v_dual_mov_b32 v89, 0
	v_cmp_gt_u32_e64 s1, s19, v61
	s_delay_alu instid0(VALU_DEP_4)
	v_mul_lo_u32 v63, v8, s17
	v_mov_b32_e32 v8, v64
	v_min_u32_e32 v9, s28, v7
	v_mul_lo_u32 v7, v6, s17
	v_mov_b32_e32 v6, v64
	v_min_u32_e32 v5, s28, v5
	v_dual_mov_b32 v88, 0 :: v_dual_mov_b32 v85, 0
	v_mul_lo_u32 v9, v9, s17
	v_lshlrev_b64 v[65:66], 1, v[63:64]
	s_delay_alu instid0(VALU_DEP_4)
	v_mul_lo_u32 v5, v5, s17
	v_lshlrev_b64 v[69:70], 1, v[7:8]
	v_dual_mov_b32 v86, 0 :: v_dual_mov_b32 v83, 0
	v_dual_mov_b32 v84, 0 :: v_dual_mov_b32 v81, 0
	v_lshlrev_b64 v[71:72], 1, v[9:10]
	v_dual_mov_b32 v82, 0 :: v_dual_mov_b32 v79, 0
	v_lshlrev_b64 v[67:68], 1, v[5:6]
	v_mov_b32_e32 v80, 0
	v_mov_b32_e32 v62, 0
	s_mov_b32 s4, 0
	s_branch .LBB247_17
.LBB247_14:                             ;   in Loop: Header=BB247_17 Depth=2
	s_or_b32 exec_lo, exec_lo, s38
.LBB247_15:                             ;   in Loop: Header=BB247_17 Depth=2
	s_delay_alu instid0(SALU_CYCLE_1)
	s_or_b32 exec_lo, exec_lo, s5
	s_waitcnt lgkmcnt(2)
	v_and_b32_e32 v94, 0xffff0000, v58
	v_lshlrev_b32_e32 v95, 16, v58
	v_and_b32_e32 v96, 0xffff0000, v59
	s_waitcnt vmcnt(7)
	v_and_b32_e32 v58, 0xffff0000, v55
	v_and_b32_e32 v63, 0xffff0000, v53
	v_lshlrev_b32_e32 v97, 16, v59
	v_lshlrev_b32_e32 v101, 16, v60
	s_delay_alu instid0(VALU_DEP_4) | instskip(SKIP_2) | instid1(VALU_DEP_3)
	v_dual_mul_f32 v98, v96, v58 :: v_dual_lshlrev_b32 v55, 16, v55
	v_lshlrev_b32_e32 v93, 16, v57
	v_lshlrev_b32_e32 v90, 16, v53
	v_fmac_f32_e32 v98, v97, v55
	v_and_b32_e32 v92, 0xffff0000, v57
	s_delay_alu instid0(VALU_DEP_1) | instskip(NEXT) | instid1(VALU_DEP_1)
	v_mul_f32_e32 v91, v92, v63
	v_dual_fmac_f32 v91, v93, v90 :: v_dual_and_b32 v100, 0xffff0000, v60
	s_delay_alu instid0(VALU_DEP_1) | instskip(SKIP_1) | instid1(VALU_DEP_1)
	v_add_f32_e32 v59, v87, v91
	v_and_b32_e32 v91, 0xffff0000, v56
	v_dual_mul_f32 v102, v100, v91 :: v_dual_lshlrev_b32 v53, 16, v54
	v_and_b32_e32 v57, 0xffff0000, v54
	s_waitcnt vmcnt(6)
	s_delay_alu instid0(VALU_DEP_1) | instskip(NEXT) | instid1(VALU_DEP_1)
	v_dual_mul_f32 v54, v94, v57 :: v_dual_and_b32 v105, 0xffff0000, v52
	v_fmac_f32_e32 v54, v95, v53
	s_delay_alu instid0(VALU_DEP_1) | instskip(SKIP_2) | instid1(VALU_DEP_2)
	v_add_f32_e32 v99, v59, v54
	v_and_b32_e32 v59, 0xffff0000, v50
	v_lshlrev_b32_e32 v54, 16, v49
	v_dual_add_f32 v98, v99, v98 :: v_dual_mul_f32 v103, v94, v59
	v_and_b32_e32 v60, 0xffff0000, v51
	v_and_b32_e32 v87, 0xffff0000, v49
	v_lshlrev_b32_e32 v51, 16, v51
	s_waitcnt vmcnt(5)
	s_delay_alu instid0(VALU_DEP_3) | instskip(NEXT) | instid1(VALU_DEP_3)
	v_dual_mul_f32 v104, v96, v60 :: v_dual_and_b32 v99, 0xffff0000, v45
	v_mul_f32_e32 v49, v92, v87
	v_mul_f32_e32 v106, v100, v105
	s_delay_alu instid0(VALU_DEP_3) | instskip(NEXT) | instid1(VALU_DEP_3)
	v_fmac_f32_e32 v104, v97, v51
	v_dual_fmac_f32 v49, v93, v54 :: v_dual_lshlrev_b32 v56, 16, v56
	s_delay_alu instid0(VALU_DEP_1) | instskip(NEXT) | instid1(VALU_DEP_1)
	v_dual_add_f32 v89, v89, v49 :: v_dual_lshlrev_b32 v50, 16, v50
	v_dual_fmac_f32 v102, v101, v56 :: v_dual_fmac_f32 v103, v95, v50
	s_delay_alu instid0(VALU_DEP_1) | instskip(SKIP_1) | instid1(VALU_DEP_3)
	v_dual_add_f32 v49, v98, v102 :: v_dual_lshlrev_b32 v98, 16, v45
	v_mul_f32_e32 v102, v92, v99
	v_add_f32_e32 v89, v89, v103
	v_and_b32_e32 v103, 0xffff0000, v46
	v_lshlrev_b32_e32 v46, 16, v46
	s_delay_alu instid0(VALU_DEP_4) | instskip(SKIP_2) | instid1(VALU_DEP_2)
	v_fmac_f32_e32 v102, v93, v98
	s_waitcnt vmcnt(4)
	v_dual_add_f32 v89, v89, v104 :: v_dual_and_b32 v104, 0xffff0000, v41
	v_add_f32_e32 v88, v88, v102
	v_and_b32_e32 v102, 0xffff0000, v47
	v_lshlrev_b32_e32 v47, 16, v47
	s_delay_alu instid0(VALU_DEP_4) | instskip(NEXT) | instid1(VALU_DEP_3)
	v_dual_mul_f32 v41, v92, v104 :: v_dual_lshlrev_b32 v108, 16, v41
	v_mul_f32_e32 v107, v96, v102
	s_delay_alu instid0(VALU_DEP_1) | instskip(SKIP_1) | instid1(VALU_DEP_4)
	v_fmac_f32_e32 v107, v97, v47
	v_dual_mul_f32 v52, v94, v103 :: v_dual_lshlrev_b32 v45, 16, v52
	v_dual_fmac_f32 v41, v93, v108 :: v_dual_and_b32 v92, 0xffff0000, v42
	v_lshlrev_b32_e32 v93, 16, v42
	s_delay_alu instid0(VALU_DEP_3) | instskip(NEXT) | instid1(VALU_DEP_3)
	v_fmac_f32_e32 v52, v95, v46
	v_dual_mul_f32 v94, v94, v92 :: v_dual_add_f32 v85, v85, v41
	s_delay_alu instid0(VALU_DEP_2) | instskip(SKIP_1) | instid1(VALU_DEP_3)
	v_add_f32_e32 v52, v88, v52
	v_and_b32_e32 v88, 0xffff0000, v48
	v_fmac_f32_e32 v94, v95, v93
	s_delay_alu instid0(VALU_DEP_3) | instskip(NEXT) | instid1(VALU_DEP_3)
	v_add_f32_e32 v52, v52, v107
	v_dual_fmac_f32 v106, v101, v45 :: v_dual_mul_f32 v109, v100, v88
	v_and_b32_e32 v107, 0xffff0000, v43
	v_lshlrev_b32_e32 v48, 16, v48
	s_delay_alu instid0(VALU_DEP_3) | instskip(SKIP_4) | instid1(VALU_DEP_2)
	v_dual_add_f32 v42, v89, v106 :: v_dual_lshlrev_b32 v43, 16, v43
	s_waitcnt lgkmcnt(1)
	v_dual_add_f32 v85, v85, v94 :: v_dual_lshlrev_b32 v94, 16, v37
	v_mul_f32_e32 v95, v96, v107
	v_dual_fmac_f32 v109, v101, v48 :: v_dual_and_b32 v96, 0xffff0000, v38
	v_dual_fmac_f32 v95, v97, v43 :: v_dual_lshlrev_b32 v38, 16, v38
	s_delay_alu instid0(VALU_DEP_2) | instskip(SKIP_1) | instid1(VALU_DEP_1)
	v_add_f32_e32 v41, v52, v109
	v_and_b32_e32 v52, 0xffff0000, v37
	v_mul_f32_e32 v37, v52, v63
	s_delay_alu instid0(VALU_DEP_1) | instskip(SKIP_2) | instid1(VALU_DEP_3)
	v_fmac_f32_e32 v37, v94, v90
	v_and_b32_e32 v89, 0xffff0000, v44
	v_lshlrev_b32_e32 v44, 16, v44
	v_add_f32_e32 v86, v86, v37
	s_delay_alu instid0(VALU_DEP_3) | instskip(SKIP_2) | instid1(VALU_DEP_1)
	v_dual_mul_f32 v97, v100, v89 :: v_dual_and_b32 v100, 0xffff0000, v39
	v_add_f32_e32 v85, v85, v95
	v_mul_f32_e32 v95, v96, v57
	v_dual_mul_f32 v106, v100, v58 :: v_dual_fmac_f32 v95, v38, v53
	s_delay_alu instid0(VALU_DEP_4) | instskip(SKIP_1) | instid1(VALU_DEP_2)
	v_fmac_f32_e32 v97, v101, v44
	v_mul_f32_e32 v101, v52, v87
	v_dual_add_f32 v86, v86, v95 :: v_dual_add_f32 v37, v85, v97
	v_mul_f32_e32 v85, v96, v59
	v_mul_f32_e32 v97, v100, v60
	s_delay_alu instid0(VALU_DEP_2) | instskip(SKIP_1) | instid1(VALU_DEP_1)
	v_fmac_f32_e32 v85, v38, v50
	v_fmac_f32_e32 v101, v94, v54
	v_dual_add_f32 v84, v84, v101 :: v_dual_lshlrev_b32 v39, 16, v39
	v_mul_f32_e32 v101, v52, v99
	v_mul_f32_e32 v52, v52, v104
	s_delay_alu instid0(VALU_DEP_3) | instskip(NEXT) | instid1(VALU_DEP_3)
	v_fmac_f32_e32 v106, v39, v55
	v_dual_add_f32 v84, v84, v85 :: v_dual_fmac_f32 v101, v94, v98
	s_delay_alu instid0(VALU_DEP_1) | instskip(NEXT) | instid1(VALU_DEP_1)
	v_dual_fmac_f32 v52, v94, v108 :: v_dual_add_f32 v83, v83, v101
	v_add_f32_e32 v52, v82, v52
	s_waitcnt lgkmcnt(0)
	v_dual_fmac_f32 v97, v39, v51 :: v_dual_and_b32 v82, 0xffff0000, v33
	v_and_b32_e32 v95, 0xffff0000, v40
	v_lshlrev_b32_e32 v40, 16, v40
	v_lshlrev_b32_e32 v33, 16, v33
	s_delay_alu instid0(VALU_DEP_4) | instskip(NEXT) | instid1(VALU_DEP_4)
	v_add_f32_e32 v84, v84, v97
	v_dual_mul_f32 v94, v95, v88 :: v_dual_add_f32 v85, v86, v106
	v_mul_f32_e32 v86, v96, v103
	s_delay_alu instid0(VALU_DEP_2) | instskip(SKIP_1) | instid1(VALU_DEP_3)
	v_dual_mul_f32 v109, v95, v91 :: v_dual_fmac_f32 v94, v40, v48
	v_mul_f32_e32 v63, v82, v63
	v_fmac_f32_e32 v86, v38, v46
	s_delay_alu instid0(VALU_DEP_1) | instskip(NEXT) | instid1(VALU_DEP_1)
	v_dual_add_f32 v83, v83, v86 :: v_dual_mul_f32 v86, v96, v92
	v_dual_fmac_f32 v109, v40, v56 :: v_dual_fmac_f32 v86, v38, v93
	v_dual_mul_f32 v38, v100, v107 :: v_dual_mul_f32 v97, v95, v105
	v_mul_f32_e32 v101, v100, v102
	s_delay_alu instid0(VALU_DEP_3) | instskip(NEXT) | instid1(VALU_DEP_3)
	v_add_f32_e32 v52, v52, v86
	v_fmac_f32_e32 v38, v39, v43
	s_delay_alu instid0(VALU_DEP_4) | instskip(SKIP_1) | instid1(VALU_DEP_3)
	v_dual_fmac_f32 v97, v40, v45 :: v_dual_and_b32 v86, 0xffff0000, v34
	v_dual_add_f32 v85, v85, v109 :: v_dual_lshlrev_b32 v34, 16, v34
	v_add_f32_e32 v38, v52, v38
	s_delay_alu instid0(VALU_DEP_3) | instskip(NEXT) | instid1(VALU_DEP_4)
	v_dual_mul_f32 v57, v86, v57 :: v_dual_and_b32 v52, 0xffff0000, v35
	v_dual_add_f32 v84, v84, v97 :: v_dual_lshlrev_b32 v35, 16, v35
	s_delay_alu instid0(VALU_DEP_2) | instskip(NEXT) | instid1(VALU_DEP_3)
	v_fmac_f32_e32 v57, v34, v53
	v_mul_f32_e32 v53, v52, v58
	v_fmac_f32_e32 v101, v39, v47
	v_mul_f32_e32 v39, v95, v89
	s_delay_alu instid0(VALU_DEP_3) | instskip(SKIP_2) | instid1(VALU_DEP_2)
	v_fmac_f32_e32 v53, v35, v55
	v_fmac_f32_e32 v63, v33, v90
	v_mul_f32_e32 v55, v82, v87
	v_dual_fmac_f32 v39, v40, v44 :: v_dual_add_f32 v40, v81, v63
	s_delay_alu instid0(VALU_DEP_2) | instskip(NEXT) | instid1(VALU_DEP_2)
	v_dual_fmac_f32 v55, v33, v54 :: v_dual_mul_f32 v54, v86, v103
	v_dual_add_f32 v38, v38, v39 :: v_dual_and_b32 v39, 0xffff0000, v36
	s_delay_alu instid0(VALU_DEP_3) | instskip(NEXT) | instid1(VALU_DEP_3)
	v_add_f32_e32 v40, v40, v57
	v_dual_add_f32 v83, v83, v101 :: v_dual_fmac_f32 v54, v34, v46
	v_mul_f32_e32 v46, v52, v102
	v_dual_mul_f32 v63, v82, v99 :: v_dual_lshlrev_b32 v36, 16, v36
	v_mul_f32_e32 v57, v39, v91
	s_delay_alu instid0(VALU_DEP_4) | instskip(NEXT) | instid1(VALU_DEP_4)
	v_add_f32_e32 v58, v83, v94
	v_fmac_f32_e32 v46, v35, v47
	v_mul_f32_e32 v47, v39, v88
	s_delay_alu instid0(VALU_DEP_4) | instskip(NEXT) | instid1(VALU_DEP_2)
	v_fmac_f32_e32 v57, v36, v56
	v_dual_fmac_f32 v47, v36, v48 :: v_dual_and_b32 v48, 0xffff0000, v29
	v_fmac_f32_e32 v63, v33, v98
	s_delay_alu instid0(VALU_DEP_1) | instskip(NEXT) | instid1(VALU_DEP_1)
	v_add_f32_e32 v56, v79, v63
	v_dual_add_f32 v54, v56, v54 :: v_dual_and_b32 v79, 0xffff0000, v11
	v_dual_add_f32 v40, v40, v53 :: v_dual_mul_f32 v53, v86, v59
	s_waitcnt vmcnt(2)
	v_and_b32_e32 v59, 0xffff0000, v24
	s_delay_alu instid0(VALU_DEP_2) | instskip(SKIP_1) | instid1(VALU_DEP_1)
	v_dual_fmac_f32 v53, v34, v50 :: v_dual_lshlrev_b32 v24, 16, v24
	v_mul_f32_e32 v50, v52, v60
	v_fmac_f32_e32 v50, v35, v51
	v_mul_f32_e32 v51, v39, v105
	v_mul_f32_e32 v39, v39, v89
	s_delay_alu instid0(VALU_DEP_2) | instskip(SKIP_2) | instid1(VALU_DEP_4)
	v_fmac_f32_e32 v51, v36, v45
	v_add_f32_e32 v45, v54, v46
	v_mul_f32_e32 v46, v86, v92
	v_dual_fmac_f32 v39, v36, v44 :: v_dual_and_b32 v54, 0xffff0000, v21
	s_delay_alu instid0(VALU_DEP_3) | instskip(NEXT) | instid1(VALU_DEP_3)
	v_dual_add_f32 v45, v45, v47 :: v_dual_and_b32 v36, 0xffff0000, v22
	v_dual_fmac_f32 v46, v34, v93 :: v_dual_add_f32 v55, v80, v55
	v_mul_f32_e32 v34, v52, v107
	s_delay_alu instid0(VALU_DEP_4) | instskip(SKIP_1) | instid1(VALU_DEP_4)
	v_mul_f32_e32 v56, v48, v54
	v_and_b32_e32 v52, 0xffff0000, v26
	v_dual_add_f32 v53, v55, v53 :: v_dual_lshlrev_b32 v22, 16, v22
	s_delay_alu instid0(VALU_DEP_4) | instskip(SKIP_1) | instid1(VALU_DEP_3)
	v_dual_mul_f32 v55, v82, v104 :: v_dual_fmac_f32 v34, v35, v43
	v_and_b32_e32 v43, 0xffff0000, v31
	v_dual_add_f32 v50, v53, v50 :: v_dual_lshlrev_b32 v31, 16, v31
	s_delay_alu instid0(VALU_DEP_3) | instskip(SKIP_1) | instid1(VALU_DEP_2)
	v_fmac_f32_e32 v55, v33, v108
	v_dual_add_f32 v33, v40, v57 :: v_dual_lshlrev_b32 v26, 16, v26
	v_add_f32_e32 v47, v62, v55
	s_waitcnt vmcnt(0)
	v_and_b32_e32 v62, 0xffff0000, v15
	v_lshlrev_b32_e32 v15, 16, v15
	v_lshlrev_b32_e32 v21, 16, v21
	v_dual_add_f32 v46, v47, v46 :: v_dual_and_b32 v53, 0xffff0000, v28
	v_and_b32_e32 v47, 0xffff0000, v30
	v_lshlrev_b32_e32 v29, 16, v29
	v_lshlrev_b32_e32 v30, 16, v30
	;; [unrolled: 1-line block ×3, first 2 shown]
	v_add_f32_e32 v34, v46, v34
	v_mul_f32_e32 v44, v47, v36
	v_add_f32_e32 v40, v50, v51
	v_and_b32_e32 v50, 0xffff0000, v25
	s_delay_alu instid0(VALU_DEP_4) | instskip(SKIP_2) | instid1(VALU_DEP_4)
	v_dual_add_f32 v34, v34, v39 :: v_dual_lshlrev_b32 v25, 16, v25
	v_fmac_f32_e32 v56, v29, v21
	v_fmac_f32_e32 v44, v30, v22
	v_dual_mul_f32 v51, v48, v50 :: v_dual_and_b32 v46, 0xffff0000, v27
	v_lshlrev_b32_e32 v27, 16, v27
	s_delay_alu instid0(VALU_DEP_4) | instskip(NEXT) | instid1(VALU_DEP_3)
	v_dual_add_f32 v39, v42, v56 :: v_dual_and_b32 v42, 0xffff0000, v23
	v_fmac_f32_e32 v51, v29, v25
	v_lshlrev_b32_e32 v23, 16, v23
	v_lshlrev_b32_e32 v11, 16, v11
	s_delay_alu instid0(VALU_DEP_4) | instskip(NEXT) | instid1(VALU_DEP_4)
	v_add_f32_e32 v39, v39, v44
	v_dual_mul_f32 v56, v43, v42 :: v_dual_add_f32 v49, v49, v51
	v_mul_f32_e32 v80, v79, v46
	s_delay_alu instid0(VALU_DEP_2) | instskip(SKIP_1) | instid1(VALU_DEP_2)
	v_fmac_f32_e32 v56, v31, v23
	v_mul_f32_e32 v35, v47, v52
	v_add_f32_e32 v39, v39, v56
	s_delay_alu instid0(VALU_DEP_2) | instskip(NEXT) | instid1(VALU_DEP_1)
	v_dual_fmac_f32 v35, v30, v26 :: v_dual_and_b32 v56, 0xffff0000, v20
	v_dual_add_f32 v35, v49, v35 :: v_dual_lshlrev_b32 v20, 16, v20
	v_and_b32_e32 v49, 0xffff0000, v32
	v_dual_mul_f32 v51, v43, v46 :: v_dual_lshlrev_b32 v32, 16, v32
	s_delay_alu instid0(VALU_DEP_2) | instskip(NEXT) | instid1(VALU_DEP_1)
	v_mul_f32_e32 v60, v49, v59
	v_dual_mul_f32 v55, v49, v53 :: v_dual_fmac_f32 v60, v32, v24
	s_delay_alu instid0(VALU_DEP_3) | instskip(NEXT) | instid1(VALU_DEP_2)
	v_fmac_f32_e32 v51, v31, v27
	v_fmac_f32_e32 v55, v32, v28
	s_delay_alu instid0(VALU_DEP_3) | instskip(NEXT) | instid1(VALU_DEP_3)
	v_add_f32_e32 v89, v39, v60
	v_add_f32_e32 v35, v35, v51
	s_delay_alu instid0(VALU_DEP_1) | instskip(SKIP_3) | instid1(VALU_DEP_3)
	v_add_f32_e32 v87, v35, v55
	v_and_b32_e32 v35, 0xffff0000, v17
	v_lshlrev_b32_e32 v17, 16, v17
	v_and_b32_e32 v55, 0xffff0000, v18
	v_dual_mul_f32 v51, v48, v35 :: v_dual_lshlrev_b32 v18, 16, v18
	s_delay_alu instid0(VALU_DEP_1) | instskip(NEXT) | instid1(VALU_DEP_1)
	v_dual_mul_f32 v44, v47, v55 :: v_dual_fmac_f32 v51, v29, v17
	v_dual_fmac_f32 v44, v30, v18 :: v_dual_add_f32 v41, v41, v51
	s_delay_alu instid0(VALU_DEP_1) | instskip(NEXT) | instid1(VALU_DEP_1)
	v_dual_add_f32 v41, v41, v44 :: v_dual_and_b32 v44, 0xffff0000, v13
	v_dual_mul_f32 v48, v48, v44 :: v_dual_lshlrev_b32 v13, 16, v13
	v_fmac_f32_e32 v80, v11, v27
	s_delay_alu instid0(VALU_DEP_2) | instskip(NEXT) | instid1(VALU_DEP_1)
	v_fmac_f32_e32 v48, v29, v13
	v_dual_add_f32 v37, v37, v48 :: v_dual_and_b32 v48, 0xffff0000, v9
	v_and_b32_e32 v57, 0xffff0000, v19
	v_lshlrev_b32_e32 v19, 16, v19
	v_lshlrev_b32_e32 v9, 16, v9
	s_delay_alu instid0(VALU_DEP_4) | instskip(NEXT) | instid1(VALU_DEP_4)
	v_mul_f32_e32 v39, v48, v35
	v_mul_f32_e32 v51, v43, v57
	s_delay_alu instid0(VALU_DEP_2) | instskip(NEXT) | instid1(VALU_DEP_2)
	v_fmac_f32_e32 v39, v9, v17
	v_fmac_f32_e32 v51, v31, v19
	s_delay_alu instid0(VALU_DEP_2) | instskip(NEXT) | instid1(VALU_DEP_2)
	v_add_f32_e32 v39, v58, v39
	v_add_f32_e32 v41, v41, v51
	v_and_b32_e32 v51, 0xffff0000, v14
	s_delay_alu instid0(VALU_DEP_1) | instskip(SKIP_1) | instid1(VALU_DEP_2)
	v_dual_mul_f32 v29, v47, v51 :: v_dual_lshlrev_b32 v14, 16, v14
	v_mul_f32_e32 v47, v49, v56
	v_fmac_f32_e32 v29, v30, v14
	v_mul_f32_e32 v30, v43, v62
	v_mul_f32_e32 v43, v48, v50
	s_delay_alu instid0(VALU_DEP_2)
	v_dual_add_f32 v29, v37, v29 :: v_dual_fmac_f32 v30, v31, v15
	v_and_b32_e32 v31, 0xffff0000, v16
	v_lshlrev_b32_e32 v16, 16, v16
	v_and_b32_e32 v37, 0xffff0000, v10
	v_fmac_f32_e32 v43, v9, v25
	v_add_f32_e32 v29, v29, v30
	v_dual_mul_f32 v49, v49, v31 :: v_dual_lshlrev_b32 v10, 16, v10
	s_delay_alu instid0(VALU_DEP_4) | instskip(NEXT) | instid1(VALU_DEP_4)
	v_mul_f32_e32 v63, v37, v52
	v_add_f32_e32 v43, v85, v43
	s_delay_alu instid0(VALU_DEP_3) | instskip(NEXT) | instid1(VALU_DEP_3)
	v_fmac_f32_e32 v49, v32, v16
	v_fmac_f32_e32 v63, v10, v26
	s_delay_alu instid0(VALU_DEP_2) | instskip(SKIP_3) | instid1(VALU_DEP_3)
	v_add_f32_e32 v85, v29, v49
	v_mul_f32_e32 v29, v48, v54
	v_mul_f32_e32 v48, v48, v44
	v_dual_mul_f32 v58, v79, v57 :: v_dual_fmac_f32 v47, v32, v20
	v_dual_add_f32 v30, v43, v63 :: v_dual_fmac_f32 v29, v9, v21
	v_dual_mul_f32 v49, v79, v42 :: v_dual_and_b32 v32, 0xffff0000, v12
	s_delay_alu instid0(VALU_DEP_3) | instskip(SKIP_1) | instid1(VALU_DEP_4)
	v_add_f32_e32 v88, v41, v47
	v_mul_f32_e32 v41, v37, v36
	v_dual_add_f32 v29, v84, v29 :: v_dual_add_f32 v30, v30, v80
	s_delay_alu instid0(VALU_DEP_4) | instskip(NEXT) | instid1(VALU_DEP_3)
	v_dual_fmac_f32 v49, v11, v23 :: v_dual_lshlrev_b32 v12, 16, v12
	v_fmac_f32_e32 v41, v10, v22
	v_mul_f32_e32 v43, v32, v53
	v_fmac_f32_e32 v48, v9, v13
	v_mul_f32_e32 v47, v37, v55
	s_delay_alu instid0(VALU_DEP_4) | instskip(SKIP_2) | instid1(VALU_DEP_4)
	v_add_f32_e32 v29, v29, v41
	v_mul_f32_e32 v41, v32, v59
	v_fmac_f32_e32 v43, v12, v28
	v_fmac_f32_e32 v47, v10, v18
	s_delay_alu instid0(VALU_DEP_4) | instskip(NEXT) | instid1(VALU_DEP_3)
	v_add_f32_e32 v29, v29, v49
	v_dual_fmac_f32 v41, v12, v24 :: v_dual_add_f32 v86, v30, v43
	s_delay_alu instid0(VALU_DEP_3) | instskip(NEXT) | instid1(VALU_DEP_2)
	v_add_f32_e32 v39, v39, v47
	v_dual_mul_f32 v47, v32, v56 :: v_dual_add_f32 v84, v29, v41
	v_and_b32_e32 v29, 0xffff0000, v5
	v_dual_fmac_f32 v58, v11, v19 :: v_dual_lshlrev_b32 v5, 16, v5
	s_delay_alu instid0(VALU_DEP_2) | instskip(NEXT) | instid1(VALU_DEP_1)
	v_dual_fmac_f32 v47, v12, v20 :: v_dual_mul_f32 v30, v29, v50
	v_dual_add_f32 v39, v39, v58 :: v_dual_fmac_f32 v30, v5, v25
	v_mul_f32_e32 v9, v37, v51
	v_dual_add_f32 v37, v38, v48 :: v_dual_and_b32 v38, 0xffff0000, v6
	v_lshlrev_b32_e32 v6, 16, v6
	s_delay_alu instid0(VALU_DEP_4) | instskip(NEXT) | instid1(VALU_DEP_4)
	v_add_f32_e32 v30, v33, v30
	v_fmac_f32_e32 v9, v10, v14
	s_delay_alu instid0(VALU_DEP_4) | instskip(SKIP_1) | instid1(VALU_DEP_2)
	v_dual_mul_f32 v10, v79, v62 :: v_dual_mul_f32 v25, v38, v52
	v_add_f32_e32 v83, v39, v47
	v_dual_add_f32 v9, v37, v9 :: v_dual_fmac_f32 v10, v11, v15
	s_delay_alu instid0(VALU_DEP_3) | instskip(SKIP_1) | instid1(VALU_DEP_3)
	v_fmac_f32_e32 v25, v6, v26
	v_mul_f32_e32 v26, v29, v54
	v_dual_add_f32 v9, v9, v10 :: v_dual_and_b32 v10, 0xffff0000, v7
	s_delay_alu instid0(VALU_DEP_2) | instskip(NEXT) | instid1(VALU_DEP_1)
	v_dual_fmac_f32 v26, v5, v21 :: v_dual_mul_f32 v21, v38, v36
	v_dual_add_f32 v26, v40, v26 :: v_dual_lshlrev_b32 v7, 16, v7
	v_mul_f32_e32 v11, v32, v31
	s_delay_alu instid0(VALU_DEP_3) | instskip(NEXT) | instid1(VALU_DEP_2)
	v_fmac_f32_e32 v21, v6, v22
	v_dual_mul_f32 v22, v10, v42 :: v_dual_fmac_f32 v11, v12, v16
	v_add_f32_e32 v12, v30, v25
	s_delay_alu instid0(VALU_DEP_2) | instskip(SKIP_2) | instid1(VALU_DEP_3)
	v_dual_mul_f32 v25, v10, v46 :: v_dual_fmac_f32 v22, v7, v23
	v_dual_mul_f32 v23, v29, v35 :: v_dual_and_b32 v30, 0xffff0000, v8
	v_add_f32_e32 v21, v26, v21
	v_dual_fmac_f32 v25, v7, v27 :: v_dual_lshlrev_b32 v8, 16, v8
	s_delay_alu instid0(VALU_DEP_3) | instskip(SKIP_2) | instid1(VALU_DEP_4)
	v_fmac_f32_e32 v23, v5, v17
	v_mul_f32_e32 v17, v38, v55
	v_mul_f32_e32 v27, v30, v53
	v_dual_add_f32 v12, v12, v25 :: v_dual_mul_f32 v25, v29, v44
	v_add_f32_e32 v21, v21, v22
	s_delay_alu instid0(VALU_DEP_4) | instskip(SKIP_1) | instid1(VALU_DEP_4)
	v_fmac_f32_e32 v17, v6, v18
	v_mul_f32_e32 v18, v10, v57
	v_dual_mul_f32 v22, v30, v59 :: v_dual_fmac_f32 v25, v5, v13
	v_mul_f32_e32 v5, v38, v51
	v_add_f32_e32 v13, v45, v23
	s_delay_alu instid0(VALU_DEP_4) | instskip(NEXT) | instid1(VALU_DEP_4)
	v_dual_fmac_f32 v18, v7, v19 :: v_dual_fmac_f32 v27, v8, v28
	v_add_f32_e32 v23, v34, v25
	s_delay_alu instid0(VALU_DEP_4) | instskip(SKIP_2) | instid1(VALU_DEP_3)
	v_fmac_f32_e32 v5, v6, v14
	v_mul_f32_e32 v6, v10, v62
	v_dual_add_f32 v10, v13, v17 :: v_dual_mul_f32 v13, v30, v56
	v_dual_fmac_f32 v22, v8, v24 :: v_dual_add_f32 v5, v23, v5
	s_delay_alu instid0(VALU_DEP_3) | instskip(SKIP_1) | instid1(VALU_DEP_4)
	v_fmac_f32_e32 v6, v7, v15
	v_mul_f32_e32 v7, v30, v31
	v_dual_add_f32 v10, v10, v18 :: v_dual_fmac_f32 v13, v8, v20
	v_add_f32_e32 v82, v9, v11
	s_delay_alu instid0(VALU_DEP_4) | instskip(NEXT) | instid1(VALU_DEP_4)
	v_add_f32_e32 v5, v5, v6
	v_fmac_f32_e32 v7, v8, v16
	v_dual_add_f32 v81, v12, v27 :: v_dual_add_f32 v80, v21, v22
	s_delay_alu instid0(VALU_DEP_2)
	v_dual_add_f32 v79, v10, v13 :: v_dual_add_f32 v62, v5, v7
.LBB247_16:                             ;   in Loop: Header=BB247_17 Depth=2
	s_or_b32 exec_lo, exec_lo, s2
	s_addk_i32 s4, 0x400
	s_delay_alu instid0(SALU_CYCLE_1)
	s_cmp_ge_u32 s4, s16
	s_cbranch_scc1 .LBB247_29
.LBB247_17:                             ;   Parent Loop BB247_12 Depth=1
                                        ; =>  This Loop Header: Depth=2
                                        ;       Child Loop BB247_22 Depth 3
	s_cmp_eq_u32 s4, 0
	s_cselect_b32 s5, -1, 0
	s_add_i32 s2, s3, s24
	s_delay_alu instid0(SALU_CYCLE_1) | instskip(SKIP_1) | instid1(SALU_CYCLE_1)
	s_cmp_eq_u32 s4, s2
	s_cselect_b32 s38, -1, 0
	s_or_b32 s38, s5, s38
	s_delay_alu instid0(SALU_CYCLE_1)
	s_and_not1_b32 vcc_lo, exec_lo, s38
	s_cbranch_vccz .LBB247_19
; %bb.18:                               ;   in Loop: Header=BB247_17 Depth=2
	s_and_saveexec_b32 s2, s1
	s_cbranch_execz .LBB247_16
	s_branch .LBB247_26
.LBB247_19:                             ;   in Loop: Header=BB247_17 Depth=2
	s_and_b32 s5, s5, exec_lo
	s_cselect_b32 s3, s3, s2
	s_and_not1_b32 vcc_lo, exec_lo, s21
	s_waitcnt vmcnt(0) lgkmcnt(0)
	s_waitcnt_vscnt null, 0x0
	s_barrier
	buffer_gl0_inv
	s_cbranch_vccnz .LBB247_25
; %bb.20:                               ;   in Loop: Header=BB247_17 Depth=2
	v_dual_mov_b32 v8, v75 :: v_dual_add_nc_u32 v5, s3, v76
	v_add_nc_u32_e32 v6, s3, v77
	v_add_nc_u32_e32 v7, s3, v74
	s_mov_b32 s5, 0
	s_mov_b32 s38, 0
                                        ; implicit-def: $sgpr39
	s_branch .LBB247_22
.LBB247_21:                             ;   in Loop: Header=BB247_22 Depth=3
	s_or_b32 exec_lo, exec_lo, s2
	s_delay_alu instid0(SALU_CYCLE_1) | instskip(NEXT) | instid1(SALU_CYCLE_1)
	s_and_b32 s2, exec_lo, s39
	s_or_b32 s5, s2, s5
	s_delay_alu instid0(SALU_CYCLE_1)
	s_and_not1_b32 exec_lo, exec_lo, s5
	s_cbranch_execz .LBB247_24
.LBB247_22:                             ;   Parent Loop BB247_12 Depth=1
                                        ;     Parent Loop BB247_17 Depth=2
                                        ; =>    This Inner Loop Header: Depth=3
	s_delay_alu instid0(VALU_DEP_1) | instskip(SKIP_2) | instid1(VALU_DEP_2)
	v_add_nc_u32_e32 v63, s38, v7
	v_add_nc_u32_e32 v9, s38, v74
	s_or_b32 s39, s39, exec_lo
	v_cmp_gt_u32_e32 vcc_lo, s18, v63
	s_delay_alu instid0(VALU_DEP_2) | instskip(NEXT) | instid1(VALU_DEP_1)
	v_cmp_gt_u32_e64 s2, s24, v9
	s_and_b32 s40, s2, vcc_lo
	s_delay_alu instid0(SALU_CYCLE_1)
	s_and_saveexec_b32 s2, s40
	s_cbranch_execz .LBB247_21
; %bb.23:                               ;   in Loop: Header=BB247_22 Depth=3
	v_lshlrev_b64 v[9:10], 1, v[63:64]
	v_add_nc_u32_e32 v63, s38, v6
	v_add_nc_u32_e32 v21, s37, v8
	;; [unrolled: 1-line block ×3, first 2 shown]
	s_delay_alu instid0(VALU_DEP_3) | instskip(SKIP_3) | instid1(VALU_DEP_3)
	v_lshlrev_b64 v[11:12], 1, v[63:64]
	v_add_nc_u32_e32 v63, s38, v5
	v_add_co_u32 v9, vcc_lo, s12, v9
	v_add_co_ci_u32_e32 v10, vcc_lo, s13, v10, vcc_lo
	v_lshlrev_b64 v[13:14], 1, v[63:64]
	v_add_co_u32 v15, vcc_lo, s12, v11
	v_add_co_ci_u32_e32 v16, vcc_lo, s13, v12, vcc_lo
	s_add_i32 s38, s38, s26
	s_delay_alu instid0(VALU_DEP_3) | instskip(NEXT) | instid1(VALU_DEP_4)
	v_add_co_u32 v17, vcc_lo, s12, v13
	v_add_co_ci_u32_e32 v18, vcc_lo, s13, v14, vcc_lo
	s_clause 0x2
	global_load_b128 v[9:12], v[9:10], off
	global_load_b128 v[13:16], v[15:16], off
	;; [unrolled: 1-line block ×3, first 2 shown]
	s_cmp_ge_u32 s38, s24
	s_cselect_b32 s40, -1, 0
	s_and_not1_b32 s39, s39, exec_lo
	s_and_b32 s40, s40, exec_lo
	s_delay_alu instid0(SALU_CYCLE_1)
	s_or_b32 s39, s39, s40
	s_waitcnt vmcnt(2)
	ds_store_b128 v8, v[9:12]
	v_add_nc_u32_e32 v8, s20, v8
	s_waitcnt vmcnt(1)
	ds_store_2addr_b64 v21, v[13:14], v[15:16] offset1:1
	s_waitcnt vmcnt(0)
	ds_store_2addr_b32 v22, v17, v18 offset1:1
	ds_store_2addr_b32 v22, v19, v20 offset0:2 offset1:3
	s_branch .LBB247_21
.LBB247_24:                             ;   in Loop: Header=BB247_17 Depth=2
	s_or_b32 exec_lo, exec_lo, s5
.LBB247_25:                             ;   in Loop: Header=BB247_17 Depth=2
	s_waitcnt lgkmcnt(0)
	s_barrier
	buffer_gl0_inv
	s_and_saveexec_b32 s2, s1
	s_cbranch_execz .LBB247_16
.LBB247_26:                             ;   in Loop: Header=BB247_17 Depth=2
	v_add_nc_u32_e32 v90, s4, v73
	s_waitcnt vmcnt(4)
	v_dual_mov_b32 v32, 0 :: v_dual_mov_b32 v31, 0
	v_dual_mov_b32 v30, 0 :: v_dual_mov_b32 v29, 0
	s_delay_alu instid0(VALU_DEP_3) | instskip(SKIP_3) | instid1(VALU_DEP_4)
	v_min_u32_e32 v63, s27, v90
	v_dual_mov_b32 v36, 0 :: v_dual_add_nc_u32 v91, 0x200, v90
	v_dual_mov_b32 v35, 0 :: v_dual_mov_b32 v34, 0
	v_mov_b32_e32 v33, 0
	v_lshlrev_b64 v[5:6], 1, v[63:64]
	s_delay_alu instid0(VALU_DEP_4) | instskip(SKIP_2) | instid1(VALU_DEP_4)
	v_min_u32_e32 v63, s27, v91
	v_dual_mov_b32 v40, 0 :: v_dual_mov_b32 v39, 0
	v_dual_mov_b32 v38, 0 :: v_dual_mov_b32 v37, 0
	v_add_co_u32 v13, vcc_lo, s10, v5
	v_add_co_ci_u32_e32 v14, vcc_lo, s11, v6, vcc_lo
	v_lshlrev_b64 v[5:6], 1, v[63:64]
	s_delay_alu instid0(VALU_DEP_3) | instskip(NEXT) | instid1(VALU_DEP_3)
	v_add_co_u32 v7, vcc_lo, v13, v65
	v_add_co_ci_u32_e32 v8, vcc_lo, v14, v66, vcc_lo
	v_add_co_u32 v9, vcc_lo, v13, v67
	v_add_co_ci_u32_e32 v10, vcc_lo, v14, v68, vcc_lo
	v_add_co_u32 v11, vcc_lo, v13, v69
	s_waitcnt lgkmcnt(0)
	v_add_co_ci_u32_e32 v12, vcc_lo, v14, v70, vcc_lo
	v_add_co_u32 v15, vcc_lo, s10, v5
	v_add_co_ci_u32_e32 v16, vcc_lo, s11, v6, vcc_lo
	v_add_co_u32 v5, vcc_lo, v13, v71
	v_add_co_ci_u32_e32 v6, vcc_lo, v14, v72, vcc_lo
	s_clause 0x1
	global_load_b128 v[53:56], v[7:8], off slc dlc
	global_load_b128 v[49:52], v[9:10], off slc dlc
	v_add_co_u32 v7, vcc_lo, v15, v65
	v_add_co_ci_u32_e32 v8, vcc_lo, v16, v66, vcc_lo
	v_add_co_u32 v9, vcc_lo, v15, v67
	v_add_co_ci_u32_e32 v10, vcc_lo, v16, v68, vcc_lo
	;; [unrolled: 2-line block ×4, first 2 shown]
	s_clause 0x5
	global_load_b128 v[45:48], v[11:12], off slc dlc
	global_load_b128 v[41:44], v[5:6], off slc dlc
	;; [unrolled: 1-line block ×6, first 2 shown]
	v_dual_mov_b32 v8, 0 :: v_dual_mov_b32 v7, 0
	v_cmp_gt_u32_e32 vcc_lo, s16, v90
	v_dual_mov_b32 v6, 0 :: v_dual_mov_b32 v5, 0
	v_dual_mov_b32 v12, 0 :: v_dual_mov_b32 v11, 0
	;; [unrolled: 1-line block ×5, first 2 shown]
	s_and_saveexec_b32 s5, vcc_lo
	s_cbranch_execz .LBB247_15
; %bb.27:                               ;   in Loop: Header=BB247_17 Depth=2
	v_subrev_nc_u32_e32 v5, s3, v90
	v_dual_mov_b32 v32, 0 :: v_dual_mov_b32 v9, 0
	v_dual_mov_b32 v10, 0 :: v_dual_mov_b32 v11, 0
	s_delay_alu instid0(VALU_DEP_3) | instskip(SKIP_2) | instid1(VALU_DEP_3)
	v_dual_mov_b32 v29, 0 :: v_dual_lshlrev_b32 v92, 1, v5
	v_dual_mov_b32 v12, 0 :: v_dual_mov_b32 v5, 0
	v_dual_mov_b32 v6, 0 :: v_dual_mov_b32 v7, 0
	v_dual_mov_b32 v31, 0 :: v_dual_add_nc_u32 v90, s37, v92
	v_mov_b32_e32 v8, 0
	s_mov_b32 s38, exec_lo
	s_delay_alu instid0(VALU_DEP_2)
	v_dual_mov_b32 v30, 0 :: v_dual_add_nc_u32 v63, s37, v90
	ds_load_b128 v[57:60], v92
	ds_load_b128 v[37:40], v90
	;; [unrolled: 1-line block ×3, first 2 shown]
	v_cmpx_gt_u32_e64 s16, v91
	s_cbranch_execz .LBB247_14
; %bb.28:                               ;   in Loop: Header=BB247_17 Depth=2
	ds_load_b128 v[29:32], v92 offset:1024
	ds_load_b128 v[9:12], v90 offset:1024
	;; [unrolled: 1-line block ×3, first 2 shown]
	s_branch .LBB247_14
.LBB247_29:                             ;   in Loop: Header=BB247_12 Depth=1
	s_mov_b32 s1, exec_lo
	v_cmpx_le_u32_e64 s19, v61
	s_xor_b32 s1, exec_lo, s1
; %bb.30:                               ;   in Loop: Header=BB247_12 Depth=1
	v_add_nc_u32_e32 v61, s29, v61
                                        ; implicit-def: $vgpr62
                                        ; implicit-def: $vgpr79
                                        ; implicit-def: $vgpr80
                                        ; implicit-def: $vgpr81
                                        ; implicit-def: $vgpr82
                                        ; implicit-def: $vgpr83
                                        ; implicit-def: $vgpr84
                                        ; implicit-def: $vgpr86
                                        ; implicit-def: $vgpr85
                                        ; implicit-def: $vgpr88
                                        ; implicit-def: $vgpr89
                                        ; implicit-def: $vgpr87
; %bb.31:                               ;   in Loop: Header=BB247_12 Depth=1
	s_and_not1_saveexec_b32 s38, s1
	s_cbranch_execz .LBB247_11
; %bb.32:                               ;   in Loop: Header=BB247_12 Depth=1
	v_cvt_i32_f32_e32 v5, v87
	v_cvt_i32_f32_e32 v6, v89
	v_xor_b32_e32 v7, 16, v0
	s_waitcnt lgkmcnt(2)
	v_cvt_i32_f32_e32 v8, v88
	v_cvt_i32_f32_e32 v9, v85
	v_cvt_f32_i32_dpp v5, v5 row_shr:8 row_mask:0xf bank_mask:0xf bound_ctrl:1
	v_cvt_f32_i32_dpp v6, v6 row_shr:8 row_mask:0xf bank_mask:0xf bound_ctrl:1
	v_cmp_gt_i32_e32 vcc_lo, 32, v7
	s_waitcnt lgkmcnt(0)
	v_cvt_i32_f32_e32 v12, v83
	v_cvt_f32_i32_dpp v8, v8 row_shr:8 row_mask:0xf bank_mask:0xf bound_ctrl:1
	v_dual_add_f32 v5, v87, v5 :: v_dual_add_f32 v6, v89, v6
	v_cvt_f32_i32_dpp v9, v9 row_shr:8 row_mask:0xf bank_mask:0xf bound_ctrl:1
	s_delay_alu instid0(VALU_DEP_4) | instskip(SKIP_1) | instid1(VALU_DEP_4)
	v_cvt_f32_i32_dpp v12, v12 row_shr:8 row_mask:0xf bank_mask:0xf bound_ctrl:1
	v_cvt_i32_f32_e32 v10, v86
	v_cvt_i32_f32_e32 v13, v5
	v_cvt_i32_f32_e32 v14, v6
	v_cvt_i32_f32_e32 v11, v84
	v_add_f32_e32 v12, v83, v12
	v_cvt_f32_i32_dpp v10, v10 row_shr:8 row_mask:0xf bank_mask:0xf bound_ctrl:1
	v_cvt_f32_i32_dpp v13, v13 row_shr:4 row_mask:0xf bank_mask:0xf bound_ctrl:1
	;; [unrolled: 1-line block ×3, first 2 shown]
	v_cndmask_b32_e32 v7, v0, v7, vcc_lo
	v_cvt_f32_i32_dpp v11, v11 row_shr:8 row_mask:0xf bank_mask:0xf bound_ctrl:1
	s_delay_alu instid0(VALU_DEP_3) | instskip(SKIP_1) | instid1(VALU_DEP_3)
	v_dual_add_f32 v5, v5, v13 :: v_dual_add_f32 v6, v6, v14
	s_waitcnt vmcnt(0)
	v_lshlrev_b32_e32 v21, 2, v7
	s_delay_alu instid0(VALU_DEP_2) | instskip(NEXT) | instid1(VALU_DEP_1)
	v_cvt_i32_f32_e32 v13, v6
	v_cvt_f32_i32_dpp v13, v13 row_shr:2 row_mask:0xf bank_mask:0xf bound_ctrl:1
	v_dual_add_f32 v7, v88, v8 :: v_dual_add_f32 v8, v85, v9
	s_delay_alu instid0(VALU_DEP_2) | instskip(NEXT) | instid1(VALU_DEP_2)
	v_add_f32_e32 v6, v6, v13
	v_cvt_i32_f32_e32 v14, v7
	s_delay_alu instid0(VALU_DEP_3) | instskip(NEXT) | instid1(VALU_DEP_3)
	v_cvt_i32_f32_e32 v15, v8
	v_cvt_i32_f32_e32 v18, v6
	s_delay_alu instid0(VALU_DEP_3) | instskip(NEXT) | instid1(VALU_DEP_3)
	v_cvt_f32_i32_dpp v13, v14 row_shr:4 row_mask:0xf bank_mask:0xf bound_ctrl:1
	v_cvt_f32_i32_dpp v14, v15 row_shr:4 row_mask:0xf bank_mask:0xf bound_ctrl:1
	s_delay_alu instid0(VALU_DEP_3) | instskip(NEXT) | instid1(VALU_DEP_2)
	v_cvt_f32_i32_dpp v18, v18 row_shr:1 row_mask:0xf bank_mask:0xf bound_ctrl:1
	v_dual_add_f32 v7, v7, v13 :: v_dual_add_f32 v8, v8, v14
	v_add_f32_e32 v9, v86, v10
	v_cvt_i32_f32_e32 v10, v5
	s_delay_alu instid0(VALU_DEP_4) | instskip(NEXT) | instid1(VALU_DEP_2)
	v_dual_add_f32 v11, v84, v11 :: v_dual_add_f32 v30, v6, v18
	v_cvt_f32_i32_dpp v10, v10 row_shr:2 row_mask:0xf bank_mask:0xf bound_ctrl:1
	s_delay_alu instid0(VALU_DEP_2) | instskip(SKIP_4) | instid1(VALU_DEP_3)
	v_cvt_i32_f32_e32 v17, v11
	ds_bpermute_b32 v31, v21, v30
	v_add_f32_e32 v5, v5, v10
	v_cvt_f32_i32_dpp v17, v17 row_shr:4 row_mask:0xf bank_mask:0xf bound_ctrl:1
	v_cvt_i32_f32_e32 v10, v12
	v_cvt_i32_f32_e32 v15, v5
	s_delay_alu instid0(VALU_DEP_2) | instskip(NEXT) | instid1(VALU_DEP_2)
	v_cvt_f32_i32_dpp v10, v10 row_shr:4 row_mask:0xf bank_mask:0xf bound_ctrl:1
	v_cvt_f32_i32_dpp v15, v15 row_shr:1 row_mask:0xf bank_mask:0xf bound_ctrl:1
	s_delay_alu instid0(VALU_DEP_2) | instskip(SKIP_1) | instid1(VALU_DEP_3)
	v_add_f32_e32 v6, v12, v10
	v_cvt_i32_f32_e32 v10, v7
	v_add_f32_e32 v33, v5, v15
	v_add_f32_e32 v5, v11, v17
	v_cvt_i32_f32_e32 v11, v8
	v_cvt_i32_f32_e32 v14, v6
	v_cvt_f32_i32_dpp v10, v10 row_shr:2 row_mask:0xf bank_mask:0xf bound_ctrl:1
	s_delay_alu instid0(VALU_DEP_3) | instskip(NEXT) | instid1(VALU_DEP_3)
	v_cvt_f32_i32_dpp v11, v11 row_shr:2 row_mask:0xf bank_mask:0xf bound_ctrl:1
	v_cvt_f32_i32_dpp v14, v14 row_shr:2 row_mask:0xf bank_mask:0xf bound_ctrl:1
	s_delay_alu instid0(VALU_DEP_2) | instskip(SKIP_1) | instid1(VALU_DEP_3)
	v_dual_add_f32 v7, v7, v10 :: v_dual_add_f32 v8, v8, v11
	v_cvt_i32_f32_e32 v16, v9
	v_add_f32_e32 v10, v6, v14
	s_delay_alu instid0(VALU_DEP_3)
	v_cvt_i32_f32_e32 v6, v7
	ds_bpermute_b32 v34, v21, v33
	v_cvt_i32_f32_e32 v11, v8
	v_cvt_f32_i32_dpp v16, v16 row_shr:4 row_mask:0xf bank_mask:0xf bound_ctrl:1
	v_cvt_i32_f32_e32 v14, v10
	v_cvt_f32_i32_dpp v6, v6 row_shr:1 row_mask:0xf bank_mask:0xf bound_ctrl:1
	s_delay_alu instid0(VALU_DEP_4) | instskip(NEXT) | instid1(VALU_DEP_4)
	v_cvt_f32_i32_dpp v11, v11 row_shr:1 row_mask:0xf bank_mask:0xf bound_ctrl:1
	v_add_f32_e32 v9, v9, v16
	s_delay_alu instid0(VALU_DEP_4) | instskip(NEXT) | instid1(VALU_DEP_4)
	v_cvt_f32_i32_dpp v14, v14 row_shr:1 row_mask:0xf bank_mask:0xf bound_ctrl:1
	v_add_f32_e32 v27, v7, v6
	v_cvt_i32_f32_e32 v7, v81
	v_add_f32_e32 v6, v8, v11
	v_cvt_i32_f32_e32 v12, v9
	v_cvt_i32_f32_e32 v8, v80
	v_add_f32_e32 v15, v10, v14
	v_cvt_i32_f32_e32 v10, v62
	v_cvt_f32_i32_dpp v7, v7 row_shr:8 row_mask:0xf bank_mask:0xf bound_ctrl:1
	v_cvt_f32_i32_dpp v12, v12 row_shr:2 row_mask:0xf bank_mask:0xf bound_ctrl:1
	;; [unrolled: 1-line block ×3, first 2 shown]
	ds_bpermute_b32 v26, v21, v6
	v_cvt_f32_i32_dpp v10, v10 row_shr:8 row_mask:0xf bank_mask:0xf bound_ctrl:1
	v_add_f32_e32 v9, v9, v12
	v_add_f32_e32 v8, v80, v8
	s_delay_alu instid0(VALU_DEP_3) | instskip(NEXT) | instid1(VALU_DEP_3)
	v_add_f32_e32 v10, v62, v10
	v_cvt_i32_f32_e32 v12, v9
	s_delay_alu instid0(VALU_DEP_2) | instskip(NEXT) | instid1(VALU_DEP_2)
	v_cvt_i32_f32_e32 v17, v10
	v_cvt_f32_i32_dpp v12, v12 row_shr:1 row_mask:0xf bank_mask:0xf bound_ctrl:1
	s_delay_alu instid0(VALU_DEP_2) | instskip(SKIP_1) | instid1(VALU_DEP_3)
	v_cvt_f32_i32_dpp v17, v17 row_shr:4 row_mask:0xf bank_mask:0xf bound_ctrl:1
	v_add_f32_e32 v7, v81, v7
	v_add_f32_e32 v22, v9, v12
	v_cvt_i32_f32_e32 v13, v5
	v_cvt_i32_f32_e32 v9, v79
	v_add_f32_e32 v10, v10, v17
	v_cvt_i32_f32_e32 v12, v7
	ds_bpermute_b32 v24, v21, v22
	v_cvt_f32_i32_dpp v13, v13 row_shr:2 row_mask:0xf bank_mask:0xf bound_ctrl:1
	v_cvt_f32_i32_dpp v9, v9 row_shr:8 row_mask:0xf bank_mask:0xf bound_ctrl:1
	v_cvt_i32_f32_e32 v17, v10
	v_cvt_f32_i32_dpp v12, v12 row_shr:4 row_mask:0xf bank_mask:0xf bound_ctrl:1
	s_delay_alu instid0(VALU_DEP_4) | instskip(NEXT) | instid1(VALU_DEP_4)
	v_add_f32_e32 v5, v5, v13
	v_add_f32_e32 v9, v79, v9
	s_delay_alu instid0(VALU_DEP_4) | instskip(NEXT) | instid1(VALU_DEP_4)
	v_cvt_f32_i32_dpp v17, v17 row_shr:2 row_mask:0xf bank_mask:0xf bound_ctrl:1
	v_add_f32_e32 v7, v7, v12
	s_delay_alu instid0(VALU_DEP_4) | instskip(NEXT) | instid1(VALU_DEP_4)
	v_cvt_i32_f32_e32 v13, v5
	v_cvt_i32_f32_e32 v14, v9
	s_delay_alu instid0(VALU_DEP_4) | instskip(NEXT) | instid1(VALU_DEP_4)
	v_add_f32_e32 v10, v10, v17
	v_cvt_i32_f32_e32 v12, v7
	s_delay_alu instid0(VALU_DEP_4) | instskip(NEXT) | instid1(VALU_DEP_4)
	v_cvt_f32_i32_dpp v13, v13 row_shr:1 row_mask:0xf bank_mask:0xf bound_ctrl:1
	v_cvt_f32_i32_dpp v14, v14 row_shr:4 row_mask:0xf bank_mask:0xf bound_ctrl:1
	s_delay_alu instid0(VALU_DEP_4) | instskip(NEXT) | instid1(VALU_DEP_4)
	v_cvt_i32_f32_e32 v17, v10
	v_cvt_f32_i32_dpp v12, v12 row_shr:2 row_mask:0xf bank_mask:0xf bound_ctrl:1
	s_delay_alu instid0(VALU_DEP_4)
	v_add_f32_e32 v19, v5, v13
	v_cvt_i32_f32_e32 v5, v82
	v_cvt_i32_f32_e32 v13, v8
	v_add_f32_e32 v9, v9, v14
	v_add_f32_e32 v7, v7, v12
	ds_bpermute_b32 v20, v21, v19
	v_cvt_f32_i32_dpp v5, v5 row_shr:8 row_mask:0xf bank_mask:0xf bound_ctrl:1
	v_cvt_f32_i32_dpp v13, v13 row_shr:4 row_mask:0xf bank_mask:0xf bound_ctrl:1
	v_cvt_i32_f32_e32 v14, v9
	v_cvt_i32_f32_e32 v12, v7
	v_cvt_f32_i32_dpp v23, v17 row_shr:1 row_mask:0xf bank_mask:0xf bound_ctrl:1
	v_add_f32_e32 v5, v82, v5
	v_add_f32_e32 v8, v8, v13
	v_cvt_f32_i32_dpp v14, v14 row_shr:2 row_mask:0xf bank_mask:0xf bound_ctrl:1
	v_cvt_f32_i32_dpp v12, v12 row_shr:1 row_mask:0xf bank_mask:0xf bound_ctrl:1
	ds_bpermute_b32 v29, v21, v27
	v_cvt_i32_f32_e32 v11, v5
	v_cvt_i32_f32_e32 v13, v8
	v_add_f32_e32 v9, v9, v14
	s_delay_alu instid0(VALU_DEP_3) | instskip(NEXT) | instid1(VALU_DEP_3)
	v_cvt_f32_i32_dpp v11, v11 row_shr:4 row_mask:0xf bank_mask:0xf bound_ctrl:1
	v_cvt_f32_i32_dpp v13, v13 row_shr:2 row_mask:0xf bank_mask:0xf bound_ctrl:1
	s_delay_alu instid0(VALU_DEP_3) | instskip(NEXT) | instid1(VALU_DEP_2)
	v_cvt_i32_f32_e32 v14, v9
	v_dual_add_f32 v5, v5, v11 :: v_dual_add_f32 v8, v8, v13
	s_delay_alu instid0(VALU_DEP_2) | instskip(SKIP_4) | instid1(VALU_DEP_3)
	v_cvt_f32_i32_dpp v14, v14 row_shr:1 row_mask:0xf bank_mask:0xf bound_ctrl:1
	ds_bpermute_b32 v16, v21, v15
	v_cvt_i32_f32_e32 v11, v5
	v_cvt_i32_f32_e32 v13, v8
	v_add_f32_e32 v9, v9, v14
	v_cvt_f32_i32_dpp v11, v11 row_shr:2 row_mask:0xf bank_mask:0xf bound_ctrl:1
	s_delay_alu instid0(VALU_DEP_3)
	v_cvt_f32_i32_dpp v18, v13 row_shr:1 row_mask:0xf bank_mask:0xf bound_ctrl:1
	v_add_f32_e32 v13, v7, v12
	v_add_f32_e32 v7, v10, v23
	ds_bpermute_b32 v10, v21, v9
	v_add_f32_e32 v5, v5, v11
	ds_bpermute_b32 v14, v21, v13
	v_cvt_i32_f32_e32 v11, v5
	s_delay_alu instid0(VALU_DEP_1) | instskip(NEXT) | instid1(VALU_DEP_1)
	v_cvt_f32_i32_dpp v11, v11 row_shr:1 row_mask:0xf bank_mask:0xf bound_ctrl:1
	v_add_f32_e32 v17, v5, v11
	v_add_f32_e32 v11, v8, v18
	ds_bpermute_b32 v8, v21, v7
	ds_bpermute_b32 v18, v21, v17
	;; [unrolled: 1-line block ×3, first 2 shown]
	s_and_saveexec_b32 s5, s0
	s_cbranch_execz .LBB247_107
; %bb.33:                               ;   in Loop: Header=BB247_12 Depth=1
	v_dual_mov_b32 v41, 0 :: v_dual_mov_b32 v40, 0
	v_dual_mov_b32 v38, 0 :: v_dual_add_nc_u32 v63, 2, v61
	v_dual_mov_b32 v36, 0 :: v_dual_add_nc_u32 v5, 3, v61
	v_dual_mov_b32 v39, 0 :: v_dual_mov_b32 v32, 0
	v_dual_mov_b32 v37, 0 :: v_dual_mov_b32 v28, 0
	v_mov_b32_e32 v35, 0
	v_mov_b32_e32 v25, 0
	;; [unrolled: 1-line block ×4, first 2 shown]
	s_and_not1_b32 vcc_lo, exec_lo, s30
	s_cbranch_vccnz .LBB247_35
; %bb.34:                               ;   in Loop: Header=BB247_12 Depth=1
	v_mul_hi_u32 v21, v61, v78
	v_dual_mov_b32 v36, v64 :: v_dual_add_nc_u32 v23, 1, v61
	v_mul_hi_u32 v25, v63, v78
	v_mul_hi_u32 v28, v5, v78
	v_mov_b32_e32 v52, v64
	s_delay_alu instid0(VALU_DEP_4)
	v_mul_hi_u32 v32, v23, v78
	v_mov_b32_e32 v56, v64
	v_mul_lo_u32 v21, v21, s8
	v_mov_b32_e32 v54, v64
	v_mov_b32_e32 v58, v64
	v_mul_lo_u32 v25, v25, s8
	v_mul_lo_u32 v28, v28, s8
	;; [unrolled: 1-line block ×3, first 2 shown]
	v_sub_nc_u32_e32 v21, v61, v21
	s_delay_alu instid0(VALU_DEP_4) | instskip(NEXT) | instid1(VALU_DEP_4)
	v_sub_nc_u32_e32 v25, v63, v25
	v_sub_nc_u32_e32 v28, v5, v28
	s_delay_alu instid0(VALU_DEP_3)
	v_subrev_nc_u32_e32 v35, s8, v21
	v_cmp_le_u32_e32 vcc_lo, s8, v21
	v_mov_b32_e32 v38, v64
	v_sub_nc_u32_e32 v23, v23, v32
	v_subrev_nc_u32_e32 v32, s8, v25
	v_subrev_nc_u32_e32 v37, s8, v28
	v_cndmask_b32_e32 v21, v21, v35, vcc_lo
	v_cmp_le_u32_e32 vcc_lo, s8, v25
	v_mov_b32_e32 v40, v64
	v_subrev_nc_u32_e32 v35, s8, v23
	v_cndmask_b32_e32 v25, v25, v32, vcc_lo
	v_cmp_le_u32_e32 vcc_lo, s8, v28
	v_subrev_nc_u32_e32 v32, s8, v21
	v_cndmask_b32_e32 v28, v28, v37, vcc_lo
	v_cmp_le_u32_e32 vcc_lo, s8, v23
	v_mov_b32_e32 v42, v64
	v_subrev_nc_u32_e32 v37, s8, v25
	v_cndmask_b32_e32 v23, v23, v35, vcc_lo
	v_cmp_le_u32_e32 vcc_lo, s8, v21
	v_cndmask_b32_e32 v35, v21, v32, vcc_lo
	v_cmp_le_u32_e32 vcc_lo, s8, v25
	v_subrev_nc_u32_e32 v41, s8, v28
	v_subrev_nc_u32_e32 v21, s8, v23
	s_delay_alu instid0(VALU_DEP_4) | instskip(SKIP_4) | instid1(VALU_DEP_4)
	v_lshlrev_b64 v[43:44], 1, v[35:36]
	v_cndmask_b32_e32 v39, v25, v37, vcc_lo
	v_cmp_le_u32_e32 vcc_lo, s8, v28
	v_add_nc_u32_e32 v51, s31, v35
	v_add_nc_u32_e32 v35, s36, v35
	v_lshlrev_b64 v[45:46], 1, v[39:40]
	v_cndmask_b32_e32 v41, v28, v41, vcc_lo
	v_cmp_le_u32_e32 vcc_lo, s8, v23
	v_lshlrev_b64 v[51:52], 1, v[51:52]
	v_add_nc_u32_e32 v55, s31, v39
	v_lshlrev_b64 v[35:36], 1, v[35:36]
	v_lshlrev_b64 v[47:48], 1, v[41:42]
	v_cndmask_b32_e32 v37, v23, v21, vcc_lo
	v_add_co_u32 v42, vcc_lo, s14, v43
	v_add_co_ci_u32_e32 v43, vcc_lo, s15, v44, vcc_lo
	s_delay_alu instid0(VALU_DEP_3)
	v_lshlrev_b64 v[49:50], 1, v[37:38]
	v_add_nc_u32_e32 v53, s31, v37
	v_add_nc_u32_e32 v57, s31, v41
	v_lshlrev_b64 v[55:56], 1, v[55:56]
	v_add_nc_u32_e32 v37, s36, v37
	v_add_nc_u32_e32 v39, s36, v39
	v_add_co_u32 v49, vcc_lo, s14, v49
	v_add_co_ci_u32_e32 v50, vcc_lo, s15, v50, vcc_lo
	v_add_co_u32 v44, vcc_lo, s14, v45
	v_add_co_ci_u32_e32 v45, vcc_lo, s15, v46, vcc_lo
	v_add_co_u32 v46, vcc_lo, s14, v47
	v_lshlrev_b64 v[53:54], 1, v[53:54]
	v_add_co_ci_u32_e32 v47, vcc_lo, s15, v48, vcc_lo
	v_add_co_u32 v51, vcc_lo, s14, v51
	v_add_co_ci_u32_e32 v52, vcc_lo, s15, v52, vcc_lo
	s_delay_alu instid0(VALU_DEP_4) | instskip(SKIP_4) | instid1(VALU_DEP_4)
	v_add_co_u32 v53, vcc_lo, s14, v53
	v_lshlrev_b64 v[57:58], 1, v[57:58]
	v_add_co_ci_u32_e32 v54, vcc_lo, s15, v54, vcc_lo
	v_add_co_u32 v55, vcc_lo, s14, v55
	v_add_co_ci_u32_e32 v56, vcc_lo, s15, v56, vcc_lo
	v_add_co_u32 v57, vcc_lo, s14, v57
	v_add_co_ci_u32_e32 v58, vcc_lo, s15, v58, vcc_lo
	v_lshlrev_b64 v[37:38], 1, v[37:38]
	v_add_co_u32 v59, vcc_lo, s14, v35
	v_add_co_ci_u32_e32 v60, vcc_lo, s15, v36, vcc_lo
	v_lshlrev_b64 v[35:36], 1, v[39:40]
	v_add_nc_u32_e32 v39, s36, v41
	v_add_co_u32 v65, vcc_lo, s14, v37
	v_add_co_ci_u32_e32 v66, vcc_lo, s15, v38, vcc_lo
	s_delay_alu instid0(VALU_DEP_3) | instskip(SKIP_2) | instid1(VALU_DEP_3)
	v_lshlrev_b64 v[37:38], 1, v[39:40]
	v_add_co_u32 v67, vcc_lo, s14, v35
	v_add_co_ci_u32_e32 v68, vcc_lo, s15, v36, vcc_lo
	v_add_co_u32 v69, vcc_lo, s14, v37
	s_delay_alu instid0(VALU_DEP_4)
	v_add_co_ci_u32_e32 v70, vcc_lo, s15, v38, vcc_lo
	s_clause 0xb
	global_load_u16 v41, v[42:43], off
	global_load_u16 v40, v[49:50], off
	;; [unrolled: 1-line block ×12, first 2 shown]
.LBB247_35:                             ;   in Loop: Header=BB247_12 Depth=1
	v_cmp_ne_u32_e32 vcc_lo, 0, v1
	s_and_saveexec_b32 s2, vcc_lo
	s_cbranch_execnz .LBB247_47
; %bb.36:                               ;   in Loop: Header=BB247_12 Depth=1
	s_or_b32 exec_lo, exec_lo, s2
	v_cmp_ne_u32_e64 s1, 0, v2
	s_delay_alu instid0(VALU_DEP_1)
	s_and_saveexec_b32 s3, s1
	s_cbranch_execnz .LBB247_52
.LBB247_37:                             ;   in Loop: Header=BB247_12 Depth=1
	s_or_b32 exec_lo, exec_lo, s3
	v_cmp_ne_u32_e64 s2, 0, v3
	s_delay_alu instid0(VALU_DEP_1)
	s_and_saveexec_b32 s4, s2
	s_cbranch_execnz .LBB247_57
.LBB247_38:                             ;   in Loop: Header=BB247_12 Depth=1
	s_or_b32 exec_lo, exec_lo, s4
	v_cmp_ne_u32_e64 s3, 0, v4
	s_delay_alu instid0(VALU_DEP_1)
	s_and_saveexec_b32 s39, s3
	s_cbranch_execnz .LBB247_62
.LBB247_39:                             ;   in Loop: Header=BB247_12 Depth=1
	s_or_b32 exec_lo, exec_lo, s39
	v_add_nc_u32_e32 v63, s19, v61
	s_and_saveexec_b32 s39, vcc_lo
	s_cbranch_execnz .LBB247_67
.LBB247_40:                             ;   in Loop: Header=BB247_12 Depth=1
	s_or_b32 exec_lo, exec_lo, s39
	s_and_saveexec_b32 s39, s1
	s_cbranch_execnz .LBB247_72
.LBB247_41:                             ;   in Loop: Header=BB247_12 Depth=1
	s_or_b32 exec_lo, exec_lo, s39
	s_and_saveexec_b32 s39, s2
	s_cbranch_execnz .LBB247_77
.LBB247_42:                             ;   in Loop: Header=BB247_12 Depth=1
	s_or_b32 exec_lo, exec_lo, s39
	s_and_saveexec_b32 s39, s3
	s_cbranch_execnz .LBB247_82
.LBB247_43:                             ;   in Loop: Header=BB247_12 Depth=1
	s_or_b32 exec_lo, exec_lo, s39
	v_add_nc_u32_e32 v63, s19, v63
	s_and_saveexec_b32 s4, vcc_lo
	s_cbranch_execnz .LBB247_87
.LBB247_44:                             ;   in Loop: Header=BB247_12 Depth=1
	s_or_b32 exec_lo, exec_lo, s4
	s_and_saveexec_b32 s4, s1
	s_cbranch_execnz .LBB247_92
.LBB247_45:                             ;   in Loop: Header=BB247_12 Depth=1
	s_or_b32 exec_lo, exec_lo, s4
	s_and_saveexec_b32 s1, s2
	s_cbranch_execnz .LBB247_97
.LBB247_46:                             ;   in Loop: Header=BB247_12 Depth=1
	s_or_b32 exec_lo, exec_lo, s1
	s_delay_alu instid0(SALU_CYCLE_1)
	s_and_b32 exec_lo, exec_lo, s3
	s_cbranch_execnz .LBB247_102
	s_branch .LBB247_107
.LBB247_47:                             ;   in Loop: Header=BB247_12 Depth=1
	s_waitcnt vmcnt(11) lgkmcnt(10)
	v_dual_add_f32 v33, v33, v34 :: v_dual_lshlrev_b32 v34, 16, v41
	s_delay_alu instid0(VALU_DEP_1) | instskip(NEXT) | instid1(VALU_DEP_1)
	v_add_f32_e32 v34, v33, v34
	v_and_b32_e32 v33, 0x7f800000, v34
	s_delay_alu instid0(VALU_DEP_1) | instskip(NEXT) | instid1(VALU_DEP_1)
	v_cmp_ne_u32_e64 s1, 0x7f800000, v33
                                        ; implicit-def: $vgpr33
	s_and_saveexec_b32 s3, s1
	s_delay_alu instid0(SALU_CYCLE_1)
	s_xor_b32 s1, exec_lo, s3
; %bb.48:                               ;   in Loop: Header=BB247_12 Depth=1
	v_bfe_u32 v33, v34, 16, 1
	s_delay_alu instid0(VALU_DEP_1)
	v_add3_u32 v33, v34, v33, 0x7fff
                                        ; implicit-def: $vgpr34
; %bb.49:                               ;   in Loop: Header=BB247_12 Depth=1
	s_and_not1_saveexec_b32 s3, s1
; %bb.50:                               ;   in Loop: Header=BB247_12 Depth=1
	v_and_b32_e32 v33, 0xffff, v34
	v_or_b32_e32 v41, 0x10000, v34
	s_delay_alu instid0(VALU_DEP_2) | instskip(NEXT) | instid1(VALU_DEP_1)
	v_cmp_eq_u32_e64 s1, 0, v33
	v_cndmask_b32_e64 v33, v41, v34, s1
; %bb.51:                               ;   in Loop: Header=BB247_12 Depth=1
	s_or_b32 exec_lo, exec_lo, s3
	v_mov_b32_e32 v62, v64
	s_delay_alu instid0(VALU_DEP_1) | instskip(NEXT) | instid1(VALU_DEP_1)
	v_lshlrev_b64 v[41:42], 1, v[61:62]
	v_add_co_u32 v41, s1, s6, v41
	s_delay_alu instid0(VALU_DEP_1) | instskip(SKIP_3) | instid1(VALU_DEP_1)
	v_add_co_ci_u32_e64 v42, s1, s7, v42, s1
	global_store_d16_hi_b16 v[41:42], v33, off
	s_or_b32 exec_lo, exec_lo, s2
	v_cmp_ne_u32_e64 s1, 0, v2
	s_and_saveexec_b32 s3, s1
	s_cbranch_execz .LBB247_37
.LBB247_52:                             ;   in Loop: Header=BB247_12 Depth=1
	s_waitcnt vmcnt(10) lgkmcnt(11)
	v_dual_add_f32 v30, v30, v31 :: v_dual_lshlrev_b32 v31, 16, v40
	s_delay_alu instid0(VALU_DEP_1) | instskip(NEXT) | instid1(VALU_DEP_1)
	v_add_f32_e32 v31, v30, v31
	v_and_b32_e32 v30, 0x7f800000, v31
	s_delay_alu instid0(VALU_DEP_1) | instskip(NEXT) | instid1(VALU_DEP_1)
	v_cmp_ne_u32_e64 s2, 0x7f800000, v30
                                        ; implicit-def: $vgpr30
	s_and_saveexec_b32 s4, s2
	s_delay_alu instid0(SALU_CYCLE_1)
	s_xor_b32 s2, exec_lo, s4
; %bb.53:                               ;   in Loop: Header=BB247_12 Depth=1
	v_bfe_u32 v30, v31, 16, 1
	s_delay_alu instid0(VALU_DEP_1)
	v_add3_u32 v30, v31, v30, 0x7fff
                                        ; implicit-def: $vgpr31
; %bb.54:                               ;   in Loop: Header=BB247_12 Depth=1
	s_and_not1_saveexec_b32 s4, s2
; %bb.55:                               ;   in Loop: Header=BB247_12 Depth=1
	v_and_b32_e32 v30, 0xffff, v31
	v_or_b32_e32 v33, 0x10000, v31
	s_delay_alu instid0(VALU_DEP_2) | instskip(NEXT) | instid1(VALU_DEP_1)
	v_cmp_eq_u32_e64 s2, 0, v30
	v_cndmask_b32_e64 v30, v33, v31, s2
; %bb.56:                               ;   in Loop: Header=BB247_12 Depth=1
	s_or_b32 exec_lo, exec_lo, s4
	v_mov_b32_e32 v62, v64
	s_waitcnt lgkmcnt(10)
	s_delay_alu instid0(VALU_DEP_1) | instskip(NEXT) | instid1(VALU_DEP_1)
	v_lshlrev_b64 v[33:34], 1, v[61:62]
	v_add_co_u32 v33, s2, s33, v33
	s_delay_alu instid0(VALU_DEP_1) | instskip(SKIP_3) | instid1(VALU_DEP_1)
	v_add_co_ci_u32_e64 v34, s2, s34, v34, s2
	global_store_d16_hi_b16 v[33:34], v30, off
	s_or_b32 exec_lo, exec_lo, s3
	v_cmp_ne_u32_e64 s2, 0, v3
	s_and_saveexec_b32 s4, s2
	s_cbranch_execz .LBB247_38
.LBB247_57:                             ;   in Loop: Header=BB247_12 Depth=1
	s_waitcnt lgkmcnt(6)
	v_add_f32_e32 v27, v27, v29
	s_waitcnt vmcnt(9)
	v_lshlrev_b32_e32 v29, 16, v39
	s_delay_alu instid0(VALU_DEP_1) | instskip(NEXT) | instid1(VALU_DEP_1)
	v_add_f32_e32 v29, v27, v29
	v_and_b32_e32 v27, 0x7f800000, v29
	s_delay_alu instid0(VALU_DEP_1) | instskip(NEXT) | instid1(VALU_DEP_1)
	v_cmp_ne_u32_e64 s3, 0x7f800000, v27
                                        ; implicit-def: $vgpr27
	s_and_saveexec_b32 s39, s3
	s_delay_alu instid0(SALU_CYCLE_1)
	s_xor_b32 s3, exec_lo, s39
; %bb.58:                               ;   in Loop: Header=BB247_12 Depth=1
	v_bfe_u32 v27, v29, 16, 1
	s_delay_alu instid0(VALU_DEP_1)
	v_add3_u32 v27, v29, v27, 0x7fff
                                        ; implicit-def: $vgpr29
; %bb.59:                               ;   in Loop: Header=BB247_12 Depth=1
	s_and_not1_saveexec_b32 s39, s3
; %bb.60:                               ;   in Loop: Header=BB247_12 Depth=1
	v_and_b32_e32 v27, 0xffff, v29
	v_or_b32_e32 v30, 0x10000, v29
	s_delay_alu instid0(VALU_DEP_2) | instskip(NEXT) | instid1(VALU_DEP_1)
	v_cmp_eq_u32_e64 s3, 0, v27
	v_cndmask_b32_e64 v27, v30, v29, s3
; %bb.61:                               ;   in Loop: Header=BB247_12 Depth=1
	s_or_b32 exec_lo, exec_lo, s39
	v_lshlrev_b64 v[29:30], 1, v[63:64]
	s_delay_alu instid0(VALU_DEP_1) | instskip(NEXT) | instid1(VALU_DEP_1)
	v_add_co_u32 v29, s3, s6, v29
	v_add_co_ci_u32_e64 v30, s3, s7, v30, s3
	global_store_d16_hi_b16 v[29:30], v27, off
	s_or_b32 exec_lo, exec_lo, s4
	v_cmp_ne_u32_e64 s3, 0, v4
	s_delay_alu instid0(VALU_DEP_1)
	s_and_saveexec_b32 s39, s3
	s_cbranch_execz .LBB247_39
.LBB247_62:                             ;   in Loop: Header=BB247_12 Depth=1
	s_waitcnt lgkmcnt(9)
	v_add_f32_e32 v6, v6, v26
	s_waitcnt vmcnt(8)
	v_lshlrev_b32_e32 v26, 16, v38
	s_delay_alu instid0(VALU_DEP_1) | instskip(NEXT) | instid1(VALU_DEP_1)
	v_add_f32_e32 v6, v6, v26
	v_and_b32_e32 v26, 0x7f800000, v6
	s_delay_alu instid0(VALU_DEP_1) | instskip(NEXT) | instid1(VALU_DEP_1)
	v_cmp_ne_u32_e64 s4, 0x7f800000, v26
                                        ; implicit-def: $vgpr26
	s_and_saveexec_b32 s40, s4
	s_delay_alu instid0(SALU_CYCLE_1)
	s_xor_b32 s4, exec_lo, s40
; %bb.63:                               ;   in Loop: Header=BB247_12 Depth=1
	v_bfe_u32 v26, v6, 16, 1
	s_delay_alu instid0(VALU_DEP_1)
	v_add3_u32 v26, v6, v26, 0x7fff
                                        ; implicit-def: $vgpr6
; %bb.64:                               ;   in Loop: Header=BB247_12 Depth=1
	s_and_not1_saveexec_b32 s40, s4
; %bb.65:                               ;   in Loop: Header=BB247_12 Depth=1
	v_and_b32_e32 v26, 0xffff, v6
	v_or_b32_e32 v27, 0x10000, v6
	s_delay_alu instid0(VALU_DEP_2) | instskip(NEXT) | instid1(VALU_DEP_1)
	v_cmp_eq_u32_e64 s4, 0, v26
	v_cndmask_b32_e64 v26, v27, v6, s4
; %bb.66:                               ;   in Loop: Header=BB247_12 Depth=1
	s_or_b32 exec_lo, exec_lo, s40
	v_mov_b32_e32 v6, v64
	s_delay_alu instid0(VALU_DEP_1) | instskip(NEXT) | instid1(VALU_DEP_1)
	v_lshlrev_b64 v[5:6], 1, v[5:6]
	v_add_co_u32 v5, s4, s6, v5
	s_delay_alu instid0(VALU_DEP_1)
	v_add_co_ci_u32_e64 v6, s4, s7, v6, s4
	global_store_d16_hi_b16 v[5:6], v26, off
	s_or_b32 exec_lo, exec_lo, s39
	v_add_nc_u32_e32 v63, s19, v61
	s_and_saveexec_b32 s39, vcc_lo
	s_cbranch_execz .LBB247_40
.LBB247_67:                             ;   in Loop: Header=BB247_12 Depth=1
	s_waitcnt vmcnt(7) lgkmcnt(8)
	v_dual_add_f32 v5, v22, v24 :: v_dual_lshlrev_b32 v6, 16, v37
	s_delay_alu instid0(VALU_DEP_1) | instskip(NEXT) | instid1(VALU_DEP_1)
	v_add_f32_e32 v6, v5, v6
	v_and_b32_e32 v5, 0x7f800000, v6
	s_delay_alu instid0(VALU_DEP_1) | instskip(NEXT) | instid1(VALU_DEP_1)
	v_cmp_ne_u32_e64 s4, 0x7f800000, v5
                                        ; implicit-def: $vgpr5
	s_and_saveexec_b32 s40, s4
	s_delay_alu instid0(SALU_CYCLE_1)
	s_xor_b32 s4, exec_lo, s40
; %bb.68:                               ;   in Loop: Header=BB247_12 Depth=1
	v_bfe_u32 v5, v6, 16, 1
	s_delay_alu instid0(VALU_DEP_1)
	v_add3_u32 v5, v6, v5, 0x7fff
                                        ; implicit-def: $vgpr6
; %bb.69:                               ;   in Loop: Header=BB247_12 Depth=1
	s_and_not1_saveexec_b32 s40, s4
; %bb.70:                               ;   in Loop: Header=BB247_12 Depth=1
	v_and_b32_e32 v5, 0xffff, v6
	v_or_b32_e32 v22, 0x10000, v6
	s_delay_alu instid0(VALU_DEP_2) | instskip(NEXT) | instid1(VALU_DEP_1)
	v_cmp_eq_u32_e64 s4, 0, v5
	v_cndmask_b32_e64 v5, v22, v6, s4
; %bb.71:                               ;   in Loop: Header=BB247_12 Depth=1
	s_or_b32 exec_lo, exec_lo, s40
	v_lshlrev_b64 v[26:27], 1, v[63:64]
	s_delay_alu instid0(VALU_DEP_1) | instskip(NEXT) | instid1(VALU_DEP_1)
	v_add_co_u32 v26, s4, s6, v26
	v_add_co_ci_u32_e64 v27, s4, s7, v27, s4
	global_store_d16_hi_b16 v[26:27], v5, off
	s_or_b32 exec_lo, exec_lo, s39
	s_and_saveexec_b32 s39, s1
	s_cbranch_execz .LBB247_41
.LBB247_72:                             ;   in Loop: Header=BB247_12 Depth=1
	s_waitcnt lgkmcnt(7)
	v_add_f32_e32 v5, v19, v20
	s_waitcnt vmcnt(6)
	v_lshlrev_b32_e32 v6, 16, v36
	s_delay_alu instid0(VALU_DEP_1) | instskip(NEXT) | instid1(VALU_DEP_1)
	v_add_f32_e32 v6, v5, v6
	v_and_b32_e32 v5, 0x7f800000, v6
	s_delay_alu instid0(VALU_DEP_1) | instskip(NEXT) | instid1(VALU_DEP_1)
	v_cmp_ne_u32_e64 s4, 0x7f800000, v5
                                        ; implicit-def: $vgpr5
	s_and_saveexec_b32 s40, s4
	s_delay_alu instid0(SALU_CYCLE_1)
	s_xor_b32 s4, exec_lo, s40
; %bb.73:                               ;   in Loop: Header=BB247_12 Depth=1
	v_bfe_u32 v5, v6, 16, 1
	s_delay_alu instid0(VALU_DEP_1)
	v_add3_u32 v5, v6, v5, 0x7fff
                                        ; implicit-def: $vgpr6
; %bb.74:                               ;   in Loop: Header=BB247_12 Depth=1
	s_and_not1_saveexec_b32 s40, s4
; %bb.75:                               ;   in Loop: Header=BB247_12 Depth=1
	v_and_b32_e32 v5, 0xffff, v6
	v_or_b32_e32 v19, 0x10000, v6
	s_delay_alu instid0(VALU_DEP_2) | instskip(NEXT) | instid1(VALU_DEP_1)
	v_cmp_eq_u32_e64 s4, 0, v5
	v_cndmask_b32_e64 v5, v19, v6, s4
; %bb.76:                               ;   in Loop: Header=BB247_12 Depth=1
	s_or_b32 exec_lo, exec_lo, s40
	v_dual_mov_b32 v20, v64 :: v_dual_add_nc_u32 v19, 1, v63
	s_delay_alu instid0(VALU_DEP_1) | instskip(NEXT) | instid1(VALU_DEP_1)
	v_lshlrev_b64 v[19:20], 1, v[19:20]
	v_add_co_u32 v19, s4, s6, v19
	s_delay_alu instid0(VALU_DEP_1)
	v_add_co_ci_u32_e64 v20, s4, s7, v20, s4
	global_store_d16_hi_b16 v[19:20], v5, off
	s_or_b32 exec_lo, exec_lo, s39
	s_and_saveexec_b32 s39, s2
	s_cbranch_execz .LBB247_42
.LBB247_77:                             ;   in Loop: Header=BB247_12 Depth=1
	s_waitcnt vmcnt(5) lgkmcnt(5)
	v_dual_add_f32 v5, v15, v16 :: v_dual_lshlrev_b32 v6, 16, v35
	s_delay_alu instid0(VALU_DEP_1) | instskip(NEXT) | instid1(VALU_DEP_1)
	v_add_f32_e32 v6, v5, v6
	v_and_b32_e32 v5, 0x7f800000, v6
	s_delay_alu instid0(VALU_DEP_1) | instskip(NEXT) | instid1(VALU_DEP_1)
	v_cmp_ne_u32_e64 s4, 0x7f800000, v5
                                        ; implicit-def: $vgpr5
	s_and_saveexec_b32 s40, s4
	s_delay_alu instid0(SALU_CYCLE_1)
	s_xor_b32 s4, exec_lo, s40
; %bb.78:                               ;   in Loop: Header=BB247_12 Depth=1
	v_bfe_u32 v5, v6, 16, 1
	s_delay_alu instid0(VALU_DEP_1)
	v_add3_u32 v5, v6, v5, 0x7fff
                                        ; implicit-def: $vgpr6
; %bb.79:                               ;   in Loop: Header=BB247_12 Depth=1
	s_and_not1_saveexec_b32 s40, s4
; %bb.80:                               ;   in Loop: Header=BB247_12 Depth=1
	v_and_b32_e32 v5, 0xffff, v6
	v_or_b32_e32 v15, 0x10000, v6
	s_delay_alu instid0(VALU_DEP_2) | instskip(NEXT) | instid1(VALU_DEP_1)
	v_cmp_eq_u32_e64 s4, 0, v5
	v_cndmask_b32_e64 v5, v15, v6, s4
; %bb.81:                               ;   in Loop: Header=BB247_12 Depth=1
	s_or_b32 exec_lo, exec_lo, s40
	v_dual_mov_b32 v16, v64 :: v_dual_add_nc_u32 v15, 2, v63
	s_delay_alu instid0(VALU_DEP_1) | instskip(NEXT) | instid1(VALU_DEP_1)
	v_lshlrev_b64 v[15:16], 1, v[15:16]
	v_add_co_u32 v15, s4, s6, v15
	s_delay_alu instid0(VALU_DEP_1)
	v_add_co_ci_u32_e64 v16, s4, s7, v16, s4
	global_store_d16_hi_b16 v[15:16], v5, off
	s_or_b32 exec_lo, exec_lo, s39
	s_and_saveexec_b32 s39, s3
	s_cbranch_execz .LBB247_43
.LBB247_82:                             ;   in Loop: Header=BB247_12 Depth=1
	s_waitcnt vmcnt(4) lgkmcnt(1)
	v_dual_add_f32 v5, v17, v18 :: v_dual_lshlrev_b32 v6, 16, v32
	s_delay_alu instid0(VALU_DEP_1) | instskip(NEXT) | instid1(VALU_DEP_1)
	v_add_f32_e32 v6, v5, v6
	v_and_b32_e32 v5, 0x7f800000, v6
	s_delay_alu instid0(VALU_DEP_1) | instskip(NEXT) | instid1(VALU_DEP_1)
	v_cmp_ne_u32_e64 s4, 0x7f800000, v5
                                        ; implicit-def: $vgpr5
	s_and_saveexec_b32 s40, s4
	s_delay_alu instid0(SALU_CYCLE_1)
	s_xor_b32 s4, exec_lo, s40
; %bb.83:                               ;   in Loop: Header=BB247_12 Depth=1
	v_bfe_u32 v5, v6, 16, 1
	s_delay_alu instid0(VALU_DEP_1)
	v_add3_u32 v5, v6, v5, 0x7fff
                                        ; implicit-def: $vgpr6
; %bb.84:                               ;   in Loop: Header=BB247_12 Depth=1
	s_and_not1_saveexec_b32 s40, s4
; %bb.85:                               ;   in Loop: Header=BB247_12 Depth=1
	v_and_b32_e32 v5, 0xffff, v6
	v_or_b32_e32 v15, 0x10000, v6
	s_delay_alu instid0(VALU_DEP_2) | instskip(NEXT) | instid1(VALU_DEP_1)
	v_cmp_eq_u32_e64 s4, 0, v5
	v_cndmask_b32_e64 v5, v15, v6, s4
; %bb.86:                               ;   in Loop: Header=BB247_12 Depth=1
	s_or_b32 exec_lo, exec_lo, s40
	v_dual_mov_b32 v16, v64 :: v_dual_add_nc_u32 v15, 3, v63
	s_delay_alu instid0(VALU_DEP_1) | instskip(NEXT) | instid1(VALU_DEP_1)
	v_lshlrev_b64 v[15:16], 1, v[15:16]
	v_add_co_u32 v15, s4, s6, v15
	s_delay_alu instid0(VALU_DEP_1)
	v_add_co_ci_u32_e64 v16, s4, s7, v16, s4
	global_store_d16_hi_b16 v[15:16], v5, off
	s_or_b32 exec_lo, exec_lo, s39
	v_add_nc_u32_e32 v63, s19, v63
	s_and_saveexec_b32 s4, vcc_lo
	s_cbranch_execz .LBB247_44
.LBB247_87:                             ;   in Loop: Header=BB247_12 Depth=1
	s_waitcnt vmcnt(3) lgkmcnt(3)
	v_dual_add_f32 v5, v13, v14 :: v_dual_lshlrev_b32 v6, 16, v28
	s_delay_alu instid0(VALU_DEP_1) | instskip(NEXT) | instid1(VALU_DEP_1)
	v_add_f32_e32 v6, v5, v6
	v_and_b32_e32 v5, 0x7f800000, v6
	s_delay_alu instid0(VALU_DEP_1) | instskip(SKIP_1) | instid1(SALU_CYCLE_1)
	v_cmp_ne_u32_e32 vcc_lo, 0x7f800000, v5
                                        ; implicit-def: $vgpr5
	s_and_saveexec_b32 s39, vcc_lo
	s_xor_b32 s39, exec_lo, s39
; %bb.88:                               ;   in Loop: Header=BB247_12 Depth=1
	v_bfe_u32 v5, v6, 16, 1
	s_delay_alu instid0(VALU_DEP_1)
	v_add3_u32 v5, v6, v5, 0x7fff
                                        ; implicit-def: $vgpr6
; %bb.89:                               ;   in Loop: Header=BB247_12 Depth=1
	s_and_not1_saveexec_b32 s39, s39
; %bb.90:                               ;   in Loop: Header=BB247_12 Depth=1
	v_and_b32_e32 v5, 0xffff, v6
	v_or_b32_e32 v13, 0x10000, v6
	s_delay_alu instid0(VALU_DEP_2) | instskip(NEXT) | instid1(VALU_DEP_2)
	v_cmp_eq_u32_e32 vcc_lo, 0, v5
	v_cndmask_b32_e32 v5, v13, v6, vcc_lo
; %bb.91:                               ;   in Loop: Header=BB247_12 Depth=1
	s_or_b32 exec_lo, exec_lo, s39
	v_lshlrev_b64 v[13:14], 1, v[63:64]
	s_delay_alu instid0(VALU_DEP_1) | instskip(NEXT) | instid1(VALU_DEP_2)
	v_add_co_u32 v13, vcc_lo, s6, v13
	v_add_co_ci_u32_e32 v14, vcc_lo, s7, v14, vcc_lo
	global_store_d16_hi_b16 v[13:14], v5, off
	s_or_b32 exec_lo, exec_lo, s4
	s_and_saveexec_b32 s4, s1
	s_cbranch_execz .LBB247_45
.LBB247_92:                             ;   in Loop: Header=BB247_12 Depth=1
	s_waitcnt vmcnt(2) lgkmcnt(0)
	v_dual_add_f32 v5, v11, v12 :: v_dual_lshlrev_b32 v6, 16, v25
	s_delay_alu instid0(VALU_DEP_1) | instskip(NEXT) | instid1(VALU_DEP_1)
	v_add_f32_e32 v6, v5, v6
	v_and_b32_e32 v5, 0x7f800000, v6
	s_delay_alu instid0(VALU_DEP_1) | instskip(SKIP_1) | instid1(SALU_CYCLE_1)
	v_cmp_ne_u32_e32 vcc_lo, 0x7f800000, v5
                                        ; implicit-def: $vgpr5
	s_and_saveexec_b32 s1, vcc_lo
	s_xor_b32 s1, exec_lo, s1
; %bb.93:                               ;   in Loop: Header=BB247_12 Depth=1
	v_bfe_u32 v5, v6, 16, 1
	s_delay_alu instid0(VALU_DEP_1)
	v_add3_u32 v5, v6, v5, 0x7fff
                                        ; implicit-def: $vgpr6
; %bb.94:                               ;   in Loop: Header=BB247_12 Depth=1
	s_and_not1_saveexec_b32 s1, s1
; %bb.95:                               ;   in Loop: Header=BB247_12 Depth=1
	v_and_b32_e32 v5, 0xffff, v6
	v_or_b32_e32 v11, 0x10000, v6
	s_delay_alu instid0(VALU_DEP_2) | instskip(NEXT) | instid1(VALU_DEP_2)
	v_cmp_eq_u32_e32 vcc_lo, 0, v5
	v_cndmask_b32_e32 v5, v11, v6, vcc_lo
; %bb.96:                               ;   in Loop: Header=BB247_12 Depth=1
	s_or_b32 exec_lo, exec_lo, s1
	v_dual_mov_b32 v12, v64 :: v_dual_add_nc_u32 v11, 1, v63
	s_delay_alu instid0(VALU_DEP_1) | instskip(NEXT) | instid1(VALU_DEP_1)
	v_lshlrev_b64 v[11:12], 1, v[11:12]
	v_add_co_u32 v11, vcc_lo, s6, v11
	s_delay_alu instid0(VALU_DEP_2)
	v_add_co_ci_u32_e32 v12, vcc_lo, s7, v12, vcc_lo
	global_store_d16_hi_b16 v[11:12], v5, off
	s_or_b32 exec_lo, exec_lo, s4
	s_and_saveexec_b32 s1, s2
	s_cbranch_execz .LBB247_46
.LBB247_97:                             ;   in Loop: Header=BB247_12 Depth=1
	s_waitcnt vmcnt(1) lgkmcnt(4)
	v_dual_add_f32 v5, v9, v10 :: v_dual_lshlrev_b32 v6, 16, v23
	s_delay_alu instid0(VALU_DEP_1) | instskip(NEXT) | instid1(VALU_DEP_1)
	v_add_f32_e32 v6, v5, v6
	v_and_b32_e32 v5, 0x7f800000, v6
	s_delay_alu instid0(VALU_DEP_1) | instskip(SKIP_1) | instid1(SALU_CYCLE_1)
	v_cmp_ne_u32_e32 vcc_lo, 0x7f800000, v5
                                        ; implicit-def: $vgpr5
	s_and_saveexec_b32 s2, vcc_lo
	s_xor_b32 s2, exec_lo, s2
; %bb.98:                               ;   in Loop: Header=BB247_12 Depth=1
	v_bfe_u32 v5, v6, 16, 1
	s_delay_alu instid0(VALU_DEP_1)
	v_add3_u32 v5, v6, v5, 0x7fff
                                        ; implicit-def: $vgpr6
; %bb.99:                               ;   in Loop: Header=BB247_12 Depth=1
	s_and_not1_saveexec_b32 s2, s2
; %bb.100:                              ;   in Loop: Header=BB247_12 Depth=1
	v_and_b32_e32 v5, 0xffff, v6
	v_or_b32_e32 v9, 0x10000, v6
	s_delay_alu instid0(VALU_DEP_2) | instskip(NEXT) | instid1(VALU_DEP_2)
	v_cmp_eq_u32_e32 vcc_lo, 0, v5
	v_cndmask_b32_e32 v5, v9, v6, vcc_lo
; %bb.101:                              ;   in Loop: Header=BB247_12 Depth=1
	s_or_b32 exec_lo, exec_lo, s2
	v_dual_mov_b32 v10, v64 :: v_dual_add_nc_u32 v9, 2, v63
	s_delay_alu instid0(VALU_DEP_1) | instskip(NEXT) | instid1(VALU_DEP_1)
	v_lshlrev_b64 v[9:10], 1, v[9:10]
	v_add_co_u32 v9, vcc_lo, s6, v9
	s_delay_alu instid0(VALU_DEP_2) | instskip(SKIP_2) | instid1(SALU_CYCLE_1)
	v_add_co_ci_u32_e32 v10, vcc_lo, s7, v10, vcc_lo
	global_store_d16_hi_b16 v[9:10], v5, off
	s_or_b32 exec_lo, exec_lo, s1
	s_and_b32 exec_lo, exec_lo, s3
	s_cbranch_execz .LBB247_107
.LBB247_102:                            ;   in Loop: Header=BB247_12 Depth=1
	s_waitcnt vmcnt(0) lgkmcnt(2)
	v_dual_add_f32 v5, v7, v8 :: v_dual_lshlrev_b32 v6, 16, v21
	s_delay_alu instid0(VALU_DEP_1) | instskip(NEXT) | instid1(VALU_DEP_1)
	v_add_f32_e32 v6, v5, v6
	v_and_b32_e32 v5, 0x7f800000, v6
	s_delay_alu instid0(VALU_DEP_1) | instskip(SKIP_1) | instid1(SALU_CYCLE_1)
	v_cmp_ne_u32_e32 vcc_lo, 0x7f800000, v5
                                        ; implicit-def: $vgpr5
	s_and_saveexec_b32 s1, vcc_lo
	s_xor_b32 s1, exec_lo, s1
; %bb.103:                              ;   in Loop: Header=BB247_12 Depth=1
	v_bfe_u32 v5, v6, 16, 1
	s_delay_alu instid0(VALU_DEP_1)
	v_add3_u32 v5, v6, v5, 0x7fff
                                        ; implicit-def: $vgpr6
; %bb.104:                              ;   in Loop: Header=BB247_12 Depth=1
	s_and_not1_saveexec_b32 s1, s1
; %bb.105:                              ;   in Loop: Header=BB247_12 Depth=1
	v_and_b32_e32 v5, 0xffff, v6
	v_or_b32_e32 v7, 0x10000, v6
	s_delay_alu instid0(VALU_DEP_2) | instskip(NEXT) | instid1(VALU_DEP_2)
	v_cmp_eq_u32_e32 vcc_lo, 0, v5
	v_cndmask_b32_e32 v5, v7, v6, vcc_lo
; %bb.106:                              ;   in Loop: Header=BB247_12 Depth=1
	s_or_b32 exec_lo, exec_lo, s1
	v_add_nc_u32_e32 v63, 3, v63
	s_delay_alu instid0(VALU_DEP_1) | instskip(NEXT) | instid1(VALU_DEP_1)
	v_lshlrev_b64 v[6:7], 1, v[63:64]
	v_add_co_u32 v6, vcc_lo, s6, v6
	s_delay_alu instid0(VALU_DEP_2)
	v_add_co_ci_u32_e32 v7, vcc_lo, s7, v7, vcc_lo
	global_store_d16_hi_b16 v[6:7], v5, off
.LBB247_107:                            ;   in Loop: Header=BB247_12 Depth=1
	s_or_b32 exec_lo, exec_lo, s5
	v_add_nc_u32_e32 v61, s29, v61
	s_delay_alu instid0(VALU_DEP_1) | instskip(SKIP_1) | instid1(VALU_DEP_2)
	v_add_nc_u32_e32 v5, 4, v61
	v_cmp_gt_u32_e32 vcc_lo, s19, v61
	v_cmp_le_u32_e64 s1, s19, v5
	s_delay_alu instid0(VALU_DEP_1) | instskip(NEXT) | instid1(SALU_CYCLE_1)
	s_and_b32 s1, vcc_lo, s1
	s_and_saveexec_b32 s39, s1
	s_cbranch_execz .LBB247_10
; %bb.108:                              ;   in Loop: Header=BB247_12 Depth=1
	s_mov_b32 s40, exec_lo
	v_cmpx_ne_u32_e64 s9, v61
	s_cbranch_execz .LBB247_9
; %bb.109:                              ;   in Loop: Header=BB247_12 Depth=1
	v_subrev_nc_u32_e32 v5, s9, v61
	s_mov_b32 s41, 0
	s_mov_b64 s[4:5], 0
	s_delay_alu instid0(VALU_DEP_1)
	v_cmp_lt_u32_e32 vcc_lo, 1, v5
	v_cndmask_b32_e32 v5, 1, v5, vcc_lo
	.p2align	6
.LBB247_110:                            ;   Parent Loop BB247_12 Depth=1
                                        ; =>  This Inner Loop Header: Depth=2
	s_cmp_lg_u32 s4, 3
	s_cselect_b32 vcc_lo, -1, 0
	s_cmp_lg_u32 s4, 2
	v_cndmask_b32_e32 v4, 0, v4, vcc_lo
	s_cselect_b32 s1, -1, 0
	s_cmp_lg_u32 s4, 1
	v_cndmask_b32_e64 v3, 0, v3, s1
	s_cselect_b32 s2, -1, 0
	s_cmp_lg_u32 s4, 0
	v_cndmask_b32_e64 v2, 0, v2, s2
	s_cselect_b32 s3, -1, 0
	s_add_u32 s4, s4, 1
	v_cndmask_b32_e64 v1, 0, v1, s3
	v_cmp_eq_u32_e32 vcc_lo, s4, v5
	s_addc_u32 s5, s5, 0
	s_or_b32 s41, vcc_lo, s41
	s_delay_alu instid0(SALU_CYCLE_1)
	s_and_not1_b32 exec_lo, exec_lo, s41
	s_cbranch_execnz .LBB247_110
; %bb.111:                              ;   in Loop: Header=BB247_12 Depth=1
	s_or_b32 exec_lo, exec_lo, s41
	s_branch .LBB247_9
.LBB247_112:
	s_nop 0
	s_sendmsg sendmsg(MSG_DEALLOC_VGPRS)
	s_endpgm
	.section	.rodata,"a",@progbits
	.p2align	6, 0x0
	.amdhsa_kernel _Z16wvSplitK_hf_big_I14__hip_bfloat16Li64ELi4ELi16ELi8ELi2ELi3EEviiiiiiPKT_S3_S3_PS1_ii
		.amdhsa_group_segment_fixed_size 65536
		.amdhsa_private_segment_fixed_size 0
		.amdhsa_kernarg_size 64
		.amdhsa_user_sgpr_count 15
		.amdhsa_user_sgpr_dispatch_ptr 0
		.amdhsa_user_sgpr_queue_ptr 0
		.amdhsa_user_sgpr_kernarg_segment_ptr 1
		.amdhsa_user_sgpr_dispatch_id 0
		.amdhsa_user_sgpr_private_segment_size 0
		.amdhsa_wavefront_size32 1
		.amdhsa_uses_dynamic_stack 0
		.amdhsa_enable_private_segment 0
		.amdhsa_system_sgpr_workgroup_id_x 1
		.amdhsa_system_sgpr_workgroup_id_y 0
		.amdhsa_system_sgpr_workgroup_id_z 0
		.amdhsa_system_sgpr_workgroup_info 0
		.amdhsa_system_vgpr_workitem_id 1
		.amdhsa_next_free_vgpr 110
		.amdhsa_next_free_sgpr 42
		.amdhsa_reserve_vcc 1
		.amdhsa_float_round_mode_32 0
		.amdhsa_float_round_mode_16_64 0
		.amdhsa_float_denorm_mode_32 3
		.amdhsa_float_denorm_mode_16_64 3
		.amdhsa_dx10_clamp 1
		.amdhsa_ieee_mode 1
		.amdhsa_fp16_overflow 0
		.amdhsa_workgroup_processor_mode 1
		.amdhsa_memory_ordered 1
		.amdhsa_forward_progress 0
		.amdhsa_shared_vgpr_count 0
		.amdhsa_exception_fp_ieee_invalid_op 0
		.amdhsa_exception_fp_denorm_src 0
		.amdhsa_exception_fp_ieee_div_zero 0
		.amdhsa_exception_fp_ieee_overflow 0
		.amdhsa_exception_fp_ieee_underflow 0
		.amdhsa_exception_fp_ieee_inexact 0
		.amdhsa_exception_int_div_zero 0
	.end_amdhsa_kernel
	.section	.text._Z16wvSplitK_hf_big_I14__hip_bfloat16Li64ELi4ELi16ELi8ELi2ELi3EEviiiiiiPKT_S3_S3_PS1_ii,"axG",@progbits,_Z16wvSplitK_hf_big_I14__hip_bfloat16Li64ELi4ELi16ELi8ELi2ELi3EEviiiiiiPKT_S3_S3_PS1_ii,comdat
.Lfunc_end247:
	.size	_Z16wvSplitK_hf_big_I14__hip_bfloat16Li64ELi4ELi16ELi8ELi2ELi3EEviiiiiiPKT_S3_S3_PS1_ii, .Lfunc_end247-_Z16wvSplitK_hf_big_I14__hip_bfloat16Li64ELi4ELi16ELi8ELi2ELi3EEviiiiiiPKT_S3_S3_PS1_ii
                                        ; -- End function
	.section	.AMDGPU.csdata,"",@progbits
; Kernel info:
; codeLenInByte = 8448
; NumSgprs: 44
; NumVgprs: 110
; ScratchSize: 0
; MemoryBound: 0
; FloatMode: 240
; IeeeMode: 1
; LDSByteSize: 65536 bytes/workgroup (compile time only)
; SGPRBlocks: 5
; VGPRBlocks: 13
; NumSGPRsForWavesPerEU: 44
; NumVGPRsForWavesPerEU: 110
; Occupancy: 12
; WaveLimiterHint : 0
; COMPUTE_PGM_RSRC2:SCRATCH_EN: 0
; COMPUTE_PGM_RSRC2:USER_SGPR: 15
; COMPUTE_PGM_RSRC2:TRAP_HANDLER: 0
; COMPUTE_PGM_RSRC2:TGID_X_EN: 1
; COMPUTE_PGM_RSRC2:TGID_Y_EN: 0
; COMPUTE_PGM_RSRC2:TGID_Z_EN: 0
; COMPUTE_PGM_RSRC2:TIDIG_COMP_CNT: 1
	.section	.text._Z16wvSplitK_hf_sml_I14__hip_bfloat16Li32ELi1ELi16ELi8ELi4ELi4EEviiiiiiPKT_S3_S3_PS1_ii,"axG",@progbits,_Z16wvSplitK_hf_sml_I14__hip_bfloat16Li32ELi1ELi16ELi8ELi4ELi4EEviiiiiiPKT_S3_S3_PS1_ii,comdat
	.protected	_Z16wvSplitK_hf_sml_I14__hip_bfloat16Li32ELi1ELi16ELi8ELi4ELi4EEviiiiiiPKT_S3_S3_PS1_ii ; -- Begin function _Z16wvSplitK_hf_sml_I14__hip_bfloat16Li32ELi1ELi16ELi8ELi4ELi4EEviiiiiiPKT_S3_S3_PS1_ii
	.globl	_Z16wvSplitK_hf_sml_I14__hip_bfloat16Li32ELi1ELi16ELi8ELi4ELi4EEviiiiiiPKT_S3_S3_PS1_ii
	.p2align	8
	.type	_Z16wvSplitK_hf_sml_I14__hip_bfloat16Li32ELi1ELi16ELi8ELi4ELi4EEviiiiiiPKT_S3_S3_PS1_ii,@function
_Z16wvSplitK_hf_sml_I14__hip_bfloat16Li32ELi1ELi16ELi8ELi4ELi4EEviiiiiiPKT_S3_S3_PS1_ii: ; @_Z16wvSplitK_hf_sml_I14__hip_bfloat16Li32ELi1ELi16ELi8ELi4ELi4EEviiiiiiPKT_S3_S3_PS1_ii
; %bb.0:
	s_load_b128 s[4:7], s[0:1], 0x0
	v_and_b32_e32 v1, 0x3ff, v0
	v_bfe_u32 v0, v0, 10, 10
	s_mov_b32 s8, exec_lo
	s_delay_alu instid0(VALU_DEP_2) | instskip(NEXT) | instid1(VALU_DEP_1)
	v_lshlrev_b32_e32 v83, 3, v1
	v_lshl_add_u32 v3, v0, 8, v83
	s_waitcnt lgkmcnt(0)
	s_lshl_b32 s14, s6, 2
	s_delay_alu instid0(SALU_CYCLE_1)
	s_min_u32 s9, s14, 0x8000
	s_delay_alu instid0(VALU_DEP_1) | instid1(SALU_CYCLE_1)
	v_cmpx_gt_u32_e64 s9, v3
	s_cbranch_execz .LBB248_9
; %bb.1:
	s_load_b64 s[2:3], s[0:1], 0x20
	v_lshlrev_b32_e32 v2, 1, v3
	v_add_nc_u32_e32 v8, 0x1000, v3
	s_mov_b32 s10, exec_lo
	s_waitcnt lgkmcnt(0)
	global_load_b128 v[4:7], v2, s[2:3]
	s_waitcnt vmcnt(0)
	ds_store_b128 v2, v[4:7]
	v_cmpx_gt_u32_e64 s9, v8
	s_xor_b32 s10, exec_lo, s10
	s_cbranch_execz .LBB248_9
; %bb.2:
	v_add_co_u32 v4, s2, s2, v2
	s_delay_alu instid0(VALU_DEP_1) | instskip(SKIP_1) | instid1(VALU_DEP_3)
	v_add_co_ci_u32_e64 v5, null, s3, 0, s2
	v_add_nc_u32_e32 v10, 0x2000, v3
	v_add_co_u32 v6, vcc_lo, 0x2000, v4
	s_delay_alu instid0(VALU_DEP_3)
	v_add_co_ci_u32_e32 v7, vcc_lo, 0, v5, vcc_lo
	s_mov_b32 s2, exec_lo
	global_load_b128 v[6:9], v[6:7], off
	s_waitcnt vmcnt(0)
	ds_store_b128 v2, v[6:9] offset:8192
	v_cmpx_gt_u32_e64 s9, v10
	s_xor_b32 s2, exec_lo, s2
	s_cbranch_execz .LBB248_9
; %bb.3:
	v_add_co_u32 v6, vcc_lo, 0x4000, v4
	v_add_co_ci_u32_e32 v7, vcc_lo, 0, v5, vcc_lo
	v_add_nc_u32_e32 v10, 0x3000, v3
	s_mov_b32 s2, exec_lo
	global_load_b128 v[6:9], v[6:7], off
	s_waitcnt vmcnt(0)
	ds_store_b128 v2, v[6:9] offset:16384
	v_cmpx_gt_u32_e64 s9, v10
	s_xor_b32 s2, exec_lo, s2
	s_cbranch_execz .LBB248_9
; %bb.4:
	v_add_co_u32 v6, vcc_lo, 0x6000, v4
	v_add_co_ci_u32_e32 v7, vcc_lo, 0, v5, vcc_lo
	v_add_nc_u32_e32 v10, 0x4000, v3
	;; [unrolled: 11-line block ×5, first 2 shown]
	s_mov_b32 s2, exec_lo
	global_load_b128 v[6:9], v[6:7], off
	s_waitcnt vmcnt(0)
	ds_store_b128 v2, v[6:9] offset:49152
	v_cmpx_gt_u32_e64 s9, v3
	s_xor_b32 s2, exec_lo, s2
	s_cbranch_execz .LBB248_9
; %bb.8:
	v_add_co_u32 v3, vcc_lo, 0xe000, v4
	v_add_co_ci_u32_e32 v4, vcc_lo, 0, v5, vcc_lo
	global_load_b128 v[3:6], v[3:4], off
	s_waitcnt vmcnt(0)
	ds_store_b128 v2, v[3:6] offset:57344
.LBB248_9:
	s_or_b32 exec_lo, exec_lo, s8
	s_load_b64 s[16:17], s[0:1], 0x38
	s_waitcnt lgkmcnt(0)
	s_barrier
	buffer_gl0_inv
	s_mov_b32 s2, exec_lo
	v_cmpx_gt_u32_e64 s16, v0
	s_cbranch_execz .LBB248_44
; %bb.10:
	s_load_b64 s[2:3], s[0:1], 0x10
	v_mad_u64_u32 v[64:65], null, s15, s16, v[0:1]
	s_delay_alu instid0(VALU_DEP_1)
	v_cmp_gt_u32_e32 vcc_lo, s7, v64
	s_and_b32 exec_lo, exec_lo, vcc_lo
	s_cbranch_execz .LBB248_44
; %bb.11:
	s_clause 0x1
	s_load_b128 s[8:11], s[0:1], 0x28
	s_load_b64 s[12:13], s[0:1], 0x18
	s_cmp_lg_u32 s4, 0
	v_mbcnt_lo_u32_b32 v3, -1, 0
	s_cselect_b32 s1, -1, 0
	s_add_i32 s15, s4, -8
	s_add_i32 s18, s7, -1
	s_waitcnt lgkmcnt(0)
	v_cvt_f32_u32_e32 v2, s2
	s_mul_i32 s16, s17, s16
	v_cmp_eq_u32_e64 s0, 31, v1
	v_lshlrev_b32_e32 v84, 4, v1
	s_delay_alu instid0(VALU_DEP_3)
	v_rcp_iflag_f32_e32 v2, v2
	s_cmp_lg_u64 s[8:9], 0
	s_cselect_b32 s19, -1, 0
	s_abs_i32 s20, s3
	s_sub_i32 s22, 0, s2
	v_cvt_f32_u32_e32 v0, s20
	s_sub_i32 s17, 0, s20
	s_sub_i32 s23, 1, s20
	s_mov_b32 s3, 0
	s_delay_alu instid0(VALU_DEP_1) | instskip(SKIP_2) | instid1(VALU_DEP_1)
	v_rcp_iflag_f32_e32 v0, v0
	s_waitcnt_depctr 0xfff
	v_mul_f32_e32 v0, 0x4f7ffffe, v0
	v_cvt_u32_f32_e32 v0, v0
	s_delay_alu instid0(VALU_DEP_1) | instskip(SKIP_2) | instid1(VALU_DEP_3)
	v_readfirstlane_b32 s21, v0
	v_mul_f32_e32 v0, 0x4f7ffffe, v2
	v_xor_b32_e32 v2, 16, v3
	s_mul_i32 s17, s17, s21
	s_delay_alu instid0(VALU_DEP_2) | instskip(SKIP_1) | instid1(VALU_DEP_2)
	v_cvt_u32_f32_e32 v0, v0
	s_mul_hi_u32 s17, s21, s17
	v_cmp_gt_i32_e32 vcc_lo, 32, v2
	s_add_i32 s21, s21, s17
	s_cmp_lt_u32 s20, 2
	v_mul_lo_u32 v4, s22, v0
	s_cselect_b32 s23, s23, 1
	v_cndmask_b32_e32 v1, v3, v2, vcc_lo
	s_sub_i32 s24, s23, s20
	s_cmp_ge_u32 s23, s20
	v_mov_b32_e32 v66, 0
	s_cselect_b32 s23, s24, s23
	v_lshlrev_b32_e32 v85, 2, v1
	s_lshr_b32 s24, s21, 31
	s_mul_hi_u32 s21, s21, 3
	s_mul_i32 s24, s24, s20
	s_mul_i32 s21, s21, s20
	s_sub_i32 s22, 2, s24
	v_mul_hi_u32 v2, v0, v4
	s_sub_i32 s24, s22, s20
	s_cmp_ge_u32 s22, s20
	s_mul_i32 s17, s6, 6
	s_cselect_b32 s22, s24, s22
	s_delay_alu instid0(SALU_CYCLE_1) | instskip(SKIP_1) | instid1(VALU_DEP_1)
	s_sub_i32 s24, s22, s20
	s_cmp_ge_u32 s22, s20
	v_add_nc_u32_e32 v86, v0, v2
	s_cselect_b32 s22, s24, s22
	s_sub_i32 s21, 3, s21
	s_delay_alu instid0(SALU_CYCLE_1) | instskip(SKIP_2) | instid1(SALU_CYCLE_1)
	s_sub_i32 s24, s21, s20
	s_cmp_ge_u32 s21, s20
	s_cselect_b32 s21, s24, s21
	s_sub_i32 s24, s21, s20
	s_cmp_ge_u32 s21, s20
	s_mul_i32 s20, s23, s2
	s_cselect_b32 s23, s24, s21
	s_mul_i32 s21, s22, s2
	s_mul_i32 s22, s23, s2
	s_lshl_b32 s6, s6, 1
	s_branch .LBB248_14
.LBB248_12:                             ;   in Loop: Header=BB248_14 Depth=1
	s_or_b32 exec_lo, exec_lo, s24
	v_add_nc_u32_e32 v65, s7, v65
	s_delay_alu instid0(VALU_DEP_1) | instskip(NEXT) | instid1(VALU_DEP_1)
	v_lshlrev_b64 v[1:2], 1, v[65:66]
	v_add_co_u32 v1, vcc_lo, s10, v1
	s_delay_alu instid0(VALU_DEP_2)
	v_add_co_ci_u32_e32 v2, vcc_lo, s11, v2, vcc_lo
	global_store_d16_hi_b16 v[1:2], v0, off
.LBB248_13:                             ;   in Loop: Header=BB248_14 Depth=1
	s_or_b32 exec_lo, exec_lo, s23
	v_add_nc_u32_e32 v64, s16, v64
	s_delay_alu instid0(VALU_DEP_1) | instskip(SKIP_1) | instid1(SALU_CYCLE_1)
	v_cmp_le_u32_e32 vcc_lo, s7, v64
	s_or_b32 s3, vcc_lo, s3
	s_and_not1_b32 exec_lo, exec_lo, s3
	s_cbranch_execz .LBB248_44
.LBB248_14:                             ; =>This Loop Header: Depth=1
                                        ;     Child Loop BB248_20 Depth 2
	v_mov_b32_e32 v90, v66
	v_mov_b32_e32 v91, v66
	v_mov_b32_e32 v92, v66
	v_mov_b32_e32 v93, v66
	s_and_not1_b32 vcc_lo, exec_lo, s1
	s_cbranch_vccnz .LBB248_25
; %bb.15:                               ;   in Loop: Header=BB248_14 Depth=1
	v_min_u32_e32 v0, s18, v64
	v_dual_mov_b32 v93, 0 :: v_dual_mov_b32 v92, 0
	v_dual_mov_b32 v87, v84 :: v_dual_mov_b32 v90, 0
	s_delay_alu instid0(VALU_DEP_3) | instskip(SKIP_3) | instid1(VALU_DEP_2)
	v_mul_lo_u32 v65, v0, s5
	v_mov_b32_e32 v91, 0
	s_mov_b32 s23, 0
	s_waitcnt lgkmcnt(0)
	v_lshlrev_b64 v[0:1], 1, v[65:66]
	s_delay_alu instid0(VALU_DEP_1) | instskip(NEXT) | instid1(VALU_DEP_2)
	v_add_co_u32 v88, vcc_lo, s12, v0
	v_add_co_ci_u32_e32 v89, vcc_lo, s13, v1, vcc_lo
	s_branch .LBB248_20
.LBB248_16:                             ;   in Loop: Header=BB248_20 Depth=2
	s_or_b32 exec_lo, exec_lo, s27
.LBB248_17:                             ;   in Loop: Header=BB248_20 Depth=2
	s_delay_alu instid0(SALU_CYCLE_1)
	s_or_b32 exec_lo, exec_lo, s26
.LBB248_18:                             ;   in Loop: Header=BB248_20 Depth=2
	s_delay_alu instid0(SALU_CYCLE_1)
	s_or_b32 exec_lo, exec_lo, s25
.LBB248_19:                             ;   in Loop: Header=BB248_20 Depth=2
	s_delay_alu instid0(SALU_CYCLE_1)
	s_or_b32 exec_lo, exec_lo, s24
	s_waitcnt vmcnt(3)
	v_and_b32_e32 v96, 0xffff0000, v53
	v_and_b32_e32 v97, 0xffff0000, v54
	v_lshlrev_b32_e32 v54, 16, v54
	s_waitcnt lgkmcnt(4)
	v_and_b32_e32 v95, 0xffff0000, v61
	v_and_b32_e32 v65, 0xffff0000, v60
	v_lshlrev_b32_e32 v61, 16, v61
	v_lshlrev_b32_e32 v53, 16, v53
	s_addk_i32 s23, 0x400
	v_mul_f32_e32 v95, v95, v96
	v_and_b32_e32 v94, 0xffff0000, v52
	v_lshlrev_b32_e32 v52, 16, v52
	s_cmp_ge_u32 s23, s4
	v_add_nc_u32_e32 v87, 0x800, v87
	v_dual_fmac_f32 v95, v61, v53 :: v_dual_lshlrev_b32 v60, 16, v60
	v_mul_f32_e32 v65, v65, v94
	s_delay_alu instid0(VALU_DEP_1) | instskip(NEXT) | instid1(VALU_DEP_1)
	v_dual_fmac_f32 v65, v60, v52 :: v_dual_and_b32 v60, 0xffff0000, v62
	v_dual_add_f32 v61, v93, v65 :: v_dual_lshlrev_b32 v62, 16, v62
	s_delay_alu instid0(VALU_DEP_2) | instskip(SKIP_1) | instid1(VALU_DEP_3)
	v_dual_mul_f32 v60, v60, v97 :: v_dual_and_b32 v65, 0xffff0000, v63
	v_and_b32_e32 v93, 0xffff0000, v55
	v_add_f32_e32 v61, v61, v95
	v_lshlrev_b32_e32 v63, 16, v63
	s_delay_alu instid0(VALU_DEP_3) | instskip(SKIP_3) | instid1(VALU_DEP_2)
	v_dual_mul_f32 v65, v65, v93 :: v_dual_fmac_f32 v60, v62, v54
	v_lshlrev_b32_e32 v55, 16, v55
	s_waitcnt lgkmcnt(3)
	v_and_b32_e32 v62, 0xffff0000, v56
	v_dual_add_f32 v60, v61, v60 :: v_dual_fmac_f32 v65, v63, v55
	s_delay_alu instid0(VALU_DEP_2) | instskip(SKIP_3) | instid1(VALU_DEP_2)
	v_dual_mul_f32 v62, v62, v94 :: v_dual_and_b32 v61, 0xffff0000, v57
	s_waitcnt lgkmcnt(2)
	v_and_b32_e32 v63, 0xffff0000, v81
	v_lshlrev_b32_e32 v56, 16, v56
	v_dual_add_f32 v60, v60, v65 :: v_dual_mul_f32 v63, v63, v94
	s_delay_alu instid0(VALU_DEP_2) | instskip(SKIP_2) | instid1(VALU_DEP_3)
	v_fmac_f32_e32 v62, v56, v52
	v_dual_mul_f32 v57, v61, v96 :: v_dual_lshlrev_b32 v56, 16, v57
	v_and_b32_e32 v61, 0xffff0000, v58
	v_add_f32_e32 v62, v92, v62
	s_delay_alu instid0(VALU_DEP_3) | instskip(NEXT) | instid1(VALU_DEP_3)
	v_dual_fmac_f32 v57, v56, v53 :: v_dual_lshlrev_b32 v56, 16, v58
	v_mul_f32_e32 v58, v61, v97
	s_delay_alu instid0(VALU_DEP_2) | instskip(NEXT) | instid1(VALU_DEP_2)
	v_dual_add_f32 v57, v62, v57 :: v_dual_and_b32 v62, 0xffff0000, v82
	v_fmac_f32_e32 v58, v56, v54
	s_delay_alu instid0(VALU_DEP_1) | instskip(SKIP_4) | instid1(VALU_DEP_3)
	v_dual_mul_f32 v62, v62, v96 :: v_dual_add_f32 v57, v57, v58
	s_waitcnt lgkmcnt(0)
	v_and_b32_e32 v58, 0xffff0000, v48
	v_lshlrev_b32_e32 v61, 16, v81
	v_lshlrev_b32_e32 v48, 16, v48
	v_mul_f32_e32 v58, v58, v94
	s_delay_alu instid0(VALU_DEP_3) | instskip(SKIP_1) | instid1(VALU_DEP_3)
	v_dual_fmac_f32 v63, v61, v52 :: v_dual_and_b32 v56, 0xffff0000, v59
	v_lshlrev_b32_e32 v59, 16, v59
	v_dual_fmac_f32 v58, v48, v52 :: v_dual_and_b32 v65, 0xffff0000, v79
	s_delay_alu instid0(VALU_DEP_3) | instskip(SKIP_1) | instid1(VALU_DEP_3)
	v_dual_mul_f32 v56, v56, v93 :: v_dual_add_f32 v63, v91, v63
	v_lshlrev_b32_e32 v48, 16, v49
	v_dual_mul_f32 v65, v65, v97 :: v_dual_lshlrev_b32 v52, 16, v80
	s_delay_alu instid0(VALU_DEP_3) | instskip(SKIP_1) | instid1(VALU_DEP_2)
	v_dual_fmac_f32 v56, v59, v55 :: v_dual_lshlrev_b32 v61, 16, v82
	v_add_f32_e32 v58, v90, v58
	v_add_f32_e32 v56, v57, v56
	s_delay_alu instid0(VALU_DEP_3) | instskip(SKIP_2) | instid1(VALU_DEP_3)
	v_fmac_f32_e32 v62, v61, v53
	v_and_b32_e32 v57, 0xffff0000, v49
	v_lshlrev_b32_e32 v61, 16, v79
	v_add_f32_e32 v59, v63, v62
	s_delay_alu instid0(VALU_DEP_3) | instskip(NEXT) | instid1(VALU_DEP_3)
	v_mul_f32_e32 v49, v57, v96
	v_fmac_f32_e32 v65, v61, v54
	s_delay_alu instid0(VALU_DEP_2)
	v_fmac_f32_e32 v49, v48, v53
	s_waitcnt vmcnt(2)
	v_and_b32_e32 v53, 0xffff0000, v36
	v_lshlrev_b32_e32 v36, 16, v36
	v_and_b32_e32 v57, 0xffff0000, v50
	v_and_b32_e32 v61, 0xffff0000, v80
	v_dual_add_f32 v49, v58, v49 :: v_dual_lshlrev_b32 v48, 16, v50
	s_delay_alu instid0(VALU_DEP_3) | instskip(NEXT) | instid1(VALU_DEP_1)
	v_mul_f32_e32 v50, v57, v97
	v_dual_mul_f32 v61, v61, v93 :: v_dual_fmac_f32 v50, v48, v54
	s_delay_alu instid0(VALU_DEP_1) | instskip(SKIP_2) | instid1(VALU_DEP_2)
	v_dual_fmac_f32 v61, v52, v55 :: v_dual_and_b32 v54, 0xffff0000, v45
	v_dual_add_f32 v59, v59, v65 :: v_dual_and_b32 v52, 0xffff0000, v44
	v_lshlrev_b32_e32 v44, 16, v44
	v_mul_f32_e32 v48, v52, v53
	v_dual_add_f32 v49, v49, v50 :: v_dual_and_b32 v52, 0xffff0000, v51
	s_delay_alu instid0(VALU_DEP_2) | instskip(SKIP_1) | instid1(VALU_DEP_3)
	v_dual_fmac_f32 v48, v44, v36 :: v_dual_and_b32 v57, 0xffff0000, v37
	v_lshlrev_b32_e32 v44, 16, v45
	v_mul_f32_e32 v52, v52, v93
	s_delay_alu instid0(VALU_DEP_3) | instskip(SKIP_4) | instid1(VALU_DEP_1)
	v_dual_add_f32 v48, v60, v48 :: v_dual_mul_f32 v45, v54, v57
	v_and_b32_e32 v54, 0xffff0000, v46
	v_and_b32_e32 v58, 0xffff0000, v38
	v_lshlrev_b32_e32 v51, 16, v51
	v_lshlrev_b32_e32 v37, 16, v37
	v_dual_fmac_f32 v45, v44, v37 :: v_dual_lshlrev_b32 v44, 16, v46
	s_delay_alu instid0(VALU_DEP_4) | instskip(NEXT) | instid1(VALU_DEP_4)
	v_mul_f32_e32 v46, v54, v58
	v_fmac_f32_e32 v52, v51, v55
	v_and_b32_e32 v50, 0xffff0000, v39
	v_and_b32_e32 v51, 0xffff0000, v41
	v_dual_add_f32 v45, v48, v45 :: v_dual_lshlrev_b32 v38, 16, v38
	v_dual_add_f32 v54, v59, v61 :: v_dual_lshlrev_b32 v39, 16, v39
	s_delay_alu instid0(VALU_DEP_2) | instskip(SKIP_1) | instid1(VALU_DEP_2)
	v_fmac_f32_e32 v46, v44, v38
	v_and_b32_e32 v44, 0xffff0000, v40
	v_dual_add_f32 v45, v45, v46 :: v_dual_lshlrev_b32 v40, 16, v40
	s_delay_alu instid0(VALU_DEP_2) | instskip(SKIP_1) | instid1(VALU_DEP_2)
	v_mul_f32_e32 v44, v44, v53
	v_dual_add_f32 v46, v49, v52 :: v_dual_and_b32 v49, 0xffff0000, v33
	v_fmac_f32_e32 v44, v40, v36
	v_lshlrev_b32_e32 v40, 16, v41
	v_dual_mul_f32 v41, v51, v57 :: v_dual_and_b32 v48, 0xffff0000, v47
	v_lshlrev_b32_e32 v47, 16, v47
	s_delay_alu instid0(VALU_DEP_2) | instskip(NEXT) | instid1(VALU_DEP_3)
	v_fmac_f32_e32 v41, v40, v37
	v_mul_f32_e32 v48, v48, v50
	s_delay_alu instid0(VALU_DEP_1) | instskip(NEXT) | instid1(VALU_DEP_1)
	v_dual_fmac_f32 v48, v47, v39 :: v_dual_and_b32 v47, 0xffff0000, v42
	v_dual_add_f32 v40, v45, v48 :: v_dual_and_b32 v45, 0xffff0000, v77
	s_delay_alu instid0(VALU_DEP_2) | instskip(NEXT) | instid1(VALU_DEP_2)
	v_dual_mul_f32 v47, v47, v58 :: v_dual_lshlrev_b32 v48, 16, v77
	v_dual_mul_f32 v45, v45, v53 :: v_dual_lshlrev_b32 v42, 16, v42
	s_delay_alu instid0(VALU_DEP_1) | instskip(NEXT) | instid1(VALU_DEP_2)
	v_fmac_f32_e32 v45, v48, v36
	v_dual_fmac_f32 v47, v42, v38 :: v_dual_add_f32 v44, v56, v44
	s_delay_alu instid0(VALU_DEP_2) | instskip(NEXT) | instid1(VALU_DEP_2)
	v_dual_add_f32 v45, v54, v45 :: v_dual_lshlrev_b32 v48, 16, v78
	v_dual_add_f32 v41, v44, v41 :: v_dual_and_b32 v44, 0xffff0000, v43
	v_lshlrev_b32_e32 v43, 16, v43
	s_delay_alu instid0(VALU_DEP_2) | instskip(SKIP_1) | instid1(VALU_DEP_2)
	v_dual_add_f32 v41, v41, v47 :: v_dual_mul_f32 v44, v44, v50
	v_and_b32_e32 v47, 0xffff0000, v75
	v_dual_fmac_f32 v44, v43, v39 :: v_dual_and_b32 v43, 0xffff0000, v32
	s_delay_alu instid0(VALU_DEP_2) | instskip(NEXT) | instid1(VALU_DEP_2)
	v_dual_mul_f32 v47, v47, v58 :: v_dual_lshlrev_b32 v32, 16, v32
	v_add_f32_e32 v41, v41, v44
	s_delay_alu instid0(VALU_DEP_3) | instskip(NEXT) | instid1(VALU_DEP_1)
	v_dual_mul_f32 v43, v43, v53 :: v_dual_and_b32 v42, 0xffff0000, v78
	v_dual_fmac_f32 v43, v32, v36 :: v_dual_mul_f32 v42, v42, v57
	v_lshlrev_b32_e32 v32, 16, v33
	v_dual_mul_f32 v33, v49, v57 :: v_dual_and_b32 v36, 0xffff0000, v34
	s_delay_alu instid0(VALU_DEP_3) | instskip(NEXT) | instid1(VALU_DEP_2)
	v_dual_add_f32 v43, v46, v43 :: v_dual_fmac_f32 v42, v48, v37
	v_dual_fmac_f32 v33, v32, v37 :: v_dual_lshlrev_b32 v48, 16, v75
	v_lshlrev_b32_e32 v32, 16, v34
	s_delay_alu instid0(VALU_DEP_4) | instskip(NEXT) | instid1(VALU_DEP_4)
	v_mul_f32_e32 v34, v36, v58
	v_dual_add_f32 v42, v45, v42 :: v_dual_and_b32 v45, 0xffff0000, v76
	s_delay_alu instid0(VALU_DEP_4) | instskip(NEXT) | instid1(VALU_DEP_3)
	v_fmac_f32_e32 v47, v48, v38
	v_dual_add_f32 v33, v43, v33 :: v_dual_fmac_f32 v34, v32, v38
	s_waitcnt vmcnt(1)
	v_and_b32_e32 v43, 0xffff0000, v21
	v_dual_mul_f32 v37, v45, v50 :: v_dual_lshlrev_b32 v36, 16, v76
	v_dual_add_f32 v32, v42, v47 :: v_dual_lshlrev_b32 v21, 16, v21
	v_dual_add_f32 v33, v33, v34 :: v_dual_and_b32 v42, 0xffff0000, v29
	s_delay_alu instid0(VALU_DEP_3) | instskip(SKIP_3) | instid1(VALU_DEP_4)
	v_dual_fmac_f32 v37, v36, v39 :: v_dual_and_b32 v36, 0xffff0000, v28
	v_and_b32_e32 v38, 0xffff0000, v20
	v_lshlrev_b32_e32 v28, 16, v28
	v_lshlrev_b32_e32 v20, 16, v20
	v_add_f32_e32 v32, v32, v37
	s_delay_alu instid0(VALU_DEP_4) | instskip(NEXT) | instid1(VALU_DEP_1)
	v_mul_f32_e32 v36, v36, v38
	v_fmac_f32_e32 v36, v28, v20
	v_dual_mul_f32 v29, v42, v43 :: v_dual_lshlrev_b32 v28, 16, v29
	v_and_b32_e32 v34, 0xffff0000, v35
	v_lshlrev_b32_e32 v35, 16, v35
	s_delay_alu instid0(VALU_DEP_2) | instskip(SKIP_1) | instid1(VALU_DEP_2)
	v_dual_fmac_f32 v29, v28, v21 :: v_dual_mul_f32 v34, v34, v50
	v_lshlrev_b32_e32 v28, 16, v30
	v_dual_fmac_f32 v34, v35, v39 :: v_dual_and_b32 v39, 0xffff0000, v22
	v_and_b32_e32 v35, 0xffff0000, v30
	v_lshlrev_b32_e32 v22, 16, v22
	s_delay_alu instid0(VALU_DEP_3) | instskip(SKIP_1) | instid1(VALU_DEP_4)
	v_dual_add_f32 v36, v40, v36 :: v_dual_add_f32 v33, v33, v34
	v_and_b32_e32 v34, 0xffff0000, v31
	v_dual_mul_f32 v30, v35, v39 :: v_dual_and_b32 v35, 0xffff0000, v24
	v_lshlrev_b32_e32 v24, 16, v24
	v_lshlrev_b32_e32 v31, 16, v31
	v_add_f32_e32 v29, v36, v29
	s_delay_alu instid0(VALU_DEP_4) | instskip(SKIP_1) | instid1(VALU_DEP_1)
	v_fmac_f32_e32 v30, v28, v22
	v_dual_mul_f32 v28, v35, v38 :: v_dual_and_b32 v35, 0xffff0000, v25
	v_fmac_f32_e32 v28, v24, v20
	s_delay_alu instid0(VALU_DEP_2) | instskip(NEXT) | instid1(VALU_DEP_2)
	v_dual_mul_f32 v25, v35, v43 :: v_dual_lshlrev_b32 v24, 16, v25
	v_dual_add_f32 v28, v41, v28 :: v_dual_and_b32 v35, 0xffff0000, v26
	s_delay_alu instid0(VALU_DEP_2) | instskip(NEXT) | instid1(VALU_DEP_1)
	v_dual_fmac_f32 v25, v24, v21 :: v_dual_lshlrev_b32 v24, 16, v26
	v_dual_mul_f32 v26, v35, v39 :: v_dual_add_f32 v25, v28, v25
	v_lshlrev_b32_e32 v28, 16, v73
	s_delay_alu instid0(VALU_DEP_2)
	v_fmac_f32_e32 v26, v24, v22
	v_and_b32_e32 v24, 0xffff0000, v27
	v_lshlrev_b32_e32 v27, 16, v27
	v_dual_add_f32 v29, v29, v30 :: v_dual_and_b32 v36, 0xffff0000, v23
	v_lshlrev_b32_e32 v23, 16, v23
	v_dual_add_f32 v25, v25, v26 :: v_dual_and_b32 v30, 0xffff0000, v73
	v_lshlrev_b32_e32 v26, 16, v74
	s_delay_alu instid0(VALU_DEP_4) | instskip(NEXT) | instid1(VALU_DEP_3)
	v_mul_f32_e32 v34, v34, v36
	v_mul_f32_e32 v30, v30, v38
	s_delay_alu instid0(VALU_DEP_2) | instskip(NEXT) | instid1(VALU_DEP_2)
	v_dual_fmac_f32 v34, v31, v23 :: v_dual_and_b32 v31, 0xffff0000, v74
	v_fmac_f32_e32 v30, v28, v20
	s_delay_alu instid0(VALU_DEP_2) | instskip(NEXT) | instid1(VALU_DEP_1)
	v_dual_mul_f32 v28, v31, v43 :: v_dual_lshlrev_b32 v31, 16, v72
	v_fmac_f32_e32 v28, v26, v21
	v_and_b32_e32 v26, 0xffff0000, v16
	v_lshlrev_b32_e32 v16, 16, v16
	s_delay_alu instid0(VALU_DEP_2) | instskip(NEXT) | instid1(VALU_DEP_1)
	v_mul_f32_e32 v26, v26, v38
	v_fmac_f32_e32 v26, v16, v20
	v_lshlrev_b32_e32 v16, 16, v17
	s_delay_alu instid0(VALU_DEP_2) | instskip(SKIP_1) | instid1(VALU_DEP_1)
	v_add_f32_e32 v26, v33, v26
	v_mul_f32_e32 v24, v24, v36
	v_dual_fmac_f32 v24, v27, v23 :: v_dual_add_f32 v27, v29, v34
	v_dual_add_f32 v29, v32, v30 :: v_dual_and_b32 v30, 0xffff0000, v71
	s_delay_alu instid0(VALU_DEP_2) | instskip(NEXT) | instid1(VALU_DEP_2)
	v_dual_add_f32 v24, v25, v24 :: v_dual_lshlrev_b32 v25, 16, v71
	v_mul_f32_e32 v30, v30, v39
	s_delay_alu instid0(VALU_DEP_1) | instskip(NEXT) | instid1(VALU_DEP_1)
	v_dual_fmac_f32 v30, v25, v22 :: v_dual_and_b32 v25, 0xffff0000, v17
	v_mul_f32_e32 v17, v25, v43
	v_and_b32_e32 v25, 0xffff0000, v18
	s_delay_alu instid0(VALU_DEP_2) | instskip(SKIP_1) | instid1(VALU_DEP_2)
	v_fmac_f32_e32 v17, v16, v21
	v_and_b32_e32 v21, 0xffff0000, v12
	v_add_f32_e32 v17, v26, v17
	s_waitcnt vmcnt(0)
	v_and_b32_e32 v26, 0xffff0000, v1
	v_lshlrev_b32_e32 v1, 16, v1
	v_lshlrev_b32_e32 v16, 16, v18
	v_dual_mul_f32 v18, v25, v39 :: v_dual_and_b32 v25, 0xffff0000, v0
	v_lshlrev_b32_e32 v12, 16, v12
	v_lshlrev_b32_e32 v0, 16, v0
	s_delay_alu instid0(VALU_DEP_3) | instskip(NEXT) | instid1(VALU_DEP_4)
	v_fmac_f32_e32 v18, v16, v22
	v_dual_mul_f32 v16, v21, v25 :: v_dual_and_b32 v21, 0xffff0000, v19
	v_and_b32_e32 v22, 0xffff0000, v13
	v_dual_add_f32 v28, v29, v28 :: v_dual_lshlrev_b32 v19, 16, v19
	s_delay_alu instid0(VALU_DEP_3) | instskip(NEXT) | instid1(VALU_DEP_3)
	v_fmac_f32_e32 v16, v12, v0
	v_dual_mul_f32 v13, v22, v26 :: v_dual_lshlrev_b32 v12, 16, v13
	s_delay_alu instid0(VALU_DEP_3) | instskip(SKIP_1) | instid1(VALU_DEP_3)
	v_dual_mul_f32 v21, v21, v36 :: v_dual_add_f32 v20, v28, v30
	v_and_b32_e32 v22, 0xffff0000, v14
	v_dual_fmac_f32 v13, v12, v1 :: v_dual_and_b32 v28, 0xffff0000, v2
	v_lshlrev_b32_e32 v12, 16, v14
	s_delay_alu instid0(VALU_DEP_4) | instskip(NEXT) | instid1(VALU_DEP_3)
	v_dual_fmac_f32 v21, v19, v23 :: v_dual_lshlrev_b32 v2, 16, v2
	v_dual_mul_f32 v14, v22, v28 :: v_dual_lshlrev_b32 v19, 16, v67
	v_dual_add_f32 v16, v27, v16 :: v_dual_add_f32 v17, v17, v18
	s_delay_alu instid0(VALU_DEP_2) | instskip(NEXT) | instid1(VALU_DEP_2)
	v_dual_fmac_f32 v14, v12, v2 :: v_dual_and_b32 v29, 0xffff0000, v72
	v_add_f32_e32 v13, v16, v13
	s_delay_alu instid0(VALU_DEP_3) | instskip(SKIP_1) | instid1(VALU_DEP_4)
	v_add_f32_e32 v16, v17, v21
	v_and_b32_e32 v17, 0xffff0000, v9
	v_mul_f32_e32 v29, v29, v36
	s_delay_alu instid0(VALU_DEP_4) | instskip(NEXT) | instid1(VALU_DEP_2)
	v_dual_add_f32 v13, v13, v14 :: v_dual_and_b32 v18, 0xffff0000, v8
	v_dual_fmac_f32 v29, v31, v23 :: v_dual_lshlrev_b32 v8, 16, v8
	v_and_b32_e32 v14, 0xffff0000, v15
	s_delay_alu instid0(VALU_DEP_3) | instskip(SKIP_1) | instid1(VALU_DEP_2)
	v_dual_mul_f32 v12, v18, v25 :: v_dual_lshlrev_b32 v15, 16, v15
	v_and_b32_e32 v18, 0xffff0000, v3
	v_dual_fmac_f32 v12, v8, v0 :: v_dual_lshlrev_b32 v3, 16, v3
	v_dual_mul_f32 v9, v17, v26 :: v_dual_lshlrev_b32 v8, 16, v9
	v_and_b32_e32 v17, 0xffff0000, v10
	s_delay_alu instid0(VALU_DEP_4) | instskip(NEXT) | instid1(VALU_DEP_4)
	v_mul_f32_e32 v14, v14, v18
	v_add_f32_e32 v12, v24, v12
	s_delay_alu instid0(VALU_DEP_4) | instskip(NEXT) | instid1(VALU_DEP_4)
	v_dual_fmac_f32 v9, v8, v1 :: v_dual_lshlrev_b32 v8, 16, v10
	v_dual_mul_f32 v10, v17, v28 :: v_dual_and_b32 v17, 0xffff0000, v69
	s_delay_alu instid0(VALU_DEP_2) | instskip(SKIP_1) | instid1(VALU_DEP_3)
	v_dual_fmac_f32 v14, v15, v3 :: v_dual_add_f32 v9, v12, v9
	v_and_b32_e32 v15, 0xffff0000, v70
	v_fmac_f32_e32 v10, v8, v2
	v_lshlrev_b32_e32 v8, 16, v69
	v_dual_mul_f32 v12, v17, v25 :: v_dual_and_b32 v17, 0xffff0000, v4
	s_delay_alu instid0(VALU_DEP_3) | instskip(SKIP_1) | instid1(VALU_DEP_3)
	v_dual_add_f32 v20, v20, v29 :: v_dual_add_f32 v9, v9, v10
	v_dual_mul_f32 v15, v15, v26 :: v_dual_lshlrev_b32 v4, 16, v4
	v_dual_mul_f32 v17, v17, v25 :: v_dual_fmac_f32 v12, v8, v0
	v_lshlrev_b32_e32 v8, 16, v70
	v_and_b32_e32 v10, 0xffff0000, v11
	v_lshlrev_b32_e32 v11, 16, v11
	s_delay_alu instid0(VALU_DEP_4)
	v_fmac_f32_e32 v17, v4, v0
	v_add_f32_e32 v12, v20, v12
	v_and_b32_e32 v20, 0xffff0000, v5
	v_lshlrev_b32_e32 v0, 16, v5
	v_and_b32_e32 v5, 0xffff0000, v6
	v_fmac_f32_e32 v15, v8, v1
	v_add_f32_e32 v16, v16, v17
	v_mul_f32_e32 v4, v20, v26
	v_and_b32_e32 v8, 0xffff0000, v67
	v_mul_f32_e32 v10, v10, v18
	v_dual_add_f32 v12, v12, v15 :: v_dual_and_b32 v15, 0xffff0000, v68
	s_delay_alu instid0(VALU_DEP_4) | instskip(SKIP_3) | instid1(VALU_DEP_4)
	v_fmac_f32_e32 v4, v0, v1
	v_dual_mul_f32 v1, v5, v28 :: v_dual_lshlrev_b32 v0, 16, v6
	v_and_b32_e32 v6, 0xffff0000, v7
	v_lshlrev_b32_e32 v5, 16, v68
	v_dual_add_f32 v4, v16, v4 :: v_dual_mul_f32 v15, v15, v18
	s_delay_alu instid0(VALU_DEP_4) | instskip(SKIP_1) | instid1(VALU_DEP_3)
	v_dual_fmac_f32 v1, v0, v2 :: v_dual_lshlrev_b32 v0, 16, v7
	v_dual_fmac_f32 v10, v11, v3 :: v_dual_add_f32 v93, v13, v14
	v_fmac_f32_e32 v15, v5, v3
	s_delay_alu instid0(VALU_DEP_3) | instskip(SKIP_1) | instid1(VALU_DEP_4)
	v_add_f32_e32 v1, v4, v1
	v_mul_f32_e32 v8, v8, v28
	v_add_f32_e32 v92, v9, v10
	s_delay_alu instid0(VALU_DEP_2) | instskip(SKIP_1) | instid1(VALU_DEP_2)
	v_fmac_f32_e32 v8, v19, v2
	v_mul_f32_e32 v2, v6, v18
	v_add_f32_e32 v6, v12, v8
	s_delay_alu instid0(VALU_DEP_2) | instskip(NEXT) | instid1(VALU_DEP_1)
	v_fmac_f32_e32 v2, v0, v3
	v_dual_add_f32 v91, v6, v15 :: v_dual_add_f32 v90, v1, v2
	s_cbranch_scc1 .LBB248_25
.LBB248_20:                             ;   Parent Loop BB248_14 Depth=1
                                        ; =>  This Inner Loop Header: Depth=2
	v_add_nc_u32_e32 v8, s23, v83
	v_dual_mov_b32 v68, 0 :: v_dual_mov_b32 v11, 0
	v_dual_mov_b32 v70, 0 :: v_dual_mov_b32 v9, 0
	s_delay_alu instid0(VALU_DEP_3) | instskip(SKIP_3) | instid1(VALU_DEP_4)
	v_min_u32_e32 v65, s15, v8
	v_add_nc_u32_e32 v98, 0x100, v8
	v_add_nc_u32_e32 v95, 0x200, v8
	v_dual_mov_b32 v67, 0 :: v_dual_add_nc_u32 v94, 0x300, v8
	v_lshlrev_b64 v[0:1], 1, v[65:66]
	s_delay_alu instid0(VALU_DEP_4) | instskip(SKIP_2) | instid1(VALU_DEP_3)
	v_min_u32_e32 v65, s15, v98
	v_dual_mov_b32 v10, 0 :: v_dual_mov_b32 v15, 0
	v_dual_mov_b32 v14, 0 :: v_dual_mov_b32 v19, 0
	v_lshlrev_b64 v[2:3], 1, v[65:66]
	v_min_u32_e32 v65, s15, v95
	v_add_co_u32 v0, vcc_lo, v88, v0
	v_add_co_ci_u32_e32 v1, vcc_lo, v89, v1, vcc_lo
	s_delay_alu instid0(VALU_DEP_3) | instskip(SKIP_3) | instid1(VALU_DEP_3)
	v_lshlrev_b64 v[4:5], 1, v[65:66]
	v_min_u32_e32 v65, s15, v94
	v_add_co_u32 v2, vcc_lo, v88, v2
	v_add_co_ci_u32_e32 v3, vcc_lo, v89, v3, vcc_lo
	v_lshlrev_b64 v[6:7], 1, v[65:66]
	v_add_co_u32 v4, vcc_lo, v88, v4
	v_add_co_ci_u32_e32 v5, vcc_lo, v89, v5, vcc_lo
	v_dual_mov_b32 v12, 0 :: v_dual_mov_b32 v17, 0
	s_delay_alu instid0(VALU_DEP_4)
	v_add_co_u32 v6, vcc_lo, v88, v6
	v_add_co_ci_u32_e32 v7, vcc_lo, v89, v7, vcc_lo
	s_clause 0x3
	global_load_b128 v[52:55], v[0:1], off slc dlc
	global_load_b128 v[36:39], v[2:3], off slc dlc
	;; [unrolled: 1-line block ×4, first 2 shown]
	v_mov_b32_e32 v7, 0
	v_cmp_gt_u32_e32 vcc_lo, s4, v8
	v_dual_mov_b32 v6, 0 :: v_dual_mov_b32 v5, 0
	v_dual_mov_b32 v4, 0 :: v_dual_mov_b32 v69, 0
	;; [unrolled: 1-line block ×25, first 2 shown]
	v_mov_b32_e32 v62, 0
	v_mov_b32_e32 v60, 0
	s_and_saveexec_b32 s24, vcc_lo
	s_cbranch_execz .LBB248_19
; %bb.21:                               ;   in Loop: Header=BB248_20 Depth=2
	v_dual_mov_b32 v44, 0 :: v_dual_add_nc_u32 v65, s6, v87
	v_dual_mov_b32 v46, 0 :: v_dual_add_nc_u32 v97, s14, v87
	;; [unrolled: 1-line block ×3, first 2 shown]
	ds_load_b128 v[60:63], v87
	ds_load_b128 v[56:59], v65
	ds_load_2addr_b32 v[81:82], v97 offset1:1
	ds_load_2addr_b32 v[79:80], v97 offset0:2 offset1:3
	ds_load_b128 v[48:51], v96
	v_cmp_gt_u32_e32 vcc_lo, s4, v98
	v_dual_mov_b32 v47, 0 :: v_dual_mov_b32 v40, 0
	v_dual_mov_b32 v41, 0 :: v_dual_mov_b32 v42, 0
	;; [unrolled: 1-line block ×22, first 2 shown]
	v_mov_b32_e32 v7, 0
	s_and_saveexec_b32 s25, vcc_lo
	s_cbranch_execz .LBB248_18
; %bb.22:                               ;   in Loop: Header=BB248_20 Depth=2
	ds_load_b128 v[44:47], v87 offset:512
	ds_load_b128 v[40:43], v65 offset:512
	ds_load_2addr_b32 v[77:78], v97 offset0:128 offset1:129
	ds_load_2addr_b32 v[75:76], v97 offset0:130 offset1:131
	ds_load_b128 v[32:35], v96 offset:512
	v_cmp_gt_u32_e32 vcc_lo, s4, v95
	v_dual_mov_b32 v28, 0 :: v_dual_mov_b32 v29, 0
	v_dual_mov_b32 v30, 0 :: v_dual_mov_b32 v31, 0
	;; [unrolled: 1-line block ×16, first 2 shown]
	s_and_saveexec_b32 s26, vcc_lo
	s_cbranch_execz .LBB248_17
; %bb.23:                               ;   in Loop: Header=BB248_20 Depth=2
	v_dual_mov_b32 v13, 0 :: v_dual_add_nc_u32 v4, 0x400, v97
	v_dual_mov_b32 v12, 0 :: v_dual_add_nc_u32 v5, 0x408, v97
	ds_load_b128 v[28:31], v87 offset:1024
	ds_load_2addr_b32 v[73:74], v4 offset1:1
	ds_load_2addr_b32 v[71:72], v5 offset1:1
	ds_load_b128 v[24:27], v65 offset:1024
	ds_load_b128 v[16:19], v96 offset:1024
	v_dual_mov_b32 v14, 0 :: v_dual_mov_b32 v15, 0
	v_dual_mov_b32 v8, 0 :: v_dual_mov_b32 v9, 0
	;; [unrolled: 1-line block ×7, first 2 shown]
	s_mov_b32 s27, exec_lo
	v_cmpx_gt_u32_e64 s4, v94
	s_cbranch_execz .LBB248_16
; %bb.24:                               ;   in Loop: Header=BB248_20 Depth=2
	v_add_nc_u32_e32 v4, 0x600, v97
	v_add_nc_u32_e32 v5, 0x608, v97
	ds_load_b128 v[12:15], v87 offset:1536
	ds_load_2addr_b32 v[69:70], v4 offset1:1
	ds_load_2addr_b32 v[67:68], v5 offset1:1
	ds_load_b128 v[8:11], v65 offset:1536
	ds_load_b128 v[4:7], v96 offset:1536
	s_branch .LBB248_16
.LBB248_25:                             ;   in Loop: Header=BB248_14 Depth=1
	; sched_barrier mask(0x00000000)
	s_delay_alu instid0(VALU_DEP_1)
	v_cvt_i32_f32_e32 v0, v93
	s_waitcnt lgkmcnt(0)
	v_cvt_i32_f32_e32 v1, v92
	v_cvt_i32_f32_e32 v2, v91
	;; [unrolled: 1-line block ×3, first 2 shown]
	v_cvt_f32_i32_dpp v0, v0 row_shr:8 row_mask:0xf bank_mask:0xf bound_ctrl:1
	s_delay_alu instid0(VALU_DEP_4) | instskip(NEXT) | instid1(VALU_DEP_4)
	v_cvt_f32_i32_dpp v1, v1 row_shr:8 row_mask:0xf bank_mask:0xf bound_ctrl:1
	v_cvt_f32_i32_dpp v2, v2 row_shr:8 row_mask:0xf bank_mask:0xf bound_ctrl:1
	s_delay_alu instid0(VALU_DEP_4) | instskip(NEXT) | instid1(VALU_DEP_3)
	v_cvt_f32_i32_dpp v3, v3 row_shr:8 row_mask:0xf bank_mask:0xf bound_ctrl:1
	v_dual_add_f32 v0, v93, v0 :: v_dual_add_f32 v1, v92, v1
	s_delay_alu instid0(VALU_DEP_2) | instskip(NEXT) | instid1(VALU_DEP_2)
	v_dual_add_f32 v2, v91, v2 :: v_dual_add_f32 v3, v90, v3
	v_cvt_i32_f32_e32 v4, v0
	s_delay_alu instid0(VALU_DEP_3) | instskip(NEXT) | instid1(VALU_DEP_3)
	v_cvt_i32_f32_e32 v5, v1
	v_cvt_i32_f32_e32 v6, v2
	s_delay_alu instid0(VALU_DEP_4) | instskip(NEXT) | instid1(VALU_DEP_4)
	v_cvt_i32_f32_e32 v7, v3
	v_cvt_f32_i32_dpp v4, v4 row_shr:4 row_mask:0xf bank_mask:0xf bound_ctrl:1
	s_delay_alu instid0(VALU_DEP_4) | instskip(NEXT) | instid1(VALU_DEP_4)
	v_cvt_f32_i32_dpp v5, v5 row_shr:4 row_mask:0xf bank_mask:0xf bound_ctrl:1
	v_cvt_f32_i32_dpp v6, v6 row_shr:4 row_mask:0xf bank_mask:0xf bound_ctrl:1
	s_delay_alu instid0(VALU_DEP_4) | instskip(NEXT) | instid1(VALU_DEP_3)
	v_cvt_f32_i32_dpp v7, v7 row_shr:4 row_mask:0xf bank_mask:0xf bound_ctrl:1
	v_dual_add_f32 v0, v0, v4 :: v_dual_add_f32 v1, v1, v5
	s_delay_alu instid0(VALU_DEP_2) | instskip(NEXT) | instid1(VALU_DEP_2)
	v_dual_add_f32 v2, v2, v6 :: v_dual_add_f32 v3, v3, v7
	v_cvt_i32_f32_e32 v4, v0
	s_delay_alu instid0(VALU_DEP_3) | instskip(NEXT) | instid1(VALU_DEP_3)
	v_cvt_i32_f32_e32 v5, v1
	v_cvt_i32_f32_e32 v6, v2
	s_delay_alu instid0(VALU_DEP_4) | instskip(NEXT) | instid1(VALU_DEP_4)
	v_cvt_i32_f32_e32 v7, v3
	v_cvt_f32_i32_dpp v4, v4 row_shr:2 row_mask:0xf bank_mask:0xf bound_ctrl:1
	s_delay_alu instid0(VALU_DEP_4) | instskip(NEXT) | instid1(VALU_DEP_4)
	v_cvt_f32_i32_dpp v5, v5 row_shr:2 row_mask:0xf bank_mask:0xf bound_ctrl:1
	v_cvt_f32_i32_dpp v6, v6 row_shr:2 row_mask:0xf bank_mask:0xf bound_ctrl:1
	s_delay_alu instid0(VALU_DEP_4) | instskip(NEXT) | instid1(VALU_DEP_3)
	v_cvt_f32_i32_dpp v7, v7 row_shr:2 row_mask:0xf bank_mask:0xf bound_ctrl:1
	v_dual_add_f32 v0, v0, v4 :: v_dual_add_f32 v1, v1, v5
	s_delay_alu instid0(VALU_DEP_2) | instskip(NEXT) | instid1(VALU_DEP_2)
	v_dual_add_f32 v2, v2, v6 :: v_dual_add_f32 v3, v3, v7
	v_cvt_i32_f32_e32 v4, v0
	s_delay_alu instid0(VALU_DEP_3) | instskip(NEXT) | instid1(VALU_DEP_3)
	v_cvt_i32_f32_e32 v5, v1
	v_cvt_i32_f32_e32 v6, v2
	s_delay_alu instid0(VALU_DEP_4) | instskip(NEXT) | instid1(VALU_DEP_4)
	v_cvt_i32_f32_e32 v7, v3
	v_cvt_f32_i32_dpp v4, v4 row_shr:1 row_mask:0xf bank_mask:0xf bound_ctrl:1
	s_delay_alu instid0(VALU_DEP_4) | instskip(NEXT) | instid1(VALU_DEP_4)
	v_cvt_f32_i32_dpp v5, v5 row_shr:1 row_mask:0xf bank_mask:0xf bound_ctrl:1
	v_cvt_f32_i32_dpp v6, v6 row_shr:1 row_mask:0xf bank_mask:0xf bound_ctrl:1
	s_delay_alu instid0(VALU_DEP_4) | instskip(NEXT) | instid1(VALU_DEP_3)
	v_cvt_f32_i32_dpp v7, v7 row_shr:1 row_mask:0xf bank_mask:0xf bound_ctrl:1
	v_dual_add_f32 v8, v0, v4 :: v_dual_add_f32 v5, v1, v5
	s_delay_alu instid0(VALU_DEP_3) | instskip(NEXT) | instid1(VALU_DEP_3)
	v_add_f32_e32 v2, v2, v6
	v_add_f32_e32 v0, v3, v7
	ds_bpermute_b32 v9, v85, v8
	ds_bpermute_b32 v6, v85, v5
	;; [unrolled: 1-line block ×4, first 2 shown]
	s_and_saveexec_b32 s23, s0
	s_cbranch_execz .LBB248_13
; %bb.26:                               ;   in Loop: Header=BB248_14 Depth=1
	v_dual_mov_b32 v4, 0 :: v_dual_mov_b32 v7, 0
	v_dual_mov_b32 v10, 0 :: v_dual_mov_b32 v11, 0
	s_and_not1_b32 vcc_lo, exec_lo, s19
	s_cbranch_vccnz .LBB248_28
; %bb.27:                               ;   in Loop: Header=BB248_14 Depth=1
	v_mul_hi_u32 v4, v64, v86
	v_mov_b32_e32 v11, v66
	s_delay_alu instid0(VALU_DEP_2) | instskip(NEXT) | instid1(VALU_DEP_1)
	v_mul_lo_u32 v4, v4, s2
	v_sub_nc_u32_e32 v4, v64, v4
	s_delay_alu instid0(VALU_DEP_1) | instskip(SKIP_1) | instid1(VALU_DEP_2)
	v_subrev_nc_u32_e32 v7, s2, v4
	v_cmp_le_u32_e32 vcc_lo, s2, v4
	v_cndmask_b32_e32 v4, v4, v7, vcc_lo
	s_delay_alu instid0(VALU_DEP_1) | instskip(SKIP_1) | instid1(VALU_DEP_2)
	v_subrev_nc_u32_e32 v7, s2, v4
	v_cmp_le_u32_e32 vcc_lo, s2, v4
	v_cndmask_b32_e32 v65, v4, v7, vcc_lo
	s_delay_alu instid0(VALU_DEP_1) | instskip(SKIP_3) | instid1(VALU_DEP_4)
	v_dual_mov_b32 v13, v66 :: v_dual_add_nc_u32 v10, s20, v65
	v_lshlrev_b64 v[14:15], 1, v[65:66]
	v_add_nc_u32_e32 v12, s21, v65
	v_add_nc_u32_e32 v65, s22, v65
	v_lshlrev_b64 v[10:11], 1, v[10:11]
	s_delay_alu instid0(VALU_DEP_3)
	v_lshlrev_b64 v[12:13], 1, v[12:13]
	v_add_co_u32 v14, vcc_lo, s8, v14
	v_add_co_ci_u32_e32 v15, vcc_lo, s9, v15, vcc_lo
	v_lshlrev_b64 v[16:17], 1, v[65:66]
	v_add_co_u32 v18, vcc_lo, s8, v10
	v_add_co_ci_u32_e32 v19, vcc_lo, s9, v11, vcc_lo
	v_add_co_u32 v12, vcc_lo, s8, v12
	v_add_co_ci_u32_e32 v13, vcc_lo, s9, v13, vcc_lo
	;; [unrolled: 2-line block ×3, first 2 shown]
	s_clause 0x3
	global_load_u16 v11, v[14:15], off
	global_load_u16 v10, v[18:19], off
	;; [unrolled: 1-line block ×4, first 2 shown]
.LBB248_28:                             ;   in Loop: Header=BB248_14 Depth=1
	s_waitcnt vmcnt(3) lgkmcnt(3)
	s_delay_alu instid0(VALU_DEP_1) | instskip(NEXT) | instid1(VALU_DEP_1)
	v_dual_add_f32 v8, v8, v9 :: v_dual_lshlrev_b32 v9, 16, v11
	v_add_f32_e32 v9, v8, v9
	s_delay_alu instid0(VALU_DEP_1) | instskip(NEXT) | instid1(VALU_DEP_1)
	v_and_b32_e32 v8, 0x7f800000, v9
	v_cmp_ne_u32_e32 vcc_lo, 0x7f800000, v8
                                        ; implicit-def: $vgpr8
	s_and_saveexec_b32 s24, vcc_lo
	s_delay_alu instid0(SALU_CYCLE_1)
	s_xor_b32 s24, exec_lo, s24
; %bb.29:                               ;   in Loop: Header=BB248_14 Depth=1
	v_bfe_u32 v8, v9, 16, 1
	s_delay_alu instid0(VALU_DEP_1)
	v_add3_u32 v8, v9, v8, 0x7fff
                                        ; implicit-def: $vgpr9
; %bb.30:                               ;   in Loop: Header=BB248_14 Depth=1
	s_and_not1_saveexec_b32 s24, s24
; %bb.31:                               ;   in Loop: Header=BB248_14 Depth=1
	v_and_b32_e32 v8, 0xffff, v9
	v_or_b32_e32 v11, 0x10000, v9
	s_delay_alu instid0(VALU_DEP_2) | instskip(NEXT) | instid1(VALU_DEP_2)
	v_cmp_eq_u32_e32 vcc_lo, 0, v8
	v_cndmask_b32_e32 v8, v11, v9, vcc_lo
; %bb.32:                               ;   in Loop: Header=BB248_14 Depth=1
	s_or_b32 exec_lo, exec_lo, s24
	s_waitcnt lgkmcnt(2)
	v_add_f32_e32 v5, v5, v6
	s_waitcnt vmcnt(2)
	v_dual_mov_b32 v65, v66 :: v_dual_lshlrev_b32 v6, 16, v10
	s_delay_alu instid0(VALU_DEP_1) | instskip(NEXT) | instid1(VALU_DEP_2)
	v_add_f32_e32 v6, v5, v6
	v_lshlrev_b64 v[9:10], 1, v[64:65]
	s_delay_alu instid0(VALU_DEP_2) | instskip(NEXT) | instid1(VALU_DEP_2)
	v_and_b32_e32 v5, 0x7f800000, v6
	v_add_co_u32 v9, vcc_lo, s10, v9
	s_delay_alu instid0(VALU_DEP_3) | instskip(NEXT) | instid1(VALU_DEP_3)
	v_add_co_ci_u32_e32 v10, vcc_lo, s11, v10, vcc_lo
	v_cmp_ne_u32_e32 vcc_lo, 0x7f800000, v5
                                        ; implicit-def: $vgpr5
	global_store_d16_hi_b16 v[9:10], v8, off
	s_and_saveexec_b32 s24, vcc_lo
	s_delay_alu instid0(SALU_CYCLE_1)
	s_xor_b32 s24, exec_lo, s24
; %bb.33:                               ;   in Loop: Header=BB248_14 Depth=1
	v_bfe_u32 v5, v6, 16, 1
	s_delay_alu instid0(VALU_DEP_1)
	v_add3_u32 v5, v6, v5, 0x7fff
                                        ; implicit-def: $vgpr6
; %bb.34:                               ;   in Loop: Header=BB248_14 Depth=1
	s_and_not1_saveexec_b32 s24, s24
; %bb.35:                               ;   in Loop: Header=BB248_14 Depth=1
	v_and_b32_e32 v5, 0xffff, v6
	v_or_b32_e32 v8, 0x10000, v6
	s_delay_alu instid0(VALU_DEP_2) | instskip(NEXT) | instid1(VALU_DEP_2)
	v_cmp_eq_u32_e32 vcc_lo, 0, v5
	v_cndmask_b32_e32 v5, v8, v6, vcc_lo
; %bb.36:                               ;   in Loop: Header=BB248_14 Depth=1
	s_or_b32 exec_lo, exec_lo, s24
	s_waitcnt lgkmcnt(1)
	v_dual_add_f32 v2, v2, v3 :: v_dual_add_nc_u32 v65, s7, v64
	s_waitcnt vmcnt(1)
	v_lshlrev_b32_e32 v3, 16, v7
	s_delay_alu instid0(VALU_DEP_2) | instskip(NEXT) | instid1(VALU_DEP_2)
	v_lshlrev_b64 v[6:7], 1, v[65:66]
	v_add_f32_e32 v3, v2, v3
	s_delay_alu instid0(VALU_DEP_1) | instskip(NEXT) | instid1(VALU_DEP_3)
	v_and_b32_e32 v2, 0x7f800000, v3
	v_add_co_u32 v6, vcc_lo, s10, v6
	s_delay_alu instid0(VALU_DEP_4) | instskip(NEXT) | instid1(VALU_DEP_3)
	v_add_co_ci_u32_e32 v7, vcc_lo, s11, v7, vcc_lo
	v_cmp_ne_u32_e32 vcc_lo, 0x7f800000, v2
                                        ; implicit-def: $vgpr2
	global_store_d16_hi_b16 v[6:7], v5, off
	s_and_saveexec_b32 s24, vcc_lo
	s_delay_alu instid0(SALU_CYCLE_1)
	s_xor_b32 s24, exec_lo, s24
; %bb.37:                               ;   in Loop: Header=BB248_14 Depth=1
	v_bfe_u32 v2, v3, 16, 1
	s_delay_alu instid0(VALU_DEP_1)
	v_add3_u32 v2, v3, v2, 0x7fff
                                        ; implicit-def: $vgpr3
; %bb.38:                               ;   in Loop: Header=BB248_14 Depth=1
	s_and_not1_saveexec_b32 s24, s24
; %bb.39:                               ;   in Loop: Header=BB248_14 Depth=1
	v_and_b32_e32 v2, 0xffff, v3
	v_or_b32_e32 v5, 0x10000, v3
	s_delay_alu instid0(VALU_DEP_2) | instskip(NEXT) | instid1(VALU_DEP_2)
	v_cmp_eq_u32_e32 vcc_lo, 0, v2
	v_cndmask_b32_e32 v2, v5, v3, vcc_lo
; %bb.40:                               ;   in Loop: Header=BB248_14 Depth=1
	s_or_b32 exec_lo, exec_lo, s24
	s_waitcnt vmcnt(0) lgkmcnt(0)
	v_dual_add_f32 v0, v0, v1 :: v_dual_lshlrev_b32 v1, 16, v4
	v_add_nc_u32_e32 v65, s7, v65
	s_delay_alu instid0(VALU_DEP_2) | instskip(NEXT) | instid1(VALU_DEP_2)
	v_add_f32_e32 v1, v0, v1
	v_lshlrev_b64 v[3:4], 1, v[65:66]
	s_delay_alu instid0(VALU_DEP_2) | instskip(NEXT) | instid1(VALU_DEP_2)
	v_and_b32_e32 v0, 0x7f800000, v1
	v_add_co_u32 v3, vcc_lo, s10, v3
	s_delay_alu instid0(VALU_DEP_3) | instskip(NEXT) | instid1(VALU_DEP_3)
	v_add_co_ci_u32_e32 v4, vcc_lo, s11, v4, vcc_lo
	v_cmp_ne_u32_e32 vcc_lo, 0x7f800000, v0
                                        ; implicit-def: $vgpr0
	global_store_d16_hi_b16 v[3:4], v2, off
	s_and_saveexec_b32 s24, vcc_lo
	s_delay_alu instid0(SALU_CYCLE_1)
	s_xor_b32 s24, exec_lo, s24
; %bb.41:                               ;   in Loop: Header=BB248_14 Depth=1
	v_bfe_u32 v0, v1, 16, 1
	s_delay_alu instid0(VALU_DEP_1)
	v_add3_u32 v0, v1, v0, 0x7fff
                                        ; implicit-def: $vgpr1
; %bb.42:                               ;   in Loop: Header=BB248_14 Depth=1
	s_and_not1_saveexec_b32 s24, s24
	s_cbranch_execz .LBB248_12
; %bb.43:                               ;   in Loop: Header=BB248_14 Depth=1
	v_and_b32_e32 v0, 0xffff, v1
	v_or_b32_e32 v2, 0x10000, v1
	s_delay_alu instid0(VALU_DEP_2) | instskip(NEXT) | instid1(VALU_DEP_2)
	v_cmp_eq_u32_e32 vcc_lo, 0, v0
	v_cndmask_b32_e32 v0, v2, v1, vcc_lo
	s_branch .LBB248_12
.LBB248_44:
	s_nop 0
	s_sendmsg sendmsg(MSG_DEALLOC_VGPRS)
	s_endpgm
	.section	.rodata,"a",@progbits
	.p2align	6, 0x0
	.amdhsa_kernel _Z16wvSplitK_hf_sml_I14__hip_bfloat16Li32ELi1ELi16ELi8ELi4ELi4EEviiiiiiPKT_S3_S3_PS1_ii
		.amdhsa_group_segment_fixed_size 65536
		.amdhsa_private_segment_fixed_size 0
		.amdhsa_kernarg_size 64
		.amdhsa_user_sgpr_count 15
		.amdhsa_user_sgpr_dispatch_ptr 0
		.amdhsa_user_sgpr_queue_ptr 0
		.amdhsa_user_sgpr_kernarg_segment_ptr 1
		.amdhsa_user_sgpr_dispatch_id 0
		.amdhsa_user_sgpr_private_segment_size 0
		.amdhsa_wavefront_size32 1
		.amdhsa_uses_dynamic_stack 0
		.amdhsa_enable_private_segment 0
		.amdhsa_system_sgpr_workgroup_id_x 1
		.amdhsa_system_sgpr_workgroup_id_y 0
		.amdhsa_system_sgpr_workgroup_id_z 0
		.amdhsa_system_sgpr_workgroup_info 0
		.amdhsa_system_vgpr_workitem_id 1
		.amdhsa_next_free_vgpr 99
		.amdhsa_next_free_sgpr 28
		.amdhsa_reserve_vcc 1
		.amdhsa_float_round_mode_32 0
		.amdhsa_float_round_mode_16_64 0
		.amdhsa_float_denorm_mode_32 3
		.amdhsa_float_denorm_mode_16_64 3
		.amdhsa_dx10_clamp 1
		.amdhsa_ieee_mode 1
		.amdhsa_fp16_overflow 0
		.amdhsa_workgroup_processor_mode 1
		.amdhsa_memory_ordered 1
		.amdhsa_forward_progress 0
		.amdhsa_shared_vgpr_count 0
		.amdhsa_exception_fp_ieee_invalid_op 0
		.amdhsa_exception_fp_denorm_src 0
		.amdhsa_exception_fp_ieee_div_zero 0
		.amdhsa_exception_fp_ieee_overflow 0
		.amdhsa_exception_fp_ieee_underflow 0
		.amdhsa_exception_fp_ieee_inexact 0
		.amdhsa_exception_int_div_zero 0
	.end_amdhsa_kernel
	.section	.text._Z16wvSplitK_hf_sml_I14__hip_bfloat16Li32ELi1ELi16ELi8ELi4ELi4EEviiiiiiPKT_S3_S3_PS1_ii,"axG",@progbits,_Z16wvSplitK_hf_sml_I14__hip_bfloat16Li32ELi1ELi16ELi8ELi4ELi4EEviiiiiiPKT_S3_S3_PS1_ii,comdat
.Lfunc_end248:
	.size	_Z16wvSplitK_hf_sml_I14__hip_bfloat16Li32ELi1ELi16ELi8ELi4ELi4EEviiiiiiPKT_S3_S3_PS1_ii, .Lfunc_end248-_Z16wvSplitK_hf_sml_I14__hip_bfloat16Li32ELi1ELi16ELi8ELi4ELi4EEviiiiiiPKT_S3_S3_PS1_ii
                                        ; -- End function
	.section	.AMDGPU.csdata,"",@progbits
; Kernel info:
; codeLenInByte = 5492
; NumSgprs: 30
; NumVgprs: 99
; ScratchSize: 0
; MemoryBound: 0
; FloatMode: 240
; IeeeMode: 1
; LDSByteSize: 65536 bytes/workgroup (compile time only)
; SGPRBlocks: 3
; VGPRBlocks: 12
; NumSGPRsForWavesPerEU: 30
; NumVGPRsForWavesPerEU: 99
; Occupancy: 8
; WaveLimiterHint : 0
; COMPUTE_PGM_RSRC2:SCRATCH_EN: 0
; COMPUTE_PGM_RSRC2:USER_SGPR: 15
; COMPUTE_PGM_RSRC2:TRAP_HANDLER: 0
; COMPUTE_PGM_RSRC2:TGID_X_EN: 1
; COMPUTE_PGM_RSRC2:TGID_Y_EN: 0
; COMPUTE_PGM_RSRC2:TGID_Z_EN: 0
; COMPUTE_PGM_RSRC2:TIDIG_COMP_CNT: 1
	.section	.text._Z12wvSplitK_hf_I14__hip_bfloat16Li32ELi1ELi16ELi8ELi4ELi4EEviiiiiiPKT_S3_S3_PS1_ii,"axG",@progbits,_Z12wvSplitK_hf_I14__hip_bfloat16Li32ELi1ELi16ELi8ELi4ELi4EEviiiiiiPKT_S3_S3_PS1_ii,comdat
	.protected	_Z12wvSplitK_hf_I14__hip_bfloat16Li32ELi1ELi16ELi8ELi4ELi4EEviiiiiiPKT_S3_S3_PS1_ii ; -- Begin function _Z12wvSplitK_hf_I14__hip_bfloat16Li32ELi1ELi16ELi8ELi4ELi4EEviiiiiiPKT_S3_S3_PS1_ii
	.globl	_Z12wvSplitK_hf_I14__hip_bfloat16Li32ELi1ELi16ELi8ELi4ELi4EEviiiiiiPKT_S3_S3_PS1_ii
	.p2align	8
	.type	_Z12wvSplitK_hf_I14__hip_bfloat16Li32ELi1ELi16ELi8ELi4ELi4EEviiiiiiPKT_S3_S3_PS1_ii,@function
_Z12wvSplitK_hf_I14__hip_bfloat16Li32ELi1ELi16ELi8ELi4ELi4EEviiiiiiPKT_S3_S3_PS1_ii: ; @_Z12wvSplitK_hf_I14__hip_bfloat16Li32ELi1ELi16ELi8ELi4ELi4EEviiiiiiPKT_S3_S3_PS1_ii
; %bb.0:
	s_clause 0x1
	s_load_b64 s[18:19], s[0:1], 0x38
	s_load_b128 s[4:7], s[0:1], 0x0
	v_bfe_u32 v1, v0, 10, 10
	s_clause 0x1
	s_load_b64 s[12:13], s[0:1], 0x20
	s_load_b64 s[16:17], s[0:1], 0x10
	v_mov_b32_e32 v95, 1
	s_waitcnt lgkmcnt(0)
	v_mad_u64_u32 v[80:81], null, s15, s18, v[1:2]
	s_delay_alu instid0(VALU_DEP_1) | instskip(SKIP_1) | instid1(VALU_DEP_2)
	v_add_nc_u32_e32 v2, 1, v80
	v_cmp_gt_u32_e32 vcc_lo, s7, v80
	v_cmp_le_u32_e64 s2, s7, v2
	s_delay_alu instid0(VALU_DEP_1) | instskip(NEXT) | instid1(SALU_CYCLE_1)
	s_and_b32 s3, vcc_lo, s2
	s_and_saveexec_b32 s2, s3
; %bb.1:
	v_subrev_nc_u32_e32 v2, s7, v80
	s_add_i32 s3, s7, -1
	s_delay_alu instid0(SALU_CYCLE_1) | instskip(NEXT) | instid1(VALU_DEP_2)
	v_mov_b32_e32 v80, s3
	v_cmp_eq_u32_e32 vcc_lo, -1, v2
	v_cndmask_b32_e64 v95, 0, 1, vcc_lo
; %bb.2:
	s_or_b32 exec_lo, exec_lo, s2
	v_and_b32_e32 v0, 0x3ff, v0
	s_lshl_b32 s3, s6, 2
	s_mov_b32 s2, exec_lo
	s_min_u32 s8, s3, 0x8000
	s_delay_alu instid0(VALU_DEP_1) | instskip(NEXT) | instid1(VALU_DEP_1)
	v_lshlrev_b32_e32 v82, 3, v0
	v_lshl_add_u32 v3, v1, 8, v82
	s_delay_alu instid0(VALU_DEP_1)
	v_cmpx_gt_u32_e64 s8, v3
	s_cbranch_execz .LBB249_11
; %bb.3:
	v_lshlrev_b32_e32 v2, 1, v3
	v_add_nc_u32_e32 v8, 0x1000, v3
	s_mov_b32 s9, exec_lo
	global_load_b128 v[4:7], v2, s[12:13]
	s_waitcnt vmcnt(0)
	ds_store_b128 v2, v[4:7]
	v_cmpx_gt_u32_e64 s8, v8
	s_xor_b32 s9, exec_lo, s9
	s_cbranch_execz .LBB249_11
; %bb.4:
	v_add_co_u32 v4, s9, s12, v2
	s_delay_alu instid0(VALU_DEP_1) | instskip(SKIP_1) | instid1(VALU_DEP_3)
	v_add_co_ci_u32_e64 v5, null, s13, 0, s9
	v_add_nc_u32_e32 v10, 0x2000, v3
	v_add_co_u32 v6, vcc_lo, 0x2000, v4
	s_delay_alu instid0(VALU_DEP_3)
	v_add_co_ci_u32_e32 v7, vcc_lo, 0, v5, vcc_lo
	s_mov_b32 s9, exec_lo
	global_load_b128 v[6:9], v[6:7], off
	s_waitcnt vmcnt(0)
	ds_store_b128 v2, v[6:9] offset:8192
	v_cmpx_gt_u32_e64 s8, v10
	s_xor_b32 s9, exec_lo, s9
	s_cbranch_execz .LBB249_11
; %bb.5:
	v_add_co_u32 v6, vcc_lo, 0x4000, v4
	v_add_co_ci_u32_e32 v7, vcc_lo, 0, v5, vcc_lo
	v_add_nc_u32_e32 v10, 0x3000, v3
	s_mov_b32 s9, exec_lo
	global_load_b128 v[6:9], v[6:7], off
	s_waitcnt vmcnt(0)
	ds_store_b128 v2, v[6:9] offset:16384
	v_cmpx_gt_u32_e64 s8, v10
	s_xor_b32 s9, exec_lo, s9
	s_cbranch_execz .LBB249_11
; %bb.6:
	v_add_co_u32 v6, vcc_lo, 0x6000, v4
	v_add_co_ci_u32_e32 v7, vcc_lo, 0, v5, vcc_lo
	v_add_nc_u32_e32 v10, 0x4000, v3
	;; [unrolled: 11-line block ×5, first 2 shown]
	global_load_b128 v[6:9], v[6:7], off
	v_cmp_gt_u32_e32 vcc_lo, s8, v3
	s_waitcnt vmcnt(0)
	ds_store_b128 v2, v[6:9] offset:49152
	s_and_saveexec_b32 s8, vcc_lo
	s_delay_alu instid0(SALU_CYCLE_1)
	s_xor_b32 s8, exec_lo, s8
	s_cbranch_execz .LBB249_11
; %bb.10:
	v_add_co_u32 v3, vcc_lo, 0xe000, v4
	v_add_co_ci_u32_e32 v4, vcc_lo, 0, v5, vcc_lo
	global_load_b128 v[3:6], v[3:4], off
	s_waitcnt vmcnt(0)
	ds_store_b128 v2, v[3:6] offset:57344
.LBB249_11:
	s_or_b32 exec_lo, exec_lo, s2
	v_cmp_gt_u32_e32 vcc_lo, s18, v1
	v_cmp_gt_u32_e64 s2, s7, v80
	s_waitcnt lgkmcnt(0)
	s_barrier
	buffer_gl0_inv
	s_and_b32 s2, vcc_lo, s2
	s_delay_alu instid0(SALU_CYCLE_1)
	s_and_saveexec_b32 s8, s2
	s_cbranch_execz .LBB249_110
; %bb.12:
	s_clause 0x1
	s_load_b128 s[8:11], s[0:1], 0x28
	s_load_b64 s[14:15], s[0:1], 0x18
	s_cmp_lg_u32 s4, 0
	v_cvt_f32_u32_e32 v2, s16
	s_cselect_b32 s20, -1, 0
	s_add_i32 s21, s4, -8
	s_add_i32 s22, s7, -1
	v_mbcnt_lo_u32_b32 v3, -1, 0
	v_rcp_iflag_f32_e32 v2, v2
	s_mul_i32 s18, s19, s18
	v_cmp_eq_u32_e64 s0, 31, v0
	v_mad_u64_u32 v[85:86], null, s6, 3, v[82:83]
	v_dual_mov_b32 v84, 0 :: v_dual_add_nc_u32 v97, s6, v82
	s_waitcnt lgkmcnt(0)
	s_cmp_lg_u64 s[8:9], 0
	s_cselect_b32 s23, -1, 0
	s_abs_i32 s1, s17
	s_sub_i32 s24, s18, s7
	v_cvt_f32_u32_e32 v1, s1
	s_sub_i32 s25, 0, s1
	s_lshl_b32 s19, s6, 1
	s_sub_i32 s26, 0, s16
	s_add_i32 s24, s24, 2
	v_rcp_iflag_f32_e32 v1, v1
	s_sub_i32 s27, 1, s1
	v_add_nc_u32_e32 v99, s19, v82
	s_mov_b32 s17, 0
	s_mul_i32 s6, s6, 6
	s_waitcnt_depctr 0xfff
	v_mul_f32_e32 v1, 0x4f7ffffe, v1
	s_delay_alu instid0(VALU_DEP_1) | instskip(NEXT) | instid1(VALU_DEP_1)
	v_cvt_u32_f32_e32 v1, v1
	v_readfirstlane_b32 s2, v1
	v_xor_b32_e32 v1, 16, v3
	s_delay_alu instid0(VALU_DEP_2) | instskip(NEXT) | instid1(VALU_DEP_1)
	s_mul_i32 s25, s25, s2
	v_cmp_gt_i32_e32 vcc_lo, 32, v1
	s_mul_hi_u32 s25, s2, s25
	v_lshlrev_b32_e32 v96, 4, v0
	s_add_i32 s2, s2, s25
	s_cmp_lt_u32 s1, 2
	v_dual_cndmask_b32 v1, v3, v1 :: v_dual_mul_f32 v0, 0x4f7ffffe, v2
	s_cselect_b32 s25, s27, 1
	s_delay_alu instid0(SALU_CYCLE_1) | instskip(SKIP_1) | instid1(VALU_DEP_1)
	s_sub_i32 s27, s25, s1
	s_cmp_ge_u32 s25, s1
	v_cvt_u32_f32_e32 v0, v0
	s_cselect_b32 s25, s27, s25
	s_lshr_b32 s27, s2, 31
	s_mul_hi_u32 s2, s2, 3
	s_mul_i32 s27, s27, s1
	v_mul_lo_u32 v2, s26, v0
	s_sub_i32 s26, 2, s27
	s_mul_i32 s2, s2, s1
	s_sub_i32 s27, s26, s1
	s_cmp_ge_u32 s26, s1
	v_lshlrev_b32_e32 v98, 2, v1
	s_cselect_b32 s26, s27, s26
	s_mul_i32 s25, s25, s16
	s_sub_i32 s27, s26, s1
	s_cmp_ge_u32 s26, s1
	v_mul_hi_u32 v2, v0, v2
	s_cselect_b32 s26, s27, s26
	s_sub_i32 s2, 3, s2
	s_mul_i32 s26, s26, s16
	s_sub_i32 s27, s2, s1
	s_cmp_ge_u32 s2, s1
	s_cselect_b32 s2, s27, s2
	s_delay_alu instid0(VALU_DEP_1) | instskip(SKIP_3) | instid1(SALU_CYCLE_1)
	v_add_nc_u32_e32 v100, v0, v2
	s_sub_i32 s27, s2, s1
	s_cmp_ge_u32 s2, s1
	s_cselect_b32 s27, s27, s2
	s_mul_i32 s27, s27, s16
	s_branch .LBB249_15
.LBB249_13:                             ;   in Loop: Header=BB249_15 Depth=1
	s_or_b32 exec_lo, exec_lo, s2
	v_add_nc_u32_e32 v83, s7, v83
	s_delay_alu instid0(VALU_DEP_1) | instskip(NEXT) | instid1(VALU_DEP_1)
	v_lshlrev_b64 v[1:2], 1, v[83:84]
	v_add_co_u32 v1, vcc_lo, s10, v1
	s_delay_alu instid0(VALU_DEP_2)
	v_add_co_ci_u32_e32 v2, vcc_lo, s11, v2, vcc_lo
	global_store_d16_hi_b16 v[1:2], v0, off
.LBB249_14:                             ;   in Loop: Header=BB249_15 Depth=1
	s_or_b32 exec_lo, exec_lo, s1
	v_add_nc_u32_e32 v0, s18, v80
	s_waitcnt lgkmcnt(0)
	s_delay_alu instid0(VALU_DEP_1) | instskip(SKIP_1) | instid1(VALU_DEP_2)
	v_add_nc_u32_e32 v1, 1, v0
	v_cmp_le_u32_e32 vcc_lo, s7, v0
	v_cmp_gt_u32_e64 s1, s7, v1
	v_add_nc_u32_e32 v1, s24, v80
	s_delay_alu instid0(VALU_DEP_2) | instskip(NEXT) | instid1(VALU_DEP_1)
	s_or_b32 vcc_lo, vcc_lo, s1
	v_cmp_eq_u32_e64 s1, 1, v1
	v_cndmask_b32_e32 v80, s22, v0, vcc_lo
	s_delay_alu instid0(VALU_DEP_2) | instskip(NEXT) | instid1(VALU_DEP_1)
	s_or_b32 vcc_lo, vcc_lo, s1
	v_cmp_le_u32_e64 s2, s7, v80
	v_cndmask_b32_e32 v95, 0, v95, vcc_lo
	s_delay_alu instid0(VALU_DEP_2) | instskip(NEXT) | instid1(SALU_CYCLE_1)
	s_or_b32 s17, s2, s17
	s_and_not1_b32 exec_lo, exec_lo, s17
	s_cbranch_execz .LBB249_110
.LBB249_15:                             ; =>This Loop Header: Depth=1
                                        ;     Child Loop BB249_22 Depth 2
	v_mov_b32_e32 v103, v84
	v_mov_b32_e32 v104, v84
	;; [unrolled: 1-line block ×4, first 2 shown]
	s_and_not1_b32 vcc_lo, exec_lo, s20
	s_cbranch_vccnz .LBB249_90
; %bb.16:                               ;   in Loop: Header=BB249_15 Depth=1
	v_min_u32_e32 v0, s22, v80
	v_dual_mov_b32 v106, 0 :: v_dual_mov_b32 v81, v96
	v_dual_mov_b32 v105, 0 :: v_dual_mov_b32 v104, 0
	s_delay_alu instid0(VALU_DEP_3) | instskip(SKIP_2) | instid1(VALU_DEP_2)
	v_mul_lo_u32 v83, v0, s5
	v_mov_b32_e32 v103, 0
	s_mov_b32 s1, 0
	v_lshlrev_b64 v[0:1], 1, v[83:84]
	s_delay_alu instid0(VALU_DEP_1) | instskip(NEXT) | instid1(VALU_DEP_2)
	v_add_co_u32 v101, vcc_lo, s14, v0
	v_add_co_ci_u32_e32 v102, vcc_lo, s15, v1, vcc_lo
	s_branch .LBB249_22
.LBB249_17:                             ;   in Loop: Header=BB249_22 Depth=2
	s_or_b32 exec_lo, exec_lo, s31
.LBB249_18:                             ;   in Loop: Header=BB249_22 Depth=2
	s_delay_alu instid0(SALU_CYCLE_1)
	s_or_b32 exec_lo, exec_lo, s30
.LBB249_19:                             ;   in Loop: Header=BB249_22 Depth=2
	s_delay_alu instid0(SALU_CYCLE_1)
	s_or_b32 exec_lo, exec_lo, s29
.LBB249_20:                             ;   in Loop: Header=BB249_22 Depth=2
	s_delay_alu instid0(SALU_CYCLE_1)
	s_or_b32 exec_lo, exec_lo, s28
.LBB249_21:                             ;   in Loop: Header=BB249_22 Depth=2
	s_delay_alu instid0(SALU_CYCLE_1)
	s_or_b32 exec_lo, exec_lo, s2
	s_waitcnt vmcnt(3)
	v_and_b32_e32 v88, 0xffff0000, v25
	v_and_b32_e32 v89, 0xffff0000, v26
	;; [unrolled: 1-line block ×3, first 2 shown]
	v_lshlrev_b32_e32 v27, 16, v27
	v_lshlrev_b32_e32 v26, 16, v26
	s_waitcnt vmcnt(0) lgkmcnt(0)
	v_and_b32_e32 v87, 0xffff0000, v33
	v_and_b32_e32 v83, 0xffff0000, v32
	v_lshlrev_b32_e32 v33, 16, v33
	v_lshlrev_b32_e32 v25, 16, v25
	s_addk_i32 s1, 0x400
	v_mul_f32_e32 v87, v87, v88
	v_and_b32_e32 v86, 0xffff0000, v24
	v_lshlrev_b32_e32 v24, 16, v24
	s_cmp_ge_u32 s1, s4
	v_add_nc_u32_e32 v81, 0x800, v81
	v_dual_fmac_f32 v87, v33, v25 :: v_dual_lshlrev_b32 v32, 16, v32
	v_mul_f32_e32 v83, v83, v86
	s_delay_alu instid0(VALU_DEP_1) | instskip(NEXT) | instid1(VALU_DEP_1)
	v_dual_fmac_f32 v83, v32, v24 :: v_dual_and_b32 v32, 0xffff0000, v34
	v_dual_add_f32 v33, v106, v83 :: v_dual_lshlrev_b32 v34, 16, v34
	s_delay_alu instid0(VALU_DEP_1) | instskip(NEXT) | instid1(VALU_DEP_1)
	v_dual_mul_f32 v32, v32, v89 :: v_dual_add_f32 v33, v33, v87
	v_dual_fmac_f32 v32, v34, v26 :: v_dual_and_b32 v87, 0xffff0000, v16
	v_lshlrev_b32_e32 v16, 16, v16
	s_delay_alu instid0(VALU_DEP_2) | instskip(SKIP_2) | instid1(VALU_DEP_1)
	v_add_f32_e32 v32, v33, v32
	v_lshlrev_b32_e32 v33, 16, v52
	v_and_b32_e32 v83, 0xffff0000, v35
	v_dual_mul_f32 v35, v83, v90 :: v_dual_lshlrev_b32 v34, 16, v35
	v_and_b32_e32 v83, 0xffff0000, v52
	s_delay_alu instid0(VALU_DEP_2) | instskip(NEXT) | instid1(VALU_DEP_2)
	v_dual_fmac_f32 v35, v34, v27 :: v_dual_and_b32 v52, 0xffff0000, v53
	v_dual_mul_f32 v34, v83, v87 :: v_dual_and_b32 v83, 0xffff0000, v17
	s_delay_alu instid0(VALU_DEP_2) | instskip(NEXT) | instid1(VALU_DEP_2)
	v_dual_add_f32 v32, v32, v35 :: v_dual_lshlrev_b32 v17, 16, v17
	v_dual_mul_f32 v35, v52, v83 :: v_dual_fmac_f32 v34, v33, v16
	v_lshlrev_b32_e32 v33, 16, v53
	v_and_b32_e32 v52, 0xffff0000, v54
	v_and_b32_e32 v53, 0xffff0000, v18
	v_lshlrev_b32_e32 v18, 16, v18
	s_delay_alu instid0(VALU_DEP_4) | instskip(NEXT) | instid1(VALU_DEP_3)
	v_dual_add_f32 v32, v32, v34 :: v_dual_fmac_f32 v35, v33, v17
	v_dual_mul_f32 v34, v52, v53 :: v_dual_lshlrev_b32 v33, 16, v54
	v_and_b32_e32 v52, 0xffff0000, v55
	v_and_b32_e32 v54, 0xffff0000, v19
	s_delay_alu instid0(VALU_DEP_4) | instskip(NEXT) | instid1(VALU_DEP_4)
	v_add_f32_e32 v32, v32, v35
	v_dual_fmac_f32 v34, v33, v18 :: v_dual_lshlrev_b32 v19, 16, v19
	v_lshlrev_b32_e32 v33, 16, v55
	s_delay_alu instid0(VALU_DEP_4) | instskip(NEXT) | instid1(VALU_DEP_3)
	v_dual_mul_f32 v35, v52, v54 :: v_dual_and_b32 v52, 0xffff0000, v72
	v_dual_add_f32 v32, v32, v34 :: v_dual_and_b32 v55, 0xffff0000, v12
	s_delay_alu instid0(VALU_DEP_2) | instskip(NEXT) | instid1(VALU_DEP_2)
	v_dual_fmac_f32 v35, v33, v19 :: v_dual_lshlrev_b32 v12, 16, v12
	v_dual_mul_f32 v34, v52, v55 :: v_dual_lshlrev_b32 v33, 16, v72
	v_and_b32_e32 v52, 0xffff0000, v73
	v_and_b32_e32 v72, 0xffff0000, v13
	s_delay_alu instid0(VALU_DEP_4) | instskip(NEXT) | instid1(VALU_DEP_4)
	v_dual_add_f32 v32, v32, v35 :: v_dual_lshlrev_b32 v13, 16, v13
	v_dual_fmac_f32 v34, v33, v12 :: v_dual_lshlrev_b32 v33, 16, v73
	s_delay_alu instid0(VALU_DEP_3) | instskip(SKIP_1) | instid1(VALU_DEP_3)
	v_dual_mul_f32 v35, v52, v72 :: v_dual_and_b32 v52, 0xffff0000, v74
	v_and_b32_e32 v73, 0xffff0000, v14
	v_add_f32_e32 v32, v32, v34
	s_delay_alu instid0(VALU_DEP_3) | instskip(NEXT) | instid1(VALU_DEP_3)
	v_dual_fmac_f32 v35, v33, v13 :: v_dual_lshlrev_b32 v14, 16, v14
	v_dual_mul_f32 v34, v52, v73 :: v_dual_lshlrev_b32 v33, 16, v74
	v_and_b32_e32 v52, 0xffff0000, v75
	v_and_b32_e32 v74, 0xffff0000, v15
	s_delay_alu instid0(VALU_DEP_4) | instskip(NEXT) | instid1(VALU_DEP_4)
	v_add_f32_e32 v32, v32, v35
	v_dual_fmac_f32 v34, v33, v14 :: v_dual_lshlrev_b32 v15, 16, v15
	v_lshlrev_b32_e32 v33, 16, v75
	s_delay_alu instid0(VALU_DEP_4) | instskip(NEXT) | instid1(VALU_DEP_1)
	v_dual_mul_f32 v35, v52, v74 :: v_dual_and_b32 v52, 0xffff0000, v0
	v_dual_add_f32 v32, v32, v34 :: v_dual_fmac_f32 v35, v33, v15
	v_and_b32_e32 v33, 0xffff0000, v20
	v_lshlrev_b32_e32 v20, 16, v20
	s_delay_alu instid0(VALU_DEP_2) | instskip(SKIP_1) | instid1(VALU_DEP_2)
	v_dual_add_f32 v32, v32, v35 :: v_dual_mul_f32 v33, v33, v86
	v_and_b32_e32 v35, 0xffff0000, v21
	v_dual_fmac_f32 v33, v20, v24 :: v_dual_lshlrev_b32 v20, 16, v21
	s_delay_alu instid0(VALU_DEP_2) | instskip(SKIP_1) | instid1(VALU_DEP_3)
	v_mul_f32_e32 v21, v35, v88
	v_and_b32_e32 v35, 0xffff0000, v77
	v_add_f32_e32 v33, v105, v33
	s_delay_alu instid0(VALU_DEP_3) | instskip(NEXT) | instid1(VALU_DEP_1)
	v_dual_fmac_f32 v21, v20, v25 :: v_dual_lshlrev_b32 v20, 16, v22
	v_dual_add_f32 v21, v33, v21 :: v_dual_and_b32 v34, 0xffff0000, v76
	v_and_b32_e32 v33, 0xffff0000, v40
	v_lshlrev_b32_e32 v75, 16, v76
	v_and_b32_e32 v76, 0xffff0000, v1
	s_delay_alu instid0(VALU_DEP_4) | instskip(NEXT) | instid1(VALU_DEP_2)
	v_dual_mul_f32 v34, v34, v52 :: v_dual_lshlrev_b32 v1, 16, v1
	v_mul_f32_e32 v35, v35, v76
	v_lshlrev_b32_e32 v0, 16, v0
	s_delay_alu instid0(VALU_DEP_1) | instskip(NEXT) | instid1(VALU_DEP_1)
	v_dual_fmac_f32 v34, v75, v0 :: v_dual_and_b32 v75, 0xffff0000, v23
	v_add_f32_e32 v32, v32, v34
	v_and_b32_e32 v34, 0xffff0000, v22
	s_delay_alu instid0(VALU_DEP_1) | instskip(NEXT) | instid1(VALU_DEP_1)
	v_mul_f32_e32 v22, v34, v89
	v_fmac_f32_e32 v22, v20, v26
	v_dual_mul_f32 v23, v75, v90 :: v_dual_lshlrev_b32 v20, 16, v23
	s_delay_alu instid0(VALU_DEP_2) | instskip(SKIP_1) | instid1(VALU_DEP_3)
	v_add_f32_e32 v21, v21, v22
	v_mul_f32_e32 v22, v33, v87
	v_dual_fmac_f32 v23, v20, v27 :: v_dual_lshlrev_b32 v20, 16, v40
	v_and_b32_e32 v33, 0xffff0000, v41
	s_delay_alu instid0(VALU_DEP_2) | instskip(NEXT) | instid1(VALU_DEP_3)
	v_dual_add_f32 v21, v21, v23 :: v_dual_and_b32 v40, 0xffff0000, v42
	v_fmac_f32_e32 v22, v20, v16
	v_lshlrev_b32_e32 v34, 16, v77
	s_delay_alu instid0(VALU_DEP_4) | instskip(NEXT) | instid1(VALU_DEP_3)
	v_dual_mul_f32 v23, v33, v83 :: v_dual_lshlrev_b32 v20, 16, v41
	v_add_f32_e32 v21, v21, v22
	s_delay_alu instid0(VALU_DEP_3) | instskip(NEXT) | instid1(VALU_DEP_3)
	v_dual_fmac_f32 v35, v34, v1 :: v_dual_and_b32 v34, 0xffff0000, v78
	v_dual_fmac_f32 v23, v20, v17 :: v_dual_lshlrev_b32 v20, 16, v42
	v_mul_f32_e32 v22, v40, v53
	v_and_b32_e32 v40, 0xffff0000, v43
	s_delay_alu instid0(VALU_DEP_4) | instskip(NEXT) | instid1(VALU_DEP_4)
	v_add_f32_e32 v32, v32, v35
	v_dual_add_f32 v21, v21, v23 :: v_dual_and_b32 v42, 0xffff0000, v66
	v_lshlrev_b32_e32 v33, 16, v78
	v_fmac_f32_e32 v22, v20, v18
	v_dual_mul_f32 v23, v40, v54 :: v_dual_lshlrev_b32 v20, 16, v43
	v_and_b32_e32 v35, 0xffff0000, v64
	s_delay_alu instid0(VALU_DEP_3) | instskip(NEXT) | instid1(VALU_DEP_3)
	v_add_f32_e32 v21, v21, v22
	v_dual_fmac_f32 v23, v20, v19 :: v_dual_lshlrev_b32 v20, 16, v64
	s_delay_alu instid0(VALU_DEP_3) | instskip(NEXT) | instid1(VALU_DEP_1)
	v_mul_f32_e32 v22, v35, v55
	v_dual_add_f32 v21, v21, v23 :: v_dual_fmac_f32 v22, v20, v12
	s_delay_alu instid0(VALU_DEP_1) | instskip(SKIP_2) | instid1(VALU_DEP_1)
	v_dual_add_f32 v21, v21, v22 :: v_dual_lshlrev_b32 v20, 16, v65
	v_mul_f32_e32 v22, v42, v73
	v_and_b32_e32 v35, 0xffff0000, v65
	v_dual_mul_f32 v23, v35, v72 :: v_dual_lshlrev_b32 v40, 16, v79
	v_and_b32_e32 v35, 0xffff0000, v3
	v_lshlrev_b32_e32 v3, 16, v3
	s_delay_alu instid0(VALU_DEP_3) | instskip(NEXT) | instid1(VALU_DEP_1)
	v_dual_fmac_f32 v23, v20, v13 :: v_dual_lshlrev_b32 v20, 16, v66
	v_dual_add_f32 v21, v21, v23 :: v_dual_fmac_f32 v22, v20, v14
	s_delay_alu instid0(VALU_DEP_1) | instskip(SKIP_2) | instid1(VALU_DEP_3)
	v_dual_add_f32 v21, v21, v22 :: v_dual_and_b32 v22, 0xffff0000, v68
	v_and_b32_e32 v41, 0xffff0000, v2
	v_lshlrev_b32_e32 v2, 16, v2
	v_mul_f32_e32 v22, v22, v52
	s_delay_alu instid0(VALU_DEP_3) | instskip(NEXT) | instid1(VALU_DEP_1)
	v_mul_f32_e32 v34, v34, v41
	v_dual_fmac_f32 v34, v33, v2 :: v_dual_and_b32 v33, 0xffff0000, v79
	s_delay_alu instid0(VALU_DEP_1) | instskip(SKIP_2) | instid1(VALU_DEP_2)
	v_add_f32_e32 v32, v32, v34
	v_and_b32_e32 v34, 0xffff0000, v8
	v_lshlrev_b32_e32 v8, 16, v8
	v_dual_mul_f32 v34, v34, v86 :: v_dual_mul_f32 v33, v33, v35
	s_delay_alu instid0(VALU_DEP_1) | instskip(NEXT) | instid1(VALU_DEP_2)
	v_fmac_f32_e32 v34, v8, v24
	v_dual_fmac_f32 v33, v40, v3 :: v_dual_lshlrev_b32 v40, 16, v68
	v_and_b32_e32 v23, 0xffff0000, v67
	v_lshlrev_b32_e32 v20, 16, v67
	s_delay_alu instid0(VALU_DEP_3) | instskip(NEXT) | instid1(VALU_DEP_3)
	v_add_f32_e32 v106, v32, v33
	v_dual_fmac_f32 v22, v40, v0 :: v_dual_mul_f32 v23, v23, v74
	s_delay_alu instid0(VALU_DEP_1) | instskip(NEXT) | instid1(VALU_DEP_1)
	v_dual_fmac_f32 v23, v20, v15 :: v_dual_and_b32 v20, 0xffff0000, v9
	v_dual_mul_f32 v9, v20, v88 :: v_dual_lshlrev_b32 v8, 16, v9
	s_delay_alu instid0(VALU_DEP_2) | instskip(SKIP_1) | instid1(VALU_DEP_3)
	v_dual_add_f32 v20, v21, v23 :: v_dual_and_b32 v21, 0xffff0000, v10
	v_add_f32_e32 v23, v104, v34
	v_dual_fmac_f32 v9, v8, v25 :: v_dual_lshlrev_b32 v8, 16, v10
	s_delay_alu instid0(VALU_DEP_3) | instskip(NEXT) | instid1(VALU_DEP_2)
	v_dual_mul_f32 v10, v21, v89 :: v_dual_and_b32 v21, 0xffff0000, v11
	v_dual_add_f32 v20, v20, v22 :: v_dual_add_f32 v9, v23, v9
	s_delay_alu instid0(VALU_DEP_2) | instskip(NEXT) | instid1(VALU_DEP_1)
	v_dual_fmac_f32 v10, v8, v26 :: v_dual_and_b32 v23, 0xffff0000, v36
	v_dual_add_f32 v9, v9, v10 :: v_dual_mul_f32 v10, v23, v87
	v_and_b32_e32 v23, 0xffff0000, v70
	v_dual_mul_f32 v11, v21, v90 :: v_dual_lshlrev_b32 v8, 16, v11
	v_lshlrev_b32_e32 v21, 16, v69
	s_delay_alu instid0(VALU_DEP_3) | instskip(NEXT) | instid1(VALU_DEP_3)
	v_mul_f32_e32 v23, v23, v41
	v_dual_fmac_f32 v11, v8, v27 :: v_dual_lshlrev_b32 v8, 16, v36
	s_delay_alu instid0(VALU_DEP_1) | instskip(NEXT) | instid1(VALU_DEP_1)
	v_dual_add_f32 v9, v9, v11 :: v_dual_fmac_f32 v10, v8, v16
	v_dual_add_f32 v9, v9, v10 :: v_dual_and_b32 v22, 0xffff0000, v69
	s_delay_alu instid0(VALU_DEP_1) | instskip(NEXT) | instid1(VALU_DEP_1)
	v_mul_f32_e32 v22, v22, v76
	v_fmac_f32_e32 v22, v21, v1
	v_and_b32_e32 v21, 0xffff0000, v37
	s_delay_alu instid0(VALU_DEP_1) | instskip(SKIP_1) | instid1(VALU_DEP_4)
	v_mul_f32_e32 v11, v21, v83
	v_lshlrev_b32_e32 v21, 16, v70
	v_add_f32_e32 v20, v20, v22
	v_and_b32_e32 v22, 0xffff0000, v39
	v_lshlrev_b32_e32 v8, 16, v37
	v_and_b32_e32 v34, 0xffff0000, v38
	v_fmac_f32_e32 v23, v21, v2
	v_and_b32_e32 v21, 0xffff0000, v48
	s_delay_alu instid0(VALU_DEP_4) | instskip(NEXT) | instid1(VALU_DEP_1)
	v_dual_fmac_f32 v11, v8, v17 :: v_dual_lshlrev_b32 v8, 16, v38
	v_dual_mul_f32 v10, v34, v53 :: v_dual_add_f32 v9, v9, v11
	s_delay_alu instid0(VALU_DEP_1) | instskip(NEXT) | instid1(VALU_DEP_1)
	v_fmac_f32_e32 v10, v8, v18
	v_add_f32_e32 v9, v9, v10
	v_dual_mul_f32 v11, v22, v54 :: v_dual_mul_f32 v10, v21, v55
	v_lshlrev_b32_e32 v21, 16, v71
	v_dual_add_f32 v20, v20, v23 :: v_dual_and_b32 v23, 0xffff0000, v49
	s_delay_alu instid0(VALU_DEP_1) | instskip(NEXT) | instid1(VALU_DEP_1)
	v_dual_mul_f32 v23, v23, v72 :: v_dual_lshlrev_b32 v8, 16, v39
	v_dual_fmac_f32 v11, v8, v19 :: v_dual_lshlrev_b32 v8, 16, v48
	s_delay_alu instid0(VALU_DEP_1) | instskip(SKIP_1) | instid1(VALU_DEP_3)
	v_add_f32_e32 v9, v9, v11
	v_and_b32_e32 v11, 0xffff0000, v4
	v_fmac_f32_e32 v10, v8, v12
	v_and_b32_e32 v22, 0xffff0000, v71
	v_lshlrev_b32_e32 v8, 16, v49
	s_delay_alu instid0(VALU_DEP_4) | instskip(NEXT) | instid1(VALU_DEP_4)
	v_dual_mul_f32 v11, v11, v86 :: v_dual_lshlrev_b32 v4, 16, v4
	v_dual_add_f32 v9, v9, v10 :: v_dual_and_b32 v10, 0xffff0000, v5
	s_delay_alu instid0(VALU_DEP_3) | instskip(NEXT) | instid1(VALU_DEP_3)
	v_fmac_f32_e32 v23, v8, v13
	v_dual_fmac_f32 v11, v4, v24 :: v_dual_lshlrev_b32 v4, 16, v5
	s_delay_alu instid0(VALU_DEP_3) | instskip(SKIP_1) | instid1(VALU_DEP_4)
	v_mul_f32_e32 v5, v10, v88
	v_mul_f32_e32 v8, v22, v35
	v_add_f32_e32 v9, v9, v23
	s_delay_alu instid0(VALU_DEP_4) | instskip(SKIP_3) | instid1(VALU_DEP_2)
	v_add_f32_e32 v11, v103, v11
	v_and_b32_e32 v23, 0xffff0000, v7
	v_dual_fmac_f32 v5, v4, v25 :: v_dual_and_b32 v10, 0xffff0000, v6
	v_lshlrev_b32_e32 v4, 16, v6
	v_dual_fmac_f32 v8, v21, v3 :: v_dual_add_f32 v5, v11, v5
	s_delay_alu instid0(VALU_DEP_3) | instskip(NEXT) | instid1(VALU_DEP_2)
	v_dual_mul_f32 v6, v10, v89 :: v_dual_and_b32 v11, 0xffff0000, v51
	v_add_f32_e32 v105, v20, v8
	s_delay_alu instid0(VALU_DEP_2)
	v_fmac_f32_e32 v6, v4, v26
	v_dual_mul_f32 v7, v23, v90 :: v_dual_lshlrev_b32 v4, 16, v7
	v_and_b32_e32 v22, 0xffff0000, v50
	v_and_b32_e32 v23, 0xffff0000, v29
	v_lshlrev_b32_e32 v10, 16, v50
	v_add_f32_e32 v5, v5, v6
	v_dual_fmac_f32 v7, v4, v27 :: v_dual_lshlrev_b32 v4, 16, v28
	v_dual_mul_f32 v22, v22, v73 :: v_dual_mul_f32 v11, v11, v74
	s_delay_alu instid0(VALU_DEP_2) | instskip(NEXT) | instid1(VALU_DEP_2)
	v_add_f32_e32 v5, v5, v7
	v_dual_mul_f32 v7, v23, v83 :: v_dual_fmac_f32 v22, v10, v14
	v_and_b32_e32 v10, 0xffff0000, v28
	s_delay_alu instid0(VALU_DEP_1) | instskip(NEXT) | instid1(VALU_DEP_1)
	v_mul_f32_e32 v6, v10, v87
	v_fmac_f32_e32 v6, v4, v16
	s_delay_alu instid0(VALU_DEP_1) | instskip(NEXT) | instid1(VALU_DEP_1)
	v_dual_add_f32 v5, v5, v6 :: v_dual_lshlrev_b32 v10, 16, v51
	v_dual_fmac_f32 v11, v10, v15 :: v_dual_lshlrev_b32 v4, 16, v29
	s_delay_alu instid0(VALU_DEP_1) | instskip(SKIP_1) | instid1(VALU_DEP_2)
	v_fmac_f32_e32 v7, v4, v17
	v_add_f32_e32 v9, v9, v22
	v_dual_add_f32 v5, v5, v7 :: v_dual_and_b32 v16, 0xffff0000, v30
	s_delay_alu instid0(VALU_DEP_1) | instskip(SKIP_1) | instid1(VALU_DEP_1)
	v_dual_add_f32 v9, v9, v11 :: v_dual_mul_f32 v6, v16, v53
	v_and_b32_e32 v11, 0xffff0000, v56
	v_dual_mul_f32 v11, v11, v52 :: v_dual_lshlrev_b32 v4, 16, v30
	s_delay_alu instid0(VALU_DEP_1) | instskip(NEXT) | instid1(VALU_DEP_1)
	v_fmac_f32_e32 v6, v4, v18
	v_dual_add_f32 v5, v5, v6 :: v_dual_and_b32 v10, 0xffff0000, v31
	s_delay_alu instid0(VALU_DEP_1) | instskip(NEXT) | instid1(VALU_DEP_1)
	v_dual_mul_f32 v7, v10, v54 :: v_dual_lshlrev_b32 v4, 16, v31
	v_dual_fmac_f32 v7, v4, v19 :: v_dual_lshlrev_b32 v10, 16, v56
	v_and_b32_e32 v16, 0xffff0000, v44
	s_delay_alu instid0(VALU_DEP_2) | instskip(NEXT) | instid1(VALU_DEP_3)
	v_dual_fmac_f32 v11, v10, v0 :: v_dual_and_b32 v10, 0xffff0000, v45
	v_dual_add_f32 v5, v5, v7 :: v_dual_lshlrev_b32 v4, 16, v44
	s_delay_alu instid0(VALU_DEP_2) | instskip(NEXT) | instid1(VALU_DEP_3)
	v_add_f32_e32 v9, v9, v11
	v_dual_mul_f32 v6, v16, v55 :: v_dual_mul_f32 v7, v10, v72
	v_and_b32_e32 v11, 0xffff0000, v47
	v_lshlrev_b32_e32 v10, 16, v57
	s_delay_alu instid0(VALU_DEP_3) | instskip(SKIP_2) | instid1(VALU_DEP_3)
	v_fmac_f32_e32 v6, v4, v12
	v_lshlrev_b32_e32 v4, 16, v45
	v_and_b32_e32 v12, 0xffff0000, v46
	v_add_f32_e32 v5, v5, v6
	s_delay_alu instid0(VALU_DEP_3) | instskip(SKIP_1) | instid1(VALU_DEP_4)
	v_fmac_f32_e32 v7, v4, v13
	v_and_b32_e32 v16, 0xffff0000, v57
	v_mul_f32_e32 v6, v12, v73
	s_delay_alu instid0(VALU_DEP_3) | instskip(NEXT) | instid1(VALU_DEP_3)
	v_dual_add_f32 v5, v5, v7 :: v_dual_and_b32 v12, 0xffff0000, v61
	v_dual_mul_f32 v16, v16, v76 :: v_dual_mul_f32 v7, v11, v74
	v_and_b32_e32 v11, 0xffff0000, v58
	s_delay_alu instid0(VALU_DEP_1) | instskip(NEXT) | instid1(VALU_DEP_1)
	v_dual_mul_f32 v11, v11, v41 :: v_dual_lshlrev_b32 v4, 16, v46
	v_fmac_f32_e32 v6, v4, v14
	s_delay_alu instid0(VALU_DEP_4) | instskip(NEXT) | instid1(VALU_DEP_2)
	v_fmac_f32_e32 v16, v10, v1
	v_dual_add_f32 v5, v5, v6 :: v_dual_and_b32 v10, 0xffff0000, v60
	s_delay_alu instid0(VALU_DEP_2) | instskip(NEXT) | instid1(VALU_DEP_2)
	v_add_f32_e32 v9, v9, v16
	v_mul_f32_e32 v6, v10, v52
	v_lshlrev_b32_e32 v10, 16, v58
	s_delay_alu instid0(VALU_DEP_1) | instskip(NEXT) | instid1(VALU_DEP_1)
	v_dual_fmac_f32 v11, v10, v2 :: v_dual_lshlrev_b32 v4, 16, v47
	v_fmac_f32_e32 v7, v4, v15
	s_delay_alu instid0(VALU_DEP_1) | instskip(NEXT) | instid1(VALU_DEP_1)
	v_dual_add_f32 v5, v5, v7 :: v_dual_lshlrev_b32 v4, 16, v60
	v_dual_fmac_f32 v6, v4, v0 :: v_dual_and_b32 v7, 0xffff0000, v62
	v_lshlrev_b32_e32 v0, 16, v61
	v_mul_f32_e32 v4, v12, v76
	s_delay_alu instid0(VALU_DEP_1) | instskip(NEXT) | instid1(VALU_DEP_4)
	v_fmac_f32_e32 v4, v0, v1
	v_dual_mul_f32 v1, v7, v41 :: v_dual_lshlrev_b32 v0, 16, v62
	v_and_b32_e32 v7, 0xffff0000, v63
	v_dual_add_f32 v5, v5, v6 :: v_dual_lshlrev_b32 v6, 16, v59
	s_delay_alu instid0(VALU_DEP_3) | instskip(NEXT) | instid1(VALU_DEP_2)
	v_dual_fmac_f32 v1, v0, v2 :: v_dual_lshlrev_b32 v0, 16, v63
	v_add_f32_e32 v4, v5, v4
	v_and_b32_e32 v10, 0xffff0000, v59
	v_mul_f32_e32 v2, v7, v35
	v_add_f32_e32 v5, v9, v11
	s_delay_alu instid0(VALU_DEP_3) | instskip(NEXT) | instid1(VALU_DEP_3)
	v_dual_add_f32 v1, v4, v1 :: v_dual_mul_f32 v10, v10, v35
	v_fmac_f32_e32 v2, v0, v3
	s_delay_alu instid0(VALU_DEP_1) | instskip(NEXT) | instid1(VALU_DEP_1)
	v_dual_fmac_f32 v10, v6, v3 :: v_dual_add_f32 v103, v1, v2
	v_add_f32_e32 v104, v5, v10
	s_cbranch_scc1 .LBB249_90
.LBB249_22:                             ;   Parent Loop BB249_15 Depth=1
                                        ; =>  This Inner Loop Header: Depth=2
	v_dual_mov_b32 v62, 0 :: v_dual_add_nc_u32 v87, s1, v82
	v_dual_mov_b32 v59, 0 :: v_dual_mov_b32 v58, 0
	v_dual_mov_b32 v57, 0 :: v_dual_mov_b32 v56, 0
	s_delay_alu instid0(VALU_DEP_3) | instskip(SKIP_2) | instid1(VALU_DEP_3)
	v_min_u32_e32 v83, s21, v87
	v_dual_mov_b32 v60, 0 :: v_dual_add_nc_u32 v93, 0x100, v87
	v_dual_mov_b32 v63, 0 :: v_dual_add_nc_u32 v92, 0x200, v87
	v_lshlrev_b64 v[0:1], 1, v[83:84]
	s_delay_alu instid0(VALU_DEP_3) | instskip(SKIP_2) | instid1(VALU_DEP_3)
	v_min_u32_e32 v83, s21, v93
	v_dual_mov_b32 v61, 0 :: v_dual_add_nc_u32 v86, 0x300, v87
	v_dual_mov_b32 v71, 0 :: v_dual_mov_b32 v70, 0
	v_lshlrev_b64 v[2:3], 1, v[83:84]
	v_min_u32_e32 v83, s21, v92
	v_add_co_u32 v0, vcc_lo, v101, v0
	v_add_co_ci_u32_e32 v1, vcc_lo, v102, v1, vcc_lo
	s_waitcnt vmcnt(0)
	s_delay_alu instid0(VALU_DEP_3) | instskip(SKIP_3) | instid1(VALU_DEP_3)
	v_lshlrev_b64 v[4:5], 1, v[83:84]
	v_min_u32_e32 v83, s21, v86
	v_add_co_u32 v2, vcc_lo, v101, v2
	v_add_co_ci_u32_e32 v3, vcc_lo, v102, v3, vcc_lo
	v_lshlrev_b64 v[6:7], 1, v[83:84]
	v_add_co_u32 v4, vcc_lo, v101, v4
	v_add_co_ci_u32_e32 v5, vcc_lo, v102, v5, vcc_lo
	v_dual_mov_b32 v69, 0 :: v_dual_mov_b32 v68, 0
	s_delay_alu instid0(VALU_DEP_4)
	v_add_co_u32 v6, vcc_lo, v101, v6
	v_add_co_ci_u32_e32 v7, vcc_lo, v102, v7, vcc_lo
	s_clause 0x3
	global_load_b128 v[24:27], v[0:1], off slc dlc
	global_load_b128 v[16:19], v[2:3], off slc dlc
	;; [unrolled: 1-line block ×4, first 2 shown]
	v_cmp_gt_u32_e32 vcc_lo, s4, v87
	v_dual_mov_b32 v79, 0 :: v_dual_mov_b32 v78, 0
	v_dual_mov_b32 v77, 0 :: v_dual_mov_b32 v76, 0
	;; [unrolled: 1-line block ×26, first 2 shown]
	s_and_saveexec_b32 s2, vcc_lo
	s_cbranch_execz .LBB249_21
; %bb.23:                               ;   in Loop: Header=BB249_22 Depth=2
	s_mov_b32 s28, exec_lo
                                        ; implicit-def: $vgpr35
	v_cmpx_lt_u32_e32 0x7fff, v87
	s_xor_b32 s28, exec_lo, s28
	s_cbranch_execz .LBB249_25
; %bb.24:                               ;   in Loop: Header=BB249_22 Depth=2
	v_mov_b32_e32 v88, v84
	s_delay_alu instid0(VALU_DEP_1) | instskip(NEXT) | instid1(VALU_DEP_1)
	v_lshlrev_b64 v[4:5], 1, v[87:88]
	v_add_co_u32 v4, vcc_lo, s12, v4
	s_delay_alu instid0(VALU_DEP_2)
	v_add_co_ci_u32_e32 v5, vcc_lo, s13, v5, vcc_lo
	global_load_b128 v[32:35], v[4:5], off
.LBB249_25:                             ;   in Loop: Header=BB249_22 Depth=2
	s_and_not1_saveexec_b32 s28, s28
	s_cbranch_execz .LBB249_27
; %bb.26:                               ;   in Loop: Header=BB249_22 Depth=2
	s_waitcnt vmcnt(0)
	ds_load_b128 v[32:35], v81
.LBB249_27:                             ;   in Loop: Header=BB249_22 Depth=2
	s_or_b32 exec_lo, exec_lo, s28
	v_add_nc_u32_e32 v83, s1, v97
	s_mov_b32 s28, exec_lo
                                        ; implicit-def: $vgpr23
	s_delay_alu instid0(VALU_DEP_1)
	v_cmpx_lt_u32_e32 0x7fff, v83
	s_xor_b32 s28, exec_lo, s28
	s_cbranch_execz .LBB249_29
; %bb.28:                               ;   in Loop: Header=BB249_22 Depth=2
	v_lshlrev_b64 v[4:5], 1, v[83:84]
	s_delay_alu instid0(VALU_DEP_1) | instskip(NEXT) | instid1(VALU_DEP_2)
	v_add_co_u32 v4, vcc_lo, s12, v4
	v_add_co_ci_u32_e32 v5, vcc_lo, s13, v5, vcc_lo
	global_load_b128 v[20:23], v[4:5], off
.LBB249_29:                             ;   in Loop: Header=BB249_22 Depth=2
	s_and_not1_saveexec_b32 s28, s28
	s_cbranch_execz .LBB249_31
; %bb.30:                               ;   in Loop: Header=BB249_22 Depth=2
	v_add_nc_u32_e32 v4, s19, v81
	s_waitcnt vmcnt(0)
	ds_load_b128 v[20:23], v4
.LBB249_31:                             ;   in Loop: Header=BB249_22 Depth=2
	s_or_b32 exec_lo, exec_lo, s28
	v_add_nc_u32_e32 v90, s1, v99
	s_mov_b32 s28, exec_lo
                                        ; implicit-def: $vgpr11
	s_delay_alu instid0(VALU_DEP_1)
	v_cmpx_lt_u32_e32 0x7fff, v90
	s_xor_b32 s28, exec_lo, s28
	s_cbranch_execz .LBB249_33
; %bb.32:                               ;   in Loop: Header=BB249_22 Depth=2
	v_mov_b32_e32 v91, v84
	s_delay_alu instid0(VALU_DEP_1) | instskip(NEXT) | instid1(VALU_DEP_1)
	v_lshlrev_b64 v[4:5], 1, v[90:91]
	v_add_co_u32 v4, vcc_lo, s12, v4
	s_delay_alu instid0(VALU_DEP_2)
	v_add_co_ci_u32_e32 v5, vcc_lo, s13, v5, vcc_lo
	global_load_b128 v[8:11], v[4:5], off
.LBB249_33:                             ;   in Loop: Header=BB249_22 Depth=2
	s_and_not1_saveexec_b32 s28, s28
	s_cbranch_execz .LBB249_35
; %bb.34:                               ;   in Loop: Header=BB249_22 Depth=2
	v_add_nc_u32_e32 v4, s3, v81
	s_waitcnt vmcnt(0)
	ds_load_2addr_b32 v[8:9], v4 offset1:1
	ds_load_2addr_b32 v[10:11], v4 offset0:2 offset1:3
.LBB249_35:                             ;   in Loop: Header=BB249_22 Depth=2
	s_or_b32 exec_lo, exec_lo, s28
	v_add_nc_u32_e32 v88, s1, v85
	s_mov_b32 s28, exec_lo
                                        ; implicit-def: $vgpr7
	s_delay_alu instid0(VALU_DEP_1)
	v_cmpx_lt_u32_e32 0x7fff, v88
	s_xor_b32 s28, exec_lo, s28
	s_cbranch_execz .LBB249_37
; %bb.36:                               ;   in Loop: Header=BB249_22 Depth=2
	v_mov_b32_e32 v89, v84
	s_delay_alu instid0(VALU_DEP_1) | instskip(NEXT) | instid1(VALU_DEP_1)
	v_lshlrev_b64 v[4:5], 1, v[88:89]
	v_add_co_u32 v4, vcc_lo, s12, v4
	s_delay_alu instid0(VALU_DEP_2)
	v_add_co_ci_u32_e32 v5, vcc_lo, s13, v5, vcc_lo
	global_load_b128 v[4:7], v[4:5], off
.LBB249_37:                             ;   in Loop: Header=BB249_22 Depth=2
	s_and_not1_saveexec_b32 s28, s28
	s_cbranch_execz .LBB249_39
; %bb.38:                               ;   in Loop: Header=BB249_22 Depth=2
	s_waitcnt vmcnt(0)
	v_add_nc_u32_e32 v4, s6, v81
	ds_load_b128 v[4:7], v4
.LBB249_39:                             ;   in Loop: Header=BB249_22 Depth=2
	s_or_b32 exec_lo, exec_lo, s28
	v_cmp_gt_u32_e32 vcc_lo, s4, v93
	v_dual_mov_b32 v63, 0 :: v_dual_mov_b32 v62, 0
	v_dual_mov_b32 v61, 0 :: v_dual_mov_b32 v60, 0
	;; [unrolled: 1-line block ×24, first 2 shown]
	s_and_saveexec_b32 s28, vcc_lo
	s_cbranch_execz .LBB249_20
; %bb.40:                               ;   in Loop: Header=BB249_22 Depth=2
	s_mov_b32 s29, exec_lo
                                        ; implicit-def: $vgpr55
	v_cmpx_lt_u32_e32 0x7fff, v93
	s_xor_b32 s29, exec_lo, s29
	s_cbranch_execz .LBB249_42
; %bb.41:                               ;   in Loop: Header=BB249_22 Depth=2
	v_mov_b32_e32 v94, v84
	s_delay_alu instid0(VALU_DEP_1) | instskip(NEXT) | instid1(VALU_DEP_1)
	v_lshlrev_b64 v[28:29], 1, v[93:94]
	v_add_co_u32 v28, vcc_lo, s12, v28
	s_delay_alu instid0(VALU_DEP_2)
	v_add_co_ci_u32_e32 v29, vcc_lo, s13, v29, vcc_lo
	global_load_b128 v[52:55], v[28:29], off
.LBB249_42:                             ;   in Loop: Header=BB249_22 Depth=2
	s_and_not1_saveexec_b32 s29, s29
	s_cbranch_execz .LBB249_44
; %bb.43:                               ;   in Loop: Header=BB249_22 Depth=2
	s_waitcnt vmcnt(0)
	ds_load_b128 v[52:55], v81 offset:512
.LBB249_44:                             ;   in Loop: Header=BB249_22 Depth=2
	s_or_b32 exec_lo, exec_lo, s29
	v_add_nc_u32_e32 v28, 0x100, v83
	s_mov_b32 s29, exec_lo
                                        ; implicit-def: $vgpr43
	s_delay_alu instid0(VALU_DEP_1)
	v_cmpx_lt_u32_e32 0x7fff, v28
	s_xor_b32 s29, exec_lo, s29
	s_cbranch_execz .LBB249_46
; %bb.45:                               ;   in Loop: Header=BB249_22 Depth=2
	v_mov_b32_e32 v29, v84
	s_delay_alu instid0(VALU_DEP_1) | instskip(NEXT) | instid1(VALU_DEP_1)
	v_lshlrev_b64 v[28:29], 1, v[28:29]
	v_add_co_u32 v28, vcc_lo, s12, v28
	s_delay_alu instid0(VALU_DEP_2)
	v_add_co_ci_u32_e32 v29, vcc_lo, s13, v29, vcc_lo
	global_load_b128 v[40:43], v[28:29], off
.LBB249_46:                             ;   in Loop: Header=BB249_22 Depth=2
	s_and_not1_saveexec_b32 s29, s29
	s_cbranch_execz .LBB249_48
; %bb.47:                               ;   in Loop: Header=BB249_22 Depth=2
	v_add_nc_u32_e32 v28, s19, v81
	s_waitcnt vmcnt(0)
	ds_load_b128 v[40:43], v28 offset:512
.LBB249_48:                             ;   in Loop: Header=BB249_22 Depth=2
	s_or_b32 exec_lo, exec_lo, s29
	v_add_nc_u32_e32 v28, 0x100, v90
	s_mov_b32 s29, exec_lo
                                        ; implicit-def: $vgpr39
	s_delay_alu instid0(VALU_DEP_1)
	v_cmpx_lt_u32_e32 0x7fff, v28
	s_xor_b32 s29, exec_lo, s29
	s_cbranch_execz .LBB249_50
; %bb.49:                               ;   in Loop: Header=BB249_22 Depth=2
	v_mov_b32_e32 v29, v84
	s_delay_alu instid0(VALU_DEP_1) | instskip(NEXT) | instid1(VALU_DEP_1)
	v_lshlrev_b64 v[28:29], 1, v[28:29]
	v_add_co_u32 v28, vcc_lo, s12, v28
	s_delay_alu instid0(VALU_DEP_2)
	v_add_co_ci_u32_e32 v29, vcc_lo, s13, v29, vcc_lo
	global_load_b128 v[36:39], v[28:29], off
.LBB249_50:                             ;   in Loop: Header=BB249_22 Depth=2
	s_and_not1_saveexec_b32 s29, s29
	s_cbranch_execz .LBB249_52
; %bb.51:                               ;   in Loop: Header=BB249_22 Depth=2
	v_add_nc_u32_e32 v28, s3, v81
	s_waitcnt vmcnt(0)
	ds_load_2addr_b32 v[36:37], v28 offset0:128 offset1:129
	ds_load_2addr_b32 v[38:39], v28 offset0:130 offset1:131
.LBB249_52:                             ;   in Loop: Header=BB249_22 Depth=2
	s_or_b32 exec_lo, exec_lo, s29
	v_add_nc_u32_e32 v28, 0x100, v88
	s_mov_b32 s29, exec_lo
                                        ; implicit-def: $vgpr31
	s_delay_alu instid0(VALU_DEP_1)
	v_cmpx_lt_u32_e32 0x7fff, v28
	s_xor_b32 s29, exec_lo, s29
	s_cbranch_execz .LBB249_54
; %bb.53:                               ;   in Loop: Header=BB249_22 Depth=2
	v_mov_b32_e32 v29, v84
	s_delay_alu instid0(VALU_DEP_1) | instskip(NEXT) | instid1(VALU_DEP_1)
	v_lshlrev_b64 v[28:29], 1, v[28:29]
	v_add_co_u32 v28, vcc_lo, s12, v28
	s_delay_alu instid0(VALU_DEP_2)
	v_add_co_ci_u32_e32 v29, vcc_lo, s13, v29, vcc_lo
	global_load_b128 v[28:31], v[28:29], off
.LBB249_54:                             ;   in Loop: Header=BB249_22 Depth=2
	s_and_not1_saveexec_b32 s29, s29
	s_cbranch_execz .LBB249_56
; %bb.55:                               ;   in Loop: Header=BB249_22 Depth=2
	s_waitcnt vmcnt(0)
	v_add_nc_u32_e32 v28, s6, v81
	ds_load_b128 v[28:31], v28 offset:512
.LBB249_56:                             ;   in Loop: Header=BB249_22 Depth=2
	s_or_b32 exec_lo, exec_lo, s29
	v_cmp_gt_u32_e32 vcc_lo, s4, v92
	v_dual_mov_b32 v63, 0 :: v_dual_mov_b32 v62, 0
	v_dual_mov_b32 v61, 0 :: v_dual_mov_b32 v60, 0
	;; [unrolled: 1-line block ×16, first 2 shown]
	s_and_saveexec_b32 s29, vcc_lo
	s_cbranch_execz .LBB249_19
; %bb.57:                               ;   in Loop: Header=BB249_22 Depth=2
	s_mov_b32 s30, exec_lo
                                        ; implicit-def: $vgpr75
	v_cmpx_lt_u32_e32 0x7fff, v92
	s_xor_b32 s30, exec_lo, s30
	s_cbranch_execz .LBB249_59
; %bb.58:                               ;   in Loop: Header=BB249_22 Depth=2
	v_mov_b32_e32 v93, v84
	s_delay_alu instid0(VALU_DEP_1) | instskip(NEXT) | instid1(VALU_DEP_1)
	v_lshlrev_b64 v[44:45], 1, v[92:93]
	v_add_co_u32 v44, vcc_lo, s12, v44
	s_delay_alu instid0(VALU_DEP_2)
	v_add_co_ci_u32_e32 v45, vcc_lo, s13, v45, vcc_lo
	global_load_b128 v[72:75], v[44:45], off
.LBB249_59:                             ;   in Loop: Header=BB249_22 Depth=2
	s_and_not1_saveexec_b32 s30, s30
	s_cbranch_execz .LBB249_61
; %bb.60:                               ;   in Loop: Header=BB249_22 Depth=2
	s_waitcnt vmcnt(0)
	ds_load_b128 v[72:75], v81 offset:1024
.LBB249_61:                             ;   in Loop: Header=BB249_22 Depth=2
	s_or_b32 exec_lo, exec_lo, s30
	v_add_nc_u32_e32 v44, 0x200, v83
	s_mov_b32 s30, exec_lo
                                        ; implicit-def: $vgpr67
	s_delay_alu instid0(VALU_DEP_1)
	v_cmpx_lt_u32_e32 0x7fff, v44
	s_xor_b32 s30, exec_lo, s30
	s_cbranch_execz .LBB249_63
; %bb.62:                               ;   in Loop: Header=BB249_22 Depth=2
	v_mov_b32_e32 v45, v84
	s_delay_alu instid0(VALU_DEP_1) | instskip(NEXT) | instid1(VALU_DEP_1)
	v_lshlrev_b64 v[44:45], 1, v[44:45]
	v_add_co_u32 v44, vcc_lo, s12, v44
	s_delay_alu instid0(VALU_DEP_2)
	v_add_co_ci_u32_e32 v45, vcc_lo, s13, v45, vcc_lo
	global_load_b128 v[64:67], v[44:45], off
.LBB249_63:                             ;   in Loop: Header=BB249_22 Depth=2
	s_and_not1_saveexec_b32 s30, s30
	s_cbranch_execz .LBB249_65
; %bb.64:                               ;   in Loop: Header=BB249_22 Depth=2
	v_add_nc_u32_e32 v44, s19, v81
	s_waitcnt vmcnt(0)
	ds_load_b128 v[64:67], v44 offset:1024
.LBB249_65:                             ;   in Loop: Header=BB249_22 Depth=2
	s_or_b32 exec_lo, exec_lo, s30
	v_add_nc_u32_e32 v44, 0x200, v90
	s_mov_b32 s30, exec_lo
                                        ; implicit-def: $vgpr51
	s_delay_alu instid0(VALU_DEP_1)
	v_cmpx_lt_u32_e32 0x7fff, v44
	s_xor_b32 s30, exec_lo, s30
	s_cbranch_execz .LBB249_67
; %bb.66:                               ;   in Loop: Header=BB249_22 Depth=2
	v_mov_b32_e32 v45, v84
	s_delay_alu instid0(VALU_DEP_1) | instskip(NEXT) | instid1(VALU_DEP_1)
	v_lshlrev_b64 v[44:45], 1, v[44:45]
	v_add_co_u32 v44, vcc_lo, s12, v44
	s_delay_alu instid0(VALU_DEP_2)
	v_add_co_ci_u32_e32 v45, vcc_lo, s13, v45, vcc_lo
	global_load_b128 v[48:51], v[44:45], off
.LBB249_67:                             ;   in Loop: Header=BB249_22 Depth=2
	s_and_not1_saveexec_b32 s30, s30
	s_cbranch_execz .LBB249_69
; %bb.68:                               ;   in Loop: Header=BB249_22 Depth=2
	v_add_nc_u32_e32 v44, s3, v81
	s_delay_alu instid0(VALU_DEP_1)
	v_add_nc_u32_e32 v45, 0x400, v44
	v_add_nc_u32_e32 v44, 0x408, v44
	s_waitcnt vmcnt(0)
	ds_load_2addr_b32 v[48:49], v45 offset1:1
	ds_load_2addr_b32 v[50:51], v44 offset1:1
.LBB249_69:                             ;   in Loop: Header=BB249_22 Depth=2
	s_or_b32 exec_lo, exec_lo, s30
	v_add_nc_u32_e32 v44, 0x200, v88
	s_mov_b32 s30, exec_lo
                                        ; implicit-def: $vgpr47
	s_delay_alu instid0(VALU_DEP_1)
	v_cmpx_lt_u32_e32 0x7fff, v44
	s_xor_b32 s30, exec_lo, s30
	s_cbranch_execz .LBB249_71
; %bb.70:                               ;   in Loop: Header=BB249_22 Depth=2
	v_mov_b32_e32 v45, v84
	s_delay_alu instid0(VALU_DEP_1) | instskip(NEXT) | instid1(VALU_DEP_1)
	v_lshlrev_b64 v[44:45], 1, v[44:45]
	v_add_co_u32 v44, vcc_lo, s12, v44
	s_delay_alu instid0(VALU_DEP_2)
	v_add_co_ci_u32_e32 v45, vcc_lo, s13, v45, vcc_lo
	global_load_b128 v[44:47], v[44:45], off
.LBB249_71:                             ;   in Loop: Header=BB249_22 Depth=2
	s_and_not1_saveexec_b32 s30, s30
	s_cbranch_execz .LBB249_73
; %bb.72:                               ;   in Loop: Header=BB249_22 Depth=2
	s_waitcnt vmcnt(0)
	v_add_nc_u32_e32 v44, s6, v81
	ds_load_b128 v[44:47], v44 offset:1024
.LBB249_73:                             ;   in Loop: Header=BB249_22 Depth=2
	s_or_b32 exec_lo, exec_lo, s30
	v_dual_mov_b32 v63, 0 :: v_dual_mov_b32 v62, 0
	v_dual_mov_b32 v61, 0 :: v_dual_mov_b32 v60, 0
	;; [unrolled: 1-line block ×8, first 2 shown]
	s_mov_b32 s30, exec_lo
	v_cmpx_gt_u32_e64 s4, v86
	s_cbranch_execz .LBB249_18
; %bb.74:                               ;   in Loop: Header=BB249_22 Depth=2
	s_mov_b32 s31, exec_lo
                                        ; implicit-def: $vgpr79
	v_cmpx_lt_u32_e32 0x7fff, v86
	s_xor_b32 s31, exec_lo, s31
	s_cbranch_execz .LBB249_76
; %bb.75:                               ;   in Loop: Header=BB249_22 Depth=2
	v_mov_b32_e32 v87, v84
	s_delay_alu instid0(VALU_DEP_1) | instskip(NEXT) | instid1(VALU_DEP_1)
	v_lshlrev_b64 v[56:57], 1, v[86:87]
	v_add_co_u32 v56, vcc_lo, s12, v56
	s_delay_alu instid0(VALU_DEP_2)
	v_add_co_ci_u32_e32 v57, vcc_lo, s13, v57, vcc_lo
	global_load_b128 v[76:79], v[56:57], off
.LBB249_76:                             ;   in Loop: Header=BB249_22 Depth=2
	s_and_not1_saveexec_b32 s31, s31
	s_cbranch_execz .LBB249_78
; %bb.77:                               ;   in Loop: Header=BB249_22 Depth=2
	s_waitcnt vmcnt(0)
	ds_load_b128 v[76:79], v81 offset:1536
.LBB249_78:                             ;   in Loop: Header=BB249_22 Depth=2
	s_or_b32 exec_lo, exec_lo, s31
	v_add_nc_u32_e32 v83, 0x300, v83
	s_mov_b32 s31, exec_lo
                                        ; implicit-def: $vgpr71
	s_delay_alu instid0(VALU_DEP_1)
	v_cmpx_lt_u32_e32 0x7fff, v83
	s_xor_b32 s31, exec_lo, s31
	s_cbranch_execz .LBB249_80
; %bb.79:                               ;   in Loop: Header=BB249_22 Depth=2
	v_lshlrev_b64 v[56:57], 1, v[83:84]
	s_delay_alu instid0(VALU_DEP_1) | instskip(NEXT) | instid1(VALU_DEP_2)
	v_add_co_u32 v56, vcc_lo, s12, v56
	v_add_co_ci_u32_e32 v57, vcc_lo, s13, v57, vcc_lo
	global_load_b128 v[68:71], v[56:57], off
.LBB249_80:                             ;   in Loop: Header=BB249_22 Depth=2
	s_and_not1_saveexec_b32 s31, s31
	s_cbranch_execz .LBB249_82
; %bb.81:                               ;   in Loop: Header=BB249_22 Depth=2
	v_add_nc_u32_e32 v56, s19, v81
	s_waitcnt vmcnt(0)
	ds_load_b128 v[68:71], v56 offset:1536
.LBB249_82:                             ;   in Loop: Header=BB249_22 Depth=2
	s_or_b32 exec_lo, exec_lo, s31
	v_add_nc_u32_e32 v83, 0x300, v90
	s_mov_b32 s31, exec_lo
                                        ; implicit-def: $vgpr59
	s_delay_alu instid0(VALU_DEP_1)
	v_cmpx_lt_u32_e32 0x7fff, v83
	s_xor_b32 s31, exec_lo, s31
	s_cbranch_execz .LBB249_84
; %bb.83:                               ;   in Loop: Header=BB249_22 Depth=2
	v_lshlrev_b64 v[56:57], 1, v[83:84]
	s_delay_alu instid0(VALU_DEP_1) | instskip(NEXT) | instid1(VALU_DEP_2)
	v_add_co_u32 v56, vcc_lo, s12, v56
	v_add_co_ci_u32_e32 v57, vcc_lo, s13, v57, vcc_lo
	global_load_b128 v[56:59], v[56:57], off
.LBB249_84:                             ;   in Loop: Header=BB249_22 Depth=2
	s_and_not1_saveexec_b32 s31, s31
	s_cbranch_execz .LBB249_86
; %bb.85:                               ;   in Loop: Header=BB249_22 Depth=2
	s_waitcnt vmcnt(0)
	v_add_nc_u32_e32 v56, s3, v81
	s_delay_alu instid0(VALU_DEP_1)
	v_add_nc_u32_e32 v57, 0x600, v56
	v_add_nc_u32_e32 v58, 0x608, v56
	ds_load_2addr_b32 v[56:57], v57 offset1:1
	ds_load_2addr_b32 v[58:59], v58 offset1:1
.LBB249_86:                             ;   in Loop: Header=BB249_22 Depth=2
	s_or_b32 exec_lo, exec_lo, s31
	v_add_nc_u32_e32 v83, 0x300, v88
	s_mov_b32 s31, exec_lo
                                        ; implicit-def: $vgpr63
	s_delay_alu instid0(VALU_DEP_1)
	v_cmpx_lt_u32_e32 0x7fff, v83
	s_xor_b32 s31, exec_lo, s31
	s_cbranch_execz .LBB249_88
; %bb.87:                               ;   in Loop: Header=BB249_22 Depth=2
	v_lshlrev_b64 v[60:61], 1, v[83:84]
	s_delay_alu instid0(VALU_DEP_1) | instskip(NEXT) | instid1(VALU_DEP_2)
	v_add_co_u32 v60, vcc_lo, s12, v60
	v_add_co_ci_u32_e32 v61, vcc_lo, s13, v61, vcc_lo
	global_load_b128 v[60:63], v[60:61], off
.LBB249_88:                             ;   in Loop: Header=BB249_22 Depth=2
	s_and_not1_saveexec_b32 s31, s31
	s_cbranch_execz .LBB249_17
; %bb.89:                               ;   in Loop: Header=BB249_22 Depth=2
	s_waitcnt vmcnt(0)
	v_add_nc_u32_e32 v60, s6, v81
	ds_load_b128 v[60:63], v60 offset:1536
	s_branch .LBB249_17
.LBB249_90:                             ;   in Loop: Header=BB249_15 Depth=1
	s_delay_alu instid0(VALU_DEP_1) | instskip(SKIP_1) | instid1(VALU_DEP_3)
	v_cvt_i32_f32_e32 v0, v106
	v_cvt_i32_f32_e32 v1, v105
	;; [unrolled: 1-line block ×4, first 2 shown]
	s_delay_alu instid0(VALU_DEP_4) | instskip(NEXT) | instid1(VALU_DEP_4)
	v_cvt_f32_i32_dpp v0, v0 row_shr:8 row_mask:0xf bank_mask:0xf bound_ctrl:1
	v_cvt_f32_i32_dpp v1, v1 row_shr:8 row_mask:0xf bank_mask:0xf bound_ctrl:1
	s_delay_alu instid0(VALU_DEP_4) | instskip(NEXT) | instid1(VALU_DEP_4)
	v_cvt_f32_i32_dpp v2, v2 row_shr:8 row_mask:0xf bank_mask:0xf bound_ctrl:1
	v_cvt_f32_i32_dpp v3, v3 row_shr:8 row_mask:0xf bank_mask:0xf bound_ctrl:1
	s_delay_alu instid0(VALU_DEP_3) | instskip(NEXT) | instid1(VALU_DEP_2)
	v_dual_add_f32 v0, v106, v0 :: v_dual_add_f32 v1, v105, v1
	v_dual_add_f32 v2, v104, v2 :: v_dual_add_f32 v3, v103, v3
	s_waitcnt vmcnt(0)
	s_delay_alu instid0(VALU_DEP_2) | instskip(NEXT) | instid1(VALU_DEP_3)
	v_cvt_i32_f32_e32 v4, v0
	v_cvt_i32_f32_e32 v5, v1
	s_delay_alu instid0(VALU_DEP_3) | instskip(SKIP_1) | instid1(VALU_DEP_4)
	v_cvt_i32_f32_e32 v6, v2
	v_cvt_i32_f32_e32 v7, v3
	v_cvt_f32_i32_dpp v4, v4 row_shr:4 row_mask:0xf bank_mask:0xf bound_ctrl:1
	s_delay_alu instid0(VALU_DEP_4) | instskip(NEXT) | instid1(VALU_DEP_4)
	v_cvt_f32_i32_dpp v5, v5 row_shr:4 row_mask:0xf bank_mask:0xf bound_ctrl:1
	v_cvt_f32_i32_dpp v6, v6 row_shr:4 row_mask:0xf bank_mask:0xf bound_ctrl:1
	s_delay_alu instid0(VALU_DEP_4) | instskip(NEXT) | instid1(VALU_DEP_3)
	v_cvt_f32_i32_dpp v7, v7 row_shr:4 row_mask:0xf bank_mask:0xf bound_ctrl:1
	v_dual_add_f32 v0, v0, v4 :: v_dual_add_f32 v1, v1, v5
	s_delay_alu instid0(VALU_DEP_2) | instskip(NEXT) | instid1(VALU_DEP_2)
	v_dual_add_f32 v2, v2, v6 :: v_dual_add_f32 v3, v3, v7
	v_cvt_i32_f32_e32 v4, v0
	s_delay_alu instid0(VALU_DEP_3) | instskip(NEXT) | instid1(VALU_DEP_3)
	v_cvt_i32_f32_e32 v5, v1
	v_cvt_i32_f32_e32 v6, v2
	s_delay_alu instid0(VALU_DEP_4) | instskip(NEXT) | instid1(VALU_DEP_4)
	v_cvt_i32_f32_e32 v7, v3
	v_cvt_f32_i32_dpp v4, v4 row_shr:2 row_mask:0xf bank_mask:0xf bound_ctrl:1
	s_delay_alu instid0(VALU_DEP_4) | instskip(NEXT) | instid1(VALU_DEP_4)
	v_cvt_f32_i32_dpp v5, v5 row_shr:2 row_mask:0xf bank_mask:0xf bound_ctrl:1
	v_cvt_f32_i32_dpp v6, v6 row_shr:2 row_mask:0xf bank_mask:0xf bound_ctrl:1
	s_delay_alu instid0(VALU_DEP_4) | instskip(NEXT) | instid1(VALU_DEP_3)
	v_cvt_f32_i32_dpp v7, v7 row_shr:2 row_mask:0xf bank_mask:0xf bound_ctrl:1
	v_dual_add_f32 v0, v0, v4 :: v_dual_add_f32 v1, v1, v5
	s_delay_alu instid0(VALU_DEP_2) | instskip(NEXT) | instid1(VALU_DEP_2)
	v_dual_add_f32 v2, v2, v6 :: v_dual_add_f32 v3, v3, v7
	v_cvt_i32_f32_e32 v4, v0
	s_delay_alu instid0(VALU_DEP_3) | instskip(NEXT) | instid1(VALU_DEP_3)
	v_cvt_i32_f32_e32 v5, v1
	v_cvt_i32_f32_e32 v6, v2
	s_delay_alu instid0(VALU_DEP_4) | instskip(NEXT) | instid1(VALU_DEP_4)
	v_cvt_i32_f32_e32 v7, v3
	v_cvt_f32_i32_dpp v4, v4 row_shr:1 row_mask:0xf bank_mask:0xf bound_ctrl:1
	s_delay_alu instid0(VALU_DEP_4) | instskip(NEXT) | instid1(VALU_DEP_4)
	v_cvt_f32_i32_dpp v5, v5 row_shr:1 row_mask:0xf bank_mask:0xf bound_ctrl:1
	v_cvt_f32_i32_dpp v6, v6 row_shr:1 row_mask:0xf bank_mask:0xf bound_ctrl:1
	s_delay_alu instid0(VALU_DEP_4) | instskip(NEXT) | instid1(VALU_DEP_3)
	v_cvt_f32_i32_dpp v7, v7 row_shr:1 row_mask:0xf bank_mask:0xf bound_ctrl:1
	v_dual_add_f32 v8, v0, v4 :: v_dual_add_f32 v5, v1, v5
	s_delay_alu instid0(VALU_DEP_3) | instskip(NEXT) | instid1(VALU_DEP_3)
	v_add_f32_e32 v2, v2, v6
	v_add_f32_e32 v0, v3, v7
	ds_bpermute_b32 v9, v98, v8
	ds_bpermute_b32 v6, v98, v5
	;; [unrolled: 1-line block ×4, first 2 shown]
	s_and_saveexec_b32 s1, s0
	s_cbranch_execz .LBB249_14
; %bb.91:                               ;   in Loop: Header=BB249_15 Depth=1
	v_dual_mov_b32 v4, 0 :: v_dual_mov_b32 v7, 0
	v_dual_mov_b32 v10, 0 :: v_dual_mov_b32 v11, 0
	s_and_not1_b32 vcc_lo, exec_lo, s23
	s_cbranch_vccnz .LBB249_93
; %bb.92:                               ;   in Loop: Header=BB249_15 Depth=1
	v_mul_hi_u32 v4, v80, v100
	s_delay_alu instid0(VALU_DEP_1) | instskip(NEXT) | instid1(VALU_DEP_1)
	v_mul_lo_u32 v4, v4, s16
	v_sub_nc_u32_e32 v4, v80, v4
	s_delay_alu instid0(VALU_DEP_1) | instskip(SKIP_1) | instid1(VALU_DEP_2)
	v_subrev_nc_u32_e32 v7, s16, v4
	v_cmp_le_u32_e32 vcc_lo, s16, v4
	v_cndmask_b32_e32 v4, v4, v7, vcc_lo
	s_delay_alu instid0(VALU_DEP_1) | instskip(SKIP_1) | instid1(VALU_DEP_2)
	v_subrev_nc_u32_e32 v7, s16, v4
	v_cmp_le_u32_e32 vcc_lo, s16, v4
	v_cndmask_b32_e32 v83, v4, v7, vcc_lo
	v_mov_b32_e32 v11, v84
	s_delay_alu instid0(VALU_DEP_2) | instskip(SKIP_3) | instid1(VALU_DEP_4)
	v_dual_mov_b32 v13, v84 :: v_dual_add_nc_u32 v12, s26, v83
	v_add_nc_u32_e32 v10, s25, v83
	v_lshlrev_b64 v[14:15], 1, v[83:84]
	v_add_nc_u32_e32 v83, s27, v83
	v_lshlrev_b64 v[12:13], 1, v[12:13]
	s_delay_alu instid0(VALU_DEP_4) | instskip(NEXT) | instid1(VALU_DEP_4)
	v_lshlrev_b64 v[10:11], 1, v[10:11]
	v_add_co_u32 v14, vcc_lo, s8, v14
	v_add_co_ci_u32_e32 v15, vcc_lo, s9, v15, vcc_lo
	v_lshlrev_b64 v[16:17], 1, v[83:84]
	s_delay_alu instid0(VALU_DEP_4)
	v_add_co_u32 v18, vcc_lo, s8, v10
	v_add_co_ci_u32_e32 v19, vcc_lo, s9, v11, vcc_lo
	v_add_co_u32 v12, vcc_lo, s8, v12
	v_add_co_ci_u32_e32 v13, vcc_lo, s9, v13, vcc_lo
	;; [unrolled: 2-line block ×3, first 2 shown]
	s_clause 0x3
	global_load_u16 v11, v[14:15], off
	global_load_u16 v10, v[18:19], off
	;; [unrolled: 1-line block ×4, first 2 shown]
.LBB249_93:                             ;   in Loop: Header=BB249_15 Depth=1
	v_cmp_ne_u32_e32 vcc_lo, 0, v95
	s_and_b32 exec_lo, exec_lo, vcc_lo
	s_cbranch_execz .LBB249_14
; %bb.94:                               ;   in Loop: Header=BB249_15 Depth=1
	s_waitcnt vmcnt(3) lgkmcnt(3)
	v_dual_add_f32 v8, v8, v9 :: v_dual_lshlrev_b32 v9, 16, v11
	s_delay_alu instid0(VALU_DEP_1) | instskip(NEXT) | instid1(VALU_DEP_1)
	v_add_f32_e32 v9, v8, v9
	v_and_b32_e32 v8, 0x7f800000, v9
	s_delay_alu instid0(VALU_DEP_1) | instskip(SKIP_1) | instid1(SALU_CYCLE_1)
	v_cmp_ne_u32_e32 vcc_lo, 0x7f800000, v8
                                        ; implicit-def: $vgpr8
	s_and_saveexec_b32 s2, vcc_lo
	s_xor_b32 s2, exec_lo, s2
; %bb.95:                               ;   in Loop: Header=BB249_15 Depth=1
	v_bfe_u32 v8, v9, 16, 1
	s_delay_alu instid0(VALU_DEP_1)
	v_add3_u32 v8, v9, v8, 0x7fff
                                        ; implicit-def: $vgpr9
; %bb.96:                               ;   in Loop: Header=BB249_15 Depth=1
	s_and_not1_saveexec_b32 s2, s2
; %bb.97:                               ;   in Loop: Header=BB249_15 Depth=1
	v_and_b32_e32 v8, 0xffff, v9
	v_or_b32_e32 v11, 0x10000, v9
	s_delay_alu instid0(VALU_DEP_2) | instskip(NEXT) | instid1(VALU_DEP_2)
	v_cmp_eq_u32_e32 vcc_lo, 0, v8
	v_cndmask_b32_e32 v8, v11, v9, vcc_lo
; %bb.98:                               ;   in Loop: Header=BB249_15 Depth=1
	s_or_b32 exec_lo, exec_lo, s2
	s_waitcnt lgkmcnt(2)
	v_add_f32_e32 v5, v5, v6
	s_waitcnt vmcnt(2)
	v_dual_mov_b32 v81, v84 :: v_dual_lshlrev_b32 v6, 16, v10
	s_delay_alu instid0(VALU_DEP_1) | instskip(NEXT) | instid1(VALU_DEP_2)
	v_add_f32_e32 v6, v5, v6
	v_lshlrev_b64 v[9:10], 1, v[80:81]
	s_delay_alu instid0(VALU_DEP_2) | instskip(NEXT) | instid1(VALU_DEP_2)
	v_and_b32_e32 v5, 0x7f800000, v6
	v_add_co_u32 v9, vcc_lo, s10, v9
	s_delay_alu instid0(VALU_DEP_3) | instskip(NEXT) | instid1(VALU_DEP_3)
	v_add_co_ci_u32_e32 v10, vcc_lo, s11, v10, vcc_lo
	v_cmp_ne_u32_e32 vcc_lo, 0x7f800000, v5
                                        ; implicit-def: $vgpr5
	global_store_d16_hi_b16 v[9:10], v8, off
	s_and_saveexec_b32 s2, vcc_lo
	s_delay_alu instid0(SALU_CYCLE_1)
	s_xor_b32 s2, exec_lo, s2
; %bb.99:                               ;   in Loop: Header=BB249_15 Depth=1
	v_bfe_u32 v5, v6, 16, 1
	s_delay_alu instid0(VALU_DEP_1)
	v_add3_u32 v5, v6, v5, 0x7fff
                                        ; implicit-def: $vgpr6
; %bb.100:                              ;   in Loop: Header=BB249_15 Depth=1
	s_and_not1_saveexec_b32 s2, s2
; %bb.101:                              ;   in Loop: Header=BB249_15 Depth=1
	v_and_b32_e32 v5, 0xffff, v6
	v_or_b32_e32 v8, 0x10000, v6
	s_delay_alu instid0(VALU_DEP_2) | instskip(NEXT) | instid1(VALU_DEP_2)
	v_cmp_eq_u32_e32 vcc_lo, 0, v5
	v_cndmask_b32_e32 v5, v8, v6, vcc_lo
; %bb.102:                              ;   in Loop: Header=BB249_15 Depth=1
	s_or_b32 exec_lo, exec_lo, s2
	s_waitcnt lgkmcnt(1)
	v_dual_add_f32 v2, v2, v3 :: v_dual_add_nc_u32 v83, s7, v80
	s_waitcnt vmcnt(1)
	v_lshlrev_b32_e32 v3, 16, v7
	s_delay_alu instid0(VALU_DEP_2) | instskip(NEXT) | instid1(VALU_DEP_2)
	v_lshlrev_b64 v[6:7], 1, v[83:84]
	v_add_f32_e32 v3, v2, v3
	s_delay_alu instid0(VALU_DEP_1) | instskip(NEXT) | instid1(VALU_DEP_3)
	v_and_b32_e32 v2, 0x7f800000, v3
	v_add_co_u32 v6, vcc_lo, s10, v6
	s_delay_alu instid0(VALU_DEP_4) | instskip(NEXT) | instid1(VALU_DEP_3)
	v_add_co_ci_u32_e32 v7, vcc_lo, s11, v7, vcc_lo
	v_cmp_ne_u32_e32 vcc_lo, 0x7f800000, v2
                                        ; implicit-def: $vgpr2
	global_store_d16_hi_b16 v[6:7], v5, off
	s_and_saveexec_b32 s2, vcc_lo
	s_delay_alu instid0(SALU_CYCLE_1)
	s_xor_b32 s2, exec_lo, s2
; %bb.103:                              ;   in Loop: Header=BB249_15 Depth=1
	v_bfe_u32 v2, v3, 16, 1
	s_delay_alu instid0(VALU_DEP_1)
	v_add3_u32 v2, v3, v2, 0x7fff
                                        ; implicit-def: $vgpr3
; %bb.104:                              ;   in Loop: Header=BB249_15 Depth=1
	s_and_not1_saveexec_b32 s2, s2
; %bb.105:                              ;   in Loop: Header=BB249_15 Depth=1
	v_and_b32_e32 v2, 0xffff, v3
	v_or_b32_e32 v5, 0x10000, v3
	s_delay_alu instid0(VALU_DEP_2) | instskip(NEXT) | instid1(VALU_DEP_2)
	v_cmp_eq_u32_e32 vcc_lo, 0, v2
	v_cndmask_b32_e32 v2, v5, v3, vcc_lo
; %bb.106:                              ;   in Loop: Header=BB249_15 Depth=1
	s_or_b32 exec_lo, exec_lo, s2
	s_waitcnt vmcnt(0) lgkmcnt(0)
	v_dual_add_f32 v0, v0, v1 :: v_dual_lshlrev_b32 v1, 16, v4
	v_add_nc_u32_e32 v83, s7, v83
	s_delay_alu instid0(VALU_DEP_2) | instskip(NEXT) | instid1(VALU_DEP_2)
	v_add_f32_e32 v1, v0, v1
	v_lshlrev_b64 v[3:4], 1, v[83:84]
	s_delay_alu instid0(VALU_DEP_2) | instskip(NEXT) | instid1(VALU_DEP_2)
	v_and_b32_e32 v0, 0x7f800000, v1
	v_add_co_u32 v3, vcc_lo, s10, v3
	s_delay_alu instid0(VALU_DEP_3) | instskip(NEXT) | instid1(VALU_DEP_3)
	v_add_co_ci_u32_e32 v4, vcc_lo, s11, v4, vcc_lo
	v_cmp_ne_u32_e32 vcc_lo, 0x7f800000, v0
                                        ; implicit-def: $vgpr0
	global_store_d16_hi_b16 v[3:4], v2, off
	s_and_saveexec_b32 s2, vcc_lo
	s_delay_alu instid0(SALU_CYCLE_1)
	s_xor_b32 s2, exec_lo, s2
; %bb.107:                              ;   in Loop: Header=BB249_15 Depth=1
	v_bfe_u32 v0, v1, 16, 1
	s_delay_alu instid0(VALU_DEP_1)
	v_add3_u32 v0, v1, v0, 0x7fff
                                        ; implicit-def: $vgpr1
; %bb.108:                              ;   in Loop: Header=BB249_15 Depth=1
	s_and_not1_saveexec_b32 s2, s2
	s_cbranch_execz .LBB249_13
; %bb.109:                              ;   in Loop: Header=BB249_15 Depth=1
	v_and_b32_e32 v0, 0xffff, v1
	v_or_b32_e32 v2, 0x10000, v1
	s_delay_alu instid0(VALU_DEP_2) | instskip(NEXT) | instid1(VALU_DEP_2)
	v_cmp_eq_u32_e32 vcc_lo, 0, v0
	v_cndmask_b32_e32 v0, v2, v1, vcc_lo
	s_branch .LBB249_13
.LBB249_110:
	s_nop 0
	s_sendmsg sendmsg(MSG_DEALLOC_VGPRS)
	s_endpgm
	.section	.rodata,"a",@progbits
	.p2align	6, 0x0
	.amdhsa_kernel _Z12wvSplitK_hf_I14__hip_bfloat16Li32ELi1ELi16ELi8ELi4ELi4EEviiiiiiPKT_S3_S3_PS1_ii
		.amdhsa_group_segment_fixed_size 65536
		.amdhsa_private_segment_fixed_size 0
		.amdhsa_kernarg_size 64
		.amdhsa_user_sgpr_count 15
		.amdhsa_user_sgpr_dispatch_ptr 0
		.amdhsa_user_sgpr_queue_ptr 0
		.amdhsa_user_sgpr_kernarg_segment_ptr 1
		.amdhsa_user_sgpr_dispatch_id 0
		.amdhsa_user_sgpr_private_segment_size 0
		.amdhsa_wavefront_size32 1
		.amdhsa_uses_dynamic_stack 0
		.amdhsa_enable_private_segment 0
		.amdhsa_system_sgpr_workgroup_id_x 1
		.amdhsa_system_sgpr_workgroup_id_y 0
		.amdhsa_system_sgpr_workgroup_id_z 0
		.amdhsa_system_sgpr_workgroup_info 0
		.amdhsa_system_vgpr_workitem_id 1
		.amdhsa_next_free_vgpr 107
		.amdhsa_next_free_sgpr 32
		.amdhsa_reserve_vcc 1
		.amdhsa_float_round_mode_32 0
		.amdhsa_float_round_mode_16_64 0
		.amdhsa_float_denorm_mode_32 3
		.amdhsa_float_denorm_mode_16_64 3
		.amdhsa_dx10_clamp 1
		.amdhsa_ieee_mode 1
		.amdhsa_fp16_overflow 0
		.amdhsa_workgroup_processor_mode 1
		.amdhsa_memory_ordered 1
		.amdhsa_forward_progress 0
		.amdhsa_shared_vgpr_count 0
		.amdhsa_exception_fp_ieee_invalid_op 0
		.amdhsa_exception_fp_denorm_src 0
		.amdhsa_exception_fp_ieee_div_zero 0
		.amdhsa_exception_fp_ieee_overflow 0
		.amdhsa_exception_fp_ieee_underflow 0
		.amdhsa_exception_fp_ieee_inexact 0
		.amdhsa_exception_int_div_zero 0
	.end_amdhsa_kernel
	.section	.text._Z12wvSplitK_hf_I14__hip_bfloat16Li32ELi1ELi16ELi8ELi4ELi4EEviiiiiiPKT_S3_S3_PS1_ii,"axG",@progbits,_Z12wvSplitK_hf_I14__hip_bfloat16Li32ELi1ELi16ELi8ELi4ELi4EEviiiiiiPKT_S3_S3_PS1_ii,comdat
.Lfunc_end249:
	.size	_Z12wvSplitK_hf_I14__hip_bfloat16Li32ELi1ELi16ELi8ELi4ELi4EEviiiiiiPKT_S3_S3_PS1_ii, .Lfunc_end249-_Z12wvSplitK_hf_I14__hip_bfloat16Li32ELi1ELi16ELi8ELi4ELi4EEviiiiiiPKT_S3_S3_PS1_ii
                                        ; -- End function
	.section	.AMDGPU.csdata,"",@progbits
; Kernel info:
; codeLenInByte = 7016
; NumSgprs: 34
; NumVgprs: 107
; ScratchSize: 0
; MemoryBound: 0
; FloatMode: 240
; IeeeMode: 1
; LDSByteSize: 65536 bytes/workgroup (compile time only)
; SGPRBlocks: 4
; VGPRBlocks: 13
; NumSGPRsForWavesPerEU: 34
; NumVGPRsForWavesPerEU: 107
; Occupancy: 8
; WaveLimiterHint : 0
; COMPUTE_PGM_RSRC2:SCRATCH_EN: 0
; COMPUTE_PGM_RSRC2:USER_SGPR: 15
; COMPUTE_PGM_RSRC2:TRAP_HANDLER: 0
; COMPUTE_PGM_RSRC2:TGID_X_EN: 1
; COMPUTE_PGM_RSRC2:TGID_Y_EN: 0
; COMPUTE_PGM_RSRC2:TGID_Z_EN: 0
; COMPUTE_PGM_RSRC2:TIDIG_COMP_CNT: 1
	.section	.text._Z16wvSplitK_hf_big_I14__hip_bfloat16Li32ELi1ELi16ELi8ELi4ELi4EEviiiiiiPKT_S3_S3_PS1_ii,"axG",@progbits,_Z16wvSplitK_hf_big_I14__hip_bfloat16Li32ELi1ELi16ELi8ELi4ELi4EEviiiiiiPKT_S3_S3_PS1_ii,comdat
	.protected	_Z16wvSplitK_hf_big_I14__hip_bfloat16Li32ELi1ELi16ELi8ELi4ELi4EEviiiiiiPKT_S3_S3_PS1_ii ; -- Begin function _Z16wvSplitK_hf_big_I14__hip_bfloat16Li32ELi1ELi16ELi8ELi4ELi4EEviiiiiiPKT_S3_S3_PS1_ii
	.globl	_Z16wvSplitK_hf_big_I14__hip_bfloat16Li32ELi1ELi16ELi8ELi4ELi4EEviiiiiiPKT_S3_S3_PS1_ii
	.p2align	8
	.type	_Z16wvSplitK_hf_big_I14__hip_bfloat16Li32ELi1ELi16ELi8ELi4ELi4EEviiiiiiPKT_S3_S3_PS1_ii,@function
_Z16wvSplitK_hf_big_I14__hip_bfloat16Li32ELi1ELi16ELi8ELi4ELi4EEviiiiiiPKT_S3_S3_PS1_ii: ; @_Z16wvSplitK_hf_big_I14__hip_bfloat16Li32ELi1ELi16ELi8ELi4ELi4EEviiiiiiPKT_S3_S3_PS1_ii
; %bb.0:
	s_load_b64 s[20:21], s[0:1], 0x38
	v_bfe_u32 v1, v0, 10, 10
	s_mov_b32 s2, exec_lo
	s_waitcnt lgkmcnt(0)
	s_delay_alu instid0(VALU_DEP_1)
	v_cmpx_gt_u32_e64 s20, v1
	s_cbranch_execz .LBB250_54
; %bb.1:
	s_load_b128 s[16:19], s[0:1], 0x0
	v_mad_u64_u32 v[80:81], null, s15, s20, v[1:2]
	v_mov_b32_e32 v86, 1
	s_delay_alu instid0(VALU_DEP_2) | instskip(SKIP_2) | instid1(VALU_DEP_2)
	v_add_nc_u32_e32 v2, 1, v80
	s_waitcnt lgkmcnt(0)
	v_cmp_gt_u32_e32 vcc_lo, s19, v80
	v_cmp_le_u32_e64 s2, s19, v2
	s_delay_alu instid0(VALU_DEP_1) | instskip(NEXT) | instid1(SALU_CYCLE_1)
	s_and_b32 s3, vcc_lo, s2
	s_and_saveexec_b32 s2, s3
; %bb.2:
	v_subrev_nc_u32_e32 v2, s19, v80
	s_add_i32 s3, s19, -1
	s_delay_alu instid0(SALU_CYCLE_1) | instskip(NEXT) | instid1(VALU_DEP_2)
	v_mov_b32_e32 v80, s3
	v_cmp_eq_u32_e32 vcc_lo, -1, v2
	v_cndmask_b32_e64 v86, 0, 1, vcc_lo
; %bb.3:
	s_or_b32 exec_lo, exec_lo, s2
	s_abs_i32 s2, s20
	s_abs_i32 s5, s19
	v_cvt_f32_u32_e32 v2, s2
	s_sub_i32 s4, 0, s2
	s_mov_b32 s14, 0
	s_delay_alu instid0(VALU_DEP_1) | instskip(SKIP_2) | instid1(VALU_DEP_1)
	v_rcp_iflag_f32_e32 v2, v2
	s_waitcnt_depctr 0xfff
	v_mul_f32_e32 v2, 0x4f7ffffe, v2
	v_cvt_u32_f32_e32 v2, v2
	s_delay_alu instid0(VALU_DEP_1) | instskip(NEXT) | instid1(VALU_DEP_1)
	v_readfirstlane_b32 s3, v2
	s_mul_i32 s4, s4, s3
	s_delay_alu instid0(SALU_CYCLE_1) | instskip(NEXT) | instid1(SALU_CYCLE_1)
	s_mul_hi_u32 s4, s3, s4
	s_add_i32 s3, s3, s4
	s_ashr_i32 s4, s19, 31
	s_mul_hi_u32 s3, s5, s3
	s_delay_alu instid0(SALU_CYCLE_1) | instskip(NEXT) | instid1(SALU_CYCLE_1)
	s_mul_i32 s3, s3, s2
	s_sub_i32 s3, s5, s3
	s_delay_alu instid0(SALU_CYCLE_1) | instskip(SKIP_2) | instid1(SALU_CYCLE_1)
	s_sub_i32 s5, s3, s2
	s_cmp_ge_u32 s3, s2
	s_cselect_b32 s3, s5, s3
	s_sub_i32 s5, s3, s2
	s_cmp_ge_u32 s3, s2
	s_cselect_b32 s2, s5, s3
	s_add_i32 s3, s20, s19
	s_xor_b32 s2, s2, s4
	s_delay_alu instid0(SALU_CYCLE_1) | instskip(NEXT) | instid1(SALU_CYCLE_1)
	s_sub_i32 s2, s2, s4
	s_sub_i32 s3, s3, s2
	s_cmp_eq_u32 s2, 0
	s_cselect_b32 s3, s19, s3
	s_delay_alu instid0(SALU_CYCLE_1)
	v_cmp_gt_u32_e32 vcc_lo, s3, v80
	s_and_b32 exec_lo, exec_lo, vcc_lo
	s_cbranch_execz .LBB250_54
; %bb.4:
	s_load_b256 s[4:11], s[0:1], 0x10
	s_min_u32 s15, s18, 0x2000
	s_cmp_lg_u32 s16, 0
	s_load_b64 s[12:13], s[0:1], 0x30
	s_cselect_b32 s22, -1, 0
	s_cmp_lg_u32 s18, 0
	v_and_b32_e32 v0, 0x3ff, v0
	s_cselect_b32 s23, -1, 0
	s_lshl_b32 s24, s20, 8
	s_add_i32 s25, s16, -8
	s_add_i32 s26, s19, -1
	v_lshlrev_b32_e32 v88, 3, v0
	v_cmp_eq_u32_e64 s0, 31, v0
	v_lshlrev_b32_e32 v0, 4, v0
	v_mbcnt_lo_u32_b32 v87, -1, 0
	s_delay_alu instid0(VALU_DEP_4) | instskip(SKIP_1) | instid1(VALU_DEP_4)
	v_lshl_add_u32 v83, v1, 8, v88
	v_mov_b32_e32 v82, 0
	v_lshl_add_u32 v89, v1, 9, v0
	s_waitcnt lgkmcnt(0)
	s_cmp_lg_u64 s[10:11], 0
	v_cvt_f32_u32_e32 v3, s4
	s_cselect_b32 s27, -1, 0
	s_abs_i32 s2, s5
	s_mul_i32 s5, s21, s20
	v_cvt_f32_u32_e32 v2, s2
	v_rcp_iflag_f32_e32 v3, v3
	s_sub_i32 s30, 0, s2
	s_sub_i32 s28, s5, s19
	;; [unrolled: 1-line block ×3, first 2 shown]
	v_rcp_iflag_f32_e32 v2, v2
	s_add_i32 s28, s28, 2
	s_sub_i32 s31, 1, s2
	v_mad_u64_u32 v[84:85], null, s18, 3, v[83:84]
	v_add_nc_u32_e32 v85, s18, v83
	v_lshl_add_u32 v90, s18, 1, v83
	s_mul_i32 s21, s15, 6
	s_waitcnt_depctr 0xfff
	v_mul_f32_e32 v2, 0x4f7ffffe, v2
	s_delay_alu instid0(VALU_DEP_1) | instskip(NEXT) | instid1(VALU_DEP_1)
	v_cvt_u32_f32_e32 v2, v2
	v_readfirstlane_b32 s1, v2
	v_mul_f32_e32 v2, 0x4f7ffffe, v3
	s_delay_alu instid0(VALU_DEP_2) | instskip(NEXT) | instid1(VALU_DEP_1)
	s_mul_i32 s30, s30, s1
	v_cvt_u32_f32_e32 v0, v2
	s_mul_hi_u32 s30, s1, s30
	s_delay_alu instid0(SALU_CYCLE_1) | instskip(SKIP_1) | instid1(VALU_DEP_1)
	s_add_i32 s1, s1, s30
	s_cmp_lt_u32 s2, 2
	v_mul_lo_u32 v1, s29, v0
	s_cselect_b32 s30, s31, 1
	s_delay_alu instid0(SALU_CYCLE_1)
	s_sub_i32 s31, s30, s2
	s_cmp_ge_u32 s30, s2
	s_cselect_b32 s30, s31, s30
	s_lshr_b32 s31, s1, 31
	s_mul_hi_u32 s1, s1, 3
	s_mul_i32 s31, s31, s2
	s_mul_i32 s1, s1, s2
	s_sub_i32 s29, 2, s31
	v_mul_hi_u32 v1, v0, v1
	s_sub_i32 s31, s29, s2
	s_cmp_ge_u32 s29, s2
	s_cselect_b32 s29, s31, s29
	s_delay_alu instid0(SALU_CYCLE_1) | instskip(SKIP_1) | instid1(VALU_DEP_1)
	s_sub_i32 s31, s29, s2
	s_cmp_ge_u32 s29, s2
	v_add_nc_u32_e32 v91, v0, v1
	s_cselect_b32 s31, s31, s29
	s_sub_i32 s1, 3, s1
	s_delay_alu instid0(SALU_CYCLE_1)
	s_sub_i32 s29, s1, s2
	s_cmp_ge_u32 s1, s2
	s_cselect_b32 s1, s29, s1
	s_mul_i32 s29, s30, s4
	s_sub_i32 s33, s1, s2
	s_cmp_ge_u32 s1, s2
	s_mul_i32 s30, s31, s4
	s_cselect_b32 s33, s33, s1
	s_lshl_b32 s20, s20, 9
	s_lshl_b32 s31, s15, 2
	s_mul_i32 s33, s33, s4
	s_lshl_b32 s34, s15, 1
	s_branch .LBB250_7
.LBB250_5:                              ;   in Loop: Header=BB250_7 Depth=1
	s_or_b32 exec_lo, exec_lo, s1
.LBB250_6:                              ;   in Loop: Header=BB250_7 Depth=1
	s_delay_alu instid0(SALU_CYCLE_1) | instskip(NEXT) | instid1(VALU_DEP_1)
	s_or_b32 exec_lo, exec_lo, s2
	v_cmp_le_u32_e32 vcc_lo, s3, v0
	v_mov_b32_e32 v80, v0
	s_or_b32 s14, vcc_lo, s14
	s_delay_alu instid0(SALU_CYCLE_1)
	s_and_not1_b32 exec_lo, exec_lo, s14
	s_cbranch_execz .LBB250_54
.LBB250_7:                              ; =>This Loop Header: Depth=1
                                        ;     Child Loop BB250_14 Depth 2
                                        ;       Child Loop BB250_19 Depth 3
	v_mov_b32_e32 v94, v82
	v_mov_b32_e32 v95, v82
	v_mov_b32_e32 v96, v82
	v_mov_b32_e32 v97, v82
	s_and_not1_b32 vcc_lo, exec_lo, s22
	s_mov_b32 s35, 0
	s_cbranch_vccnz .LBB250_28
; %bb.8:                                ;   in Loop: Header=BB250_7 Depth=1
	v_min_u32_e32 v0, s26, v80
	v_cmp_gt_u32_e64 s1, s19, v80
	v_dual_mov_b32 v97, 0 :: v_dual_mov_b32 v96, 0
	v_dual_mov_b32 v95, 0 :: v_dual_mov_b32 v94, 0
	s_delay_alu instid0(VALU_DEP_4) | instskip(SKIP_1) | instid1(VALU_DEP_1)
	v_mul_lo_u32 v81, v0, s17
	s_mov_b32 s36, 0
	v_lshlrev_b64 v[0:1], 1, v[81:82]
	s_delay_alu instid0(VALU_DEP_1) | instskip(NEXT) | instid1(VALU_DEP_2)
	v_add_co_u32 v92, vcc_lo, s6, v0
	v_add_co_ci_u32_e32 v93, vcc_lo, s7, v1, vcc_lo
	s_branch .LBB250_14
.LBB250_9:                              ;   in Loop: Header=BB250_14 Depth=2
	s_or_b32 exec_lo, exec_lo, s40
.LBB250_10:                             ;   in Loop: Header=BB250_14 Depth=2
	s_delay_alu instid0(SALU_CYCLE_1)
	s_or_b32 exec_lo, exec_lo, s39
.LBB250_11:                             ;   in Loop: Header=BB250_14 Depth=2
	s_delay_alu instid0(SALU_CYCLE_1)
	s_or_b32 exec_lo, exec_lo, s38
.LBB250_12:                             ;   in Loop: Header=BB250_14 Depth=2
	s_delay_alu instid0(SALU_CYCLE_1)
	s_or_b32 exec_lo, exec_lo, s37
	s_waitcnt vmcnt(3)
	v_and_b32_e32 v100, 0xffff0000, v65
	v_and_b32_e32 v101, 0xffff0000, v66
	v_lshlrev_b32_e32 v66, 16, v66
	s_waitcnt lgkmcnt(3)
	v_and_b32_e32 v99, 0xffff0000, v77
	v_and_b32_e32 v81, 0xffff0000, v76
	v_lshlrev_b32_e32 v77, 16, v77
	v_lshlrev_b32_e32 v65, 16, v65
	s_delay_alu instid0(VALU_DEP_4) | instskip(SKIP_1) | instid1(VALU_DEP_2)
	v_mul_f32_e32 v99, v99, v100
	v_and_b32_e32 v98, 0xffff0000, v64
	v_dual_fmac_f32 v99, v77, v65 :: v_dual_lshlrev_b32 v64, 16, v64
	s_delay_alu instid0(VALU_DEP_2) | instskip(NEXT) | instid1(VALU_DEP_1)
	v_dual_mul_f32 v81, v81, v98 :: v_dual_lshlrev_b32 v76, 16, v76
	v_dual_fmac_f32 v81, v76, v64 :: v_dual_and_b32 v76, 0xffff0000, v78
	s_delay_alu instid0(VALU_DEP_1) | instskip(NEXT) | instid1(VALU_DEP_2)
	v_dual_add_f32 v77, v97, v81 :: v_dual_lshlrev_b32 v78, 16, v78
	v_dual_mul_f32 v76, v76, v101 :: v_dual_and_b32 v81, 0xffff0000, v79
	v_and_b32_e32 v97, 0xffff0000, v67
	s_delay_alu instid0(VALU_DEP_3) | instskip(SKIP_1) | instid1(VALU_DEP_3)
	v_add_f32_e32 v77, v77, v99
	v_lshlrev_b32_e32 v79, 16, v79
	v_dual_mul_f32 v81, v81, v97 :: v_dual_fmac_f32 v76, v78, v66
	v_lshlrev_b32_e32 v67, 16, v67
	s_waitcnt lgkmcnt(2)
	v_and_b32_e32 v78, 0xffff0000, v72
	s_delay_alu instid0(VALU_DEP_2) | instskip(NEXT) | instid1(VALU_DEP_2)
	v_dual_add_f32 v76, v77, v76 :: v_dual_fmac_f32 v81, v79, v67
	v_dual_mul_f32 v78, v78, v98 :: v_dual_and_b32 v77, 0xffff0000, v73
	s_waitcnt lgkmcnt(1)
	v_and_b32_e32 v79, 0xffff0000, v68
	v_lshlrev_b32_e32 v72, 16, v72
	v_add_f32_e32 v76, v76, v81
	s_delay_alu instid0(VALU_DEP_2) | instskip(SKIP_2) | instid1(VALU_DEP_3)
	v_fmac_f32_e32 v78, v72, v64
	v_dual_mul_f32 v73, v77, v100 :: v_dual_lshlrev_b32 v72, 16, v73
	v_and_b32_e32 v77, 0xffff0000, v74
	v_add_f32_e32 v78, v96, v78
	s_delay_alu instid0(VALU_DEP_3) | instskip(NEXT) | instid1(VALU_DEP_3)
	v_dual_fmac_f32 v73, v72, v65 :: v_dual_lshlrev_b32 v72, 16, v74
	v_mul_f32_e32 v74, v77, v101
	v_dual_mul_f32 v77, v79, v98 :: v_dual_lshlrev_b32 v68, 16, v68
	s_delay_alu instid0(VALU_DEP_3) | instskip(SKIP_1) | instid1(VALU_DEP_4)
	v_add_f32_e32 v73, v78, v73
	v_and_b32_e32 v78, 0xffff0000, v69
	v_fmac_f32_e32 v74, v72, v66
	s_delay_alu instid0(VALU_DEP_4) | instskip(NEXT) | instid1(VALU_DEP_2)
	v_dual_fmac_f32 v77, v68, v64 :: v_dual_and_b32 v72, 0xffff0000, v75
	v_dual_add_f32 v73, v73, v74 :: v_dual_lshlrev_b32 v68, 16, v69
	s_delay_alu instid0(VALU_DEP_4) | instskip(NEXT) | instid1(VALU_DEP_3)
	v_dual_mul_f32 v69, v78, v100 :: v_dual_and_b32 v78, 0xffff0000, v70
	v_add_f32_e32 v77, v95, v77
	s_delay_alu instid0(VALU_DEP_4) | instskip(NEXT) | instid1(VALU_DEP_3)
	v_mul_f32_e32 v72, v72, v97
	v_dual_fmac_f32 v69, v68, v65 :: v_dual_lshlrev_b32 v68, 16, v70
	s_delay_alu instid0(VALU_DEP_4) | instskip(SKIP_1) | instid1(VALU_DEP_2)
	v_dual_mul_f32 v70, v78, v101 :: v_dual_lshlrev_b32 v75, 16, v75
	s_waitcnt lgkmcnt(0)
	v_dual_add_f32 v69, v77, v69 :: v_dual_and_b32 v74, 0xffff0000, v60
	s_delay_alu instid0(VALU_DEP_2) | instskip(NEXT) | instid1(VALU_DEP_3)
	v_fmac_f32_e32 v70, v68, v66
	v_fmac_f32_e32 v72, v75, v67
	v_lshlrev_b32_e32 v60, 16, v60
	s_delay_alu instid0(VALU_DEP_4) | instskip(NEXT) | instid1(VALU_DEP_4)
	v_mul_f32_e32 v68, v74, v98
	v_add_f32_e32 v69, v69, v70
	s_delay_alu instid0(VALU_DEP_4) | instskip(SKIP_1) | instid1(VALU_DEP_4)
	v_dual_add_f32 v72, v73, v72 :: v_dual_and_b32 v73, 0xffff0000, v61
	v_and_b32_e32 v70, 0xffff0000, v71
	v_fmac_f32_e32 v68, v60, v64
	s_delay_alu instid0(VALU_DEP_3) | instskip(SKIP_1) | instid1(VALU_DEP_4)
	v_dual_mul_f32 v61, v73, v100 :: v_dual_lshlrev_b32 v60, 16, v61
	v_lshlrev_b32_e32 v64, 16, v71
	v_dual_mul_f32 v70, v70, v97 :: v_dual_and_b32 v71, 0xffff0000, v62
	s_delay_alu instid0(VALU_DEP_3)
	v_fmac_f32_e32 v61, v60, v65
	s_waitcnt vmcnt(2)
	v_and_b32_e32 v65, 0xffff0000, v48
	v_lshlrev_b32_e32 v60, 16, v62
	v_dual_mul_f32 v62, v71, v101 :: v_dual_and_b32 v71, 0xffff0000, v50
	v_lshlrev_b32_e32 v48, 16, v48
	v_lshlrev_b32_e32 v50, 16, v50
	s_delay_alu instid0(VALU_DEP_3) | instskip(SKIP_4) | instid1(VALU_DEP_3)
	v_fmac_f32_e32 v62, v60, v66
	v_fmac_f32_e32 v70, v64, v67
	v_and_b32_e32 v64, 0xffff0000, v56
	v_lshlrev_b32_e32 v56, 16, v56
	v_and_b32_e32 v66, 0xffff0000, v57
	v_mul_f32_e32 v60, v64, v65
	v_and_b32_e32 v64, 0xffff0000, v63
	v_dual_add_f32 v68, v94, v68 :: v_dual_lshlrev_b32 v63, 16, v63
	s_delay_alu instid0(VALU_DEP_3) | instskip(SKIP_1) | instid1(VALU_DEP_4)
	v_fmac_f32_e32 v60, v56, v48
	v_lshlrev_b32_e32 v56, 16, v57
	v_mul_f32_e32 v64, v64, v97
	s_delay_alu instid0(VALU_DEP_4) | instskip(SKIP_1) | instid1(VALU_DEP_3)
	v_add_f32_e32 v61, v68, v61
	v_and_b32_e32 v68, 0xffff0000, v49
	v_dual_fmac_f32 v64, v63, v67 :: v_dual_lshlrev_b32 v49, 16, v49
	v_and_b32_e32 v63, 0xffff0000, v53
	s_delay_alu instid0(VALU_DEP_3) | instskip(SKIP_1) | instid1(VALU_DEP_2)
	v_mul_f32_e32 v57, v66, v68
	v_add_f32_e32 v60, v76, v60
	v_dual_fmac_f32 v57, v56, v49 :: v_dual_and_b32 v66, 0xffff0000, v58
	s_delay_alu instid0(VALU_DEP_1) | instskip(SKIP_2) | instid1(VALU_DEP_1)
	v_dual_add_f32 v57, v60, v57 :: v_dual_and_b32 v60, 0xffff0000, v59
	v_lshlrev_b32_e32 v59, 16, v59
	v_dual_add_f32 v61, v61, v62 :: v_dual_and_b32 v62, 0xffff0000, v51
	v_dual_mul_f32 v60, v60, v62 :: v_dual_lshlrev_b32 v51, 16, v51
	s_delay_alu instid0(VALU_DEP_1) | instskip(NEXT) | instid1(VALU_DEP_1)
	v_dual_fmac_f32 v60, v59, v51 :: v_dual_and_b32 v59, 0xffff0000, v54
	v_dual_mul_f32 v59, v59, v71 :: v_dual_lshlrev_b32 v54, 16, v54
	s_delay_alu instid0(VALU_DEP_1) | instskip(SKIP_3) | instid1(VALU_DEP_2)
	v_dual_fmac_f32 v59, v54, v50 :: v_dual_and_b32 v54, 0xffff0000, v45
	v_lshlrev_b32_e32 v56, 16, v58
	v_mul_f32_e32 v58, v66, v71
	v_add_f32_e32 v66, v69, v70
	v_fmac_f32_e32 v58, v56, v50
	v_and_b32_e32 v56, 0xffff0000, v52
	s_delay_alu instid0(VALU_DEP_2) | instskip(NEXT) | instid1(VALU_DEP_2)
	v_dual_add_f32 v57, v57, v58 :: v_dual_lshlrev_b32 v52, 16, v52
	v_mul_f32_e32 v56, v56, v65
	s_delay_alu instid0(VALU_DEP_1) | instskip(SKIP_1) | instid1(VALU_DEP_2)
	v_fmac_f32_e32 v56, v52, v48
	v_dual_mul_f32 v53, v63, v68 :: v_dual_lshlrev_b32 v52, 16, v53
	v_add_f32_e32 v56, v72, v56
	s_delay_alu instid0(VALU_DEP_2) | instskip(SKIP_1) | instid1(VALU_DEP_2)
	v_dual_fmac_f32 v53, v52, v49 :: v_dual_add_f32 v52, v57, v60
	v_and_b32_e32 v57, 0xffff0000, v44
	v_dual_add_f32 v53, v56, v53 :: v_dual_lshlrev_b32 v44, 16, v44
	s_delay_alu instid0(VALU_DEP_2) | instskip(SKIP_1) | instid1(VALU_DEP_2)
	v_dual_mul_f32 v57, v57, v65 :: v_dual_and_b32 v56, 0xffff0000, v55
	v_lshlrev_b32_e32 v55, 16, v55
	v_dual_add_f32 v53, v53, v59 :: v_dual_mul_f32 v56, v56, v62
	s_delay_alu instid0(VALU_DEP_3) | instskip(SKIP_2) | instid1(VALU_DEP_3)
	v_dual_fmac_f32 v57, v44, v48 :: v_dual_lshlrev_b32 v44, 16, v45
	v_mul_f32_e32 v45, v54, v68
	v_and_b32_e32 v54, 0xffff0000, v40
	v_dual_fmac_f32 v56, v55, v51 :: v_dual_add_f32 v55, v66, v57
	v_lshlrev_b32_e32 v40, 16, v40
	v_and_b32_e32 v57, 0xffff0000, v41
	s_delay_alu instid0(VALU_DEP_4) | instskip(SKIP_1) | instid1(VALU_DEP_2)
	v_mul_f32_e32 v54, v54, v65
	v_dual_fmac_f32 v45, v44, v49 :: v_dual_add_f32 v58, v61, v64
	v_fmac_f32_e32 v54, v40, v48
	s_delay_alu instid0(VALU_DEP_4) | instskip(NEXT) | instid1(VALU_DEP_3)
	v_dual_mul_f32 v41, v57, v68 :: v_dual_lshlrev_b32 v40, 16, v41
	v_dual_add_f32 v45, v55, v45 :: v_dual_and_b32 v48, 0xffff0000, v47
	s_delay_alu instid0(VALU_DEP_2)
	v_dual_add_f32 v54, v58, v54 :: v_dual_fmac_f32 v41, v40, v49
	s_waitcnt vmcnt(1)
	v_and_b32_e32 v49, 0xffff0000, v25
	v_and_b32_e32 v44, 0xffff0000, v46
	v_lshlrev_b32_e32 v46, 16, v46
	v_lshlrev_b32_e32 v25, 16, v25
	v_dual_add_f32 v41, v54, v41 :: v_dual_lshlrev_b32 v40, 16, v42
	s_delay_alu instid0(VALU_DEP_4) | instskip(NEXT) | instid1(VALU_DEP_1)
	v_mul_f32_e32 v44, v44, v71
	v_fmac_f32_e32 v44, v46, v50
	v_and_b32_e32 v46, 0xffff0000, v42
	s_delay_alu instid0(VALU_DEP_1) | instskip(SKIP_1) | instid1(VALU_DEP_2)
	v_mul_f32_e32 v42, v46, v71
	v_dual_mul_f32 v47, v48, v62 :: v_dual_lshlrev_b32 v46, 16, v47
	v_fmac_f32_e32 v42, v40, v50
	v_add_f32_e32 v40, v45, v44
	v_and_b32_e32 v44, 0xffff0000, v36
	v_and_b32_e32 v45, 0xffff0000, v24
	v_dual_fmac_f32 v47, v46, v51 :: v_dual_lshlrev_b32 v36, 16, v36
	v_lshlrev_b32_e32 v24, 16, v24
	v_and_b32_e32 v46, 0xffff0000, v37
	s_delay_alu instid0(VALU_DEP_4) | instskip(NEXT) | instid1(VALU_DEP_4)
	v_dual_mul_f32 v44, v44, v45 :: v_dual_add_f32 v41, v41, v42
	v_add_f32_e32 v40, v40, v47
	s_delay_alu instid0(VALU_DEP_2) | instskip(SKIP_3) | instid1(VALU_DEP_4)
	v_fmac_f32_e32 v44, v36, v24
	v_lshlrev_b32_e32 v36, 16, v37
	v_dual_mul_f32 v37, v46, v49 :: v_dual_and_b32 v46, 0xffff0000, v26
	v_lshlrev_b32_e32 v26, 16, v26
	v_add_f32_e32 v44, v52, v44
	s_delay_alu instid0(VALU_DEP_3) | instskip(NEXT) | instid1(VALU_DEP_1)
	v_fmac_f32_e32 v37, v36, v25
	v_dual_add_f32 v37, v44, v37 :: v_dual_and_b32 v44, 0xffff0000, v27
	v_and_b32_e32 v42, 0xffff0000, v43
	v_lshlrev_b32_e32 v43, 16, v43
	v_lshlrev_b32_e32 v27, 16, v27
	;; [unrolled: 1-line block ×3, first 2 shown]
	s_delay_alu instid0(VALU_DEP_4) | instskip(NEXT) | instid1(VALU_DEP_1)
	v_mul_f32_e32 v42, v42, v62
	v_dual_fmac_f32 v42, v43, v51 :: v_dual_and_b32 v43, 0xffff0000, v38
	v_add_f32_e32 v48, v53, v56
	s_delay_alu instid0(VALU_DEP_2) | instskip(SKIP_1) | instid1(VALU_DEP_2)
	v_dual_mul_f32 v38, v43, v46 :: v_dual_and_b32 v43, 0xffff0000, v32
	v_lshlrev_b32_e32 v32, 16, v32
	v_fmac_f32_e32 v38, v36, v26
	s_delay_alu instid0(VALU_DEP_3) | instskip(SKIP_1) | instid1(VALU_DEP_2)
	v_mul_f32_e32 v36, v43, v45
	v_and_b32_e32 v43, 0xffff0000, v33
	v_dual_add_f32 v37, v37, v38 :: v_dual_fmac_f32 v36, v32, v24
	v_lshlrev_b32_e32 v32, 16, v33
	s_delay_alu instid0(VALU_DEP_3) | instskip(SKIP_3) | instid1(VALU_DEP_4)
	v_mul_f32_e32 v33, v43, v49
	v_and_b32_e32 v43, 0xffff0000, v34
	v_and_b32_e32 v38, 0xffff0000, v28
	v_add_f32_e32 v36, v48, v36
	v_dual_fmac_f32 v33, v32, v25 :: v_dual_lshlrev_b32 v28, 16, v28
	v_lshlrev_b32_e32 v32, 16, v34
	s_delay_alu instid0(VALU_DEP_2) | instskip(SKIP_1) | instid1(VALU_DEP_2)
	v_dual_mul_f32 v34, v43, v46 :: v_dual_add_f32 v33, v36, v33
	v_mul_f32_e32 v36, v38, v45
	v_fmac_f32_e32 v34, v32, v26
	v_and_b32_e32 v32, 0xffff0000, v35
	v_lshlrev_b32_e32 v35, 16, v35
	v_and_b32_e32 v38, 0xffff0000, v29
	s_delay_alu instid0(VALU_DEP_4) | instskip(NEXT) | instid1(VALU_DEP_4)
	v_dual_fmac_f32 v36, v28, v24 :: v_dual_add_f32 v33, v33, v34
	v_mul_f32_e32 v32, v32, v44
	v_lshlrev_b32_e32 v28, 16, v29
	s_delay_alu instid0(VALU_DEP_2) | instskip(NEXT) | instid1(VALU_DEP_4)
	v_dual_mul_f32 v29, v38, v49 :: v_dual_fmac_f32 v32, v35, v27
	v_dual_add_f32 v35, v40, v36 :: v_dual_and_b32 v36, 0xffff0000, v30
	s_delay_alu instid0(VALU_DEP_2) | instskip(NEXT) | instid1(VALU_DEP_3)
	v_dual_fmac_f32 v29, v28, v25 :: v_dual_lshlrev_b32 v30, 16, v30
	v_add_f32_e32 v28, v33, v32
	s_delay_alu instid0(VALU_DEP_3) | instskip(NEXT) | instid1(VALU_DEP_3)
	v_dual_mul_f32 v33, v36, v46 :: v_dual_and_b32 v32, 0xffff0000, v20
	v_dual_add_f32 v29, v35, v29 :: v_dual_lshlrev_b32 v20, 16, v20
	s_delay_alu instid0(VALU_DEP_2) | instskip(NEXT) | instid1(VALU_DEP_3)
	v_dual_mul_f32 v32, v32, v45 :: v_dual_and_b32 v35, 0xffff0000, v31
	v_dual_fmac_f32 v33, v30, v26 :: v_dual_and_b32 v30, 0xffff0000, v21
	v_lshlrev_b32_e32 v31, 16, v31
	s_delay_alu instid0(VALU_DEP_3) | instskip(NEXT) | instid1(VALU_DEP_4)
	v_mul_f32_e32 v35, v35, v44
	v_fmac_f32_e32 v32, v20, v24
	v_lshlrev_b32_e32 v20, 16, v21
	v_mul_f32_e32 v21, v30, v49
	v_dual_add_f32 v24, v29, v33 :: v_dual_and_b32 v29, 0xffff0000, v22
	v_fmac_f32_e32 v35, v31, v27
	s_waitcnt vmcnt(0)
	v_and_b32_e32 v31, 0xffff0000, v2
	v_dual_fmac_f32 v21, v20, v25 :: v_dual_lshlrev_b32 v20, 16, v22
	v_dual_mul_f32 v22, v29, v46 :: v_dual_and_b32 v29, 0xffff0000, v0
	v_add_f32_e32 v41, v41, v42
	v_and_b32_e32 v25, 0xffff0000, v16
	v_lshlrev_b32_e32 v16, 16, v16
	s_delay_alu instid0(VALU_DEP_4)
	v_fmac_f32_e32 v22, v20, v26
	v_lshlrev_b32_e32 v0, 16, v0
	v_add_f32_e32 v30, v41, v32
	v_mul_f32_e32 v20, v25, v29
	v_and_b32_e32 v26, 0xffff0000, v17
	v_lshlrev_b32_e32 v2, 16, v2
	v_and_b32_e32 v25, 0xffff0000, v23
	v_add_f32_e32 v21, v30, v21
	v_and_b32_e32 v30, 0xffff0000, v1
	v_fmac_f32_e32 v20, v16, v0
	v_lshlrev_b32_e32 v16, 16, v17
	v_lshlrev_b32_e32 v1, 16, v1
	v_add_f32_e32 v21, v21, v22
	v_mul_f32_e32 v17, v26, v30
	v_and_b32_e32 v26, 0xffff0000, v18
	v_and_b32_e32 v22, 0xffff0000, v12
	v_lshlrev_b32_e32 v12, 16, v12
	v_lshlrev_b32_e32 v23, 16, v23
	v_dual_fmac_f32 v17, v16, v1 :: v_dual_lshlrev_b32 v16, 16, v18
	v_dual_mul_f32 v18, v26, v31 :: v_dual_mul_f32 v25, v25, v44
	v_add_f32_e32 v24, v24, v35
	s_delay_alu instid0(VALU_DEP_2) | instskip(SKIP_3) | instid1(VALU_DEP_3)
	v_fmac_f32_e32 v18, v16, v2
	v_and_b32_e32 v42, 0xffff0000, v39
	v_dual_mul_f32 v16, v22, v29 :: v_dual_lshlrev_b32 v39, 16, v39
	v_and_b32_e32 v22, 0xffff0000, v3
	v_dual_mul_f32 v42, v42, v44 :: v_dual_lshlrev_b32 v3, 16, v3
	s_delay_alu instid0(VALU_DEP_3) | instskip(SKIP_1) | instid1(VALU_DEP_2)
	v_dual_fmac_f32 v16, v12, v0 :: v_dual_fmac_f32 v25, v23, v27
	v_lshlrev_b32_e32 v12, 16, v13
	v_add_f32_e32 v16, v28, v16
	s_delay_alu instid0(VALU_DEP_4) | instskip(NEXT) | instid1(VALU_DEP_1)
	v_fmac_f32_e32 v42, v39, v27
	v_add_f32_e32 v34, v37, v42
	s_delay_alu instid0(VALU_DEP_1) | instskip(NEXT) | instid1(VALU_DEP_1)
	v_add_f32_e32 v20, v34, v20
	v_add_f32_e32 v17, v20, v17
	;; [unrolled: 1-line block ×3, first 2 shown]
	v_and_b32_e32 v21, 0xffff0000, v13
	s_delay_alu instid0(VALU_DEP_3) | instskip(NEXT) | instid1(VALU_DEP_2)
	v_dual_add_f32 v17, v17, v18 :: v_dual_and_b32 v18, 0xffff0000, v19
	v_mul_f32_e32 v13, v21, v30
	v_and_b32_e32 v21, 0xffff0000, v14
	s_delay_alu instid0(VALU_DEP_3) | instskip(NEXT) | instid1(VALU_DEP_3)
	v_dual_mul_f32 v18, v18, v22 :: v_dual_lshlrev_b32 v19, 16, v19
	v_dual_fmac_f32 v13, v12, v1 :: v_dual_lshlrev_b32 v12, 16, v14
	s_delay_alu instid0(VALU_DEP_3) | instskip(NEXT) | instid1(VALU_DEP_2)
	v_dual_mul_f32 v14, v21, v31 :: v_dual_and_b32 v21, 0xffff0000, v4
	v_dual_add_f32 v13, v16, v13 :: v_dual_lshlrev_b32 v4, 16, v4
	v_and_b32_e32 v16, 0xffff0000, v5
	s_delay_alu instid0(VALU_DEP_3) | instskip(NEXT) | instid1(VALU_DEP_4)
	v_fmac_f32_e32 v14, v12, v2
	v_mul_f32_e32 v12, v21, v29
	v_dual_fmac_f32 v18, v19, v3 :: v_dual_and_b32 v19, 0xffff0000, v9
	s_delay_alu instid0(VALU_DEP_2) | instskip(SKIP_3) | instid1(VALU_DEP_4)
	v_dual_add_f32 v13, v13, v14 :: v_dual_fmac_f32 v12, v4, v0
	v_dual_mul_f32 v5, v16, v30 :: v_dual_lshlrev_b32 v4, 16, v5
	v_and_b32_e32 v16, 0xffff0000, v8
	v_lshlrev_b32_e32 v8, 16, v8
	v_add_f32_e32 v12, v24, v12
	s_delay_alu instid0(VALU_DEP_4)
	v_dual_fmac_f32 v5, v4, v1 :: v_dual_and_b32 v14, 0xffff0000, v15
	v_and_b32_e32 v4, 0xffff0000, v6
	v_mul_f32_e32 v16, v16, v29
	v_lshlrev_b32_e32 v6, 16, v6
	v_lshlrev_b32_e32 v15, 16, v15
	v_add_f32_e32 v5, v12, v5
	v_mul_f32_e32 v4, v4, v31
	v_fmac_f32_e32 v16, v8, v0
	v_lshlrev_b32_e32 v0, 16, v9
	v_dual_mul_f32 v8, v19, v30 :: v_dual_and_b32 v9, 0xffff0000, v7
	s_delay_alu instid0(VALU_DEP_4) | instskip(SKIP_2) | instid1(VALU_DEP_4)
	v_fmac_f32_e32 v4, v6, v2
	v_and_b32_e32 v6, 0xffff0000, v10
	v_add_f32_e32 v12, v20, v16
	v_fmac_f32_e32 v8, v0, v1
	v_lshlrev_b32_e32 v0, 16, v10
	v_mul_f32_e32 v14, v14, v22
	v_mul_f32_e32 v1, v6, v31
	v_lshlrev_b32_e32 v6, 16, v7
	v_and_b32_e32 v7, 0xffff0000, v11
	v_dual_mul_f32 v9, v9, v22 :: v_dual_add_f32 v8, v12, v8
	s_delay_alu instid0(VALU_DEP_4) | instskip(NEXT) | instid1(VALU_DEP_2)
	v_dual_fmac_f32 v1, v0, v2 :: v_dual_lshlrev_b32 v0, 16, v11
	v_dual_mul_f32 v2, v7, v22 :: v_dual_fmac_f32 v9, v6, v3
	v_fmac_f32_e32 v14, v15, v3
	s_delay_alu instid0(VALU_DEP_3) | instskip(NEXT) | instid1(VALU_DEP_3)
	v_dual_add_f32 v4, v5, v4 :: v_dual_add_f32 v1, v8, v1
	v_dual_fmac_f32 v2, v0, v3 :: v_dual_add_f32 v97, v17, v18
	s_delay_alu instid0(VALU_DEP_2) | instskip(NEXT) | instid1(VALU_DEP_2)
	v_dual_add_f32 v96, v13, v14 :: v_dual_add_f32 v95, v4, v9
	v_add_f32_e32 v94, v1, v2
.LBB250_13:                             ;   in Loop: Header=BB250_14 Depth=2
	s_or_b32 exec_lo, exec_lo, s2
	s_addk_i32 s36, 0x400
	s_delay_alu instid0(SALU_CYCLE_1)
	s_cmp_ge_u32 s36, s16
	s_cbranch_scc1 .LBB250_28
.LBB250_14:                             ;   Parent Loop BB250_7 Depth=1
                                        ; =>  This Loop Header: Depth=2
                                        ;       Child Loop BB250_19 Depth 3
	s_cmp_eq_u32 s36, 0
	s_cselect_b32 s37, -1, 0
	s_add_i32 s2, s35, s15
	s_delay_alu instid0(SALU_CYCLE_1) | instskip(SKIP_1) | instid1(SALU_CYCLE_1)
	s_cmp_eq_u32 s36, s2
	s_cselect_b32 s38, -1, 0
	s_or_b32 s38, s37, s38
	s_delay_alu instid0(SALU_CYCLE_1)
	s_and_not1_b32 vcc_lo, exec_lo, s38
	s_cbranch_vccz .LBB250_16
; %bb.15:                               ;   in Loop: Header=BB250_14 Depth=2
	s_and_saveexec_b32 s2, s1
	s_cbranch_execz .LBB250_13
	s_branch .LBB250_23
.LBB250_16:                             ;   in Loop: Header=BB250_14 Depth=2
	s_and_b32 s37, s37, exec_lo
	s_cselect_b32 s35, s35, s2
	s_and_not1_b32 vcc_lo, exec_lo, s23
	s_waitcnt vmcnt(0)
	s_waitcnt_vscnt null, 0x0
	s_barrier
	buffer_gl0_inv
	s_cbranch_vccnz .LBB250_22
; %bb.17:                               ;   in Loop: Header=BB250_14 Depth=2
	v_add_nc_u32_e32 v0, s35, v90
	v_dual_mov_b32 v4, v89 :: v_dual_add_nc_u32 v1, s35, v84
	v_add_nc_u32_e32 v2, s35, v85
	v_add_nc_u32_e32 v3, s35, v83
	s_mov_b32 s37, 0
	s_mov_b32 s38, 0
                                        ; implicit-def: $sgpr39
	s_branch .LBB250_19
.LBB250_18:                             ;   in Loop: Header=BB250_19 Depth=3
	s_or_b32 exec_lo, exec_lo, s2
	s_delay_alu instid0(SALU_CYCLE_1) | instskip(NEXT) | instid1(SALU_CYCLE_1)
	s_and_b32 s2, exec_lo, s39
	s_or_b32 s37, s2, s37
	s_delay_alu instid0(SALU_CYCLE_1)
	s_and_not1_b32 exec_lo, exec_lo, s37
	s_cbranch_execz .LBB250_21
.LBB250_19:                             ;   Parent Loop BB250_7 Depth=1
                                        ;     Parent Loop BB250_14 Depth=2
                                        ; =>    This Inner Loop Header: Depth=3
	s_delay_alu instid0(VALU_DEP_1) | instskip(SKIP_2) | instid1(VALU_DEP_2)
	v_add_nc_u32_e32 v81, s38, v3
	v_add_nc_u32_e32 v5, s38, v83
	s_or_b32 s39, s39, exec_lo
	v_cmp_gt_u32_e32 vcc_lo, s18, v81
	s_delay_alu instid0(VALU_DEP_2) | instskip(NEXT) | instid1(VALU_DEP_1)
	v_cmp_gt_u32_e64 s2, s15, v5
	s_and_b32 s40, s2, vcc_lo
	s_delay_alu instid0(SALU_CYCLE_1)
	s_and_saveexec_b32 s2, s40
	s_cbranch_execz .LBB250_18
; %bb.20:                               ;   in Loop: Header=BB250_19 Depth=3
	v_lshlrev_b64 v[5:6], 1, v[81:82]
	v_add_nc_u32_e32 v81, s38, v2
	v_add_nc_u32_e32 v21, s34, v4
	;; [unrolled: 1-line block ×3, first 2 shown]
	s_delay_alu instid0(VALU_DEP_3) | instskip(SKIP_3) | instid1(VALU_DEP_3)
	v_lshlrev_b64 v[7:8], 1, v[81:82]
	v_add_nc_u32_e32 v81, s38, v0
	v_add_co_u32 v5, vcc_lo, s8, v5
	v_add_co_ci_u32_e32 v6, vcc_lo, s9, v6, vcc_lo
	v_lshlrev_b64 v[13:14], 1, v[81:82]
	v_add_nc_u32_e32 v81, s38, v1
	v_add_co_u32 v9, vcc_lo, s8, v7
	v_add_co_ci_u32_e32 v10, vcc_lo, s9, v8, vcc_lo
	s_delay_alu instid0(VALU_DEP_3)
	v_lshlrev_b64 v[15:16], 1, v[81:82]
	v_add_co_u32 v13, vcc_lo, s8, v13
	v_add_co_ci_u32_e32 v14, vcc_lo, s9, v14, vcc_lo
	s_clause 0x1
	global_load_b128 v[5:8], v[5:6], off
	global_load_b128 v[9:12], v[9:10], off
	v_add_co_u32 v17, vcc_lo, s8, v15
	v_add_co_ci_u32_e32 v18, vcc_lo, s9, v16, vcc_lo
	s_clause 0x1
	global_load_b128 v[13:16], v[13:14], off
	global_load_b128 v[17:20], v[17:18], off
	s_add_i32 s38, s38, s24
	s_waitcnt vmcnt(3)
	ds_store_b128 v4, v[5:8]
	s_waitcnt vmcnt(2)
	ds_store_2addr_b64 v21, v[9:10], v[11:12] offset1:1
	s_cmp_ge_u32 s38, s15
	v_add_nc_u32_e32 v5, s21, v4
	s_cselect_b32 s40, -1, 0
	v_add_nc_u32_e32 v4, s20, v4
	s_and_not1_b32 s39, s39, exec_lo
	s_and_b32 s40, s40, exec_lo
	s_waitcnt vmcnt(1)
	ds_store_2addr_b32 v22, v13, v14 offset1:1
	ds_store_2addr_b32 v22, v15, v16 offset0:2 offset1:3
	s_or_b32 s39, s39, s40
	s_waitcnt vmcnt(0)
	ds_store_2addr_b64 v5, v[17:18], v[19:20] offset1:1
	s_branch .LBB250_18
.LBB250_21:                             ;   in Loop: Header=BB250_14 Depth=2
	s_or_b32 exec_lo, exec_lo, s37
.LBB250_22:                             ;   in Loop: Header=BB250_14 Depth=2
	s_waitcnt lgkmcnt(0)
	s_barrier
	buffer_gl0_inv
	s_and_saveexec_b32 s2, s1
	s_cbranch_execz .LBB250_13
.LBB250_23:                             ;   in Loop: Header=BB250_14 Depth=2
	s_waitcnt vmcnt(3)
	v_dual_mov_b32 v11, 0 :: v_dual_add_nc_u32 v100, s36, v88
	v_dual_mov_b32 v15, 0 :: v_dual_mov_b32 v14, 0
	v_dual_mov_b32 v13, 0 :: v_dual_mov_b32 v12, 0
	s_delay_alu instid0(VALU_DEP_3) | instskip(SKIP_3) | instid1(VALU_DEP_3)
	v_min_u32_e32 v81, s25, v100
	s_waitcnt vmcnt(2)
	v_dual_mov_b32 v10, 0 :: v_dual_add_nc_u32 v101, 0x100, v100
	v_dual_mov_b32 v8, 0 :: v_dual_add_nc_u32 v99, 0x200, v100
	v_lshlrev_b64 v[0:1], 1, v[81:82]
	s_delay_alu instid0(VALU_DEP_3) | instskip(SKIP_2) | instid1(VALU_DEP_3)
	v_min_u32_e32 v81, s25, v101
	v_dual_mov_b32 v9, 0 :: v_dual_add_nc_u32 v98, 0x300, v100
	v_dual_mov_b32 v19, 0 :: v_dual_mov_b32 v18, 0
	v_lshlrev_b64 v[2:3], 1, v[81:82]
	v_min_u32_e32 v81, s25, v99
	v_add_co_u32 v0, vcc_lo, v92, v0
	v_add_co_ci_u32_e32 v1, vcc_lo, v93, v1, vcc_lo
	s_waitcnt vmcnt(0)
	s_delay_alu instid0(VALU_DEP_3) | instskip(SKIP_3) | instid1(VALU_DEP_3)
	v_lshlrev_b64 v[4:5], 1, v[81:82]
	v_min_u32_e32 v81, s25, v98
	v_add_co_u32 v2, vcc_lo, v92, v2
	v_add_co_ci_u32_e32 v3, vcc_lo, v93, v3, vcc_lo
	v_lshlrev_b64 v[6:7], 1, v[81:82]
	v_add_co_u32 v4, vcc_lo, v92, v4
	v_add_co_ci_u32_e32 v5, vcc_lo, v93, v5, vcc_lo
	v_dual_mov_b32 v17, 0 :: v_dual_mov_b32 v16, 0
	s_delay_alu instid0(VALU_DEP_4)
	v_add_co_u32 v6, vcc_lo, v92, v6
	v_add_co_ci_u32_e32 v7, vcc_lo, v93, v7, vcc_lo
	s_clause 0x3
	global_load_b128 v[64:67], v[0:1], off slc dlc
	global_load_b128 v[48:51], v[2:3], off slc dlc
	;; [unrolled: 1-line block ×4, first 2 shown]
	v_cmp_gt_u32_e32 vcc_lo, s16, v100
	v_dual_mov_b32 v7, 0 :: v_dual_mov_b32 v6, 0
	v_dual_mov_b32 v5, 0 :: v_dual_mov_b32 v4, 0
	;; [unrolled: 1-line block ×26, first 2 shown]
	s_and_saveexec_b32 s37, vcc_lo
	s_cbranch_execz .LBB250_12
; %bb.24:                               ;   in Loop: Header=BB250_14 Depth=2
	v_subrev_nc_u32_e32 v4, s35, v100
	v_mov_b32_e32 v58, 0
	v_cmp_gt_u32_e32 vcc_lo, s16, v101
	v_dual_mov_b32 v56, 0 :: v_dual_mov_b32 v57, 0
	s_delay_alu instid0(VALU_DEP_4) | instskip(SKIP_2) | instid1(VALU_DEP_3)
	v_lshlrev_b32_e32 v81, 1, v4
	v_dual_mov_b32 v59, 0 :: v_dual_mov_b32 v52, 0
	v_dual_mov_b32 v53, 0 :: v_dual_mov_b32 v54, 0
	v_dual_mov_b32 v55, 0 :: v_dual_add_nc_u32 v100, s34, v81
	v_mov_b32_e32 v46, 0
	v_dual_mov_b32 v44, 0 :: v_dual_mov_b32 v45, 0
	s_delay_alu instid0(VALU_DEP_3) | instskip(SKIP_2) | instid1(VALU_DEP_3)
	v_add_nc_u32_e32 v101, s34, v100
	v_dual_mov_b32 v47, 0 :: v_dual_mov_b32 v40, 0
	v_dual_mov_b32 v41, 0 :: v_dual_mov_b32 v42, 0
	v_dual_mov_b32 v43, 0 :: v_dual_add_nc_u32 v102, s34, v101
	ds_load_b128 v[76:79], v81
	ds_load_b128 v[72:75], v100
	;; [unrolled: 1-line block ×4, first 2 shown]
	v_dual_mov_b32 v36, 0 :: v_dual_mov_b32 v37, 0
	v_dual_mov_b32 v38, 0 :: v_dual_mov_b32 v39, 0
	v_dual_mov_b32 v32, 0 :: v_dual_mov_b32 v33, 0
	v_dual_mov_b32 v34, 0 :: v_dual_mov_b32 v35, 0
	v_dual_mov_b32 v28, 0 :: v_dual_mov_b32 v29, 0
	v_dual_mov_b32 v30, 0 :: v_dual_mov_b32 v31, 0
	v_dual_mov_b32 v20, 0 :: v_dual_mov_b32 v21, 0
	v_dual_mov_b32 v22, 0 :: v_dual_mov_b32 v23, 0
	v_dual_mov_b32 v16, 0 :: v_dual_mov_b32 v17, 0
	v_dual_mov_b32 v18, 0 :: v_dual_mov_b32 v19, 0
	v_dual_mov_b32 v12, 0 :: v_dual_mov_b32 v13, 0
	v_dual_mov_b32 v14, 0 :: v_dual_mov_b32 v15, 0
	v_dual_mov_b32 v4, 0 :: v_dual_mov_b32 v5, 0
	v_dual_mov_b32 v6, 0 :: v_dual_mov_b32 v7, 0
	v_dual_mov_b32 v8, 0 :: v_dual_mov_b32 v9, 0
	v_dual_mov_b32 v10, 0 :: v_dual_mov_b32 v11, 0
	s_and_saveexec_b32 s38, vcc_lo
	s_cbranch_execz .LBB250_11
; %bb.25:                               ;   in Loop: Header=BB250_14 Depth=2
	ds_load_b128 v[56:59], v81 offset:512
	ds_load_b128 v[52:55], v100 offset:512
	ds_load_b128 v[44:47], v101 offset:512
	ds_load_b128 v[40:43], v102 offset:512
	v_cmp_gt_u32_e32 vcc_lo, s16, v99
	v_dual_mov_b32 v36, 0 :: v_dual_mov_b32 v37, 0
	v_dual_mov_b32 v38, 0 :: v_dual_mov_b32 v39, 0
	;; [unrolled: 1-line block ×16, first 2 shown]
	s_and_saveexec_b32 s39, vcc_lo
	s_cbranch_execz .LBB250_10
; %bb.26:                               ;   in Loop: Header=BB250_14 Depth=2
	ds_load_b128 v[36:39], v81 offset:1024
	ds_load_b128 v[32:35], v100 offset:1024
	;; [unrolled: 1-line block ×4, first 2 shown]
	v_dual_mov_b32 v16, 0 :: v_dual_mov_b32 v17, 0
	v_dual_mov_b32 v18, 0 :: v_dual_mov_b32 v19, 0
	;; [unrolled: 1-line block ×8, first 2 shown]
	s_mov_b32 s40, exec_lo
	v_cmpx_gt_u32_e64 s16, v98
	s_cbranch_execz .LBB250_9
; %bb.27:                               ;   in Loop: Header=BB250_14 Depth=2
	ds_load_b128 v[16:19], v81 offset:1536
	ds_load_b128 v[12:15], v100 offset:1536
	;; [unrolled: 1-line block ×4, first 2 shown]
	s_branch .LBB250_9
.LBB250_28:                             ;   in Loop: Header=BB250_7 Depth=1
	s_mov_b32 s1, exec_lo
                                        ; implicit-def: $vgpr0
	v_cmpx_le_u32_e64 s19, v80
	s_xor_b32 s1, exec_lo, s1
; %bb.29:                               ;   in Loop: Header=BB250_7 Depth=1
	v_add_nc_u32_e32 v0, s5, v80
                                        ; implicit-def: $vgpr80
                                        ; implicit-def: $vgpr97
                                        ; implicit-def: $vgpr96
                                        ; implicit-def: $vgpr95
                                        ; implicit-def: $vgpr94
; %bb.30:                               ;   in Loop: Header=BB250_7 Depth=1
	s_and_not1_saveexec_b32 s2, s1
	s_cbranch_execz .LBB250_6
; %bb.31:                               ;   in Loop: Header=BB250_7 Depth=1
	v_cvt_i32_f32_e32 v0, v97
	v_cvt_i32_f32_e32 v1, v96
	;; [unrolled: 1-line block ×4, first 2 shown]
	s_delay_alu instid0(VALU_DEP_4) | instskip(NEXT) | instid1(VALU_DEP_4)
	v_cvt_f32_i32_dpp v0, v0 row_shr:8 row_mask:0xf bank_mask:0xf bound_ctrl:1
	v_cvt_f32_i32_dpp v1, v1 row_shr:8 row_mask:0xf bank_mask:0xf bound_ctrl:1
	s_delay_alu instid0(VALU_DEP_4) | instskip(NEXT) | instid1(VALU_DEP_4)
	v_cvt_f32_i32_dpp v2, v2 row_shr:8 row_mask:0xf bank_mask:0xf bound_ctrl:1
	v_cvt_f32_i32_dpp v3, v3 row_shr:8 row_mask:0xf bank_mask:0xf bound_ctrl:1
	s_delay_alu instid0(VALU_DEP_3) | instskip(NEXT) | instid1(VALU_DEP_2)
	v_dual_add_f32 v0, v97, v0 :: v_dual_add_f32 v1, v96, v1
	v_dual_add_f32 v2, v95, v2 :: v_dual_add_f32 v3, v94, v3
	s_waitcnt vmcnt(0)
	s_delay_alu instid0(VALU_DEP_2) | instskip(NEXT) | instid1(VALU_DEP_3)
	v_cvt_i32_f32_e32 v4, v0
	v_cvt_i32_f32_e32 v5, v1
	s_delay_alu instid0(VALU_DEP_3) | instskip(SKIP_1) | instid1(VALU_DEP_4)
	v_cvt_i32_f32_e32 v6, v2
	v_cvt_i32_f32_e32 v7, v3
	v_cvt_f32_i32_dpp v4, v4 row_shr:4 row_mask:0xf bank_mask:0xf bound_ctrl:1
	s_delay_alu instid0(VALU_DEP_4) | instskip(NEXT) | instid1(VALU_DEP_4)
	v_cvt_f32_i32_dpp v5, v5 row_shr:4 row_mask:0xf bank_mask:0xf bound_ctrl:1
	v_cvt_f32_i32_dpp v6, v6 row_shr:4 row_mask:0xf bank_mask:0xf bound_ctrl:1
	s_delay_alu instid0(VALU_DEP_4) | instskip(NEXT) | instid1(VALU_DEP_3)
	v_cvt_f32_i32_dpp v7, v7 row_shr:4 row_mask:0xf bank_mask:0xf bound_ctrl:1
	v_dual_add_f32 v0, v0, v4 :: v_dual_add_f32 v1, v1, v5
	s_delay_alu instid0(VALU_DEP_2) | instskip(NEXT) | instid1(VALU_DEP_2)
	v_dual_add_f32 v2, v2, v6 :: v_dual_add_f32 v3, v3, v7
	v_cvt_i32_f32_e32 v4, v0
	s_delay_alu instid0(VALU_DEP_3) | instskip(NEXT) | instid1(VALU_DEP_3)
	v_cvt_i32_f32_e32 v5, v1
	v_cvt_i32_f32_e32 v6, v2
	s_delay_alu instid0(VALU_DEP_4) | instskip(NEXT) | instid1(VALU_DEP_4)
	v_cvt_i32_f32_e32 v7, v3
	v_cvt_f32_i32_dpp v4, v4 row_shr:2 row_mask:0xf bank_mask:0xf bound_ctrl:1
	s_delay_alu instid0(VALU_DEP_4) | instskip(NEXT) | instid1(VALU_DEP_4)
	v_cvt_f32_i32_dpp v5, v5 row_shr:2 row_mask:0xf bank_mask:0xf bound_ctrl:1
	v_cvt_f32_i32_dpp v6, v6 row_shr:2 row_mask:0xf bank_mask:0xf bound_ctrl:1
	s_delay_alu instid0(VALU_DEP_4) | instskip(NEXT) | instid1(VALU_DEP_3)
	v_cvt_f32_i32_dpp v7, v7 row_shr:2 row_mask:0xf bank_mask:0xf bound_ctrl:1
	v_dual_add_f32 v0, v0, v4 :: v_dual_add_f32 v1, v1, v5
	s_delay_alu instid0(VALU_DEP_2) | instskip(SKIP_1) | instid1(VALU_DEP_3)
	v_dual_add_f32 v2, v2, v6 :: v_dual_add_f32 v3, v3, v7
	v_xor_b32_e32 v4, 16, v87
	v_cvt_i32_f32_e32 v5, v0
	s_delay_alu instid0(VALU_DEP_4) | instskip(NEXT) | instid1(VALU_DEP_4)
	v_cvt_i32_f32_e32 v6, v1
	v_cvt_i32_f32_e32 v7, v2
	v_cvt_i32_f32_e32 v8, v3
	v_cmp_gt_i32_e32 vcc_lo, 32, v4
	v_cvt_f32_i32_dpp v5, v5 row_shr:1 row_mask:0xf bank_mask:0xf bound_ctrl:1
	v_cvt_f32_i32_dpp v6, v6 row_shr:1 row_mask:0xf bank_mask:0xf bound_ctrl:1
	;; [unrolled: 1-line block ×4, first 2 shown]
	v_cndmask_b32_e32 v4, v87, v4, vcc_lo
	s_delay_alu instid0(VALU_DEP_4) | instskip(NEXT) | instid1(VALU_DEP_4)
	v_dual_add_f32 v8, v0, v5 :: v_dual_add_f32 v5, v1, v6
	v_add_f32_e32 v2, v2, v7
	s_delay_alu instid0(VALU_DEP_4) | instskip(NEXT) | instid1(VALU_DEP_4)
	v_add_f32_e32 v0, v3, v9
	v_lshlrev_b32_e32 v4, 2, v4
	ds_bpermute_b32 v9, v4, v8
	ds_bpermute_b32 v6, v4, v5
	;; [unrolled: 1-line block ×4, first 2 shown]
	s_and_saveexec_b32 s1, s0
	s_cbranch_execz .LBB250_52
; %bb.32:                               ;   in Loop: Header=BB250_7 Depth=1
	v_dual_mov_b32 v4, 0 :: v_dual_mov_b32 v7, 0
	v_dual_mov_b32 v10, 0 :: v_dual_mov_b32 v11, 0
	s_and_not1_b32 vcc_lo, exec_lo, s27
	s_cbranch_vccnz .LBB250_34
; %bb.33:                               ;   in Loop: Header=BB250_7 Depth=1
	v_mul_hi_u32 v4, v80, v91
	v_mov_b32_e32 v11, v82
	s_delay_alu instid0(VALU_DEP_2) | instskip(NEXT) | instid1(VALU_DEP_1)
	v_mul_lo_u32 v4, v4, s4
	v_sub_nc_u32_e32 v4, v80, v4
	s_delay_alu instid0(VALU_DEP_1) | instskip(SKIP_1) | instid1(VALU_DEP_2)
	v_subrev_nc_u32_e32 v7, s4, v4
	v_cmp_le_u32_e32 vcc_lo, s4, v4
	v_cndmask_b32_e32 v4, v4, v7, vcc_lo
	s_delay_alu instid0(VALU_DEP_1) | instskip(SKIP_1) | instid1(VALU_DEP_2)
	v_subrev_nc_u32_e32 v7, s4, v4
	v_cmp_le_u32_e32 vcc_lo, s4, v4
	v_cndmask_b32_e32 v81, v4, v7, vcc_lo
	s_delay_alu instid0(VALU_DEP_1) | instskip(SKIP_3) | instid1(VALU_DEP_4)
	v_dual_mov_b32 v13, v82 :: v_dual_add_nc_u32 v10, s29, v81
	v_lshlrev_b64 v[14:15], 1, v[81:82]
	v_add_nc_u32_e32 v12, s30, v81
	v_add_nc_u32_e32 v81, s33, v81
	v_lshlrev_b64 v[10:11], 1, v[10:11]
	s_delay_alu instid0(VALU_DEP_3)
	v_lshlrev_b64 v[12:13], 1, v[12:13]
	v_add_co_u32 v14, vcc_lo, s10, v14
	v_add_co_ci_u32_e32 v15, vcc_lo, s11, v15, vcc_lo
	v_lshlrev_b64 v[16:17], 1, v[81:82]
	v_add_co_u32 v18, vcc_lo, s10, v10
	v_add_co_ci_u32_e32 v19, vcc_lo, s11, v11, vcc_lo
	v_add_co_u32 v12, vcc_lo, s10, v12
	v_add_co_ci_u32_e32 v13, vcc_lo, s11, v13, vcc_lo
	;; [unrolled: 2-line block ×3, first 2 shown]
	s_clause 0x3
	global_load_u16 v11, v[14:15], off
	global_load_u16 v10, v[18:19], off
	;; [unrolled: 1-line block ×4, first 2 shown]
.LBB250_34:                             ;   in Loop: Header=BB250_7 Depth=1
	v_cmp_ne_u32_e32 vcc_lo, 0, v86
	s_and_b32 exec_lo, exec_lo, vcc_lo
	s_cbranch_execz .LBB250_52
; %bb.35:                               ;   in Loop: Header=BB250_7 Depth=1
	s_waitcnt vmcnt(3) lgkmcnt(3)
	v_dual_add_f32 v8, v8, v9 :: v_dual_lshlrev_b32 v9, 16, v11
	s_delay_alu instid0(VALU_DEP_1) | instskip(NEXT) | instid1(VALU_DEP_1)
	v_add_f32_e32 v9, v8, v9
	v_and_b32_e32 v8, 0x7f800000, v9
	s_delay_alu instid0(VALU_DEP_1) | instskip(SKIP_1) | instid1(SALU_CYCLE_1)
	v_cmp_ne_u32_e32 vcc_lo, 0x7f800000, v8
                                        ; implicit-def: $vgpr8
	s_and_saveexec_b32 s35, vcc_lo
	s_xor_b32 s35, exec_lo, s35
; %bb.36:                               ;   in Loop: Header=BB250_7 Depth=1
	v_bfe_u32 v8, v9, 16, 1
	s_delay_alu instid0(VALU_DEP_1)
	v_add3_u32 v8, v9, v8, 0x7fff
                                        ; implicit-def: $vgpr9
; %bb.37:                               ;   in Loop: Header=BB250_7 Depth=1
	s_and_not1_saveexec_b32 s35, s35
; %bb.38:                               ;   in Loop: Header=BB250_7 Depth=1
	v_and_b32_e32 v8, 0xffff, v9
	v_or_b32_e32 v11, 0x10000, v9
	s_delay_alu instid0(VALU_DEP_2) | instskip(NEXT) | instid1(VALU_DEP_2)
	v_cmp_eq_u32_e32 vcc_lo, 0, v8
	v_cndmask_b32_e32 v8, v11, v9, vcc_lo
; %bb.39:                               ;   in Loop: Header=BB250_7 Depth=1
	s_or_b32 exec_lo, exec_lo, s35
	s_waitcnt lgkmcnt(2)
	v_add_f32_e32 v5, v5, v6
	s_waitcnt vmcnt(2)
	v_dual_mov_b32 v81, v82 :: v_dual_lshlrev_b32 v6, 16, v10
	s_delay_alu instid0(VALU_DEP_1) | instskip(NEXT) | instid1(VALU_DEP_2)
	v_add_f32_e32 v6, v5, v6
	v_lshlrev_b64 v[9:10], 1, v[80:81]
	s_delay_alu instid0(VALU_DEP_2) | instskip(NEXT) | instid1(VALU_DEP_2)
	v_and_b32_e32 v5, 0x7f800000, v6
	v_add_co_u32 v9, vcc_lo, s12, v9
	s_delay_alu instid0(VALU_DEP_3) | instskip(NEXT) | instid1(VALU_DEP_3)
	v_add_co_ci_u32_e32 v10, vcc_lo, s13, v10, vcc_lo
	v_cmp_ne_u32_e32 vcc_lo, 0x7f800000, v5
                                        ; implicit-def: $vgpr5
	global_store_d16_hi_b16 v[9:10], v8, off
	s_and_saveexec_b32 s35, vcc_lo
	s_delay_alu instid0(SALU_CYCLE_1)
	s_xor_b32 s35, exec_lo, s35
; %bb.40:                               ;   in Loop: Header=BB250_7 Depth=1
	v_bfe_u32 v5, v6, 16, 1
	s_delay_alu instid0(VALU_DEP_1)
	v_add3_u32 v5, v6, v5, 0x7fff
                                        ; implicit-def: $vgpr6
; %bb.41:                               ;   in Loop: Header=BB250_7 Depth=1
	s_and_not1_saveexec_b32 s35, s35
; %bb.42:                               ;   in Loop: Header=BB250_7 Depth=1
	v_and_b32_e32 v5, 0xffff, v6
	v_or_b32_e32 v8, 0x10000, v6
	s_delay_alu instid0(VALU_DEP_2) | instskip(NEXT) | instid1(VALU_DEP_2)
	v_cmp_eq_u32_e32 vcc_lo, 0, v5
	v_cndmask_b32_e32 v5, v8, v6, vcc_lo
; %bb.43:                               ;   in Loop: Header=BB250_7 Depth=1
	s_or_b32 exec_lo, exec_lo, s35
	s_waitcnt lgkmcnt(1)
	v_dual_add_f32 v2, v2, v3 :: v_dual_add_nc_u32 v81, s19, v80
	s_waitcnt vmcnt(1)
	v_lshlrev_b32_e32 v3, 16, v7
	s_delay_alu instid0(VALU_DEP_2) | instskip(NEXT) | instid1(VALU_DEP_2)
	v_lshlrev_b64 v[6:7], 1, v[81:82]
	v_add_f32_e32 v3, v2, v3
	s_delay_alu instid0(VALU_DEP_1) | instskip(NEXT) | instid1(VALU_DEP_3)
	v_and_b32_e32 v2, 0x7f800000, v3
	v_add_co_u32 v6, vcc_lo, s12, v6
	s_delay_alu instid0(VALU_DEP_4) | instskip(NEXT) | instid1(VALU_DEP_3)
	v_add_co_ci_u32_e32 v7, vcc_lo, s13, v7, vcc_lo
	v_cmp_ne_u32_e32 vcc_lo, 0x7f800000, v2
                                        ; implicit-def: $vgpr2
	global_store_d16_hi_b16 v[6:7], v5, off
	s_and_saveexec_b32 s35, vcc_lo
	s_delay_alu instid0(SALU_CYCLE_1)
	s_xor_b32 s35, exec_lo, s35
; %bb.44:                               ;   in Loop: Header=BB250_7 Depth=1
	v_bfe_u32 v2, v3, 16, 1
	s_delay_alu instid0(VALU_DEP_1)
	v_add3_u32 v2, v3, v2, 0x7fff
                                        ; implicit-def: $vgpr3
; %bb.45:                               ;   in Loop: Header=BB250_7 Depth=1
	s_and_not1_saveexec_b32 s35, s35
; %bb.46:                               ;   in Loop: Header=BB250_7 Depth=1
	v_and_b32_e32 v2, 0xffff, v3
	v_or_b32_e32 v5, 0x10000, v3
	s_delay_alu instid0(VALU_DEP_2) | instskip(NEXT) | instid1(VALU_DEP_2)
	v_cmp_eq_u32_e32 vcc_lo, 0, v2
	v_cndmask_b32_e32 v2, v5, v3, vcc_lo
; %bb.47:                               ;   in Loop: Header=BB250_7 Depth=1
	s_or_b32 exec_lo, exec_lo, s35
	s_waitcnt vmcnt(0) lgkmcnt(0)
	v_dual_add_f32 v0, v0, v1 :: v_dual_lshlrev_b32 v1, 16, v4
	v_add_nc_u32_e32 v81, s19, v81
	s_delay_alu instid0(VALU_DEP_2) | instskip(NEXT) | instid1(VALU_DEP_2)
	v_add_f32_e32 v1, v0, v1
	v_lshlrev_b64 v[3:4], 1, v[81:82]
	s_delay_alu instid0(VALU_DEP_2) | instskip(NEXT) | instid1(VALU_DEP_2)
	v_and_b32_e32 v0, 0x7f800000, v1
	v_add_co_u32 v3, vcc_lo, s12, v3
	s_delay_alu instid0(VALU_DEP_3) | instskip(NEXT) | instid1(VALU_DEP_3)
	v_add_co_ci_u32_e32 v4, vcc_lo, s13, v4, vcc_lo
	v_cmp_ne_u32_e32 vcc_lo, 0x7f800000, v0
                                        ; implicit-def: $vgpr0
	global_store_d16_hi_b16 v[3:4], v2, off
	s_and_saveexec_b32 s35, vcc_lo
	s_delay_alu instid0(SALU_CYCLE_1)
	s_xor_b32 s35, exec_lo, s35
; %bb.48:                               ;   in Loop: Header=BB250_7 Depth=1
	v_bfe_u32 v0, v1, 16, 1
	s_delay_alu instid0(VALU_DEP_1)
	v_add3_u32 v0, v1, v0, 0x7fff
                                        ; implicit-def: $vgpr1
; %bb.49:                               ;   in Loop: Header=BB250_7 Depth=1
	s_and_not1_saveexec_b32 s35, s35
; %bb.50:                               ;   in Loop: Header=BB250_7 Depth=1
	v_and_b32_e32 v0, 0xffff, v1
	v_or_b32_e32 v2, 0x10000, v1
	s_delay_alu instid0(VALU_DEP_2) | instskip(NEXT) | instid1(VALU_DEP_2)
	v_cmp_eq_u32_e32 vcc_lo, 0, v0
	v_cndmask_b32_e32 v0, v2, v1, vcc_lo
; %bb.51:                               ;   in Loop: Header=BB250_7 Depth=1
	s_or_b32 exec_lo, exec_lo, s35
	v_add_nc_u32_e32 v81, s19, v81
	s_delay_alu instid0(VALU_DEP_1) | instskip(NEXT) | instid1(VALU_DEP_1)
	v_lshlrev_b64 v[1:2], 1, v[81:82]
	v_add_co_u32 v1, vcc_lo, s12, v1
	s_delay_alu instid0(VALU_DEP_2)
	v_add_co_ci_u32_e32 v2, vcc_lo, s13, v2, vcc_lo
	global_store_d16_hi_b16 v[1:2], v0, off
.LBB250_52:                             ;   in Loop: Header=BB250_7 Depth=1
	s_or_b32 exec_lo, exec_lo, s1
	v_add_nc_u32_e32 v0, s5, v80
	s_waitcnt lgkmcnt(0)
	s_delay_alu instid0(VALU_DEP_1) | instskip(SKIP_1) | instid1(VALU_DEP_2)
	v_add_nc_u32_e32 v1, 1, v0
	v_cmp_gt_u32_e32 vcc_lo, s19, v0
	v_cmp_le_u32_e64 s1, s19, v1
	s_delay_alu instid0(VALU_DEP_1) | instskip(NEXT) | instid1(SALU_CYCLE_1)
	s_and_b32 s35, vcc_lo, s1
	s_and_saveexec_b32 s1, s35
	s_cbranch_execz .LBB250_5
; %bb.53:                               ;   in Loop: Header=BB250_7 Depth=1
	v_add_nc_u32_e32 v0, s28, v80
	s_delay_alu instid0(VALU_DEP_1)
	v_cmp_eq_u32_e32 vcc_lo, 1, v0
	v_mov_b32_e32 v0, s26
	v_cndmask_b32_e32 v86, 0, v86, vcc_lo
	s_branch .LBB250_5
.LBB250_54:
	s_nop 0
	s_sendmsg sendmsg(MSG_DEALLOC_VGPRS)
	s_endpgm
	.section	.rodata,"a",@progbits
	.p2align	6, 0x0
	.amdhsa_kernel _Z16wvSplitK_hf_big_I14__hip_bfloat16Li32ELi1ELi16ELi8ELi4ELi4EEviiiiiiPKT_S3_S3_PS1_ii
		.amdhsa_group_segment_fixed_size 65536
		.amdhsa_private_segment_fixed_size 0
		.amdhsa_kernarg_size 64
		.amdhsa_user_sgpr_count 15
		.amdhsa_user_sgpr_dispatch_ptr 0
		.amdhsa_user_sgpr_queue_ptr 0
		.amdhsa_user_sgpr_kernarg_segment_ptr 1
		.amdhsa_user_sgpr_dispatch_id 0
		.amdhsa_user_sgpr_private_segment_size 0
		.amdhsa_wavefront_size32 1
		.amdhsa_uses_dynamic_stack 0
		.amdhsa_enable_private_segment 0
		.amdhsa_system_sgpr_workgroup_id_x 1
		.amdhsa_system_sgpr_workgroup_id_y 0
		.amdhsa_system_sgpr_workgroup_id_z 0
		.amdhsa_system_sgpr_workgroup_info 0
		.amdhsa_system_vgpr_workitem_id 1
		.amdhsa_next_free_vgpr 103
		.amdhsa_next_free_sgpr 41
		.amdhsa_reserve_vcc 1
		.amdhsa_float_round_mode_32 0
		.amdhsa_float_round_mode_16_64 0
		.amdhsa_float_denorm_mode_32 3
		.amdhsa_float_denorm_mode_16_64 3
		.amdhsa_dx10_clamp 1
		.amdhsa_ieee_mode 1
		.amdhsa_fp16_overflow 0
		.amdhsa_workgroup_processor_mode 1
		.amdhsa_memory_ordered 1
		.amdhsa_forward_progress 0
		.amdhsa_shared_vgpr_count 0
		.amdhsa_exception_fp_ieee_invalid_op 0
		.amdhsa_exception_fp_denorm_src 0
		.amdhsa_exception_fp_ieee_div_zero 0
		.amdhsa_exception_fp_ieee_overflow 0
		.amdhsa_exception_fp_ieee_underflow 0
		.amdhsa_exception_fp_ieee_inexact 0
		.amdhsa_exception_int_div_zero 0
	.end_amdhsa_kernel
	.section	.text._Z16wvSplitK_hf_big_I14__hip_bfloat16Li32ELi1ELi16ELi8ELi4ELi4EEviiiiiiPKT_S3_S3_PS1_ii,"axG",@progbits,_Z16wvSplitK_hf_big_I14__hip_bfloat16Li32ELi1ELi16ELi8ELi4ELi4EEviiiiiiPKT_S3_S3_PS1_ii,comdat
.Lfunc_end250:
	.size	_Z16wvSplitK_hf_big_I14__hip_bfloat16Li32ELi1ELi16ELi8ELi4ELi4EEviiiiiiPKT_S3_S3_PS1_ii, .Lfunc_end250-_Z16wvSplitK_hf_big_I14__hip_bfloat16Li32ELi1ELi16ELi8ELi4ELi4EEviiiiiiPKT_S3_S3_PS1_ii
                                        ; -- End function
	.section	.AMDGPU.csdata,"",@progbits
; Kernel info:
; codeLenInByte = 5712
; NumSgprs: 43
; NumVgprs: 103
; ScratchSize: 0
; MemoryBound: 0
; FloatMode: 240
; IeeeMode: 1
; LDSByteSize: 65536 bytes/workgroup (compile time only)
; SGPRBlocks: 5
; VGPRBlocks: 12
; NumSGPRsForWavesPerEU: 43
; NumVGPRsForWavesPerEU: 103
; Occupancy: 8
; WaveLimiterHint : 0
; COMPUTE_PGM_RSRC2:SCRATCH_EN: 0
; COMPUTE_PGM_RSRC2:USER_SGPR: 15
; COMPUTE_PGM_RSRC2:TRAP_HANDLER: 0
; COMPUTE_PGM_RSRC2:TGID_X_EN: 1
; COMPUTE_PGM_RSRC2:TGID_Y_EN: 0
; COMPUTE_PGM_RSRC2:TGID_Z_EN: 0
; COMPUTE_PGM_RSRC2:TIDIG_COMP_CNT: 1
	.section	.text._Z16wvSplitK_hf_sml_I14__hip_bfloat16Li32ELi2ELi16ELi8ELi2ELi4EEviiiiiiPKT_S3_S3_PS1_ii,"axG",@progbits,_Z16wvSplitK_hf_sml_I14__hip_bfloat16Li32ELi2ELi16ELi8ELi2ELi4EEviiiiiiPKT_S3_S3_PS1_ii,comdat
	.protected	_Z16wvSplitK_hf_sml_I14__hip_bfloat16Li32ELi2ELi16ELi8ELi2ELi4EEviiiiiiPKT_S3_S3_PS1_ii ; -- Begin function _Z16wvSplitK_hf_sml_I14__hip_bfloat16Li32ELi2ELi16ELi8ELi2ELi4EEviiiiiiPKT_S3_S3_PS1_ii
	.globl	_Z16wvSplitK_hf_sml_I14__hip_bfloat16Li32ELi2ELi16ELi8ELi2ELi4EEviiiiiiPKT_S3_S3_PS1_ii
	.p2align	8
	.type	_Z16wvSplitK_hf_sml_I14__hip_bfloat16Li32ELi2ELi16ELi8ELi2ELi4EEviiiiiiPKT_S3_S3_PS1_ii,@function
_Z16wvSplitK_hf_sml_I14__hip_bfloat16Li32ELi2ELi16ELi8ELi2ELi4EEviiiiiiPKT_S3_S3_PS1_ii: ; @_Z16wvSplitK_hf_sml_I14__hip_bfloat16Li32ELi2ELi16ELi8ELi2ELi4EEviiiiiiPKT_S3_S3_PS1_ii
; %bb.0:
	s_load_b128 s[4:7], s[0:1], 0x0
	v_and_b32_e32 v1, 0x3ff, v0
	v_bfe_u32 v0, v0, 10, 10
	s_mov_b32 s8, exec_lo
	s_delay_alu instid0(VALU_DEP_2) | instskip(NEXT) | instid1(VALU_DEP_1)
	v_lshlrev_b32_e32 v55, 3, v1
	v_lshl_add_u32 v3, v0, 8, v55
	s_waitcnt lgkmcnt(0)
	s_lshl_b32 s14, s6, 2
	s_delay_alu instid0(SALU_CYCLE_1)
	s_min_u32 s9, s14, 0x8000
	s_delay_alu instid0(VALU_DEP_1) | instid1(SALU_CYCLE_1)
	v_cmpx_gt_u32_e64 s9, v3
	s_cbranch_execz .LBB251_9
; %bb.1:
	s_load_b64 s[2:3], s[0:1], 0x20
	v_lshlrev_b32_e32 v2, 1, v3
	v_add_nc_u32_e32 v8, 0x1000, v3
	s_mov_b32 s10, exec_lo
	s_waitcnt lgkmcnt(0)
	global_load_b128 v[4:7], v2, s[2:3]
	s_waitcnt vmcnt(0)
	ds_store_b128 v2, v[4:7]
	v_cmpx_gt_u32_e64 s9, v8
	s_xor_b32 s10, exec_lo, s10
	s_cbranch_execz .LBB251_9
; %bb.2:
	v_add_co_u32 v4, s2, s2, v2
	s_delay_alu instid0(VALU_DEP_1) | instskip(SKIP_1) | instid1(VALU_DEP_3)
	v_add_co_ci_u32_e64 v5, null, s3, 0, s2
	v_add_nc_u32_e32 v10, 0x2000, v3
	v_add_co_u32 v6, vcc_lo, 0x2000, v4
	s_delay_alu instid0(VALU_DEP_3)
	v_add_co_ci_u32_e32 v7, vcc_lo, 0, v5, vcc_lo
	s_mov_b32 s2, exec_lo
	global_load_b128 v[6:9], v[6:7], off
	s_waitcnt vmcnt(0)
	ds_store_b128 v2, v[6:9] offset:8192
	v_cmpx_gt_u32_e64 s9, v10
	s_xor_b32 s2, exec_lo, s2
	s_cbranch_execz .LBB251_9
; %bb.3:
	v_add_co_u32 v6, vcc_lo, 0x4000, v4
	v_add_co_ci_u32_e32 v7, vcc_lo, 0, v5, vcc_lo
	v_add_nc_u32_e32 v10, 0x3000, v3
	s_mov_b32 s2, exec_lo
	global_load_b128 v[6:9], v[6:7], off
	s_waitcnt vmcnt(0)
	ds_store_b128 v2, v[6:9] offset:16384
	v_cmpx_gt_u32_e64 s9, v10
	s_xor_b32 s2, exec_lo, s2
	s_cbranch_execz .LBB251_9
; %bb.4:
	v_add_co_u32 v6, vcc_lo, 0x6000, v4
	v_add_co_ci_u32_e32 v7, vcc_lo, 0, v5, vcc_lo
	v_add_nc_u32_e32 v10, 0x4000, v3
	;; [unrolled: 11-line block ×5, first 2 shown]
	s_mov_b32 s2, exec_lo
	global_load_b128 v[6:9], v[6:7], off
	s_waitcnt vmcnt(0)
	ds_store_b128 v2, v[6:9] offset:49152
	v_cmpx_gt_u32_e64 s9, v3
	s_xor_b32 s2, exec_lo, s2
	s_cbranch_execz .LBB251_9
; %bb.8:
	v_add_co_u32 v3, vcc_lo, 0xe000, v4
	v_add_co_ci_u32_e32 v4, vcc_lo, 0, v5, vcc_lo
	global_load_b128 v[3:6], v[3:4], off
	s_waitcnt vmcnt(0)
	ds_store_b128 v2, v[3:6] offset:57344
.LBB251_9:
	s_or_b32 exec_lo, exec_lo, s8
	s_load_b64 s[16:17], s[0:1], 0x38
	s_waitcnt lgkmcnt(0)
	s_barrier
	buffer_gl0_inv
	s_mov_b32 s2, exec_lo
	v_cmpx_gt_u32_e64 s16, v0
	s_cbranch_execz .LBB251_56
; %bb.10:
	s_load_b64 s[2:3], s[0:1], 0x10
	s_mul_i32 s15, s15, s16
	s_delay_alu instid0(SALU_CYCLE_1) | instskip(NEXT) | instid1(VALU_DEP_1)
	v_add_lshl_u32 v40, s15, v0, 1
	v_cmp_gt_u32_e32 vcc_lo, s7, v40
	s_and_b32 exec_lo, exec_lo, vcc_lo
	s_cbranch_execz .LBB251_56
; %bb.11:
	s_clause 0x1
	s_load_b128 s[8:11], s[0:1], 0x28
	s_load_b64 s[12:13], s[0:1], 0x18
	s_cmp_lg_u32 s4, 0
	v_mbcnt_lo_u32_b32 v3, -1, 0
	s_cselect_b32 s1, -1, 0
	s_add_i32 s15, s4, -8
	s_add_i32 s18, s7, -1
	s_waitcnt lgkmcnt(0)
	v_cvt_f32_u32_e32 v2, s2
	s_mul_i32 s16, s16, s17
	v_cmp_eq_u32_e64 s0, 31, v1
	v_lshlrev_b32_e32 v56, 4, v1
	s_delay_alu instid0(VALU_DEP_3)
	v_rcp_iflag_f32_e32 v2, v2
	s_cmp_lg_u64 s[8:9], 0
	s_cselect_b32 s19, -1, 0
	s_abs_i32 s20, s3
	s_lshl_b32 s16, s16, 1
	v_cvt_f32_u32_e32 v0, s20
	s_sub_i32 s21, 0, s20
	s_sub_i32 s22, 0, s2
	;; [unrolled: 1-line block ×3, first 2 shown]
	s_mov_b32 s3, 0
	v_rcp_iflag_f32_e32 v0, v0
	s_waitcnt_depctr 0xfff
	v_mul_f32_e32 v0, 0x4f7ffffe, v0
	s_delay_alu instid0(VALU_DEP_1) | instskip(NEXT) | instid1(VALU_DEP_1)
	v_cvt_u32_f32_e32 v0, v0
	v_readfirstlane_b32 s17, v0
	v_mul_f32_e32 v0, 0x4f7ffffe, v2
	v_xor_b32_e32 v2, 16, v3
	s_delay_alu instid0(VALU_DEP_3) | instskip(NEXT) | instid1(VALU_DEP_2)
	s_mul_i32 s21, s21, s17
	v_cvt_u32_f32_e32 v0, v0
	s_mul_hi_u32 s21, s17, s21
	s_delay_alu instid0(VALU_DEP_2)
	v_cmp_gt_i32_e32 vcc_lo, 32, v2
	s_add_i32 s21, s17, s21
	s_cmp_lt_u32 s20, 2
	v_mul_lo_u32 v4, s22, v0
	s_cselect_b32 s23, s23, 1
	v_cndmask_b32_e32 v1, v3, v2, vcc_lo
	s_sub_i32 s24, s23, s20
	s_cmp_ge_u32 s23, s20
	v_mov_b32_e32 v42, 0
	s_cselect_b32 s23, s24, s23
	v_lshlrev_b32_e32 v57, 2, v1
	s_lshr_b32 s24, s21, 31
	s_mul_hi_u32 s21, s21, 3
	s_mul_i32 s24, s24, s20
	s_mul_i32 s21, s21, s20
	s_sub_i32 s22, 2, s24
	v_mul_hi_u32 v2, v0, v4
	s_sub_i32 s24, s22, s20
	s_cmp_ge_u32 s22, s20
	s_mul_i32 s17, s6, 6
	s_cselect_b32 s22, s24, s22
	s_delay_alu instid0(SALU_CYCLE_1) | instskip(SKIP_1) | instid1(VALU_DEP_1)
	s_sub_i32 s24, s22, s20
	s_cmp_ge_u32 s22, s20
	v_add_nc_u32_e32 v58, v0, v2
	s_cselect_b32 s22, s24, s22
	s_sub_i32 s21, 3, s21
	s_delay_alu instid0(SALU_CYCLE_1) | instskip(SKIP_2) | instid1(SALU_CYCLE_1)
	s_sub_i32 s24, s21, s20
	s_cmp_ge_u32 s21, s20
	s_cselect_b32 s21, s24, s21
	s_sub_i32 s24, s21, s20
	s_cmp_ge_u32 s21, s20
	s_mul_i32 s20, s23, s2
	s_cselect_b32 s23, s24, s21
	s_mul_i32 s21, s22, s2
	s_mul_i32 s22, s23, s2
	s_lshl_b32 s6, s6, 1
	s_branch .LBB251_14
.LBB251_12:                             ;   in Loop: Header=BB251_14 Depth=1
	s_or_b32 exec_lo, exec_lo, s24
	v_add_nc_u32_e32 v41, 1, v41
	s_delay_alu instid0(VALU_DEP_1) | instskip(NEXT) | instid1(VALU_DEP_1)
	v_lshlrev_b64 v[1:2], 1, v[41:42]
	v_add_co_u32 v1, vcc_lo, s10, v1
	s_delay_alu instid0(VALU_DEP_2)
	v_add_co_ci_u32_e32 v2, vcc_lo, s11, v2, vcc_lo
	global_store_d16_hi_b16 v[1:2], v0, off
.LBB251_13:                             ;   in Loop: Header=BB251_14 Depth=1
	s_or_b32 exec_lo, exec_lo, s23
	v_add_nc_u32_e32 v40, s16, v40
	s_delay_alu instid0(VALU_DEP_1) | instskip(SKIP_1) | instid1(SALU_CYCLE_1)
	v_cmp_le_u32_e32 vcc_lo, s7, v40
	s_or_b32 s3, vcc_lo, s3
	s_and_not1_b32 exec_lo, exec_lo, s3
	s_cbranch_execz .LBB251_56
.LBB251_14:                             ; =>This Loop Header: Depth=1
                                        ;     Child Loop BB251_18 Depth 2
	v_mov_b32_e32 v60, v42
	v_mov_b32_e32 v61, v42
	;; [unrolled: 1-line block ×8, first 2 shown]
	s_and_not1_b32 vcc_lo, exec_lo, s1
	s_cbranch_vccnz .LBB251_21
; %bb.15:                               ;   in Loop: Header=BB251_14 Depth=1
	v_or_b32_e32 v0, 1, v40
	v_min_u32_e32 v2, s18, v40
	s_waitcnt lgkmcnt(6)
	v_dual_mov_b32 v1, v42 :: v_dual_mov_b32 v66, 0
	v_dual_mov_b32 v59, v56 :: v_dual_mov_b32 v64, 0
	v_min_u32_e32 v0, s18, v0
	v_mul_lo_u32 v41, v2, s5
	v_dual_mov_b32 v65, 0 :: v_dual_mov_b32 v62, 0
	v_dual_mov_b32 v67, 0 :: v_dual_mov_b32 v60, 0
	s_delay_alu instid0(VALU_DEP_4) | instskip(SKIP_4) | instid1(VALU_DEP_4)
	v_mul_lo_u32 v0, v0, s5
	v_mov_b32_e32 v63, 0
	v_mov_b32_e32 v61, 0
	v_lshlrev_b64 v[43:44], 1, v[41:42]
	s_mov_b32 s23, 0
	v_lshlrev_b64 v[45:46], 1, v[0:1]
	s_branch .LBB251_18
.LBB251_16:                             ;   in Loop: Header=BB251_18 Depth=2
	s_or_b32 exec_lo, exec_lo, s25
.LBB251_17:                             ;   in Loop: Header=BB251_18 Depth=2
	s_delay_alu instid0(SALU_CYCLE_1)
	s_or_b32 exec_lo, exec_lo, s24
	s_waitcnt lgkmcnt(4)
	v_and_b32_e32 v69, 0xffff0000, v37
	s_waitcnt vmcnt(3)
	v_and_b32_e32 v71, 0xffff0000, v33
	v_and_b32_e32 v41, 0xffff0000, v36
	s_waitcnt vmcnt(2)
	v_and_b32_e32 v75, 0xffff0000, v24
	v_lshlrev_b32_e32 v36, 16, v36
	v_lshlrev_b32_e32 v24, 16, v24
	v_mul_f32_e32 v74, v69, v71
	v_and_b32_e32 v68, 0xffff0000, v32
	v_and_b32_e32 v76, 0xffff0000, v25
	v_lshlrev_b32_e32 v25, 16, v25
	s_addk_i32 s23, 0x200
	s_delay_alu instid0(VALU_DEP_3) | instskip(SKIP_3) | instid1(VALU_DEP_2)
	v_dual_mul_f32 v70, v41, v68 :: v_dual_add_nc_u32 v59, 0x400, v59
	v_dual_mul_f32 v41, v41, v75 :: v_dual_and_b32 v72, 0xffff0000, v38
	v_and_b32_e32 v77, 0xffff0000, v35
	s_cmp_ge_u32 s23, s4
	v_fmac_f32_e32 v41, v36, v24
	s_delay_alu instid0(VALU_DEP_1) | instskip(NEXT) | instid1(VALU_DEP_1)
	v_dual_add_f32 v41, v64, v41 :: v_dual_lshlrev_b32 v32, 16, v32
	v_dual_fmac_f32 v70, v36, v32 :: v_dual_lshlrev_b32 v37, 16, v37
	v_dual_mul_f32 v36, v69, v76 :: v_dual_and_b32 v73, 0xffff0000, v34
	v_and_b32_e32 v69, 0xffff0000, v26
	v_lshlrev_b32_e32 v26, 16, v26
	s_delay_alu instid0(VALU_DEP_4) | instskip(NEXT) | instid1(VALU_DEP_4)
	v_add_f32_e32 v66, v66, v70
	v_fmac_f32_e32 v36, v37, v25
	v_mul_f32_e32 v70, v72, v73
	s_waitcnt lgkmcnt(3)
	s_delay_alu instid0(VALU_DEP_2) | instskip(SKIP_3) | instid1(VALU_DEP_1)
	v_dual_add_f32 v36, v41, v36 :: v_dual_and_b32 v41, 0xffff0000, v29
	v_lshlrev_b32_e32 v38, 16, v38
	v_lshlrev_b32_e32 v29, 16, v29
	;; [unrolled: 1-line block ×3, first 2 shown]
	v_dual_fmac_f32 v70, v38, v34 :: v_dual_lshlrev_b32 v33, 16, v33
	s_delay_alu instid0(VALU_DEP_1) | instskip(SKIP_2) | instid1(VALU_DEP_3)
	v_fmac_f32_e32 v74, v37, v33
	v_dual_mul_f32 v37, v72, v69 :: v_dual_and_b32 v72, 0xffff0000, v30
	v_lshlrev_b32_e32 v30, 16, v30
	v_add_f32_e32 v66, v66, v74
	s_delay_alu instid0(VALU_DEP_3) | instskip(NEXT) | instid1(VALU_DEP_2)
	v_dual_fmac_f32 v37, v38, v26 :: v_dual_and_b32 v74, 0xffff0000, v39
	v_dual_add_f32 v64, v66, v70 :: v_dual_lshlrev_b32 v39, 16, v39
	v_and_b32_e32 v66, 0xffff0000, v28
	v_lshlrev_b32_e32 v28, 16, v28
	s_delay_alu instid0(VALU_DEP_4) | instskip(SKIP_1) | instid1(VALU_DEP_4)
	v_dual_add_f32 v36, v36, v37 :: v_dual_mul_f32 v37, v41, v71
	v_and_b32_e32 v70, 0xffff0000, v27
	v_dual_mul_f32 v38, v66, v68 :: v_dual_lshlrev_b32 v27, 16, v27
	s_delay_alu instid0(VALU_DEP_1) | instskip(NEXT) | instid1(VALU_DEP_1)
	v_fmac_f32_e32 v38, v28, v32
	v_add_f32_e32 v38, v65, v38
	v_fmac_f32_e32 v37, v29, v33
	v_mul_f32_e32 v65, v72, v73
	v_dual_mul_f32 v78, v74, v77 :: v_dual_lshlrev_b32 v35, 16, v35
	s_delay_alu instid0(VALU_DEP_3) | instskip(SKIP_1) | instid1(VALU_DEP_3)
	v_add_f32_e32 v37, v38, v37
	v_mul_f32_e32 v38, v66, v75
	v_dual_fmac_f32 v65, v30, v34 :: v_dual_fmac_f32 v78, v39, v35
	s_delay_alu instid0(VALU_DEP_2) | instskip(NEXT) | instid1(VALU_DEP_2)
	v_fmac_f32_e32 v38, v28, v24
	v_add_f32_e32 v28, v37, v65
	v_mul_f32_e32 v37, v41, v76
	s_waitcnt lgkmcnt(2)
	v_dual_add_f32 v64, v64, v78 :: v_dual_lshlrev_b32 v41, 16, v53
	s_delay_alu instid0(VALU_DEP_2) | instskip(NEXT) | instid1(VALU_DEP_1)
	v_dual_add_f32 v38, v67, v38 :: v_dual_fmac_f32 v37, v29, v25
	v_add_f32_e32 v37, v38, v37
	v_mul_f32_e32 v74, v74, v70
	v_and_b32_e32 v38, 0xffff0000, v54
	s_delay_alu instid0(VALU_DEP_1) | instskip(NEXT) | instid1(VALU_DEP_3)
	v_dual_mul_f32 v65, v38, v71 :: v_dual_lshlrev_b32 v54, 16, v54
	v_dual_fmac_f32 v74, v39, v27 :: v_dual_and_b32 v39, 0xffff0000, v53
	s_delay_alu instid0(VALU_DEP_1) | instskip(SKIP_1) | instid1(VALU_DEP_2)
	v_mul_f32_e32 v53, v39, v68
	v_mul_f32_e32 v39, v39, v75
	v_fmac_f32_e32 v53, v41, v32
	v_dual_mul_f32 v29, v72, v69 :: v_dual_and_b32 v78, 0xffff0000, v31
	v_lshlrev_b32_e32 v31, 16, v31
	s_delay_alu instid0(VALU_DEP_4)
	v_fmac_f32_e32 v39, v41, v24
	s_waitcnt lgkmcnt(1)
	v_lshlrev_b32_e32 v41, 16, v52
	v_fmac_f32_e32 v29, v30, v26
	v_mul_f32_e32 v66, v78, v77
	v_mul_f32_e32 v30, v78, v70
	v_add_f32_e32 v39, v62, v39
	s_delay_alu instid0(VALU_DEP_4)
	v_dual_mul_f32 v38, v38, v76 :: v_dual_add_f32 v29, v37, v29
	v_and_b32_e32 v37, 0xffff0000, v51
	v_fmac_f32_e32 v66, v31, v35
	v_fmac_f32_e32 v30, v31, v27
	v_add_f32_e32 v31, v63, v53
	v_lshlrev_b32_e32 v51, 16, v51
	v_mul_f32_e32 v53, v37, v73
	v_mul_f32_e32 v37, v37, v69
	v_dual_fmac_f32 v65, v54, v33 :: v_dual_add_f32 v36, v36, v74
	v_add_f32_e32 v28, v28, v66
	v_add_f32_e32 v29, v29, v30
	v_fmac_f32_e32 v53, v51, v34
	s_delay_alu instid0(VALU_DEP_4) | instskip(SKIP_2) | instid1(VALU_DEP_2)
	v_dual_add_f32 v30, v31, v65 :: v_dual_and_b32 v31, 0xffff0000, v52
	v_dual_fmac_f32 v38, v54, v25 :: v_dual_fmac_f32 v37, v51, v26
	s_waitcnt lgkmcnt(0)
	v_dual_add_f32 v30, v30, v53 :: v_dual_and_b32 v53, 0xffff0000, v20
	v_lshlrev_b32_e32 v20, 16, v20
	s_delay_alu instid0(VALU_DEP_2) | instskip(NEXT) | instid1(VALU_DEP_1)
	v_mul_f32_e32 v54, v53, v68
	v_fmac_f32_e32 v54, v20, v32
	v_mul_f32_e32 v52, v31, v77
	v_mul_f32_e32 v31, v31, v70
	v_dual_add_f32 v38, v39, v38 :: v_dual_and_b32 v39, 0xffff0000, v21
	s_delay_alu instid0(VALU_DEP_4) | instskip(NEXT) | instid1(VALU_DEP_4)
	v_add_f32_e32 v51, v61, v54
	v_fmac_f32_e32 v52, v41, v35
	s_delay_alu instid0(VALU_DEP_4) | instskip(NEXT) | instid1(VALU_DEP_4)
	v_fmac_f32_e32 v31, v41, v27
	v_add_f32_e32 v37, v38, v37
	v_lshlrev_b32_e32 v21, 16, v21
	v_and_b32_e32 v38, 0xffff0000, v22
	v_dual_add_f32 v30, v30, v52 :: v_dual_and_b32 v41, 0xffff0000, v23
	v_mul_f32_e32 v52, v53, v75
	s_delay_alu instid0(VALU_DEP_1) | instskip(SKIP_4) | instid1(VALU_DEP_2)
	v_dual_fmac_f32 v52, v20, v24 :: v_dual_lshlrev_b32 v23, 16, v23
	s_waitcnt vmcnt(1)
	v_dual_add_f32 v20, v37, v31 :: v_dual_and_b32 v37, 0xffff0000, v13
	v_dual_mul_f32 v31, v39, v76 :: v_dual_lshlrev_b32 v22, 16, v22
	v_lshlrev_b32_e32 v13, 16, v13
	v_dual_fmac_f32 v31, v21, v25 :: v_dual_mul_f32 v32, v39, v71
	s_delay_alu instid0(VALU_DEP_1) | instskip(SKIP_1) | instid1(VALU_DEP_2)
	v_fmac_f32_e32 v32, v21, v33
	v_mul_f32_e32 v33, v38, v73
	v_dual_mul_f32 v21, v38, v69 :: v_dual_add_f32 v32, v51, v32
	s_delay_alu instid0(VALU_DEP_2) | instskip(NEXT) | instid1(VALU_DEP_2)
	v_dual_fmac_f32 v33, v22, v34 :: v_dual_mul_f32 v34, v41, v77
	v_fmac_f32_e32 v21, v22, v26
	v_mul_f32_e32 v26, v41, v70
	s_delay_alu instid0(VALU_DEP_3)
	v_dual_add_f32 v24, v32, v33 :: v_dual_and_b32 v39, 0xffff0000, v14
	v_and_b32_e32 v33, 0xffff0000, v16
	v_lshlrev_b32_e32 v16, 16, v16
	v_dual_fmac_f32 v34, v23, v35 :: v_dual_and_b32 v35, 0xffff0000, v12
	v_lshlrev_b32_e32 v12, 16, v12
	s_waitcnt vmcnt(0)
	v_dual_fmac_f32 v26, v23, v27 :: v_dual_and_b32 v23, 0xffff0000, v4
	s_delay_alu instid0(VALU_DEP_3) | instskip(SKIP_1) | instid1(VALU_DEP_1)
	v_dual_mul_f32 v25, v33, v35 :: v_dual_lshlrev_b32 v4, 16, v4
	v_dual_add_f32 v32, v60, v52 :: v_dual_and_b32 v51, 0xffff0000, v10
	v_add_f32_e32 v31, v32, v31
	s_delay_alu instid0(VALU_DEP_3) | instskip(SKIP_2) | instid1(VALU_DEP_4)
	v_fmac_f32_e32 v25, v16, v12
	v_add_f32_e32 v24, v24, v34
	v_and_b32_e32 v38, 0xffff0000, v18
	v_dual_add_f32 v21, v31, v21 :: v_dual_lshlrev_b32 v18, 16, v18
	v_dual_mul_f32 v31, v33, v23 :: v_dual_and_b32 v32, 0xffff0000, v17
	s_delay_alu instid0(VALU_DEP_3) | instskip(SKIP_1) | instid1(VALU_DEP_3)
	v_mul_f32_e32 v41, v38, v39
	v_lshlrev_b32_e32 v17, 16, v17
	v_dual_fmac_f32 v31, v16, v4 :: v_dual_lshlrev_b32 v14, 16, v14
	s_delay_alu instid0(VALU_DEP_4) | instskip(SKIP_2) | instid1(VALU_DEP_4)
	v_mul_f32_e32 v22, v32, v37
	v_add_f32_e32 v25, v64, v25
	v_and_b32_e32 v33, 0xffff0000, v5
	v_fmac_f32_e32 v41, v18, v14
	s_delay_alu instid0(VALU_DEP_4) | instskip(SKIP_1) | instid1(VALU_DEP_4)
	v_dual_fmac_f32 v22, v17, v13 :: v_dual_and_b32 v27, 0xffff0000, v15
	v_lshlrev_b32_e32 v5, 16, v5
	v_dual_mul_f32 v16, v32, v33 :: v_dual_lshlrev_b32 v15, 16, v15
	s_delay_alu instid0(VALU_DEP_3) | instskip(NEXT) | instid1(VALU_DEP_2)
	v_dual_add_f32 v31, v36, v31 :: v_dual_add_f32 v22, v25, v22
	v_dual_fmac_f32 v16, v17, v5 :: v_dual_and_b32 v25, 0xffff0000, v19
	s_delay_alu instid0(VALU_DEP_2) | instskip(NEXT) | instid1(VALU_DEP_2)
	v_dual_add_f32 v22, v22, v41 :: v_dual_lshlrev_b32 v19, 16, v19
	v_mul_f32_e32 v34, v25, v27
	s_delay_alu instid0(VALU_DEP_3) | instskip(SKIP_2) | instid1(VALU_DEP_3)
	v_dual_add_f32 v16, v31, v16 :: v_dual_and_b32 v31, 0xffff0000, v9
	v_and_b32_e32 v32, 0xffff0000, v6
	v_lshlrev_b32_e32 v9, 16, v9
	v_mul_f32_e32 v41, v31, v37
	s_delay_alu instid0(VALU_DEP_3) | instskip(NEXT) | instid1(VALU_DEP_2)
	v_dual_fmac_f32 v34, v19, v15 :: v_dual_mul_f32 v17, v38, v32
	v_dual_fmac_f32 v41, v9, v13 :: v_dual_lshlrev_b32 v6, 16, v6
	v_and_b32_e32 v36, 0xffff0000, v8
	s_delay_alu instid0(VALU_DEP_3) | instskip(NEXT) | instid1(VALU_DEP_3)
	v_add_f32_e32 v66, v22, v34
	v_dual_fmac_f32 v17, v18, v6 :: v_dual_and_b32 v18, 0xffff0000, v7
	v_lshlrev_b32_e32 v7, 16, v7
	s_delay_alu instid0(VALU_DEP_4) | instskip(SKIP_1) | instid1(VALU_DEP_4)
	v_mul_f32_e32 v38, v36, v35
	v_mul_f32_e32 v34, v51, v32
	v_dual_add_f32 v16, v16, v17 :: v_dual_add_f32 v17, v21, v26
	v_and_b32_e32 v21, 0xffff0000, v11
	v_dual_mul_f32 v25, v25, v18 :: v_dual_lshlrev_b32 v8, 16, v8
	v_lshlrev_b32_e32 v10, 16, v10
	s_delay_alu instid0(VALU_DEP_2) | instskip(NEXT) | instid1(VALU_DEP_2)
	v_dual_fmac_f32 v38, v8, v12 :: v_dual_lshlrev_b32 v11, 16, v11
	v_dual_fmac_f32 v25, v19, v7 :: v_dual_fmac_f32 v34, v10, v6
	s_delay_alu instid0(VALU_DEP_2) | instskip(NEXT) | instid1(VALU_DEP_1)
	v_add_f32_e32 v28, v28, v38
	v_dual_mul_f32 v38, v51, v39 :: v_dual_add_f32 v19, v28, v41
	s_delay_alu instid0(VALU_DEP_1) | instskip(NEXT) | instid1(VALU_DEP_4)
	v_fmac_f32_e32 v38, v10, v14
	v_add_f32_e32 v64, v16, v25
	v_dual_mul_f32 v16, v36, v23 :: v_dual_mul_f32 v25, v31, v33
	s_delay_alu instid0(VALU_DEP_1) | instskip(NEXT) | instid1(VALU_DEP_2)
	v_dual_add_f32 v19, v19, v38 :: v_dual_fmac_f32 v16, v8, v4
	v_fmac_f32_e32 v25, v9, v5
	v_dual_mul_f32 v8, v21, v27 :: v_dual_lshlrev_b32 v9, 16, v50
	s_delay_alu instid0(VALU_DEP_3) | instskip(NEXT) | instid1(VALU_DEP_2)
	v_dual_add_f32 v16, v29, v16 :: v_dual_and_b32 v29, 0xffff0000, v50
	v_fmac_f32_e32 v8, v11, v15
	v_and_b32_e32 v22, 0xffff0000, v49
	s_delay_alu instid0(VALU_DEP_3) | instskip(NEXT) | instid1(VALU_DEP_4)
	v_add_f32_e32 v16, v16, v25
	v_mul_f32_e32 v31, v29, v37
	s_delay_alu instid0(VALU_DEP_4)
	v_add_f32_e32 v65, v19, v8
	v_and_b32_e32 v19, 0xffff0000, v48
	v_lshlrev_b32_e32 v26, 16, v49
	v_mul_f32_e32 v10, v21, v18
	v_dual_mul_f32 v28, v22, v35 :: v_dual_fmac_f32 v31, v9, v13
	v_and_b32_e32 v25, 0xffff0000, v47
	s_delay_alu instid0(VALU_DEP_3) | instskip(SKIP_2) | instid1(VALU_DEP_2)
	v_dual_fmac_f32 v10, v11, v7 :: v_dual_lshlrev_b32 v21, 16, v48
	v_dual_mul_f32 v11, v22, v23 :: v_dual_and_b32 v22, 0xffff0000, v0
	v_lshlrev_b32_e32 v0, 16, v0
	v_dual_mul_f32 v36, v25, v39 :: v_dual_fmac_f32 v11, v26, v4
	v_fmac_f32_e32 v28, v26, v12
	v_mul_f32_e32 v26, v19, v27
	s_delay_alu instid0(VALU_DEP_2) | instskip(SKIP_3) | instid1(VALU_DEP_4)
	v_dual_add_f32 v11, v20, v11 :: v_dual_add_f32 v28, v30, v28
	v_and_b32_e32 v20, 0xffff0000, v1
	v_lshlrev_b32_e32 v1, 16, v1
	v_lshlrev_b32_e32 v30, 16, v47
	v_add_f32_e32 v8, v28, v31
	v_dual_mul_f32 v28, v29, v33 :: v_dual_mul_f32 v29, v22, v35
	s_delay_alu instid0(VALU_DEP_1) | instskip(SKIP_2) | instid1(VALU_DEP_2)
	v_fmac_f32_e32 v29, v0, v12
	v_mul_f32_e32 v12, v20, v37
	v_add_f32_e32 v16, v16, v34
	v_dual_fmac_f32 v12, v1, v13 :: v_dual_mul_f32 v13, v22, v23
	s_delay_alu instid0(VALU_DEP_1) | instskip(SKIP_3) | instid1(VALU_DEP_4)
	v_dual_fmac_f32 v13, v0, v4 :: v_dual_fmac_f32 v28, v9, v5
	v_dual_mul_f32 v9, v25, v32 :: v_dual_mul_f32 v0, v20, v33
	v_and_b32_e32 v20, 0xffff0000, v3
	v_lshlrev_b32_e32 v3, 16, v3
	v_add_f32_e32 v11, v11, v28
	s_delay_alu instid0(VALU_DEP_4) | instskip(SKIP_3) | instid1(VALU_DEP_3)
	v_fmac_f32_e32 v9, v30, v6
	v_fmac_f32_e32 v36, v30, v14
	v_dual_fmac_f32 v0, v1, v5 :: v_dual_mul_f32 v5, v20, v27
	v_add_f32_e32 v67, v16, v10
	v_dual_add_f32 v9, v11, v9 :: v_dual_add_f32 v8, v8, v36
	v_mul_f32_e32 v11, v19, v18
	v_dual_fmac_f32 v26, v21, v15 :: v_dual_and_b32 v19, 0xffff0000, v2
	v_dual_add_f32 v24, v24, v29 :: v_dual_fmac_f32 v5, v3, v15
	s_delay_alu instid0(VALU_DEP_3) | instskip(NEXT) | instid1(VALU_DEP_3)
	v_dual_fmac_f32 v11, v21, v7 :: v_dual_lshlrev_b32 v2, 16, v2
	v_dual_mul_f32 v4, v19, v39 :: v_dual_add_f32 v63, v8, v26
	s_delay_alu instid0(VALU_DEP_3) | instskip(NEXT) | instid1(VALU_DEP_2)
	v_dual_add_f32 v12, v24, v12 :: v_dual_add_f32 v13, v17, v13
	v_dual_mul_f32 v1, v19, v32 :: v_dual_fmac_f32 v4, v2, v14
	s_delay_alu instid0(VALU_DEP_4) | instskip(NEXT) | instid1(VALU_DEP_3)
	v_add_f32_e32 v62, v9, v11
	v_add_f32_e32 v0, v13, v0
	s_delay_alu instid0(VALU_DEP_3) | instskip(NEXT) | instid1(VALU_DEP_1)
	v_add_f32_e32 v4, v12, v4
	v_add_f32_e32 v61, v4, v5
	v_fmac_f32_e32 v1, v2, v6
	v_mul_f32_e32 v2, v20, v18
	s_delay_alu instid0(VALU_DEP_2) | instskip(NEXT) | instid1(VALU_DEP_2)
	v_add_f32_e32 v0, v0, v1
	v_fmac_f32_e32 v2, v3, v7
	s_delay_alu instid0(VALU_DEP_1)
	v_add_f32_e32 v60, v0, v2
	s_cbranch_scc1 .LBB251_21
.LBB251_18:                             ;   Parent Loop BB251_14 Depth=1
                                        ; =>  This Inner Loop Header: Depth=2
	v_add_nc_u32_e32 v8, s23, v55
	v_dual_mov_b32 v48, 0 :: v_dual_mov_b32 v11, 0
	s_waitcnt lgkmcnt(2)
	v_dual_mov_b32 v50, 0 :: v_dual_mov_b32 v9, 0
	s_delay_alu instid0(VALU_DEP_3) | instskip(SKIP_3) | instid1(VALU_DEP_4)
	v_min_u32_e32 v41, s15, v8
	v_add_nc_u32_e32 v68, 0x100, v8
	v_dual_mov_b32 v10, 0 :: v_dual_mov_b32 v19, 0
	v_dual_mov_b32 v18, 0 :: v_dual_mov_b32 v23, 0
	v_lshlrev_b64 v[0:1], 1, v[41:42]
	s_delay_alu instid0(VALU_DEP_4) | instskip(SKIP_2) | instid1(VALU_DEP_4)
	v_min_u32_e32 v41, s15, v68
	v_dual_mov_b32 v16, 0 :: v_dual_mov_b32 v21, 0
	v_dual_mov_b32 v22, 0 :: v_dual_mov_b32 v51, 0
	v_add_co_u32 v4, vcc_lo, s12, v0
	s_waitcnt lgkmcnt(0)
	v_add_co_ci_u32_e32 v5, vcc_lo, s13, v1, vcc_lo
	v_lshlrev_b64 v[0:1], 1, v[41:42]
	s_delay_alu instid0(VALU_DEP_3) | instskip(NEXT) | instid1(VALU_DEP_3)
	v_add_co_u32 v2, vcc_lo, v4, v43
	v_add_co_ci_u32_e32 v3, vcc_lo, v5, v44, vcc_lo
	v_dual_mov_b32 v20, 0 :: v_dual_mov_b32 v53, 0
	s_delay_alu instid0(VALU_DEP_4) | instskip(SKIP_3) | instid1(VALU_DEP_4)
	v_add_co_u32 v6, vcc_lo, s12, v0
	v_add_co_ci_u32_e32 v7, vcc_lo, s13, v1, vcc_lo
	v_add_co_u32 v0, vcc_lo, v4, v45
	v_add_co_ci_u32_e32 v1, vcc_lo, v5, v46, vcc_lo
	v_add_co_u32 v4, vcc_lo, v6, v43
	s_delay_alu instid0(VALU_DEP_4)
	v_add_co_ci_u32_e32 v5, vcc_lo, v7, v44, vcc_lo
	v_add_co_u32 v6, vcc_lo, v6, v45
	v_add_co_ci_u32_e32 v7, vcc_lo, v7, v46, vcc_lo
	s_clause 0x3
	global_load_b128 v[32:35], v[2:3], off slc dlc
	global_load_b128 v[24:27], v[0:1], off slc dlc
	;; [unrolled: 1-line block ×4, first 2 shown]
	v_mov_b32_e32 v3, 0
	v_cmp_gt_u32_e32 vcc_lo, s4, v8
	v_dual_mov_b32 v2, 0 :: v_dual_mov_b32 v47, 0
	v_dual_mov_b32 v1, 0 :: v_dual_mov_b32 v0, 0
	v_dual_mov_b32 v49, 0 :: v_dual_mov_b32 v8, 0
	v_dual_mov_b32 v17, 0 :: v_dual_mov_b32 v52, 0
	v_dual_mov_b32 v31, 0 :: v_dual_mov_b32 v54, 0
	v_dual_mov_b32 v29, 0 :: v_dual_mov_b32 v30, 0
	v_dual_mov_b32 v39, 0 :: v_dual_mov_b32 v28, 0
	v_dual_mov_b32 v37, 0 :: v_dual_mov_b32 v38, 0
	v_mov_b32_e32 v36, 0
	s_and_saveexec_b32 s24, vcc_lo
	s_cbranch_execz .LBB251_17
; %bb.19:                               ;   in Loop: Header=BB251_18 Depth=2
	v_dual_mov_b32 v17, 0 :: v_dual_add_nc_u32 v70, s6, v59
	v_dual_mov_b32 v16, 0 :: v_dual_add_nc_u32 v41, s14, v59
	;; [unrolled: 1-line block ×3, first 2 shown]
	ds_load_b128 v[36:39], v59
	ds_load_b128 v[28:31], v70
	ds_load_2addr_b32 v[53:54], v41 offset1:1
	ds_load_2addr_b32 v[51:52], v41 offset0:2 offset1:3
	ds_load_b128 v[20:23], v69
	v_dual_mov_b32 v19, 0 :: v_dual_mov_b32 v8, 0
	v_dual_mov_b32 v9, 0 :: v_dual_mov_b32 v10, 0
	;; [unrolled: 1-line block ×6, first 2 shown]
	v_mov_b32_e32 v3, 0
	s_mov_b32 s25, exec_lo
	v_cmpx_gt_u32_e64 s4, v68
	s_cbranch_execz .LBB251_16
; %bb.20:                               ;   in Loop: Header=BB251_18 Depth=2
	ds_load_b128 v[16:19], v59 offset:512
	ds_load_b128 v[8:11], v70 offset:512
	ds_load_2addr_b32 v[49:50], v41 offset0:128 offset1:129
	ds_load_2addr_b32 v[47:48], v41 offset0:130 offset1:131
	ds_load_b128 v[0:3], v69 offset:512
	s_branch .LBB251_16
.LBB251_21:                             ;   in Loop: Header=BB251_14 Depth=1
	; sched_barrier mask(0x00000000)
	s_delay_alu instid0(VALU_DEP_1)
	v_cvt_i32_f32_e32 v0, v66
	v_cvt_i32_f32_e32 v2, v65
	s_waitcnt lgkmcnt(6)
	v_cvt_i32_f32_e32 v1, v64
	s_waitcnt lgkmcnt(3)
	v_cvt_i32_f32_e32 v3, v67
	v_cvt_i32_f32_e32 v10, v60
	v_cvt_f32_i32_dpp v0, v0 row_shr:8 row_mask:0xf bank_mask:0xf bound_ctrl:1
	v_cvt_f32_i32_dpp v2, v2 row_shr:8 row_mask:0xf bank_mask:0xf bound_ctrl:1
	v_cvt_f32_i32_dpp v1, v1 row_shr:8 row_mask:0xf bank_mask:0xf bound_ctrl:1
	v_cvt_f32_i32_dpp v3, v3 row_shr:8 row_mask:0xf bank_mask:0xf bound_ctrl:1
	v_cvt_i32_f32_e32 v4, v63
	v_add_f32_e32 v0, v66, v0
	s_delay_alu instid0(VALU_DEP_4) | instskip(NEXT) | instid1(VALU_DEP_4)
	v_dual_add_f32 v2, v65, v2 :: v_dual_add_f32 v1, v64, v1
	v_add_f32_e32 v3, v67, v3
	s_waitcnt lgkmcnt(0)
	v_cvt_i32_f32_e32 v5, v62
	v_cvt_i32_f32_e32 v7, v0
	;; [unrolled: 1-line block ×4, first 2 shown]
	v_cvt_f32_i32_dpp v4, v4 row_shr:8 row_mask:0xf bank_mask:0xf bound_ctrl:1
	v_cvt_f32_i32_dpp v5, v5 row_shr:8 row_mask:0xf bank_mask:0xf bound_ctrl:1
	;; [unrolled: 1-line block ×5, first 2 shown]
	s_delay_alu instid0(VALU_DEP_4) | instskip(NEXT) | instid1(VALU_DEP_4)
	v_dual_add_f32 v4, v63, v4 :: v_dual_add_f32 v5, v62, v5
	v_add_f32_e32 v0, v0, v7
	v_cvt_f32_i32_dpp v7, v10 row_shr:8 row_mask:0xf bank_mask:0xf bound_ctrl:1
	s_delay_alu instid0(VALU_DEP_4) | instskip(SKIP_1) | instid1(VALU_DEP_4)
	v_dual_add_f32 v1, v1, v8 :: v_dual_add_f32 v2, v2, v9
	v_cvt_i32_f32_e32 v6, v61
	v_cvt_i32_f32_e32 v8, v0
	s_delay_alu instid0(VALU_DEP_4) | instskip(NEXT) | instid1(VALU_DEP_4)
	v_add_f32_e32 v7, v60, v7
	v_cvt_i32_f32_e32 v9, v1
	v_cvt_i32_f32_e32 v10, v2
	;; [unrolled: 1-line block ×3, first 2 shown]
	v_cvt_f32_i32_dpp v8, v8 row_shr:2 row_mask:0xf bank_mask:0xf bound_ctrl:1
	v_cvt_f32_i32_dpp v6, v6 row_shr:8 row_mask:0xf bank_mask:0xf bound_ctrl:1
	;; [unrolled: 1-line block ×4, first 2 shown]
	v_cvt_i32_f32_e32 v14, v5
	v_add_f32_e32 v0, v0, v8
	v_cvt_i32_f32_e32 v8, v3
	s_delay_alu instid0(VALU_DEP_4) | instskip(SKIP_1) | instid1(VALU_DEP_4)
	v_dual_add_f32 v1, v1, v9 :: v_dual_add_f32 v2, v2, v10
	v_cvt_i32_f32_e32 v19, v7
	v_cvt_i32_f32_e32 v9, v0
	s_delay_alu instid0(VALU_DEP_3) | instskip(NEXT) | instid1(VALU_DEP_4)
	v_cvt_i32_f32_e32 v10, v1
	v_cvt_i32_f32_e32 v11, v2
	s_delay_alu instid0(VALU_DEP_3) | instskip(SKIP_1) | instid1(VALU_DEP_4)
	v_cvt_f32_i32_dpp v9, v9 row_shr:1 row_mask:0xf bank_mask:0xf bound_ctrl:1
	v_add_f32_e32 v6, v61, v6
	v_cvt_f32_i32_dpp v10, v10 row_shr:1 row_mask:0xf bank_mask:0xf bound_ctrl:1
	s_delay_alu instid0(VALU_DEP_4) | instskip(NEXT) | instid1(VALU_DEP_4)
	v_cvt_f32_i32_dpp v11, v11 row_shr:1 row_mask:0xf bank_mask:0xf bound_ctrl:1
	v_add_f32_e32 v17, v0, v9
	s_delay_alu instid0(VALU_DEP_4) | instskip(SKIP_1) | instid1(VALU_DEP_4)
	v_cvt_i32_f32_e32 v16, v6
	v_cvt_f32_i32_dpp v9, v14 row_shr:4 row_mask:0xf bank_mask:0xf bound_ctrl:1
	v_add_f32_e32 v12, v2, v11
	v_cvt_f32_i32_dpp v2, v8 row_shr:4 row_mask:0xf bank_mask:0xf bound_ctrl:1
	v_cvt_f32_i32_dpp v8, v13 row_shr:4 row_mask:0xf bank_mask:0xf bound_ctrl:1
	;; [unrolled: 1-line block ×3, first 2 shown]
	ds_bpermute_b32 v18, v57, v17
	v_dual_add_f32 v2, v3, v2 :: v_dual_add_f32 v3, v4, v8
	s_delay_alu instid0(VALU_DEP_1) | instskip(NEXT) | instid1(VALU_DEP_1)
	v_cvt_i32_f32_e32 v8, v3
	v_cvt_f32_i32_dpp v8, v8 row_shr:2 row_mask:0xf bank_mask:0xf bound_ctrl:1
	v_add_f32_e32 v0, v1, v10
	v_cvt_f32_i32_dpp v10, v16 row_shr:4 row_mask:0xf bank_mask:0xf bound_ctrl:1
	s_delay_alu instid0(VALU_DEP_3)
	v_dual_add_f32 v4, v5, v9 :: v_dual_add_f32 v3, v3, v8
	ds_bpermute_b32 v1, v57, v0
	v_dual_add_f32 v5, v6, v10 :: v_dual_add_f32 v6, v7, v11
	v_cvt_i32_f32_e32 v7, v2
	v_cvt_i32_f32_e32 v9, v4
	;; [unrolled: 1-line block ×3, first 2 shown]
	s_delay_alu instid0(VALU_DEP_4)
	v_cvt_i32_f32_e32 v10, v5
	v_cvt_i32_f32_e32 v11, v6
	v_cvt_f32_i32_dpp v7, v7 row_shr:2 row_mask:0xf bank_mask:0xf bound_ctrl:1
	v_cvt_f32_i32_dpp v9, v9 row_shr:2 row_mask:0xf bank_mask:0xf bound_ctrl:1
	;; [unrolled: 1-line block ×5, first 2 shown]
	v_add_f32_e32 v2, v2, v7
	s_delay_alu instid0(VALU_DEP_3) | instskip(NEXT) | instid1(VALU_DEP_3)
	v_dual_add_f32 v8, v3, v8 :: v_dual_add_f32 v5, v5, v10
	v_add_f32_e32 v7, v6, v11
	s_delay_alu instid0(VALU_DEP_3)
	v_cvt_i32_f32_e32 v6, v2
	ds_bpermute_b32 v15, v57, v12
	v_cvt_i32_f32_e32 v10, v5
	v_cvt_i32_f32_e32 v11, v7
	v_cvt_f32_i32_dpp v6, v6 row_shr:1 row_mask:0xf bank_mask:0xf bound_ctrl:1
	v_add_f32_e32 v4, v4, v9
	s_delay_alu instid0(VALU_DEP_4) | instskip(NEXT) | instid1(VALU_DEP_4)
	v_cvt_f32_i32_dpp v10, v10 row_shr:1 row_mask:0xf bank_mask:0xf bound_ctrl:1
	v_cvt_f32_i32_dpp v13, v11 row_shr:1 row_mask:0xf bank_mask:0xf bound_ctrl:1
	s_delay_alu instid0(VALU_DEP_4) | instskip(NEXT) | instid1(VALU_DEP_4)
	v_add_f32_e32 v11, v2, v6
	v_cvt_i32_f32_e32 v9, v4
	s_delay_alu instid0(VALU_DEP_3)
	v_add_f32_e32 v2, v7, v13
	ds_bpermute_b32 v14, v57, v11
	v_cvt_f32_i32_dpp v9, v9 row_shr:1 row_mask:0xf bank_mask:0xf bound_ctrl:1
	ds_bpermute_b32 v3, v57, v2
	v_add_f32_e32 v6, v4, v9
	v_add_f32_e32 v4, v5, v10
	ds_bpermute_b32 v9, v57, v8
	ds_bpermute_b32 v7, v57, v6
	;; [unrolled: 1-line block ×3, first 2 shown]
	s_and_saveexec_b32 s23, s0
	s_cbranch_execz .LBB251_13
; %bb.22:                               ;   in Loop: Header=BB251_14 Depth=1
	v_dual_mov_b32 v23, 0 :: v_dual_mov_b32 v22, 0
	v_dual_mov_b32 v21, 0 :: v_dual_mov_b32 v20, 0
	;; [unrolled: 1-line block ×4, first 2 shown]
	s_and_not1_b32 vcc_lo, exec_lo, s19
	s_cbranch_vccnz .LBB251_24
; %bb.23:                               ;   in Loop: Header=BB251_14 Depth=1
	v_or_b32_e32 v10, 1, v40
	v_mul_hi_u32 v13, v40, v58
	s_delay_alu instid0(VALU_DEP_2) | instskip(NEXT) | instid1(VALU_DEP_2)
	v_mul_hi_u32 v16, v10, v58
	v_mul_lo_u32 v13, v13, s2
	s_delay_alu instid0(VALU_DEP_2) | instskip(NEXT) | instid1(VALU_DEP_2)
	v_mul_lo_u32 v16, v16, s2
	v_sub_nc_u32_e32 v13, v40, v13
	s_delay_alu instid0(VALU_DEP_2) | instskip(NEXT) | instid1(VALU_DEP_2)
	v_sub_nc_u32_e32 v10, v10, v16
	v_subrev_nc_u32_e32 v16, s2, v13
	v_cmp_le_u32_e32 vcc_lo, s2, v13
	s_delay_alu instid0(VALU_DEP_3) | instskip(NEXT) | instid1(VALU_DEP_3)
	v_subrev_nc_u32_e32 v19, s2, v10
	v_cndmask_b32_e32 v13, v13, v16, vcc_lo
	v_cmp_le_u32_e32 vcc_lo, s2, v10
	s_delay_alu instid0(VALU_DEP_3) | instskip(NEXT) | instid1(VALU_DEP_3)
	v_cndmask_b32_e32 v10, v10, v19, vcc_lo
	v_subrev_nc_u32_e32 v16, s2, v13
	v_cmp_le_u32_e32 vcc_lo, s2, v13
	v_mov_b32_e32 v20, v42
	s_delay_alu instid0(VALU_DEP_4) | instskip(NEXT) | instid1(VALU_DEP_4)
	v_subrev_nc_u32_e32 v19, s2, v10
	v_cndmask_b32_e32 v41, v13, v16, vcc_lo
	v_cmp_le_u32_e32 vcc_lo, s2, v10
	v_mov_b32_e32 v22, v42
	v_mov_b32_e32 v23, v42
	;; [unrolled: 1-line block ×3, first 2 shown]
	v_lshlrev_b64 v[27:28], 1, v[41:42]
	v_cndmask_b32_e32 v19, v10, v19, vcc_lo
	v_add_nc_u32_e32 v21, s20, v41
	v_dual_mov_b32 v25, v42 :: v_dual_add_nc_u32 v24, s21, v41
	v_add_nc_u32_e32 v41, s22, v41
	s_delay_alu instid0(VALU_DEP_4) | instskip(NEXT) | instid1(VALU_DEP_4)
	v_lshlrev_b64 v[29:30], 1, v[19:20]
	v_lshlrev_b64 v[20:21], 1, v[21:22]
	v_add_nc_u32_e32 v22, s20, v19
	v_add_co_u32 v27, vcc_lo, s8, v27
	v_add_co_ci_u32_e32 v28, vcc_lo, s9, v28, vcc_lo
	v_lshlrev_b64 v[31:32], 1, v[24:25]
	v_add_co_u32 v29, vcc_lo, s8, v29
	v_add_nc_u32_e32 v25, s21, v19
	v_add_co_ci_u32_e32 v30, vcc_lo, s9, v30, vcc_lo
	v_lshlrev_b64 v[33:34], 1, v[41:42]
	v_add_nc_u32_e32 v41, s22, v19
	v_lshlrev_b64 v[22:23], 1, v[22:23]
	v_add_co_u32 v19, vcc_lo, s8, v20
	v_add_co_ci_u32_e32 v20, vcc_lo, s9, v21, vcc_lo
	v_lshlrev_b64 v[24:25], 1, v[25:26]
	v_add_co_u32 v31, vcc_lo, s8, v31
	v_add_co_ci_u32_e32 v32, vcc_lo, s9, v32, vcc_lo
	v_add_co_u32 v35, vcc_lo, s8, v22
	v_add_co_ci_u32_e32 v36, vcc_lo, s9, v23, vcc_lo
	v_add_co_u32 v24, vcc_lo, s8, v24
	v_lshlrev_b64 v[21:22], 1, v[41:42]
	v_add_co_ci_u32_e32 v25, vcc_lo, s9, v25, vcc_lo
	v_add_co_u32 v33, vcc_lo, s8, v33
	v_add_co_ci_u32_e32 v34, vcc_lo, s9, v34, vcc_lo
	s_delay_alu instid0(VALU_DEP_4)
	v_add_co_u32 v37, vcc_lo, s8, v21
	v_add_co_ci_u32_e32 v38, vcc_lo, s9, v22, vcc_lo
	s_clause 0x7
	global_load_u16 v23, v[27:28], off
	global_load_u16 v22, v[29:30], off
	;; [unrolled: 1-line block ×8, first 2 shown]
.LBB251_24:                             ;   in Loop: Header=BB251_14 Depth=1
	s_waitcnt vmcnt(7) lgkmcnt(7)
	v_dual_add_f32 v17, v17, v18 :: v_dual_lshlrev_b32 v18, 16, v23
	s_delay_alu instid0(VALU_DEP_1) | instskip(NEXT) | instid1(VALU_DEP_1)
	v_add_f32_e32 v18, v17, v18
	v_and_b32_e32 v17, 0x7f800000, v18
	s_delay_alu instid0(VALU_DEP_1) | instskip(SKIP_1) | instid1(SALU_CYCLE_1)
	v_cmp_ne_u32_e32 vcc_lo, 0x7f800000, v17
                                        ; implicit-def: $vgpr17
	s_and_saveexec_b32 s24, vcc_lo
	s_xor_b32 s24, exec_lo, s24
; %bb.25:                               ;   in Loop: Header=BB251_14 Depth=1
	v_bfe_u32 v17, v18, 16, 1
	s_delay_alu instid0(VALU_DEP_1)
	v_add3_u32 v17, v18, v17, 0x7fff
                                        ; implicit-def: $vgpr18
; %bb.26:                               ;   in Loop: Header=BB251_14 Depth=1
	s_and_not1_saveexec_b32 s24, s24
; %bb.27:                               ;   in Loop: Header=BB251_14 Depth=1
	v_and_b32_e32 v17, 0xffff, v18
	v_or_b32_e32 v23, 0x10000, v18
	s_delay_alu instid0(VALU_DEP_2) | instskip(NEXT) | instid1(VALU_DEP_2)
	v_cmp_eq_u32_e32 vcc_lo, 0, v17
	v_cndmask_b32_e32 v17, v23, v18, vcc_lo
; %bb.28:                               ;   in Loop: Header=BB251_14 Depth=1
	s_or_b32 exec_lo, exec_lo, s24
	s_waitcnt vmcnt(6) lgkmcnt(6)
	v_dual_add_f32 v0, v0, v1 :: v_dual_lshlrev_b32 v1, 16, v22
	v_mov_b32_e32 v41, v42
	s_mov_b32 s24, exec_lo
	s_delay_alu instid0(VALU_DEP_2) | instskip(NEXT) | instid1(VALU_DEP_2)
	v_add_f32_e32 v18, v0, v1
	v_lshlrev_b64 v[0:1], 1, v[40:41]
	s_delay_alu instid0(VALU_DEP_2) | instskip(NEXT) | instid1(VALU_DEP_2)
	v_and_b32_e32 v22, 0x7f800000, v18
	v_add_co_u32 v0, vcc_lo, s10, v0
	s_delay_alu instid0(VALU_DEP_3)
	v_add_co_ci_u32_e32 v1, vcc_lo, s11, v1, vcc_lo
	global_store_d16_hi_b16 v[0:1], v17, off
                                        ; implicit-def: $vgpr17
	v_cmpx_ne_u32_e32 0x7f800000, v22
	s_xor_b32 s24, exec_lo, s24
; %bb.29:                               ;   in Loop: Header=BB251_14 Depth=1
	v_bfe_u32 v17, v18, 16, 1
	s_delay_alu instid0(VALU_DEP_1)
	v_add3_u32 v17, v18, v17, 0x7fff
                                        ; implicit-def: $vgpr18
; %bb.30:                               ;   in Loop: Header=BB251_14 Depth=1
	s_and_not1_saveexec_b32 s24, s24
; %bb.31:                               ;   in Loop: Header=BB251_14 Depth=1
	v_and_b32_e32 v17, 0xffff, v18
	v_or_b32_e32 v22, 0x10000, v18
	s_delay_alu instid0(VALU_DEP_2) | instskip(NEXT) | instid1(VALU_DEP_2)
	v_cmp_eq_u32_e32 vcc_lo, 0, v17
	v_cndmask_b32_e32 v17, v22, v18, vcc_lo
; %bb.32:                               ;   in Loop: Header=BB251_14 Depth=1
	s_or_b32 exec_lo, exec_lo, s24
	s_waitcnt vmcnt(5) lgkmcnt(5)
	v_dual_add_f32 v12, v12, v15 :: v_dual_lshlrev_b32 v15, 16, v21
	s_mov_b32 s24, exec_lo
	global_store_d16_hi_b16 v[0:1], v17, off offset:2
                                        ; implicit-def: $vgpr0
	v_add_f32_e32 v12, v12, v15
	s_delay_alu instid0(VALU_DEP_1) | instskip(NEXT) | instid1(VALU_DEP_1)
	v_and_b32_e32 v15, 0x7f800000, v12
	v_cmpx_ne_u32_e32 0x7f800000, v15
	s_xor_b32 s24, exec_lo, s24
; %bb.33:                               ;   in Loop: Header=BB251_14 Depth=1
	v_bfe_u32 v0, v12, 16, 1
	s_delay_alu instid0(VALU_DEP_1)
	v_add3_u32 v0, v12, v0, 0x7fff
                                        ; implicit-def: $vgpr12
; %bb.34:                               ;   in Loop: Header=BB251_14 Depth=1
	s_and_not1_saveexec_b32 s24, s24
; %bb.35:                               ;   in Loop: Header=BB251_14 Depth=1
	v_and_b32_e32 v0, 0xffff, v12
	v_or_b32_e32 v1, 0x10000, v12
	s_delay_alu instid0(VALU_DEP_2) | instskip(NEXT) | instid1(VALU_DEP_2)
	v_cmp_eq_u32_e32 vcc_lo, 0, v0
	v_cndmask_b32_e32 v0, v1, v12, vcc_lo
; %bb.36:                               ;   in Loop: Header=BB251_14 Depth=1
	s_or_b32 exec_lo, exec_lo, s24
	s_waitcnt lgkmcnt(4)
	v_add_f32_e32 v1, v11, v14
	s_waitcnt vmcnt(4)
	v_lshlrev_b32_e32 v11, 16, v20
	v_add_nc_u32_e32 v41, s7, v40
	s_mov_b32 s24, exec_lo
	s_delay_alu instid0(VALU_DEP_2) | instskip(NEXT) | instid1(VALU_DEP_2)
	v_add_f32_e32 v1, v1, v11
	v_lshlrev_b64 v[11:12], 1, v[41:42]
	s_delay_alu instid0(VALU_DEP_2) | instskip(NEXT) | instid1(VALU_DEP_2)
	v_and_b32_e32 v14, 0x7f800000, v1
	v_add_co_u32 v11, vcc_lo, s10, v11
	s_delay_alu instid0(VALU_DEP_3)
	v_add_co_ci_u32_e32 v12, vcc_lo, s11, v12, vcc_lo
	global_store_d16_hi_b16 v[11:12], v0, off
                                        ; implicit-def: $vgpr0
	v_cmpx_ne_u32_e32 0x7f800000, v14
	s_xor_b32 s24, exec_lo, s24
; %bb.37:                               ;   in Loop: Header=BB251_14 Depth=1
	v_bfe_u32 v0, v1, 16, 1
	s_delay_alu instid0(VALU_DEP_1)
	v_add3_u32 v0, v1, v0, 0x7fff
                                        ; implicit-def: $vgpr1
; %bb.38:                               ;   in Loop: Header=BB251_14 Depth=1
	s_and_not1_saveexec_b32 s24, s24
; %bb.39:                               ;   in Loop: Header=BB251_14 Depth=1
	v_and_b32_e32 v0, 0xffff, v1
	v_or_b32_e32 v11, 0x10000, v1
	s_delay_alu instid0(VALU_DEP_2) | instskip(NEXT) | instid1(VALU_DEP_2)
	v_cmp_eq_u32_e32 vcc_lo, 0, v0
	v_cndmask_b32_e32 v0, v11, v1, vcc_lo
; %bb.40:                               ;   in Loop: Header=BB251_14 Depth=1
	s_or_b32 exec_lo, exec_lo, s24
	s_waitcnt lgkmcnt(2)
	v_add_f32_e32 v1, v8, v9
	v_dual_mov_b32 v9, v42 :: v_dual_add_nc_u32 v8, 1, v41
	s_waitcnt vmcnt(3)
	v_lshlrev_b32_e32 v11, 16, v19
	s_mov_b32 s24, exec_lo
	s_delay_alu instid0(VALU_DEP_2) | instskip(NEXT) | instid1(VALU_DEP_2)
	v_lshlrev_b64 v[8:9], 1, v[8:9]
	v_add_f32_e32 v1, v1, v11
	s_delay_alu instid0(VALU_DEP_1) | instskip(NEXT) | instid1(VALU_DEP_3)
	v_and_b32_e32 v11, 0x7f800000, v1
	v_add_co_u32 v8, vcc_lo, s10, v8
	s_delay_alu instid0(VALU_DEP_4)
	v_add_co_ci_u32_e32 v9, vcc_lo, s11, v9, vcc_lo
	global_store_d16_hi_b16 v[8:9], v0, off
                                        ; implicit-def: $vgpr8
	v_cmpx_ne_u32_e32 0x7f800000, v11
	s_xor_b32 s24, exec_lo, s24
; %bb.41:                               ;   in Loop: Header=BB251_14 Depth=1
	v_bfe_u32 v0, v1, 16, 1
	s_delay_alu instid0(VALU_DEP_1)
	v_add3_u32 v8, v1, v0, 0x7fff
                                        ; implicit-def: $vgpr1
; %bb.42:                               ;   in Loop: Header=BB251_14 Depth=1
	s_and_not1_saveexec_b32 s24, s24
; %bb.43:                               ;   in Loop: Header=BB251_14 Depth=1
	v_and_b32_e32 v0, 0xffff, v1
	v_or_b32_e32 v8, 0x10000, v1
	s_delay_alu instid0(VALU_DEP_2) | instskip(NEXT) | instid1(VALU_DEP_2)
	v_cmp_eq_u32_e32 vcc_lo, 0, v0
	v_cndmask_b32_e32 v8, v8, v1, vcc_lo
; %bb.44:                               ;   in Loop: Header=BB251_14 Depth=1
	s_or_b32 exec_lo, exec_lo, s24
	s_waitcnt vmcnt(2) lgkmcnt(1)
	v_dual_add_f32 v0, v6, v7 :: v_dual_lshlrev_b32 v1, 16, v16
	v_add_nc_u32_e32 v41, s7, v41
	s_delay_alu instid0(VALU_DEP_2) | instskip(NEXT) | instid1(VALU_DEP_2)
	v_add_f32_e32 v6, v0, v1
	v_lshlrev_b64 v[0:1], 1, v[41:42]
	s_delay_alu instid0(VALU_DEP_2) | instskip(NEXT) | instid1(VALU_DEP_2)
	v_and_b32_e32 v7, 0x7f800000, v6
	v_add_co_u32 v0, vcc_lo, s10, v0
	s_delay_alu instid0(VALU_DEP_3) | instskip(NEXT) | instid1(VALU_DEP_3)
	v_add_co_ci_u32_e32 v1, vcc_lo, s11, v1, vcc_lo
	v_cmp_ne_u32_e32 vcc_lo, 0x7f800000, v7
                                        ; implicit-def: $vgpr7
	global_store_d16_hi_b16 v[0:1], v8, off
	s_and_saveexec_b32 s24, vcc_lo
	s_delay_alu instid0(SALU_CYCLE_1)
	s_xor_b32 s24, exec_lo, s24
; %bb.45:                               ;   in Loop: Header=BB251_14 Depth=1
	v_bfe_u32 v7, v6, 16, 1
	s_delay_alu instid0(VALU_DEP_1)
	v_add3_u32 v7, v6, v7, 0x7fff
                                        ; implicit-def: $vgpr6
; %bb.46:                               ;   in Loop: Header=BB251_14 Depth=1
	s_and_not1_saveexec_b32 s24, s24
; %bb.47:                               ;   in Loop: Header=BB251_14 Depth=1
	v_and_b32_e32 v7, 0xffff, v6
	v_or_b32_e32 v8, 0x10000, v6
	s_delay_alu instid0(VALU_DEP_2) | instskip(NEXT) | instid1(VALU_DEP_2)
	v_cmp_eq_u32_e32 vcc_lo, 0, v7
	v_cndmask_b32_e32 v7, v8, v6, vcc_lo
; %bb.48:                               ;   in Loop: Header=BB251_14 Depth=1
	s_or_b32 exec_lo, exec_lo, s24
	s_waitcnt lgkmcnt(0)
	v_add_f32_e32 v4, v4, v5
	s_waitcnt vmcnt(1)
	v_lshlrev_b32_e32 v5, 16, v13
	s_mov_b32 s24, exec_lo
	global_store_d16_hi_b16 v[0:1], v7, off offset:2
                                        ; implicit-def: $vgpr0
	v_add_f32_e32 v4, v4, v5
	s_delay_alu instid0(VALU_DEP_1) | instskip(NEXT) | instid1(VALU_DEP_1)
	v_and_b32_e32 v5, 0x7f800000, v4
	v_cmpx_ne_u32_e32 0x7f800000, v5
	s_xor_b32 s24, exec_lo, s24
; %bb.49:                               ;   in Loop: Header=BB251_14 Depth=1
	v_bfe_u32 v0, v4, 16, 1
	s_delay_alu instid0(VALU_DEP_1)
	v_add3_u32 v0, v4, v0, 0x7fff
                                        ; implicit-def: $vgpr4
; %bb.50:                               ;   in Loop: Header=BB251_14 Depth=1
	s_and_not1_saveexec_b32 s24, s24
; %bb.51:                               ;   in Loop: Header=BB251_14 Depth=1
	v_and_b32_e32 v0, 0xffff, v4
	v_or_b32_e32 v1, 0x10000, v4
	s_delay_alu instid0(VALU_DEP_2) | instskip(NEXT) | instid1(VALU_DEP_2)
	v_cmp_eq_u32_e32 vcc_lo, 0, v0
	v_cndmask_b32_e32 v0, v1, v4, vcc_lo
; %bb.52:                               ;   in Loop: Header=BB251_14 Depth=1
	s_or_b32 exec_lo, exec_lo, s24
	s_waitcnt vmcnt(0)
	v_dual_add_f32 v1, v2, v3 :: v_dual_lshlrev_b32 v2, 16, v10
	v_add_nc_u32_e32 v41, s7, v41
	s_mov_b32 s24, exec_lo
	s_delay_alu instid0(VALU_DEP_2) | instskip(NEXT) | instid1(VALU_DEP_2)
	v_add_f32_e32 v1, v1, v2
	v_lshlrev_b64 v[2:3], 1, v[41:42]
	s_delay_alu instid0(VALU_DEP_2) | instskip(NEXT) | instid1(VALU_DEP_2)
	v_and_b32_e32 v4, 0x7f800000, v1
	v_add_co_u32 v2, vcc_lo, s10, v2
	s_delay_alu instid0(VALU_DEP_3)
	v_add_co_ci_u32_e32 v3, vcc_lo, s11, v3, vcc_lo
	global_store_d16_hi_b16 v[2:3], v0, off
                                        ; implicit-def: $vgpr0
	v_cmpx_ne_u32_e32 0x7f800000, v4
	s_xor_b32 s24, exec_lo, s24
; %bb.53:                               ;   in Loop: Header=BB251_14 Depth=1
	v_bfe_u32 v0, v1, 16, 1
	s_delay_alu instid0(VALU_DEP_1)
	v_add3_u32 v0, v1, v0, 0x7fff
                                        ; implicit-def: $vgpr1
; %bb.54:                               ;   in Loop: Header=BB251_14 Depth=1
	s_and_not1_saveexec_b32 s24, s24
	s_cbranch_execz .LBB251_12
; %bb.55:                               ;   in Loop: Header=BB251_14 Depth=1
	v_and_b32_e32 v0, 0xffff, v1
	v_or_b32_e32 v2, 0x10000, v1
	s_delay_alu instid0(VALU_DEP_2) | instskip(NEXT) | instid1(VALU_DEP_2)
	v_cmp_eq_u32_e32 vcc_lo, 0, v0
	v_cndmask_b32_e32 v0, v2, v1, vcc_lo
	s_branch .LBB251_12
.LBB251_56:
	s_nop 0
	s_sendmsg sendmsg(MSG_DEALLOC_VGPRS)
	s_endpgm
	.section	.rodata,"a",@progbits
	.p2align	6, 0x0
	.amdhsa_kernel _Z16wvSplitK_hf_sml_I14__hip_bfloat16Li32ELi2ELi16ELi8ELi2ELi4EEviiiiiiPKT_S3_S3_PS1_ii
		.amdhsa_group_segment_fixed_size 65536
		.amdhsa_private_segment_fixed_size 0
		.amdhsa_kernarg_size 64
		.amdhsa_user_sgpr_count 15
		.amdhsa_user_sgpr_dispatch_ptr 0
		.amdhsa_user_sgpr_queue_ptr 0
		.amdhsa_user_sgpr_kernarg_segment_ptr 1
		.amdhsa_user_sgpr_dispatch_id 0
		.amdhsa_user_sgpr_private_segment_size 0
		.amdhsa_wavefront_size32 1
		.amdhsa_uses_dynamic_stack 0
		.amdhsa_enable_private_segment 0
		.amdhsa_system_sgpr_workgroup_id_x 1
		.amdhsa_system_sgpr_workgroup_id_y 0
		.amdhsa_system_sgpr_workgroup_id_z 0
		.amdhsa_system_sgpr_workgroup_info 0
		.amdhsa_system_vgpr_workitem_id 1
		.amdhsa_next_free_vgpr 79
		.amdhsa_next_free_sgpr 26
		.amdhsa_reserve_vcc 1
		.amdhsa_float_round_mode_32 0
		.amdhsa_float_round_mode_16_64 0
		.amdhsa_float_denorm_mode_32 3
		.amdhsa_float_denorm_mode_16_64 3
		.amdhsa_dx10_clamp 1
		.amdhsa_ieee_mode 1
		.amdhsa_fp16_overflow 0
		.amdhsa_workgroup_processor_mode 1
		.amdhsa_memory_ordered 1
		.amdhsa_forward_progress 0
		.amdhsa_shared_vgpr_count 0
		.amdhsa_exception_fp_ieee_invalid_op 0
		.amdhsa_exception_fp_denorm_src 0
		.amdhsa_exception_fp_ieee_div_zero 0
		.amdhsa_exception_fp_ieee_overflow 0
		.amdhsa_exception_fp_ieee_underflow 0
		.amdhsa_exception_fp_ieee_inexact 0
		.amdhsa_exception_int_div_zero 0
	.end_amdhsa_kernel
	.section	.text._Z16wvSplitK_hf_sml_I14__hip_bfloat16Li32ELi2ELi16ELi8ELi2ELi4EEviiiiiiPKT_S3_S3_PS1_ii,"axG",@progbits,_Z16wvSplitK_hf_sml_I14__hip_bfloat16Li32ELi2ELi16ELi8ELi2ELi4EEviiiiiiPKT_S3_S3_PS1_ii,comdat
.Lfunc_end251:
	.size	_Z16wvSplitK_hf_sml_I14__hip_bfloat16Li32ELi2ELi16ELi8ELi2ELi4EEviiiiiiPKT_S3_S3_PS1_ii, .Lfunc_end251-_Z16wvSplitK_hf_sml_I14__hip_bfloat16Li32ELi2ELi16ELi8ELi2ELi4EEviiiiiiPKT_S3_S3_PS1_ii
                                        ; -- End function
	.section	.AMDGPU.csdata,"",@progbits
; Kernel info:
; codeLenInByte = 5516
; NumSgprs: 28
; NumVgprs: 79
; ScratchSize: 0
; MemoryBound: 0
; FloatMode: 240
; IeeeMode: 1
; LDSByteSize: 65536 bytes/workgroup (compile time only)
; SGPRBlocks: 3
; VGPRBlocks: 9
; NumSGPRsForWavesPerEU: 28
; NumVGPRsForWavesPerEU: 79
; Occupancy: 8
; WaveLimiterHint : 0
; COMPUTE_PGM_RSRC2:SCRATCH_EN: 0
; COMPUTE_PGM_RSRC2:USER_SGPR: 15
; COMPUTE_PGM_RSRC2:TRAP_HANDLER: 0
; COMPUTE_PGM_RSRC2:TGID_X_EN: 1
; COMPUTE_PGM_RSRC2:TGID_Y_EN: 0
; COMPUTE_PGM_RSRC2:TGID_Z_EN: 0
; COMPUTE_PGM_RSRC2:TIDIG_COMP_CNT: 1
	.section	.text._Z12wvSplitK_hf_I14__hip_bfloat16Li32ELi2ELi16ELi8ELi2ELi4EEviiiiiiPKT_S3_S3_PS1_ii,"axG",@progbits,_Z12wvSplitK_hf_I14__hip_bfloat16Li32ELi2ELi16ELi8ELi2ELi4EEviiiiiiPKT_S3_S3_PS1_ii,comdat
	.protected	_Z12wvSplitK_hf_I14__hip_bfloat16Li32ELi2ELi16ELi8ELi2ELi4EEviiiiiiPKT_S3_S3_PS1_ii ; -- Begin function _Z12wvSplitK_hf_I14__hip_bfloat16Li32ELi2ELi16ELi8ELi2ELi4EEviiiiiiPKT_S3_S3_PS1_ii
	.globl	_Z12wvSplitK_hf_I14__hip_bfloat16Li32ELi2ELi16ELi8ELi2ELi4EEviiiiiiPKT_S3_S3_PS1_ii
	.p2align	8
	.type	_Z12wvSplitK_hf_I14__hip_bfloat16Li32ELi2ELi16ELi8ELi2ELi4EEviiiiiiPKT_S3_S3_PS1_ii,@function
_Z12wvSplitK_hf_I14__hip_bfloat16Li32ELi2ELi16ELi8ELi2ELi4EEviiiiiiPKT_S3_S3_PS1_ii: ; @_Z12wvSplitK_hf_I14__hip_bfloat16Li32ELi2ELi16ELi8ELi2ELi4EEviiiiiiPKT_S3_S3_PS1_ii
; %bb.0:
	s_clause 0x1
	s_load_b64 s[18:19], s[0:1], 0x38
	s_load_b128 s[4:7], s[0:1], 0x0
	v_bfe_u32 v1, v0, 10, 10
	s_clause 0x1
	s_load_b64 s[12:13], s[0:1], 0x20
	s_load_b64 s[16:17], s[0:1], 0x10
	s_mov_b32 s8, 1
	s_delay_alu instid0(SALU_CYCLE_1) | instskip(NEXT) | instid1(SALU_CYCLE_1)
	s_mov_b32 s9, s8
	v_dual_mov_b32 v49, s9 :: v_dual_mov_b32 v48, s8
	s_waitcnt lgkmcnt(0)
	s_mul_i32 s15, s15, s18
	s_delay_alu instid0(SALU_CYCLE_1) | instskip(NEXT) | instid1(VALU_DEP_1)
	v_add_lshl_u32 v50, s15, v1, 1
	v_add_nc_u32_e32 v2, 2, v50
	v_cmp_gt_u32_e32 vcc_lo, s7, v50
	s_delay_alu instid0(VALU_DEP_2) | instskip(NEXT) | instid1(VALU_DEP_1)
	v_cmp_le_u32_e64 s2, s7, v2
	s_and_b32 s2, vcc_lo, s2
	s_delay_alu instid0(SALU_CYCLE_1)
	s_and_saveexec_b32 s10, s2
	s_cbranch_execz .LBB252_6
; %bb.1:
	v_dual_mov_b32 v49, s9 :: v_dual_mov_b32 v48, s8
	s_add_i32 s11, s7, -2
	s_mov_b32 s14, exec_lo
	v_cmpx_ne_u32_e64 s11, v50
	s_cbranch_execz .LBB252_5
; %bb.2:
	v_subrev_nc_u32_e32 v2, s11, v50
	s_mov_b32 s2, 1
	s_mov_b32 s15, 0
	s_mov_b64 s[8:9], 0
	s_mov_b32 s3, s2
	v_cmp_lt_u32_e32 vcc_lo, 1, v2
	v_cndmask_b32_e32 v2, 1, v2, vcc_lo
.LBB252_3:                              ; =>This Inner Loop Header: Depth=1
	s_cmp_lg_u32 s8, 1
	s_cselect_b32 s3, s3, 0
	s_cmp_lg_u32 s8, 0
	s_cselect_b32 s2, s2, 0
	s_add_u32 s8, s8, 1
	v_dual_mov_b32 v49, s3 :: v_dual_mov_b32 v48, s2
	v_cmp_eq_u32_e32 vcc_lo, s8, v2
	s_addc_u32 s9, s9, 0
	s_or_b32 s15, vcc_lo, s15
	s_delay_alu instid0(SALU_CYCLE_1)
	s_and_not1_b32 exec_lo, exec_lo, s15
	s_cbranch_execnz .LBB252_3
; %bb.4:
	s_or_b32 exec_lo, exec_lo, s15
	v_mov_b32_e32 v50, s11
.LBB252_5:
	s_or_b32 exec_lo, exec_lo, s14
.LBB252_6:
	s_delay_alu instid0(SALU_CYCLE_1) | instskip(SKIP_4) | instid1(VALU_DEP_1)
	s_or_b32 exec_lo, exec_lo, s10
	v_and_b32_e32 v0, 0x3ff, v0
	s_lshl_b32 s3, s6, 2
	s_mov_b32 s2, exec_lo
	s_min_u32 s8, s3, 0x8000
	v_lshlrev_b32_e32 v52, 3, v0
	s_delay_alu instid0(VALU_DEP_1) | instskip(NEXT) | instid1(VALU_DEP_1)
	v_lshl_add_u32 v3, v1, 8, v52
	v_cmpx_gt_u32_e64 s8, v3
	s_cbranch_execz .LBB252_15
; %bb.7:
	v_lshlrev_b32_e32 v2, 1, v3
	v_add_nc_u32_e32 v8, 0x1000, v3
	s_mov_b32 s9, exec_lo
	global_load_b128 v[4:7], v2, s[12:13]
	s_waitcnt vmcnt(0)
	ds_store_b128 v2, v[4:7]
	v_cmpx_gt_u32_e64 s8, v8
	s_xor_b32 s9, exec_lo, s9
	s_cbranch_execz .LBB252_15
; %bb.8:
	v_add_co_u32 v4, s9, s12, v2
	s_delay_alu instid0(VALU_DEP_1) | instskip(SKIP_1) | instid1(VALU_DEP_3)
	v_add_co_ci_u32_e64 v5, null, s13, 0, s9
	v_add_nc_u32_e32 v10, 0x2000, v3
	v_add_co_u32 v6, vcc_lo, 0x2000, v4
	s_delay_alu instid0(VALU_DEP_3)
	v_add_co_ci_u32_e32 v7, vcc_lo, 0, v5, vcc_lo
	s_mov_b32 s9, exec_lo
	global_load_b128 v[6:9], v[6:7], off
	s_waitcnt vmcnt(0)
	ds_store_b128 v2, v[6:9] offset:8192
	v_cmpx_gt_u32_e64 s8, v10
	s_xor_b32 s9, exec_lo, s9
	s_cbranch_execz .LBB252_15
; %bb.9:
	v_add_co_u32 v6, vcc_lo, 0x4000, v4
	v_add_co_ci_u32_e32 v7, vcc_lo, 0, v5, vcc_lo
	v_add_nc_u32_e32 v10, 0x3000, v3
	s_mov_b32 s9, exec_lo
	global_load_b128 v[6:9], v[6:7], off
	s_waitcnt vmcnt(0)
	ds_store_b128 v2, v[6:9] offset:16384
	v_cmpx_gt_u32_e64 s8, v10
	s_xor_b32 s9, exec_lo, s9
	s_cbranch_execz .LBB252_15
; %bb.10:
	v_add_co_u32 v6, vcc_lo, 0x6000, v4
	v_add_co_ci_u32_e32 v7, vcc_lo, 0, v5, vcc_lo
	v_add_nc_u32_e32 v10, 0x4000, v3
	;; [unrolled: 11-line block ×5, first 2 shown]
	global_load_b128 v[6:9], v[6:7], off
	v_cmp_gt_u32_e32 vcc_lo, s8, v3
	s_waitcnt vmcnt(0)
	ds_store_b128 v2, v[6:9] offset:49152
	s_and_saveexec_b32 s8, vcc_lo
	s_delay_alu instid0(SALU_CYCLE_1)
	s_xor_b32 s8, exec_lo, s8
	s_cbranch_execz .LBB252_15
; %bb.14:
	v_add_co_u32 v3, vcc_lo, 0xe000, v4
	v_add_co_ci_u32_e32 v4, vcc_lo, 0, v5, vcc_lo
	global_load_b128 v[3:6], v[3:4], off
	s_waitcnt vmcnt(0)
	ds_store_b128 v2, v[3:6] offset:57344
.LBB252_15:
	s_or_b32 exec_lo, exec_lo, s2
	v_cmp_gt_u32_e32 vcc_lo, s18, v1
	v_cmp_gt_u32_e64 s2, s7, v50
	s_waitcnt lgkmcnt(0)
	s_barrier
	buffer_gl0_inv
	s_and_b32 s2, vcc_lo, s2
	s_delay_alu instid0(SALU_CYCLE_1)
	s_and_saveexec_b32 s8, s2
	s_cbranch_execz .LBB252_114
; %bb.16:
	s_clause 0x1
	s_load_b128 s[8:11], s[0:1], 0x28
	s_load_b64 s[14:15], s[0:1], 0x18
	s_cmp_lg_u32 s4, 0
	s_mul_i32 s2, s18, s19
	s_cselect_b32 s20, -1, 0
	s_add_i32 s21, s4, -8
	s_add_i32 s22, s7, -1
	v_cvt_f32_u32_e32 v2, s16
	v_mbcnt_lo_u32_b32 v3, -1, 0
	v_cmp_eq_u32_e64 s0, 31, v0
	v_lshlrev_b32_e32 v67, 4, v0
	v_mad_u64_u32 v[55:56], null, s6, 3, v[52:53]
	s_delay_alu instid0(VALU_DEP_4) | instskip(SKIP_2) | instid1(VALU_DEP_3)
	v_xor_b32_e32 v0, 16, v3
	v_add_nc_u32_e32 v68, s6, v52
	v_mov_b32_e32 v54, 0
	v_cmp_gt_i32_e32 vcc_lo, 32, v0
	s_waitcnt lgkmcnt(0)
	s_cmp_lg_u64 s[8:9], 0
	s_cselect_b32 s23, -1, 0
	s_abs_i32 s1, s17
	s_lshl_b32 s24, s2, 1
	v_cvt_f32_u32_e32 v1, s1
	s_sub_i32 s2, 0, s1
	s_add_i32 s25, s7, -2
	s_sub_i32 s19, 0, s16
	s_sub_i32 s26, 1, s1
	v_rcp_iflag_f32_e32 v1, v1
	s_mov_b32 s17, 0
	v_cndmask_b32_e32 v0, v3, v0, vcc_lo
	s_delay_alu instid0(VALU_DEP_1) | instskip(SKIP_2) | instid1(VALU_DEP_1)
	v_lshlrev_b32_e32 v69, 2, v0
	s_waitcnt_depctr 0xfff
	v_mul_f32_e32 v1, 0x4f7ffffe, v1
	v_cvt_u32_f32_e32 v1, v1
	s_delay_alu instid0(VALU_DEP_1) | instskip(SKIP_1) | instid1(VALU_DEP_1)
	v_readfirstlane_b32 s18, v1
	v_rcp_iflag_f32_e32 v1, v2
	s_mul_i32 s2, s2, s18
	s_delay_alu instid0(SALU_CYCLE_1) | instskip(NEXT) | instid1(SALU_CYCLE_1)
	s_mul_hi_u32 s2, s18, s2
	s_add_i32 s18, s18, s2
	s_cmp_lt_u32 s1, 2
	s_waitcnt_depctr 0xfff
	v_mul_f32_e32 v1, 0x4f7ffffe, v1
	s_cselect_b32 s2, s26, 1
	s_delay_alu instid0(SALU_CYCLE_1) | instskip(SKIP_1) | instid1(VALU_DEP_1)
	s_sub_i32 s26, s2, s1
	s_cmp_ge_u32 s2, s1
	v_cvt_u32_f32_e32 v1, v1
	s_cselect_b32 s27, s26, s2
	s_lshr_b32 s2, s18, 31
	s_mul_hi_u32 s18, s18, 3
	s_mul_i32 s2, s2, s1
	v_mul_lo_u32 v2, s19, v1
	s_sub_i32 s2, 2, s2
	s_mul_i32 s18, s18, s1
	s_sub_i32 s26, s2, s1
	s_cmp_ge_u32 s2, s1
	s_mul_i32 s27, s27, s16
	s_cselect_b32 s2, s26, s2
	s_delay_alu instid0(SALU_CYCLE_1)
	s_sub_i32 s19, s2, s1
	s_cmp_ge_u32 s2, s1
	v_mul_hi_u32 v2, v1, v2
	s_cselect_b32 s28, s19, s2
	s_sub_i32 s2, 3, s18
	s_mul_i32 s28, s28, s16
	s_sub_i32 s18, s2, s1
	s_cmp_ge_u32 s2, s1
	s_cselect_b32 s2, s18, s2
	s_delay_alu instid0(VALU_DEP_1)
	v_add_nc_u32_e32 v70, v1, v2
	s_sub_i32 s18, s2, s1
	s_cmp_ge_u32 s2, s1
	s_cselect_b32 s29, s18, s2
	s_lshl_b32 s26, s6, 1
	s_mul_i32 s29, s29, s16
	v_add_nc_u32_e32 v71, s26, v52
	s_mul_i32 s6, s6, 6
	s_branch .LBB252_19
.LBB252_17:                             ;   in Loop: Header=BB252_19 Depth=1
	s_or_b32 exec_lo, exec_lo, s31
	v_mov_b32_e32 v50, s25
.LBB252_18:                             ;   in Loop: Header=BB252_19 Depth=1
	s_or_b32 exec_lo, exec_lo, s30
	s_delay_alu instid0(VALU_DEP_1) | instskip(SKIP_1) | instid1(SALU_CYCLE_1)
	v_cmp_le_u32_e32 vcc_lo, s7, v50
	s_or_b32 s17, vcc_lo, s17
	s_and_not1_b32 exec_lo, exec_lo, s17
	s_cbranch_execz .LBB252_114
.LBB252_19:                             ; =>This Loop Header: Depth=1
                                        ;     Child Loop BB252_24 Depth 2
                                        ;     Child Loop BB252_112 Depth 2
	v_dual_mov_b32 v51, v54 :: v_dual_add_nc_u32 v56, 1, v50
	v_mov_b32_e32 v72, v54
	v_mov_b32_e32 v75, v54
	;; [unrolled: 1-line block ×7, first 2 shown]
	s_and_not1_b32 vcc_lo, exec_lo, s20
	s_cbranch_vccnz .LBB252_58
; %bb.20:                               ;   in Loop: Header=BB252_19 Depth=1
	v_min_u32_e32 v0, s22, v50
	v_min_u32_e32 v2, s22, v56
	s_waitcnt lgkmcnt(0)
	v_dual_mov_b32 v1, v54 :: v_dual_mov_b32 v76, 0
	v_dual_mov_b32 v73, v67 :: v_dual_mov_b32 v78, 0
	v_mul_lo_u32 v53, v0, s5
	v_mul_lo_u32 v0, v2, s5
	v_dual_mov_b32 v74, 0 :: v_dual_mov_b32 v79, 0
	v_dual_mov_b32 v77, 0 :: v_dual_mov_b32 v72, 0
	v_mov_b32_e32 v75, 0
	v_mov_b32_e32 v51, 0
	v_lshlrev_b64 v[57:58], 1, v[53:54]
	v_lshlrev_b64 v[59:60], 1, v[0:1]
	s_mov_b32 s1, 0
	s_branch .LBB252_24
.LBB252_21:                             ;   in Loop: Header=BB252_24 Depth=2
	s_or_b32 exec_lo, exec_lo, s19
.LBB252_22:                             ;   in Loop: Header=BB252_24 Depth=2
	s_delay_alu instid0(SALU_CYCLE_1)
	s_or_b32 exec_lo, exec_lo, s18
.LBB252_23:                             ;   in Loop: Header=BB252_24 Depth=2
	s_delay_alu instid0(SALU_CYCLE_1)
	s_or_b32 exec_lo, exec_lo, s2
	s_waitcnt vmcnt(0) lgkmcnt(0)
	v_and_b32_e32 v62, 0xffff0000, v33
	v_and_b32_e32 v64, 0xffff0000, v29
	v_lshlrev_b32_e32 v33, 16, v33
	v_and_b32_e32 v82, 0xffff0000, v21
	v_and_b32_e32 v81, 0xffff0000, v20
	;; [unrolled: 1-line block ×3, first 2 shown]
	v_mul_f32_e32 v80, v62, v64
	v_lshlrev_b32_e32 v30, 16, v30
	v_and_b32_e32 v83, 0xffff0000, v31
	v_and_b32_e32 v65, 0xffff0000, v34
	;; [unrolled: 1-line block ×3, first 2 shown]
	v_lshlrev_b32_e32 v20, 16, v20
	v_lshlrev_b32_e32 v34, 16, v34
	;; [unrolled: 1-line block ×3, first 2 shown]
	v_and_b32_e32 v61, 0xffff0000, v28
	v_lshlrev_b32_e32 v28, 16, v28
	v_and_b32_e32 v85, 0xffff0000, v14
	v_and_b32_e32 v88, 0xffff0000, v6
	v_fmac_f32_e32 v80, v33, v29
	v_dual_mul_f32 v63, v53, v61 :: v_dual_lshlrev_b32 v32, 16, v32
	v_lshlrev_b32_e32 v6, 16, v6
	v_and_b32_e32 v86, 0xffff0000, v4
	s_addk_i32 s1, 0x200
	v_add_nc_u32_e32 v73, 0x400, v73
	v_fmac_f32_e32 v63, v32, v28
	s_cmp_ge_u32 s1, s4
	s_delay_alu instid0(VALU_DEP_1) | instskip(NEXT) | instid1(VALU_DEP_1)
	v_add_f32_e32 v63, v76, v63
	v_dual_add_f32 v63, v63, v80 :: v_dual_and_b32 v80, 0xffff0000, v35
	s_delay_alu instid0(VALU_DEP_1) | instskip(SKIP_2) | instid1(VALU_DEP_1)
	v_mul_f32_e32 v84, v80, v83
	v_mul_f32_e32 v76, v65, v66
	v_dual_mul_f32 v53, v53, v81 :: v_dual_lshlrev_b32 v4, 16, v4
	v_dual_fmac_f32 v53, v32, v20 :: v_dual_mul_f32 v32, v62, v82
	s_delay_alu instid0(VALU_DEP_1) | instskip(NEXT) | instid1(VALU_DEP_4)
	v_dual_add_f32 v53, v78, v53 :: v_dual_lshlrev_b32 v14, 16, v14
	v_fmac_f32_e32 v76, v34, v30
	s_delay_alu instid0(VALU_DEP_1) | instskip(SKIP_2) | instid1(VALU_DEP_1)
	v_add_f32_e32 v63, v63, v76
	v_lshlrev_b32_e32 v31, 16, v31
	v_lshlrev_b32_e32 v21, 16, v21
	v_dual_fmac_f32 v32, v33, v21 :: v_dual_lshlrev_b32 v35, 16, v35
	s_delay_alu instid0(VALU_DEP_1) | instskip(NEXT) | instid1(VALU_DEP_2)
	v_fmac_f32_e32 v84, v35, v31
	v_add_f32_e32 v32, v53, v32
	v_and_b32_e32 v53, 0xffff0000, v44
	v_and_b32_e32 v62, 0xffff0000, v22
	v_lshlrev_b32_e32 v44, 16, v44
	v_lshlrev_b32_e32 v22, 16, v22
	s_delay_alu instid0(VALU_DEP_3) | instskip(NEXT) | instid1(VALU_DEP_1)
	v_mul_f32_e32 v33, v65, v62
	v_dual_fmac_f32 v33, v34, v22 :: v_dual_add_f32 v34, v63, v84
	v_and_b32_e32 v84, 0xffff0000, v13
	s_delay_alu instid0(VALU_DEP_2) | instskip(SKIP_3) | instid1(VALU_DEP_2)
	v_add_f32_e32 v32, v32, v33
	v_and_b32_e32 v76, 0xffff0000, v45
	v_and_b32_e32 v33, 0xffff0000, v23
	;; [unrolled: 1-line block ×3, first 2 shown]
	v_dual_mul_f32 v78, v80, v33 :: v_dual_lshlrev_b32 v23, 16, v23
	v_lshlrev_b32_e32 v45, 16, v45
	s_delay_alu instid0(VALU_DEP_3) | instskip(NEXT) | instid1(VALU_DEP_3)
	v_mul_f32_e32 v65, v53, v63
	v_dual_mul_f32 v53, v53, v86 :: v_dual_fmac_f32 v78, v35, v23
	s_delay_alu instid0(VALU_DEP_1) | instskip(SKIP_3) | instid1(VALU_DEP_1)
	v_dual_add_f32 v32, v32, v78 :: v_dual_lshlrev_b32 v13, 16, v13
	v_and_b32_e32 v35, 0xffff0000, v46
	v_lshlrev_b32_e32 v46, 16, v46
	v_lshlrev_b32_e32 v12, 16, v12
	v_fmac_f32_e32 v65, v44, v12
	s_delay_alu instid0(VALU_DEP_1) | instskip(SKIP_3) | instid1(VALU_DEP_2)
	v_add_f32_e32 v34, v34, v65
	v_mul_f32_e32 v65, v35, v85
	v_fmac_f32_e32 v53, v44, v4
	v_mul_f32_e32 v80, v76, v84
	v_add_f32_e32 v32, v32, v53
	s_delay_alu instid0(VALU_DEP_2) | instskip(SKIP_1) | instid1(VALU_DEP_2)
	v_dual_fmac_f32 v80, v45, v13 :: v_dual_and_b32 v53, 0xffff0000, v18
	v_lshlrev_b32_e32 v18, 16, v18
	v_add_f32_e32 v34, v34, v80
	v_and_b32_e32 v80, 0xffff0000, v5
	v_and_b32_e32 v87, 0xffff0000, v15
	v_lshlrev_b32_e32 v5, 16, v5
	s_delay_alu instid0(VALU_DEP_3) | instskip(NEXT) | instid1(VALU_DEP_1)
	v_dual_mul_f32 v44, v76, v80 :: v_dual_lshlrev_b32 v15, 16, v15
	v_dual_fmac_f32 v44, v45, v5 :: v_dual_and_b32 v45, 0xffff0000, v16
	v_lshlrev_b32_e32 v16, 16, v16
	s_delay_alu instid0(VALU_DEP_2) | instskip(NEXT) | instid1(VALU_DEP_3)
	v_add_f32_e32 v32, v32, v44
	v_mul_f32_e32 v44, v45, v61
	v_mul_f32_e32 v45, v45, v81
	s_delay_alu instid0(VALU_DEP_1) | instskip(NEXT) | instid1(VALU_DEP_1)
	v_fmac_f32_e32 v45, v16, v20
	v_add_f32_e32 v45, v79, v45
	v_mul_f32_e32 v35, v35, v88
	v_fmac_f32_e32 v65, v46, v14
	s_delay_alu instid0(VALU_DEP_2) | instskip(NEXT) | instid1(VALU_DEP_2)
	v_fmac_f32_e32 v35, v46, v6
	v_dual_add_f32 v34, v34, v65 :: v_dual_mul_f32 v65, v53, v66
	v_dual_mul_f32 v53, v53, v62 :: v_dual_and_b32 v78, 0xffff0000, v47
	s_delay_alu instid0(VALU_DEP_3)
	v_add_f32_e32 v32, v32, v35
	v_and_b32_e32 v35, 0xffff0000, v7
	v_lshlrev_b32_e32 v47, 16, v47
	v_fmac_f32_e32 v65, v18, v30
	v_mul_f32_e32 v76, v78, v87
	v_dual_fmac_f32 v53, v18, v22 :: v_dual_and_b32 v46, 0xffff0000, v17
	v_lshlrev_b32_e32 v17, 16, v17
	v_lshlrev_b32_e32 v7, 16, v7
	s_delay_alu instid0(VALU_DEP_4) | instskip(SKIP_2) | instid1(VALU_DEP_3)
	v_fmac_f32_e32 v76, v47, v15
	v_fmac_f32_e32 v44, v16, v28
	v_and_b32_e32 v18, 0xffff0000, v42
	v_add_f32_e32 v76, v34, v76
	v_mul_f32_e32 v34, v46, v64
	s_delay_alu instid0(VALU_DEP_4) | instskip(SKIP_2) | instid1(VALU_DEP_4)
	v_add_f32_e32 v44, v74, v44
	v_mul_f32_e32 v74, v78, v35
	v_and_b32_e32 v78, 0xffff0000, v19
	v_dual_fmac_f32 v34, v17, v29 :: v_dual_lshlrev_b32 v19, 16, v19
	s_delay_alu instid0(VALU_DEP_1) | instskip(NEXT) | instid1(VALU_DEP_3)
	v_add_f32_e32 v34, v44, v34
	v_mul_f32_e32 v44, v78, v83
	s_delay_alu instid0(VALU_DEP_2) | instskip(NEXT) | instid1(VALU_DEP_2)
	v_add_f32_e32 v34, v34, v65
	v_dual_fmac_f32 v44, v19, v31 :: v_dual_mul_f32 v65, v78, v33
	s_delay_alu instid0(VALU_DEP_1) | instskip(SKIP_4) | instid1(VALU_DEP_3)
	v_add_f32_e32 v34, v34, v44
	v_and_b32_e32 v44, 0xffff0000, v41
	v_mul_f32_e32 v16, v46, v82
	v_and_b32_e32 v46, 0xffff0000, v40
	v_lshlrev_b32_e32 v41, 16, v41
	v_dual_fmac_f32 v65, v19, v23 :: v_dual_fmac_f32 v16, v17, v21
	s_delay_alu instid0(VALU_DEP_3) | instskip(NEXT) | instid1(VALU_DEP_2)
	v_dual_mul_f32 v40, v46, v63 :: v_dual_lshlrev_b32 v17, 16, v40
	v_add_f32_e32 v16, v45, v16
	v_mul_f32_e32 v45, v44, v84
	s_delay_alu instid0(VALU_DEP_3) | instskip(NEXT) | instid1(VALU_DEP_1)
	v_fmac_f32_e32 v40, v17, v12
	v_dual_fmac_f32 v45, v41, v13 :: v_dual_add_f32 v34, v34, v40
	v_lshlrev_b32_e32 v40, 16, v42
	v_mul_f32_e32 v42, v18, v85
	v_mul_f32_e32 v18, v18, v88
	s_delay_alu instid0(VALU_DEP_2) | instskip(NEXT) | instid1(VALU_DEP_2)
	v_dual_add_f32 v19, v34, v45 :: v_dual_fmac_f32 v42, v40, v14
	v_fmac_f32_e32 v18, v40, v6
	s_delay_alu instid0(VALU_DEP_2) | instskip(SKIP_2) | instid1(VALU_DEP_2)
	v_add_f32_e32 v19, v19, v42
	v_fmac_f32_e32 v74, v47, v7
	v_lshlrev_b32_e32 v42, 16, v43
	v_add_f32_e32 v78, v32, v74
	v_and_b32_e32 v32, 0xffff0000, v43
	s_delay_alu instid0(VALU_DEP_1) | instskip(NEXT) | instid1(VALU_DEP_1)
	v_mul_f32_e32 v43, v32, v87
	v_fmac_f32_e32 v43, v42, v15
	v_mul_f32_e32 v34, v46, v86
	s_delay_alu instid0(VALU_DEP_2) | instskip(SKIP_1) | instid1(VALU_DEP_3)
	v_dual_add_f32 v74, v19, v43 :: v_dual_and_b32 v19, 0xffff0000, v10
	v_add_f32_e32 v16, v16, v53
	v_fmac_f32_e32 v34, v17, v4
	v_mul_f32_e32 v17, v44, v80
	v_and_b32_e32 v44, 0xffff0000, v8
	v_lshlrev_b32_e32 v10, 16, v10
	v_add_f32_e32 v16, v16, v65
	s_delay_alu instid0(VALU_DEP_4) | instskip(SKIP_1) | instid1(VALU_DEP_3)
	v_dual_fmac_f32 v17, v41, v5 :: v_dual_lshlrev_b32 v8, 16, v8
	v_and_b32_e32 v41, 0xffff0000, v9
	v_dual_add_f32 v16, v16, v34 :: v_dual_lshlrev_b32 v9, 16, v9
	v_mul_f32_e32 v34, v44, v61
	v_mul_f32_e32 v40, v44, v81
	s_delay_alu instid0(VALU_DEP_3) | instskip(NEXT) | instid1(VALU_DEP_3)
	v_add_f32_e32 v16, v16, v17
	v_fmac_f32_e32 v34, v8, v28
	v_mul_f32_e32 v17, v41, v64
	s_delay_alu instid0(VALU_DEP_4) | instskip(SKIP_4) | instid1(VALU_DEP_1)
	v_fmac_f32_e32 v40, v8, v20
	v_lshlrev_b32_e32 v8, 16, v11
	v_add_f32_e32 v16, v16, v18
	v_add_f32_e32 v18, v77, v34
	v_dual_fmac_f32 v17, v9, v29 :: v_dual_mul_f32 v34, v19, v66
	v_dual_add_f32 v17, v18, v17 :: v_dual_and_b32 v18, 0xffff0000, v11
	s_delay_alu instid0(VALU_DEP_2) | instskip(SKIP_1) | instid1(VALU_DEP_3)
	v_fmac_f32_e32 v34, v10, v30
	v_mul_f32_e32 v11, v41, v82
	v_mul_f32_e32 v41, v18, v83
	s_delay_alu instid0(VALU_DEP_3) | instskip(NEXT) | instid1(VALU_DEP_3)
	v_dual_add_f32 v17, v17, v34 :: v_dual_add_f32 v34, v75, v40
	v_dual_fmac_f32 v11, v9, v21 :: v_dual_and_b32 v40, 0xffff0000, v36
	v_mul_f32_e32 v9, v19, v62
	s_delay_alu instid0(VALU_DEP_4) | instskip(NEXT) | instid1(VALU_DEP_3)
	v_fmac_f32_e32 v41, v8, v31
	v_dual_mul_f32 v36, v40, v63 :: v_dual_lshlrev_b32 v19, 16, v36
	s_delay_alu instid0(VALU_DEP_4) | instskip(NEXT) | instid1(VALU_DEP_3)
	v_dual_add_f32 v11, v34, v11 :: v_dual_and_b32 v34, 0xffff0000, v37
	v_dual_fmac_f32 v9, v10, v22 :: v_dual_add_f32 v10, v17, v41
	s_delay_alu instid0(VALU_DEP_3) | instskip(NEXT) | instid1(VALU_DEP_3)
	v_dual_fmac_f32 v36, v19, v12 :: v_dual_lshlrev_b32 v17, 16, v37
	v_mul_f32_e32 v37, v34, v84
	s_delay_alu instid0(VALU_DEP_3) | instskip(NEXT) | instid1(VALU_DEP_3)
	v_add_f32_e32 v9, v11, v9
	v_dual_add_f32 v10, v10, v36 :: v_dual_and_b32 v11, 0xffff0000, v38
	s_delay_alu instid0(VALU_DEP_3) | instskip(SKIP_1) | instid1(VALU_DEP_3)
	v_dual_fmac_f32 v37, v17, v13 :: v_dual_lshlrev_b32 v36, 16, v38
	v_and_b32_e32 v41, 0xffff0000, v1
	v_mul_f32_e32 v38, v11, v85
	v_dual_mul_f32 v11, v11, v88 :: v_dual_mul_f32 v18, v18, v33
	s_delay_alu instid0(VALU_DEP_2) | instskip(NEXT) | instid1(VALU_DEP_2)
	v_dual_fmac_f32 v38, v36, v14 :: v_dual_lshlrev_b32 v1, 16, v1
	v_fmac_f32_e32 v11, v36, v6
	s_delay_alu instid0(VALU_DEP_3) | instskip(SKIP_1) | instid1(VALU_DEP_2)
	v_fmac_f32_e32 v18, v8, v23
	v_dual_add_f32 v8, v10, v37 :: v_dual_and_b32 v37, 0xffff0000, v0
	v_dual_add_f32 v9, v9, v18 :: v_dual_lshlrev_b32 v0, 16, v0
	s_delay_alu instid0(VALU_DEP_2) | instskip(SKIP_1) | instid1(VALU_DEP_1)
	v_add_f32_e32 v8, v8, v38
	v_mul_f32_e32 v38, v40, v86
	v_fmac_f32_e32 v38, v19, v4
	v_dual_mul_f32 v19, v34, v80 :: v_dual_and_b32 v34, 0xffff0000, v2
	v_lshlrev_b32_e32 v2, 16, v2
	s_delay_alu instid0(VALU_DEP_3) | instskip(NEXT) | instid1(VALU_DEP_3)
	v_add_f32_e32 v9, v9, v38
	v_fmac_f32_e32 v19, v17, v5
	s_delay_alu instid0(VALU_DEP_1) | instskip(SKIP_2) | instid1(VALU_DEP_2)
	v_add_f32_e32 v9, v9, v19
	v_dual_mul_f32 v40, v37, v61 :: v_dual_and_b32 v19, 0xffff0000, v3
	v_lshlrev_b32_e32 v3, 16, v3
	v_dual_add_f32 v9, v9, v11 :: v_dual_fmac_f32 v40, v0, v28
	v_dual_mul_f32 v28, v41, v64 :: v_dual_lshlrev_b32 v11, 16, v26
	s_delay_alu instid0(VALU_DEP_1) | instskip(SKIP_1) | instid1(VALU_DEP_2)
	v_dual_add_f32 v17, v72, v40 :: v_dual_fmac_f32 v28, v1, v29
	v_dual_mul_f32 v29, v34, v66 :: v_dual_mul_f32 v32, v32, v35
	v_add_f32_e32 v17, v17, v28
	s_delay_alu instid0(VALU_DEP_2) | instskip(SKIP_1) | instid1(VALU_DEP_4)
	v_dual_fmac_f32 v29, v2, v30 :: v_dual_mul_f32 v28, v37, v81
	v_mul_f32_e32 v30, v19, v83
	v_fmac_f32_e32 v32, v42, v7
	s_delay_alu instid0(VALU_DEP_3) | instskip(NEXT) | instid1(VALU_DEP_4)
	v_fmac_f32_e32 v28, v0, v20
	v_add_f32_e32 v0, v17, v29
	s_delay_alu instid0(VALU_DEP_4) | instskip(NEXT) | instid1(VALU_DEP_4)
	v_dual_mul_f32 v17, v41, v82 :: v_dual_fmac_f32 v30, v3, v31
	v_add_f32_e32 v79, v16, v32
	s_delay_alu instid0(VALU_DEP_4) | instskip(NEXT) | instid1(VALU_DEP_3)
	v_add_f32_e32 v20, v51, v28
	v_dual_fmac_f32 v17, v1, v21 :: v_dual_and_b32 v28, 0xffff0000, v24
	v_mul_f32_e32 v1, v34, v62
	v_dual_add_f32 v0, v0, v30 :: v_dual_lshlrev_b32 v21, 16, v24
	s_delay_alu instid0(VALU_DEP_3) | instskip(NEXT) | instid1(VALU_DEP_4)
	v_mul_f32_e32 v24, v28, v63
	v_add_f32_e32 v17, v20, v17
	s_delay_alu instid0(VALU_DEP_4) | instskip(SKIP_1) | instid1(VALU_DEP_4)
	v_dual_fmac_f32 v1, v2, v22 :: v_dual_mul_f32 v2, v19, v33
	v_and_b32_e32 v20, 0xffff0000, v25
	v_fmac_f32_e32 v24, v21, v12
	v_lshlrev_b32_e32 v12, 16, v25
	s_delay_alu instid0(VALU_DEP_4) | instskip(SKIP_3) | instid1(VALU_DEP_4)
	v_dual_add_f32 v1, v17, v1 :: v_dual_fmac_f32 v2, v3, v23
	v_mul_f32_e32 v3, v28, v86
	v_mul_f32_e32 v19, v20, v84
	v_dual_add_f32 v0, v0, v24 :: v_dual_and_b32 v17, 0xffff0000, v27
	v_add_f32_e32 v1, v1, v2
	s_delay_alu instid0(VALU_DEP_4) | instskip(SKIP_2) | instid1(VALU_DEP_3)
	v_dual_fmac_f32 v3, v21, v4 :: v_dual_and_b32 v2, 0xffff0000, v26
	v_mul_f32_e32 v4, v20, v80
	v_dual_fmac_f32 v19, v12, v13 :: v_dual_and_b32 v10, 0xffff0000, v39
	v_mul_f32_e32 v13, v2, v85
	s_delay_alu instid0(VALU_DEP_3) | instskip(SKIP_1) | instid1(VALU_DEP_3)
	v_dual_add_f32 v1, v1, v3 :: v_dual_fmac_f32 v4, v12, v5
	v_mul_f32_e32 v2, v2, v88
	v_dual_fmac_f32 v13, v11, v14 :: v_dual_lshlrev_b32 v18, 16, v39
	v_mul_f32_e32 v39, v10, v87
	v_mul_f32_e32 v10, v10, v35
	v_add_f32_e32 v0, v0, v19
	v_lshlrev_b32_e32 v3, 16, v27
	v_mul_f32_e32 v5, v17, v87
	v_dual_add_f32 v1, v1, v4 :: v_dual_fmac_f32 v2, v11, v6
	v_mul_f32_e32 v4, v17, v35
	v_fmac_f32_e32 v39, v18, v15
	v_fmac_f32_e32 v10, v18, v7
	v_dual_add_f32 v0, v0, v13 :: v_dual_fmac_f32 v5, v3, v15
	s_delay_alu instid0(VALU_DEP_4) | instskip(NEXT) | instid1(VALU_DEP_4)
	v_dual_add_f32 v1, v1, v2 :: v_dual_fmac_f32 v4, v3, v7
	v_add_f32_e32 v77, v8, v39
	s_delay_alu instid0(VALU_DEP_3) | instskip(NEXT) | instid1(VALU_DEP_3)
	v_dual_add_f32 v75, v9, v10 :: v_dual_add_f32 v72, v0, v5
	v_add_f32_e32 v51, v1, v4
	s_cbranch_scc1 .LBB252_58
.LBB252_24:                             ;   Parent Loop BB252_19 Depth=1
                                        ; =>  This Inner Loop Header: Depth=2
	v_dual_mov_b32 v27, 0 :: v_dual_add_nc_u32 v62, s1, v52
	v_dual_mov_b32 v25, 0 :: v_dual_mov_b32 v24, 0
	v_dual_mov_b32 v39, 0 :: v_dual_mov_b32 v38, 0
	s_delay_alu instid0(VALU_DEP_3) | instskip(SKIP_2) | instid1(VALU_DEP_3)
	v_min_u32_e32 v53, s21, v62
	v_dual_mov_b32 v26, 0 :: v_dual_add_nc_u32 v61, 0x100, v62
	v_dual_mov_b32 v37, 0 :: v_dual_mov_b32 v36, 0
	v_lshlrev_b64 v[0:1], 1, v[53:54]
	s_delay_alu instid0(VALU_DEP_3) | instskip(SKIP_2) | instid1(VALU_DEP_4)
	v_min_u32_e32 v53, s21, v61
	v_dual_mov_b32 v43, 0 :: v_dual_mov_b32 v42, 0
	v_dual_mov_b32 v41, 0 :: v_dual_mov_b32 v40, 0
	v_add_co_u32 v4, vcc_lo, s14, v0
	v_add_co_ci_u32_e32 v5, vcc_lo, s15, v1, vcc_lo
	v_lshlrev_b64 v[0:1], 1, v[53:54]
	s_delay_alu instid0(VALU_DEP_3) | instskip(NEXT) | instid1(VALU_DEP_3)
	v_add_co_u32 v2, vcc_lo, v4, v57
	v_add_co_ci_u32_e32 v3, vcc_lo, v5, v58, vcc_lo
	v_dual_mov_b32 v47, 0 :: v_dual_mov_b32 v46, 0
	s_waitcnt vmcnt(0)
	s_delay_alu instid0(VALU_DEP_4) | instskip(SKIP_3) | instid1(VALU_DEP_4)
	v_add_co_u32 v6, vcc_lo, s14, v0
	v_add_co_ci_u32_e32 v7, vcc_lo, s15, v1, vcc_lo
	v_add_co_u32 v0, vcc_lo, v4, v59
	v_add_co_ci_u32_e32 v1, vcc_lo, v5, v60, vcc_lo
	v_add_co_u32 v4, vcc_lo, v6, v57
	s_delay_alu instid0(VALU_DEP_4)
	v_add_co_ci_u32_e32 v5, vcc_lo, v7, v58, vcc_lo
	v_add_co_u32 v6, vcc_lo, v6, v59
	v_add_co_ci_u32_e32 v7, vcc_lo, v7, v60, vcc_lo
	s_clause 0x3
	global_load_b128 v[28:31], v[2:3], off slc dlc
	global_load_b128 v[20:23], v[0:1], off slc dlc
	;; [unrolled: 1-line block ×4, first 2 shown]
	v_cmp_gt_u32_e32 vcc_lo, s4, v62
	v_dual_mov_b32 v45, 0 :: v_dual_mov_b32 v44, 0
	v_dual_mov_b32 v3, 0 :: v_dual_mov_b32 v2, 0
	v_dual_mov_b32 v1, 0 :: v_dual_mov_b32 v0, 0
	v_dual_mov_b32 v11, 0 :: v_dual_mov_b32 v10, 0
	v_dual_mov_b32 v9, 0 :: v_dual_mov_b32 v8, 0
	v_dual_mov_b32 v19, 0 :: v_dual_mov_b32 v18, 0
	v_dual_mov_b32 v17, 0 :: v_dual_mov_b32 v16, 0
	v_dual_mov_b32 v35, 0 :: v_dual_mov_b32 v34, 0
	v_dual_mov_b32 v33, 0 :: v_dual_mov_b32 v32, 0
	s_and_saveexec_b32 s2, vcc_lo
	s_cbranch_execz .LBB252_23
; %bb.25:                               ;   in Loop: Header=BB252_24 Depth=2
	s_mov_b32 s18, exec_lo
                                        ; implicit-def: $vgpr35
	v_cmpx_lt_u32_e32 0x7fff, v62
	s_xor_b32 s18, exec_lo, s18
	s_cbranch_execz .LBB252_27
; %bb.26:                               ;   in Loop: Header=BB252_24 Depth=2
	v_mov_b32_e32 v63, v54
	s_delay_alu instid0(VALU_DEP_1) | instskip(NEXT) | instid1(VALU_DEP_1)
	v_lshlrev_b64 v[0:1], 1, v[62:63]
	v_add_co_u32 v0, vcc_lo, s12, v0
	s_delay_alu instid0(VALU_DEP_2)
	v_add_co_ci_u32_e32 v1, vcc_lo, s13, v1, vcc_lo
	global_load_b128 v[32:35], v[0:1], off
.LBB252_27:                             ;   in Loop: Header=BB252_24 Depth=2
	s_and_not1_saveexec_b32 s18, s18
	s_cbranch_execz .LBB252_29
; %bb.28:                               ;   in Loop: Header=BB252_24 Depth=2
	s_waitcnt vmcnt(0)
	ds_load_b128 v[32:35], v73
.LBB252_29:                             ;   in Loop: Header=BB252_24 Depth=2
	s_or_b32 exec_lo, exec_lo, s18
	v_add_nc_u32_e32 v53, s1, v68
	s_mov_b32 s18, exec_lo
                                        ; implicit-def: $vgpr19
	s_delay_alu instid0(VALU_DEP_1)
	v_cmpx_lt_u32_e32 0x7fff, v53
	s_xor_b32 s18, exec_lo, s18
	s_cbranch_execz .LBB252_31
; %bb.30:                               ;   in Loop: Header=BB252_24 Depth=2
	v_lshlrev_b64 v[0:1], 1, v[53:54]
	s_delay_alu instid0(VALU_DEP_1) | instskip(NEXT) | instid1(VALU_DEP_2)
	v_add_co_u32 v0, vcc_lo, s12, v0
	v_add_co_ci_u32_e32 v1, vcc_lo, s13, v1, vcc_lo
	global_load_b128 v[16:19], v[0:1], off
.LBB252_31:                             ;   in Loop: Header=BB252_24 Depth=2
	s_and_not1_saveexec_b32 s18, s18
	s_cbranch_execz .LBB252_33
; %bb.32:                               ;   in Loop: Header=BB252_24 Depth=2
	v_add_nc_u32_e32 v0, s26, v73
	s_waitcnt vmcnt(0)
	ds_load_b128 v[16:19], v0
.LBB252_33:                             ;   in Loop: Header=BB252_24 Depth=2
	s_or_b32 exec_lo, exec_lo, s18
	v_add_nc_u32_e32 v65, s1, v71
	s_mov_b32 s18, exec_lo
                                        ; implicit-def: $vgpr11
	s_delay_alu instid0(VALU_DEP_1)
	v_cmpx_lt_u32_e32 0x7fff, v65
	s_xor_b32 s18, exec_lo, s18
	s_cbranch_execz .LBB252_35
; %bb.34:                               ;   in Loop: Header=BB252_24 Depth=2
	v_mov_b32_e32 v66, v54
	s_delay_alu instid0(VALU_DEP_1) | instskip(NEXT) | instid1(VALU_DEP_1)
	v_lshlrev_b64 v[0:1], 1, v[65:66]
	v_add_co_u32 v0, vcc_lo, s12, v0
	s_delay_alu instid0(VALU_DEP_2)
	v_add_co_ci_u32_e32 v1, vcc_lo, s13, v1, vcc_lo
	global_load_b128 v[8:11], v[0:1], off
.LBB252_35:                             ;   in Loop: Header=BB252_24 Depth=2
	s_and_not1_saveexec_b32 s18, s18
	s_cbranch_execz .LBB252_37
; %bb.36:                               ;   in Loop: Header=BB252_24 Depth=2
	v_add_nc_u32_e32 v0, s3, v73
	s_waitcnt vmcnt(0)
	ds_load_2addr_b32 v[8:9], v0 offset1:1
	ds_load_2addr_b32 v[10:11], v0 offset0:2 offset1:3
.LBB252_37:                             ;   in Loop: Header=BB252_24 Depth=2
	s_or_b32 exec_lo, exec_lo, s18
	v_add_nc_u32_e32 v63, s1, v55
	s_mov_b32 s18, exec_lo
                                        ; implicit-def: $vgpr3
	s_delay_alu instid0(VALU_DEP_1)
	v_cmpx_lt_u32_e32 0x7fff, v63
	s_xor_b32 s18, exec_lo, s18
	s_cbranch_execz .LBB252_39
; %bb.38:                               ;   in Loop: Header=BB252_24 Depth=2
	v_mov_b32_e32 v64, v54
	s_delay_alu instid0(VALU_DEP_1) | instskip(NEXT) | instid1(VALU_DEP_1)
	v_lshlrev_b64 v[0:1], 1, v[63:64]
	v_add_co_u32 v0, vcc_lo, s12, v0
	s_delay_alu instid0(VALU_DEP_2)
	v_add_co_ci_u32_e32 v1, vcc_lo, s13, v1, vcc_lo
	global_load_b128 v[0:3], v[0:1], off
.LBB252_39:                             ;   in Loop: Header=BB252_24 Depth=2
	s_and_not1_saveexec_b32 s18, s18
	s_cbranch_execz .LBB252_41
; %bb.40:                               ;   in Loop: Header=BB252_24 Depth=2
	s_waitcnt vmcnt(0)
	v_add_nc_u32_e32 v0, s6, v73
	ds_load_b128 v[0:3], v0
.LBB252_41:                             ;   in Loop: Header=BB252_24 Depth=2
	s_or_b32 exec_lo, exec_lo, s18
	v_dual_mov_b32 v27, 0 :: v_dual_mov_b32 v26, 0
	v_dual_mov_b32 v25, 0 :: v_dual_mov_b32 v24, 0
	;; [unrolled: 1-line block ×8, first 2 shown]
	s_mov_b32 s18, exec_lo
	v_cmpx_gt_u32_e64 s4, v61
	s_cbranch_execz .LBB252_22
; %bb.42:                               ;   in Loop: Header=BB252_24 Depth=2
	s_mov_b32 s19, exec_lo
                                        ; implicit-def: $vgpr47
	v_cmpx_lt_u32_e32 0x7fff, v61
	s_xor_b32 s19, exec_lo, s19
	s_cbranch_execz .LBB252_44
; %bb.43:                               ;   in Loop: Header=BB252_24 Depth=2
	v_mov_b32_e32 v62, v54
	s_delay_alu instid0(VALU_DEP_1) | instskip(NEXT) | instid1(VALU_DEP_1)
	v_lshlrev_b64 v[24:25], 1, v[61:62]
	v_add_co_u32 v24, vcc_lo, s12, v24
	s_delay_alu instid0(VALU_DEP_2)
	v_add_co_ci_u32_e32 v25, vcc_lo, s13, v25, vcc_lo
	global_load_b128 v[44:47], v[24:25], off
.LBB252_44:                             ;   in Loop: Header=BB252_24 Depth=2
	s_and_not1_saveexec_b32 s19, s19
	s_cbranch_execz .LBB252_46
; %bb.45:                               ;   in Loop: Header=BB252_24 Depth=2
	s_waitcnt vmcnt(0)
	ds_load_b128 v[44:47], v73 offset:512
.LBB252_46:                             ;   in Loop: Header=BB252_24 Depth=2
	s_or_b32 exec_lo, exec_lo, s19
	v_add_nc_u32_e32 v53, 0x100, v53
	s_mov_b32 s19, exec_lo
                                        ; implicit-def: $vgpr43
	s_delay_alu instid0(VALU_DEP_1)
	v_cmpx_lt_u32_e32 0x7fff, v53
	s_xor_b32 s19, exec_lo, s19
	s_cbranch_execz .LBB252_48
; %bb.47:                               ;   in Loop: Header=BB252_24 Depth=2
	v_lshlrev_b64 v[24:25], 1, v[53:54]
	s_delay_alu instid0(VALU_DEP_1) | instskip(NEXT) | instid1(VALU_DEP_2)
	v_add_co_u32 v24, vcc_lo, s12, v24
	v_add_co_ci_u32_e32 v25, vcc_lo, s13, v25, vcc_lo
	global_load_b128 v[40:43], v[24:25], off
.LBB252_48:                             ;   in Loop: Header=BB252_24 Depth=2
	s_and_not1_saveexec_b32 s19, s19
	s_cbranch_execz .LBB252_50
; %bb.49:                               ;   in Loop: Header=BB252_24 Depth=2
	v_add_nc_u32_e32 v24, s26, v73
	s_waitcnt vmcnt(0)
	ds_load_b128 v[40:43], v24 offset:512
.LBB252_50:                             ;   in Loop: Header=BB252_24 Depth=2
	s_or_b32 exec_lo, exec_lo, s19
	v_add_nc_u32_e32 v53, 0x100, v65
	s_mov_b32 s19, exec_lo
                                        ; implicit-def: $vgpr39
	s_delay_alu instid0(VALU_DEP_1)
	v_cmpx_lt_u32_e32 0x7fff, v53
	s_xor_b32 s19, exec_lo, s19
	s_cbranch_execz .LBB252_52
; %bb.51:                               ;   in Loop: Header=BB252_24 Depth=2
	v_lshlrev_b64 v[24:25], 1, v[53:54]
	s_delay_alu instid0(VALU_DEP_1) | instskip(NEXT) | instid1(VALU_DEP_2)
	v_add_co_u32 v24, vcc_lo, s12, v24
	v_add_co_ci_u32_e32 v25, vcc_lo, s13, v25, vcc_lo
	global_load_b128 v[36:39], v[24:25], off
.LBB252_52:                             ;   in Loop: Header=BB252_24 Depth=2
	s_and_not1_saveexec_b32 s19, s19
	s_cbranch_execz .LBB252_54
; %bb.53:                               ;   in Loop: Header=BB252_24 Depth=2
	v_add_nc_u32_e32 v24, s3, v73
	s_waitcnt vmcnt(0)
	ds_load_2addr_b32 v[36:37], v24 offset0:128 offset1:129
	ds_load_2addr_b32 v[38:39], v24 offset0:130 offset1:131
.LBB252_54:                             ;   in Loop: Header=BB252_24 Depth=2
	s_or_b32 exec_lo, exec_lo, s19
	v_add_nc_u32_e32 v53, 0x100, v63
	s_mov_b32 s19, exec_lo
                                        ; implicit-def: $vgpr27
	s_delay_alu instid0(VALU_DEP_1)
	v_cmpx_lt_u32_e32 0x7fff, v53
	s_xor_b32 s19, exec_lo, s19
	s_cbranch_execz .LBB252_56
; %bb.55:                               ;   in Loop: Header=BB252_24 Depth=2
	v_lshlrev_b64 v[24:25], 1, v[53:54]
	s_delay_alu instid0(VALU_DEP_1) | instskip(NEXT) | instid1(VALU_DEP_2)
	v_add_co_u32 v24, vcc_lo, s12, v24
	v_add_co_ci_u32_e32 v25, vcc_lo, s13, v25, vcc_lo
	global_load_b128 v[24:27], v[24:25], off
.LBB252_56:                             ;   in Loop: Header=BB252_24 Depth=2
	s_and_not1_saveexec_b32 s19, s19
	s_cbranch_execz .LBB252_21
; %bb.57:                               ;   in Loop: Header=BB252_24 Depth=2
	s_waitcnt vmcnt(0)
	v_add_nc_u32_e32 v24, s6, v73
	ds_load_b128 v[24:27], v24 offset:512
	s_branch .LBB252_21
.LBB252_58:                             ;   in Loop: Header=BB252_19 Depth=1
	s_delay_alu instid0(VALU_DEP_1)
	v_cvt_i32_f32_e32 v0, v76
	s_waitcnt lgkmcnt(0)
	v_cvt_i32_f32_e32 v1, v78
	v_cvt_i32_f32_e32 v2, v74
	v_cvt_i32_f32_e32 v3, v79
	v_cvt_i32_f32_e32 v5, v75
	v_cvt_f32_i32_dpp v0, v0 row_shr:8 row_mask:0xf bank_mask:0xf bound_ctrl:1
	v_cvt_f32_i32_dpp v1, v1 row_shr:8 row_mask:0xf bank_mask:0xf bound_ctrl:1
	;; [unrolled: 1-line block ×3, first 2 shown]
	s_waitcnt vmcnt(0)
	v_cvt_i32_f32_e32 v6, v72
	v_cvt_i32_f32_e32 v10, v51
	v_dual_add_f32 v0, v76, v0 :: v_dual_add_f32 v1, v78, v1
	v_cvt_f32_i32_dpp v3, v3 row_shr:8 row_mask:0xf bank_mask:0xf bound_ctrl:1
	v_cvt_i32_f32_e32 v4, v77
	v_cvt_f32_i32_dpp v5, v5 row_shr:8 row_mask:0xf bank_mask:0xf bound_ctrl:1
	s_delay_alu instid0(VALU_DEP_4)
	v_cvt_i32_f32_e32 v7, v0
	v_cvt_i32_f32_e32 v8, v1
	v_cvt_f32_i32_dpp v6, v6 row_shr:8 row_mask:0xf bank_mask:0xf bound_ctrl:1
	v_cvt_f32_i32_dpp v4, v4 row_shr:8 row_mask:0xf bank_mask:0xf bound_ctrl:1
	v_add_f32_e32 v5, v75, v5
	v_cvt_f32_i32_dpp v7, v7 row_shr:4 row_mask:0xf bank_mask:0xf bound_ctrl:1
	v_cvt_f32_i32_dpp v8, v8 row_shr:4 row_mask:0xf bank_mask:0xf bound_ctrl:1
	v_dual_add_f32 v2, v74, v2 :: v_dual_add_f32 v3, v79, v3
	s_delay_alu instid0(VALU_DEP_4) | instskip(NEXT) | instid1(VALU_DEP_3)
	v_cvt_i32_f32_e32 v14, v5
	v_dual_add_f32 v0, v0, v7 :: v_dual_add_f32 v1, v1, v8
	s_delay_alu instid0(VALU_DEP_3) | instskip(SKIP_2) | instid1(VALU_DEP_4)
	v_cvt_i32_f32_e32 v9, v2
	v_cvt_f32_i32_dpp v7, v10 row_shr:8 row_mask:0xf bank_mask:0xf bound_ctrl:1
	v_add_f32_e32 v4, v77, v4
	v_cvt_i32_f32_e32 v8, v0
	s_delay_alu instid0(VALU_DEP_4) | instskip(NEXT) | instid1(VALU_DEP_4)
	v_cvt_f32_i32_dpp v9, v9 row_shr:4 row_mask:0xf bank_mask:0xf bound_ctrl:1
	v_add_f32_e32 v7, v51, v7
	s_delay_alu instid0(VALU_DEP_4) | instskip(NEXT) | instid1(VALU_DEP_4)
	v_cvt_i32_f32_e32 v13, v4
	v_cvt_f32_i32_dpp v8, v8 row_shr:2 row_mask:0xf bank_mask:0xf bound_ctrl:1
	s_delay_alu instid0(VALU_DEP_4) | instskip(SKIP_2) | instid1(VALU_DEP_3)
	v_add_f32_e32 v2, v2, v9
	v_cvt_i32_f32_e32 v9, v1
	v_cvt_i32_f32_e32 v20, v7
	;; [unrolled: 1-line block ×3, first 2 shown]
	s_delay_alu instid0(VALU_DEP_3) | instskip(SKIP_1) | instid1(VALU_DEP_3)
	v_cvt_f32_i32_dpp v9, v9 row_shr:2 row_mask:0xf bank_mask:0xf bound_ctrl:1
	v_add_f32_e32 v6, v72, v6
	v_cvt_f32_i32_dpp v10, v10 row_shr:2 row_mask:0xf bank_mask:0xf bound_ctrl:1
	s_delay_alu instid0(VALU_DEP_3) | instskip(NEXT) | instid1(VALU_DEP_3)
	v_add_f32_e32 v1, v1, v9
	v_cvt_i32_f32_e32 v17, v6
	s_delay_alu instid0(VALU_DEP_3) | instskip(NEXT) | instid1(VALU_DEP_3)
	v_add_f32_e32 v2, v2, v10
	v_cvt_i32_f32_e32 v10, v1
	s_delay_alu instid0(VALU_DEP_1) | instskip(SKIP_2) | instid1(VALU_DEP_3)
	v_cvt_f32_i32_dpp v10, v10 row_shr:1 row_mask:0xf bank_mask:0xf bound_ctrl:1
	v_add_f32_e32 v0, v0, v8
	v_cvt_i32_f32_e32 v8, v3
	v_add_f32_e32 v15, v1, v10
	s_delay_alu instid0(VALU_DEP_3)
	v_cvt_i32_f32_e32 v9, v0
	v_cvt_f32_i32_dpp v1, v13 row_shr:4 row_mask:0xf bank_mask:0xf bound_ctrl:1
	ds_bpermute_b32 v16, v69, v15
	v_cvt_f32_i32_dpp v9, v9 row_shr:1 row_mask:0xf bank_mask:0xf bound_ctrl:1
	v_add_f32_e32 v1, v4, v1
	v_cvt_i32_f32_e32 v11, v2
	s_delay_alu instid0(VALU_DEP_3) | instskip(SKIP_4) | instid1(VALU_DEP_4)
	v_add_f32_e32 v18, v0, v9
	v_cvt_f32_i32_dpp v9, v20 row_shr:4 row_mask:0xf bank_mask:0xf bound_ctrl:1
	v_cvt_f32_i32_dpp v0, v8 row_shr:4 row_mask:0xf bank_mask:0xf bound_ctrl:1
	;; [unrolled: 1-line block ×4, first 2 shown]
	v_add_f32_e32 v4, v7, v9
	s_delay_alu instid0(VALU_DEP_1) | instskip(NEXT) | instid1(VALU_DEP_1)
	v_cvt_i32_f32_e32 v9, v4
	v_cvt_f32_i32_dpp v9, v9 row_shr:2 row_mask:0xf bank_mask:0xf bound_ctrl:1
	v_add_f32_e32 v0, v3, v0
	v_add_f32_e32 v3, v6, v8
	v_cvt_i32_f32_e32 v6, v1
	ds_bpermute_b32 v19, v69, v18
	v_cvt_i32_f32_e32 v8, v3
	v_cvt_f32_i32_dpp v6, v6 row_shr:2 row_mask:0xf bank_mask:0xf bound_ctrl:1
	v_add_f32_e32 v12, v2, v11
	v_cvt_f32_i32_dpp v2, v14 row_shr:4 row_mask:0xf bank_mask:0xf bound_ctrl:1
	s_delay_alu instid0(VALU_DEP_4) | instskip(NEXT) | instid1(VALU_DEP_4)
	v_cvt_f32_i32_dpp v8, v8 row_shr:2 row_mask:0xf bank_mask:0xf bound_ctrl:1
	v_add_f32_e32 v1, v1, v6
	ds_bpermute_b32 v13, v69, v12
	v_add_f32_e32 v2, v5, v2
	v_cvt_i32_f32_e32 v5, v0
	v_add_f32_e32 v3, v3, v8
	v_cvt_i32_f32_e32 v6, v1
	s_delay_alu instid0(VALU_DEP_4) | instskip(NEXT) | instid1(VALU_DEP_4)
	v_cvt_i32_f32_e32 v7, v2
	v_cvt_f32_i32_dpp v5, v5 row_shr:2 row_mask:0xf bank_mask:0xf bound_ctrl:1
	s_delay_alu instid0(VALU_DEP_4) | instskip(NEXT) | instid1(VALU_DEP_4)
	v_cvt_i32_f32_e32 v8, v3
	v_cvt_f32_i32_dpp v6, v6 row_shr:1 row_mask:0xf bank_mask:0xf bound_ctrl:1
	s_delay_alu instid0(VALU_DEP_4) | instskip(NEXT) | instid1(VALU_DEP_4)
	v_cvt_f32_i32_dpp v7, v7 row_shr:2 row_mask:0xf bank_mask:0xf bound_ctrl:1
	v_add_f32_e32 v0, v0, v5
	s_delay_alu instid0(VALU_DEP_4) | instskip(NEXT) | instid1(VALU_DEP_3)
	v_cvt_f32_i32_dpp v8, v8 row_shr:1 row_mask:0xf bank_mask:0xf bound_ctrl:1
	v_add_f32_e32 v2, v2, v7
	s_delay_alu instid0(VALU_DEP_1) | instskip(NEXT) | instid1(VALU_DEP_1)
	v_cvt_i32_f32_e32 v7, v2
	v_cvt_f32_i32_dpp v11, v7 row_shr:1 row_mask:0xf bank_mask:0xf bound_ctrl:1
	v_add_f32_e32 v7, v1, v6
	v_add_f32_e32 v5, v4, v9
	v_cvt_i32_f32_e32 v4, v0
	s_delay_alu instid0(VALU_DEP_2) | instskip(NEXT) | instid1(VALU_DEP_2)
	v_cvt_i32_f32_e32 v9, v5
	v_cvt_f32_i32_dpp v4, v4 row_shr:1 row_mask:0xf bank_mask:0xf bound_ctrl:1
	s_delay_alu instid0(VALU_DEP_2) | instskip(NEXT) | instid1(VALU_DEP_2)
	v_cvt_f32_i32_dpp v9, v9 row_shr:1 row_mask:0xf bank_mask:0xf bound_ctrl:1
	v_add_f32_e32 v10, v0, v4
	v_add_f32_e32 v4, v2, v11
	;; [unrolled: 1-line block ×3, first 2 shown]
	ds_bpermute_b32 v8, v69, v7
	v_add_f32_e32 v0, v5, v9
	ds_bpermute_b32 v11, v69, v10
	ds_bpermute_b32 v5, v69, v4
	;; [unrolled: 1-line block ×4, first 2 shown]
	s_and_saveexec_b32 s18, s0
	s_cbranch_execz .LBB252_109
; %bb.59:                               ;   in Loop: Header=BB252_19 Depth=1
	v_dual_mov_b32 v23, 0 :: v_dual_mov_b32 v22, 0
	v_dual_mov_b32 v21, 0 :: v_dual_mov_b32 v20, 0
	;; [unrolled: 1-line block ×4, first 2 shown]
	s_and_not1_b32 vcc_lo, exec_lo, s23
	s_cbranch_vccnz .LBB252_61
; %bb.60:                               ;   in Loop: Header=BB252_19 Depth=1
	v_mul_hi_u32 v6, v50, v70
	v_mul_hi_u32 v9, v56, v70
	s_delay_alu instid0(VALU_DEP_2) | instskip(NEXT) | instid1(VALU_DEP_2)
	v_mul_lo_u32 v6, v6, s16
	v_mul_lo_u32 v9, v9, s16
	s_delay_alu instid0(VALU_DEP_2) | instskip(NEXT) | instid1(VALU_DEP_2)
	v_sub_nc_u32_e32 v6, v50, v6
	v_sub_nc_u32_e32 v9, v56, v9
	s_delay_alu instid0(VALU_DEP_2) | instskip(SKIP_1) | instid1(VALU_DEP_3)
	v_subrev_nc_u32_e32 v14, s16, v6
	v_cmp_le_u32_e32 vcc_lo, s16, v6
	v_subrev_nc_u32_e32 v17, s16, v9
	s_delay_alu instid0(VALU_DEP_3) | instskip(SKIP_1) | instid1(VALU_DEP_3)
	v_cndmask_b32_e32 v6, v6, v14, vcc_lo
	v_cmp_le_u32_e32 vcc_lo, s16, v9
	v_cndmask_b32_e32 v9, v9, v17, vcc_lo
	s_delay_alu instid0(VALU_DEP_3) | instskip(SKIP_1) | instid1(VALU_DEP_3)
	v_subrev_nc_u32_e32 v14, s16, v6
	v_cmp_le_u32_e32 vcc_lo, s16, v6
	v_subrev_nc_u32_e32 v17, s16, v9
	s_delay_alu instid0(VALU_DEP_3) | instskip(SKIP_3) | instid1(VALU_DEP_4)
	v_cndmask_b32_e32 v53, v6, v14, vcc_lo
	v_cmp_le_u32_e32 vcc_lo, s16, v9
	v_mov_b32_e32 v21, v54
	v_mov_b32_e32 v22, v54
	v_dual_mov_b32 v26, v54 :: v_dual_add_nc_u32 v25, s28, v53
	v_cndmask_b32_e32 v20, v9, v17, vcc_lo
	v_lshlrev_b64 v[29:30], 1, v[53:54]
	v_mov_b32_e32 v24, v54
	v_mov_b32_e32 v28, v54
	v_lshlrev_b64 v[25:26], 1, v[25:26]
	v_add_nc_u32_e32 v27, s28, v20
	v_lshlrev_b64 v[31:32], 1, v[20:21]
	v_add_nc_u32_e32 v21, s27, v53
	v_add_nc_u32_e32 v23, s27, v20
	v_add_co_u32 v29, vcc_lo, s8, v29
	v_add_co_ci_u32_e32 v30, vcc_lo, s9, v30, vcc_lo
	s_delay_alu instid0(VALU_DEP_4) | instskip(NEXT) | instid1(VALU_DEP_4)
	v_lshlrev_b64 v[21:22], 1, v[21:22]
	v_lshlrev_b64 v[23:24], 1, v[23:24]
	v_add_co_u32 v31, vcc_lo, s8, v31
	v_add_nc_u32_e32 v53, s29, v53
	v_add_co_ci_u32_e32 v32, vcc_lo, s9, v32, vcc_lo
	v_add_co_u32 v33, vcc_lo, s8, v21
	v_add_co_ci_u32_e32 v34, vcc_lo, s9, v22, vcc_lo
	v_lshlrev_b64 v[27:28], 1, v[27:28]
	v_add_co_u32 v35, vcc_lo, s8, v23
	v_lshlrev_b64 v[21:22], 1, v[53:54]
	v_add_nc_u32_e32 v53, s29, v20
	v_add_co_ci_u32_e32 v36, vcc_lo, s9, v24, vcc_lo
	v_add_co_u32 v24, vcc_lo, s8, v25
	v_add_co_ci_u32_e32 v25, vcc_lo, s9, v26, vcc_lo
	v_add_co_u32 v26, vcc_lo, s8, v27
	v_lshlrev_b64 v[37:38], 1, v[53:54]
	v_add_co_ci_u32_e32 v27, vcc_lo, s9, v28, vcc_lo
	v_add_co_u32 v39, vcc_lo, s8, v21
	v_add_co_ci_u32_e32 v40, vcc_lo, s9, v22, vcc_lo
	s_delay_alu instid0(VALU_DEP_4)
	v_add_co_u32 v37, vcc_lo, s8, v37
	v_add_co_ci_u32_e32 v38, vcc_lo, s9, v38, vcc_lo
	s_clause 0x7
	global_load_u16 v23, v[29:30], off
	global_load_u16 v22, v[31:32], off
	;; [unrolled: 1-line block ×8, first 2 shown]
.LBB252_61:                             ;   in Loop: Header=BB252_19 Depth=1
	v_cmp_ne_u32_e32 vcc_lo, 0, v48
	s_and_saveexec_b32 s2, vcc_lo
	s_cbranch_execnz .LBB252_69
; %bb.62:                               ;   in Loop: Header=BB252_19 Depth=1
	s_or_b32 exec_lo, exec_lo, s2
	v_cmp_ne_u32_e64 s1, 0, v49
	s_delay_alu instid0(VALU_DEP_1)
	s_and_saveexec_b32 s19, s1
	s_cbranch_execnz .LBB252_74
.LBB252_63:                             ;   in Loop: Header=BB252_19 Depth=1
	s_or_b32 exec_lo, exec_lo, s19
	v_add_nc_u32_e32 v53, s7, v50
	s_and_saveexec_b32 s19, vcc_lo
	s_cbranch_execnz .LBB252_79
.LBB252_64:                             ;   in Loop: Header=BB252_19 Depth=1
	s_or_b32 exec_lo, exec_lo, s19
	s_and_saveexec_b32 s19, s1
	s_cbranch_execnz .LBB252_84
.LBB252_65:                             ;   in Loop: Header=BB252_19 Depth=1
	s_or_b32 exec_lo, exec_lo, s19
	v_add_nc_u32_e32 v53, s7, v53
	s_and_saveexec_b32 s19, vcc_lo
	s_cbranch_execnz .LBB252_89
.LBB252_66:                             ;   in Loop: Header=BB252_19 Depth=1
	s_or_b32 exec_lo, exec_lo, s19
	s_and_saveexec_b32 s19, s1
	s_cbranch_execnz .LBB252_94
.LBB252_67:                             ;   in Loop: Header=BB252_19 Depth=1
	s_or_b32 exec_lo, exec_lo, s19
	v_add_nc_u32_e32 v53, s7, v53
	s_and_saveexec_b32 s2, vcc_lo
	s_cbranch_execnz .LBB252_99
.LBB252_68:                             ;   in Loop: Header=BB252_19 Depth=1
	s_or_b32 exec_lo, exec_lo, s2
	s_delay_alu instid0(SALU_CYCLE_1)
	s_and_b32 exec_lo, exec_lo, s1
	s_cbranch_execnz .LBB252_104
	s_branch .LBB252_109
.LBB252_69:                             ;   in Loop: Header=BB252_19 Depth=1
	s_waitcnt lgkmcnt(6)
	v_add_f32_e32 v18, v18, v19
	s_waitcnt vmcnt(7)
	v_lshlrev_b32_e32 v19, 16, v23
	s_delay_alu instid0(VALU_DEP_1) | instskip(NEXT) | instid1(VALU_DEP_1)
	v_add_f32_e32 v19, v18, v19
	v_and_b32_e32 v18, 0x7f800000, v19
	s_delay_alu instid0(VALU_DEP_1) | instskip(NEXT) | instid1(VALU_DEP_1)
	v_cmp_ne_u32_e64 s1, 0x7f800000, v18
                                        ; implicit-def: $vgpr18
	s_and_saveexec_b32 s19, s1
	s_delay_alu instid0(SALU_CYCLE_1)
	s_xor_b32 s1, exec_lo, s19
; %bb.70:                               ;   in Loop: Header=BB252_19 Depth=1
	v_bfe_u32 v18, v19, 16, 1
	s_delay_alu instid0(VALU_DEP_1)
	v_add3_u32 v18, v19, v18, 0x7fff
                                        ; implicit-def: $vgpr19
; %bb.71:                               ;   in Loop: Header=BB252_19 Depth=1
	s_and_not1_saveexec_b32 s19, s1
; %bb.72:                               ;   in Loop: Header=BB252_19 Depth=1
	v_and_b32_e32 v18, 0xffff, v19
	v_or_b32_e32 v23, 0x10000, v19
	s_delay_alu instid0(VALU_DEP_2) | instskip(NEXT) | instid1(VALU_DEP_1)
	v_cmp_eq_u32_e64 s1, 0, v18
	v_cndmask_b32_e64 v18, v23, v19, s1
; %bb.73:                               ;   in Loop: Header=BB252_19 Depth=1
	s_or_b32 exec_lo, exec_lo, s19
	v_mov_b32_e32 v51, v54
	s_delay_alu instid0(VALU_DEP_1) | instskip(NEXT) | instid1(VALU_DEP_1)
	v_lshlrev_b64 v[23:24], 1, v[50:51]
	v_add_co_u32 v23, s1, s10, v23
	s_delay_alu instid0(VALU_DEP_1) | instskip(SKIP_3) | instid1(VALU_DEP_1)
	v_add_co_ci_u32_e64 v24, s1, s11, v24, s1
	global_store_d16_hi_b16 v[23:24], v18, off
	s_or_b32 exec_lo, exec_lo, s2
	v_cmp_ne_u32_e64 s1, 0, v49
	s_and_saveexec_b32 s19, s1
	s_cbranch_execz .LBB252_63
.LBB252_74:                             ;   in Loop: Header=BB252_19 Depth=1
	s_waitcnt vmcnt(6) lgkmcnt(7)
	v_dual_add_f32 v15, v15, v16 :: v_dual_lshlrev_b32 v16, 16, v22
	s_delay_alu instid0(VALU_DEP_1) | instskip(NEXT) | instid1(VALU_DEP_1)
	v_add_f32_e32 v16, v15, v16
	v_and_b32_e32 v15, 0x7f800000, v16
	s_delay_alu instid0(VALU_DEP_1) | instskip(NEXT) | instid1(VALU_DEP_1)
	v_cmp_ne_u32_e64 s2, 0x7f800000, v15
                                        ; implicit-def: $vgpr15
	s_and_saveexec_b32 s30, s2
	s_delay_alu instid0(SALU_CYCLE_1)
	s_xor_b32 s2, exec_lo, s30
; %bb.75:                               ;   in Loop: Header=BB252_19 Depth=1
	v_bfe_u32 v15, v16, 16, 1
	s_delay_alu instid0(VALU_DEP_1)
	v_add3_u32 v15, v16, v15, 0x7fff
                                        ; implicit-def: $vgpr16
; %bb.76:                               ;   in Loop: Header=BB252_19 Depth=1
	s_and_not1_saveexec_b32 s30, s2
; %bb.77:                               ;   in Loop: Header=BB252_19 Depth=1
	v_and_b32_e32 v15, 0xffff, v16
	v_or_b32_e32 v18, 0x10000, v16
	s_delay_alu instid0(VALU_DEP_2) | instskip(NEXT) | instid1(VALU_DEP_1)
	v_cmp_eq_u32_e64 s2, 0, v15
	v_cndmask_b32_e64 v15, v18, v16, s2
; %bb.78:                               ;   in Loop: Header=BB252_19 Depth=1
	s_or_b32 exec_lo, exec_lo, s30
	v_mov_b32_e32 v57, v54
	s_waitcnt lgkmcnt(6)
	s_delay_alu instid0(VALU_DEP_1) | instskip(NEXT) | instid1(VALU_DEP_1)
	v_lshlrev_b64 v[18:19], 1, v[56:57]
	v_add_co_u32 v18, s2, s10, v18
	s_delay_alu instid0(VALU_DEP_1)
	v_add_co_ci_u32_e64 v19, s2, s11, v19, s2
	global_store_d16_hi_b16 v[18:19], v15, off
	s_or_b32 exec_lo, exec_lo, s19
	v_add_nc_u32_e32 v53, s7, v50
	s_and_saveexec_b32 s19, vcc_lo
	s_cbranch_execz .LBB252_64
.LBB252_79:                             ;   in Loop: Header=BB252_19 Depth=1
	s_waitcnt lgkmcnt(5)
	v_add_f32_e32 v12, v12, v13
	s_waitcnt vmcnt(5)
	v_lshlrev_b32_e32 v13, 16, v21
	s_delay_alu instid0(VALU_DEP_1) | instskip(NEXT) | instid1(VALU_DEP_1)
	v_add_f32_e32 v13, v12, v13
	v_and_b32_e32 v12, 0x7f800000, v13
	s_delay_alu instid0(VALU_DEP_1) | instskip(NEXT) | instid1(VALU_DEP_1)
	v_cmp_ne_u32_e64 s2, 0x7f800000, v12
                                        ; implicit-def: $vgpr12
	s_and_saveexec_b32 s30, s2
	s_delay_alu instid0(SALU_CYCLE_1)
	s_xor_b32 s2, exec_lo, s30
; %bb.80:                               ;   in Loop: Header=BB252_19 Depth=1
	v_bfe_u32 v12, v13, 16, 1
	s_delay_alu instid0(VALU_DEP_1)
	v_add3_u32 v12, v13, v12, 0x7fff
                                        ; implicit-def: $vgpr13
; %bb.81:                               ;   in Loop: Header=BB252_19 Depth=1
	s_and_not1_saveexec_b32 s30, s2
; %bb.82:                               ;   in Loop: Header=BB252_19 Depth=1
	v_and_b32_e32 v12, 0xffff, v13
	v_or_b32_e32 v15, 0x10000, v13
	s_delay_alu instid0(VALU_DEP_2) | instskip(NEXT) | instid1(VALU_DEP_1)
	v_cmp_eq_u32_e64 s2, 0, v12
	v_cndmask_b32_e64 v12, v15, v13, s2
; %bb.83:                               ;   in Loop: Header=BB252_19 Depth=1
	s_or_b32 exec_lo, exec_lo, s30
	v_lshlrev_b64 v[15:16], 1, v[53:54]
	s_delay_alu instid0(VALU_DEP_1) | instskip(NEXT) | instid1(VALU_DEP_1)
	v_add_co_u32 v15, s2, s10, v15
	v_add_co_ci_u32_e64 v16, s2, s11, v16, s2
	global_store_d16_hi_b16 v[15:16], v12, off
	s_or_b32 exec_lo, exec_lo, s19
	s_and_saveexec_b32 s19, s1
	s_cbranch_execz .LBB252_65
.LBB252_84:                             ;   in Loop: Header=BB252_19 Depth=1
	s_waitcnt vmcnt(4) lgkmcnt(3)
	v_dual_add_f32 v10, v10, v11 :: v_dual_lshlrev_b32 v11, 16, v20
	s_delay_alu instid0(VALU_DEP_1) | instskip(NEXT) | instid1(VALU_DEP_1)
	v_add_f32_e32 v11, v10, v11
	v_and_b32_e32 v10, 0x7f800000, v11
	s_delay_alu instid0(VALU_DEP_1) | instskip(NEXT) | instid1(VALU_DEP_1)
	v_cmp_ne_u32_e64 s2, 0x7f800000, v10
                                        ; implicit-def: $vgpr10
	s_and_saveexec_b32 s30, s2
	s_delay_alu instid0(SALU_CYCLE_1)
	s_xor_b32 s2, exec_lo, s30
; %bb.85:                               ;   in Loop: Header=BB252_19 Depth=1
	v_bfe_u32 v10, v11, 16, 1
	s_delay_alu instid0(VALU_DEP_1)
	v_add3_u32 v10, v11, v10, 0x7fff
                                        ; implicit-def: $vgpr11
; %bb.86:                               ;   in Loop: Header=BB252_19 Depth=1
	s_and_not1_saveexec_b32 s30, s2
; %bb.87:                               ;   in Loop: Header=BB252_19 Depth=1
	v_and_b32_e32 v10, 0xffff, v11
	v_or_b32_e32 v12, 0x10000, v11
	s_delay_alu instid0(VALU_DEP_2) | instskip(NEXT) | instid1(VALU_DEP_1)
	v_cmp_eq_u32_e64 s2, 0, v10
	v_cndmask_b32_e64 v10, v12, v11, s2
; %bb.88:                               ;   in Loop: Header=BB252_19 Depth=1
	s_or_b32 exec_lo, exec_lo, s30
	v_dual_mov_b32 v12, v54 :: v_dual_add_nc_u32 v11, 1, v53
	s_delay_alu instid0(VALU_DEP_1) | instskip(NEXT) | instid1(VALU_DEP_1)
	v_lshlrev_b64 v[11:12], 1, v[11:12]
	v_add_co_u32 v11, s2, s10, v11
	s_delay_alu instid0(VALU_DEP_1)
	v_add_co_ci_u32_e64 v12, s2, s11, v12, s2
	global_store_d16_hi_b16 v[11:12], v10, off
	s_or_b32 exec_lo, exec_lo, s19
	v_add_nc_u32_e32 v53, s7, v53
	s_and_saveexec_b32 s19, vcc_lo
	s_cbranch_execz .LBB252_66
.LBB252_89:                             ;   in Loop: Header=BB252_19 Depth=1
	s_waitcnt vmcnt(3) lgkmcnt(4)
	v_dual_add_f32 v7, v7, v8 :: v_dual_lshlrev_b32 v8, 16, v17
	s_delay_alu instid0(VALU_DEP_1) | instskip(NEXT) | instid1(VALU_DEP_1)
	v_add_f32_e32 v8, v7, v8
	v_and_b32_e32 v7, 0x7f800000, v8
	s_delay_alu instid0(VALU_DEP_1) | instskip(NEXT) | instid1(VALU_DEP_1)
	v_cmp_ne_u32_e64 s2, 0x7f800000, v7
                                        ; implicit-def: $vgpr7
	s_and_saveexec_b32 s30, s2
	s_delay_alu instid0(SALU_CYCLE_1)
	s_xor_b32 s2, exec_lo, s30
; %bb.90:                               ;   in Loop: Header=BB252_19 Depth=1
	v_bfe_u32 v7, v8, 16, 1
	s_delay_alu instid0(VALU_DEP_1)
	v_add3_u32 v7, v8, v7, 0x7fff
                                        ; implicit-def: $vgpr8
; %bb.91:                               ;   in Loop: Header=BB252_19 Depth=1
	s_and_not1_saveexec_b32 s30, s2
; %bb.92:                               ;   in Loop: Header=BB252_19 Depth=1
	v_and_b32_e32 v7, 0xffff, v8
	v_or_b32_e32 v10, 0x10000, v8
	s_delay_alu instid0(VALU_DEP_2) | instskip(NEXT) | instid1(VALU_DEP_1)
	v_cmp_eq_u32_e64 s2, 0, v7
	v_cndmask_b32_e64 v7, v10, v8, s2
; %bb.93:                               ;   in Loop: Header=BB252_19 Depth=1
	s_or_b32 exec_lo, exec_lo, s30
	s_waitcnt lgkmcnt(3)
	v_lshlrev_b64 v[10:11], 1, v[53:54]
	s_delay_alu instid0(VALU_DEP_1) | instskip(NEXT) | instid1(VALU_DEP_1)
	v_add_co_u32 v10, s2, s10, v10
	v_add_co_ci_u32_e64 v11, s2, s11, v11, s2
	global_store_d16_hi_b16 v[10:11], v7, off
	s_or_b32 exec_lo, exec_lo, s19
	s_and_saveexec_b32 s19, s1
	s_cbranch_execz .LBB252_67
.LBB252_94:                             ;   in Loop: Header=BB252_19 Depth=1
	s_waitcnt vmcnt(2) lgkmcnt(2)
	v_dual_add_f32 v4, v4, v5 :: v_dual_lshlrev_b32 v5, 16, v14
	s_delay_alu instid0(VALU_DEP_1) | instskip(NEXT) | instid1(VALU_DEP_1)
	v_add_f32_e32 v5, v4, v5
	v_and_b32_e32 v4, 0x7f800000, v5
	s_delay_alu instid0(VALU_DEP_1) | instskip(NEXT) | instid1(VALU_DEP_1)
	v_cmp_ne_u32_e64 s2, 0x7f800000, v4
                                        ; implicit-def: $vgpr4
	s_and_saveexec_b32 s30, s2
	s_delay_alu instid0(SALU_CYCLE_1)
	s_xor_b32 s2, exec_lo, s30
; %bb.95:                               ;   in Loop: Header=BB252_19 Depth=1
	v_bfe_u32 v4, v5, 16, 1
	s_delay_alu instid0(VALU_DEP_1)
	v_add3_u32 v4, v5, v4, 0x7fff
                                        ; implicit-def: $vgpr5
; %bb.96:                               ;   in Loop: Header=BB252_19 Depth=1
	s_and_not1_saveexec_b32 s30, s2
; %bb.97:                               ;   in Loop: Header=BB252_19 Depth=1
	v_and_b32_e32 v4, 0xffff, v5
	v_or_b32_e32 v7, 0x10000, v5
	s_delay_alu instid0(VALU_DEP_2) | instskip(NEXT) | instid1(VALU_DEP_1)
	v_cmp_eq_u32_e64 s2, 0, v4
	v_cndmask_b32_e64 v4, v7, v5, s2
; %bb.98:                               ;   in Loop: Header=BB252_19 Depth=1
	s_or_b32 exec_lo, exec_lo, s30
	v_dual_mov_b32 v8, v54 :: v_dual_add_nc_u32 v7, 1, v53
	s_delay_alu instid0(VALU_DEP_1) | instskip(NEXT) | instid1(VALU_DEP_1)
	v_lshlrev_b64 v[7:8], 1, v[7:8]
	v_add_co_u32 v7, s2, s10, v7
	s_delay_alu instid0(VALU_DEP_1)
	v_add_co_ci_u32_e64 v8, s2, s11, v8, s2
	global_store_d16_hi_b16 v[7:8], v4, off
	s_or_b32 exec_lo, exec_lo, s19
	v_add_nc_u32_e32 v53, s7, v53
	s_and_saveexec_b32 s2, vcc_lo
	s_cbranch_execz .LBB252_68
.LBB252_99:                             ;   in Loop: Header=BB252_19 Depth=1
	s_waitcnt vmcnt(1) lgkmcnt(1)
	v_dual_add_f32 v2, v2, v3 :: v_dual_lshlrev_b32 v3, 16, v9
	s_delay_alu instid0(VALU_DEP_1) | instskip(NEXT) | instid1(VALU_DEP_1)
	v_add_f32_e32 v3, v2, v3
	v_and_b32_e32 v2, 0x7f800000, v3
	s_delay_alu instid0(VALU_DEP_1) | instskip(SKIP_1) | instid1(SALU_CYCLE_1)
	v_cmp_ne_u32_e32 vcc_lo, 0x7f800000, v2
                                        ; implicit-def: $vgpr2
	s_and_saveexec_b32 s19, vcc_lo
	s_xor_b32 s19, exec_lo, s19
; %bb.100:                              ;   in Loop: Header=BB252_19 Depth=1
	v_bfe_u32 v2, v3, 16, 1
	s_delay_alu instid0(VALU_DEP_1)
	v_add3_u32 v2, v3, v2, 0x7fff
                                        ; implicit-def: $vgpr3
; %bb.101:                              ;   in Loop: Header=BB252_19 Depth=1
	s_and_not1_saveexec_b32 s19, s19
; %bb.102:                              ;   in Loop: Header=BB252_19 Depth=1
	v_and_b32_e32 v2, 0xffff, v3
	v_or_b32_e32 v4, 0x10000, v3
	s_delay_alu instid0(VALU_DEP_2) | instskip(NEXT) | instid1(VALU_DEP_2)
	v_cmp_eq_u32_e32 vcc_lo, 0, v2
	v_cndmask_b32_e32 v2, v4, v3, vcc_lo
; %bb.103:                              ;   in Loop: Header=BB252_19 Depth=1
	s_or_b32 exec_lo, exec_lo, s19
	v_lshlrev_b64 v[3:4], 1, v[53:54]
	s_delay_alu instid0(VALU_DEP_1) | instskip(NEXT) | instid1(VALU_DEP_2)
	v_add_co_u32 v3, vcc_lo, s10, v3
	v_add_co_ci_u32_e32 v4, vcc_lo, s11, v4, vcc_lo
	global_store_d16_hi_b16 v[3:4], v2, off
	s_or_b32 exec_lo, exec_lo, s2
	s_delay_alu instid0(SALU_CYCLE_1)
	s_and_b32 exec_lo, exec_lo, s1
	s_cbranch_execz .LBB252_109
.LBB252_104:                            ;   in Loop: Header=BB252_19 Depth=1
	s_waitcnt vmcnt(0) lgkmcnt(0)
	v_dual_add_f32 v0, v0, v1 :: v_dual_lshlrev_b32 v1, 16, v6
	s_delay_alu instid0(VALU_DEP_1) | instskip(NEXT) | instid1(VALU_DEP_1)
	v_add_f32_e32 v1, v0, v1
	v_and_b32_e32 v0, 0x7f800000, v1
	s_delay_alu instid0(VALU_DEP_1) | instskip(SKIP_1) | instid1(SALU_CYCLE_1)
	v_cmp_ne_u32_e32 vcc_lo, 0x7f800000, v0
                                        ; implicit-def: $vgpr0
	s_and_saveexec_b32 s1, vcc_lo
	s_xor_b32 s1, exec_lo, s1
; %bb.105:                              ;   in Loop: Header=BB252_19 Depth=1
	v_bfe_u32 v0, v1, 16, 1
	s_delay_alu instid0(VALU_DEP_1)
	v_add3_u32 v0, v1, v0, 0x7fff
                                        ; implicit-def: $vgpr1
; %bb.106:                              ;   in Loop: Header=BB252_19 Depth=1
	s_and_not1_saveexec_b32 s1, s1
; %bb.107:                              ;   in Loop: Header=BB252_19 Depth=1
	v_and_b32_e32 v0, 0xffff, v1
	v_or_b32_e32 v2, 0x10000, v1
	s_delay_alu instid0(VALU_DEP_2) | instskip(NEXT) | instid1(VALU_DEP_2)
	v_cmp_eq_u32_e32 vcc_lo, 0, v0
	v_cndmask_b32_e32 v0, v2, v1, vcc_lo
; %bb.108:                              ;   in Loop: Header=BB252_19 Depth=1
	s_or_b32 exec_lo, exec_lo, s1
	v_add_nc_u32_e32 v53, 1, v53
	s_delay_alu instid0(VALU_DEP_1) | instskip(NEXT) | instid1(VALU_DEP_1)
	v_lshlrev_b64 v[1:2], 1, v[53:54]
	v_add_co_u32 v1, vcc_lo, s10, v1
	s_delay_alu instid0(VALU_DEP_2)
	v_add_co_ci_u32_e32 v2, vcc_lo, s11, v2, vcc_lo
	global_store_d16_hi_b16 v[1:2], v0, off
.LBB252_109:                            ;   in Loop: Header=BB252_19 Depth=1
	s_or_b32 exec_lo, exec_lo, s18
	v_add_nc_u32_e32 v50, s24, v50
	s_delay_alu instid0(VALU_DEP_1) | instskip(SKIP_1) | instid1(VALU_DEP_2)
	v_add_nc_u32_e32 v0, 2, v50
	v_cmp_gt_u32_e32 vcc_lo, s7, v50
	v_cmp_le_u32_e64 s1, s7, v0
	s_delay_alu instid0(VALU_DEP_1) | instskip(NEXT) | instid1(SALU_CYCLE_1)
	s_and_b32 s1, vcc_lo, s1
	s_and_saveexec_b32 s30, s1
	s_cbranch_execz .LBB252_18
; %bb.110:                              ;   in Loop: Header=BB252_19 Depth=1
	s_mov_b32 s31, exec_lo
	v_cmpx_ne_u32_e64 s25, v50
	s_cbranch_execz .LBB252_17
; %bb.111:                              ;   in Loop: Header=BB252_19 Depth=1
	v_subrev_nc_u32_e32 v0, s25, v50
	s_mov_b32 s33, 0
	s_mov_b64 s[18:19], 0
	s_delay_alu instid0(VALU_DEP_1)
	v_cmp_lt_u32_e32 vcc_lo, 1, v0
	v_cndmask_b32_e32 v0, 1, v0, vcc_lo
.LBB252_112:                            ;   Parent Loop BB252_19 Depth=1
                                        ; =>  This Inner Loop Header: Depth=2
	s_cmp_lg_u32 s18, 1
	s_cselect_b32 vcc_lo, -1, 0
	s_cmp_lg_u32 s18, 0
	v_cndmask_b32_e32 v49, 0, v49, vcc_lo
	s_cselect_b32 s1, -1, 0
	s_add_u32 s18, s18, 1
	v_cndmask_b32_e64 v48, 0, v48, s1
	v_cmp_eq_u32_e64 s2, s18, v0
	s_addc_u32 s19, s19, 0
	s_delay_alu instid0(VALU_DEP_1) | instskip(NEXT) | instid1(SALU_CYCLE_1)
	s_or_b32 s33, s2, s33
	s_and_not1_b32 exec_lo, exec_lo, s33
	s_cbranch_execnz .LBB252_112
; %bb.113:                              ;   in Loop: Header=BB252_19 Depth=1
	s_or_b32 exec_lo, exec_lo, s33
	s_branch .LBB252_17
.LBB252_114:
	s_nop 0
	s_sendmsg sendmsg(MSG_DEALLOC_VGPRS)
	s_endpgm
	.section	.rodata,"a",@progbits
	.p2align	6, 0x0
	.amdhsa_kernel _Z12wvSplitK_hf_I14__hip_bfloat16Li32ELi2ELi16ELi8ELi2ELi4EEviiiiiiPKT_S3_S3_PS1_ii
		.amdhsa_group_segment_fixed_size 65536
		.amdhsa_private_segment_fixed_size 0
		.amdhsa_kernarg_size 64
		.amdhsa_user_sgpr_count 15
		.amdhsa_user_sgpr_dispatch_ptr 0
		.amdhsa_user_sgpr_queue_ptr 0
		.amdhsa_user_sgpr_kernarg_segment_ptr 1
		.amdhsa_user_sgpr_dispatch_id 0
		.amdhsa_user_sgpr_private_segment_size 0
		.amdhsa_wavefront_size32 1
		.amdhsa_uses_dynamic_stack 0
		.amdhsa_enable_private_segment 0
		.amdhsa_system_sgpr_workgroup_id_x 1
		.amdhsa_system_sgpr_workgroup_id_y 0
		.amdhsa_system_sgpr_workgroup_id_z 0
		.amdhsa_system_sgpr_workgroup_info 0
		.amdhsa_system_vgpr_workitem_id 1
		.amdhsa_next_free_vgpr 89
		.amdhsa_next_free_sgpr 34
		.amdhsa_reserve_vcc 1
		.amdhsa_float_round_mode_32 0
		.amdhsa_float_round_mode_16_64 0
		.amdhsa_float_denorm_mode_32 3
		.amdhsa_float_denorm_mode_16_64 3
		.amdhsa_dx10_clamp 1
		.amdhsa_ieee_mode 1
		.amdhsa_fp16_overflow 0
		.amdhsa_workgroup_processor_mode 1
		.amdhsa_memory_ordered 1
		.amdhsa_forward_progress 0
		.amdhsa_shared_vgpr_count 0
		.amdhsa_exception_fp_ieee_invalid_op 0
		.amdhsa_exception_fp_denorm_src 0
		.amdhsa_exception_fp_ieee_div_zero 0
		.amdhsa_exception_fp_ieee_overflow 0
		.amdhsa_exception_fp_ieee_underflow 0
		.amdhsa_exception_fp_ieee_inexact 0
		.amdhsa_exception_int_div_zero 0
	.end_amdhsa_kernel
	.section	.text._Z12wvSplitK_hf_I14__hip_bfloat16Li32ELi2ELi16ELi8ELi2ELi4EEviiiiiiPKT_S3_S3_PS1_ii,"axG",@progbits,_Z12wvSplitK_hf_I14__hip_bfloat16Li32ELi2ELi16ELi8ELi2ELi4EEviiiiiiPKT_S3_S3_PS1_ii,comdat
.Lfunc_end252:
	.size	_Z12wvSplitK_hf_I14__hip_bfloat16Li32ELi2ELi16ELi8ELi2ELi4EEviiiiiiPKT_S3_S3_PS1_ii, .Lfunc_end252-_Z12wvSplitK_hf_I14__hip_bfloat16Li32ELi2ELi16ELi8ELi2ELi4EEviiiiiiPKT_S3_S3_PS1_ii
                                        ; -- End function
	.section	.AMDGPU.csdata,"",@progbits
; Kernel info:
; codeLenInByte = 6928
; NumSgprs: 36
; NumVgprs: 89
; ScratchSize: 0
; MemoryBound: 0
; FloatMode: 240
; IeeeMode: 1
; LDSByteSize: 65536 bytes/workgroup (compile time only)
; SGPRBlocks: 4
; VGPRBlocks: 11
; NumSGPRsForWavesPerEU: 36
; NumVGPRsForWavesPerEU: 89
; Occupancy: 8
; WaveLimiterHint : 0
; COMPUTE_PGM_RSRC2:SCRATCH_EN: 0
; COMPUTE_PGM_RSRC2:USER_SGPR: 15
; COMPUTE_PGM_RSRC2:TRAP_HANDLER: 0
; COMPUTE_PGM_RSRC2:TGID_X_EN: 1
; COMPUTE_PGM_RSRC2:TGID_Y_EN: 0
; COMPUTE_PGM_RSRC2:TGID_Z_EN: 0
; COMPUTE_PGM_RSRC2:TIDIG_COMP_CNT: 1
	.section	.text._Z16wvSplitK_hf_big_I14__hip_bfloat16Li32ELi2ELi16ELi8ELi2ELi4EEviiiiiiPKT_S3_S3_PS1_ii,"axG",@progbits,_Z16wvSplitK_hf_big_I14__hip_bfloat16Li32ELi2ELi16ELi8ELi2ELi4EEviiiiiiPKT_S3_S3_PS1_ii,comdat
	.protected	_Z16wvSplitK_hf_big_I14__hip_bfloat16Li32ELi2ELi16ELi8ELi2ELi4EEviiiiiiPKT_S3_S3_PS1_ii ; -- Begin function _Z16wvSplitK_hf_big_I14__hip_bfloat16Li32ELi2ELi16ELi8ELi2ELi4EEviiiiiiPKT_S3_S3_PS1_ii
	.globl	_Z16wvSplitK_hf_big_I14__hip_bfloat16Li32ELi2ELi16ELi8ELi2ELi4EEviiiiiiPKT_S3_S3_PS1_ii
	.p2align	8
	.type	_Z16wvSplitK_hf_big_I14__hip_bfloat16Li32ELi2ELi16ELi8ELi2ELi4EEviiiiiiPKT_S3_S3_PS1_ii,@function
_Z16wvSplitK_hf_big_I14__hip_bfloat16Li32ELi2ELi16ELi8ELi2ELi4EEviiiiiiPKT_S3_S3_PS1_ii: ; @_Z16wvSplitK_hf_big_I14__hip_bfloat16Li32ELi2ELi16ELi8ELi2ELi4EEviiiiiiPKT_S3_S3_PS1_ii
; %bb.0:
	s_load_b64 s[20:21], s[0:1], 0x38
	v_bfe_u32 v1, v0, 10, 10
	s_mov_b32 s2, exec_lo
	s_waitcnt lgkmcnt(0)
	s_delay_alu instid0(VALU_DEP_1)
	v_cmpx_gt_u32_e64 s20, v1
	s_cbranch_execz .LBB253_88
; %bb.1:
	s_load_b128 s[16:19], s[0:1], 0x0
	s_mul_i32 s15, s15, s20
	s_mov_b32 s4, 1
	v_add_lshl_u32 v50, s15, v1, 1
	s_mov_b32 s5, s4
	s_delay_alu instid0(SALU_CYCLE_1) | instskip(NEXT) | instid1(VALU_DEP_2)
	v_dual_mov_b32 v49, s5 :: v_dual_mov_b32 v48, s4
	v_add_nc_u32_e32 v2, 2, v50
	s_waitcnt lgkmcnt(0)
	v_cmp_gt_u32_e32 vcc_lo, s19, v50
	s_delay_alu instid0(VALU_DEP_2) | instskip(NEXT) | instid1(VALU_DEP_1)
	v_cmp_le_u32_e64 s2, s19, v2
	s_and_b32 s2, vcc_lo, s2
	s_delay_alu instid0(SALU_CYCLE_1)
	s_and_saveexec_b32 s6, s2
	s_cbranch_execz .LBB253_7
; %bb.2:
	v_dual_mov_b32 v49, s5 :: v_dual_mov_b32 v48, s4
	s_add_i32 s7, s19, -2
	s_mov_b32 s8, exec_lo
	v_cmpx_ne_u32_e64 s7, v50
	s_cbranch_execz .LBB253_6
; %bb.3:
	v_subrev_nc_u32_e32 v2, s7, v50
	s_mov_b32 s2, 1
	s_mov_b32 s9, 0
	s_mov_b64 s[4:5], 0
	s_mov_b32 s3, s2
	v_cmp_lt_u32_e32 vcc_lo, 1, v2
	v_cndmask_b32_e32 v2, 1, v2, vcc_lo
.LBB253_4:                              ; =>This Inner Loop Header: Depth=1
	s_cmp_lg_u32 s4, 1
	s_cselect_b32 s3, s3, 0
	s_cmp_lg_u32 s4, 0
	s_cselect_b32 s2, s2, 0
	s_add_u32 s4, s4, 1
	v_dual_mov_b32 v49, s3 :: v_dual_mov_b32 v48, s2
	v_cmp_eq_u32_e32 vcc_lo, s4, v2
	s_addc_u32 s5, s5, 0
	s_or_b32 s9, vcc_lo, s9
	s_delay_alu instid0(SALU_CYCLE_1)
	s_and_not1_b32 exec_lo, exec_lo, s9
	s_cbranch_execnz .LBB253_4
; %bb.5:
	s_or_b32 exec_lo, exec_lo, s9
	v_mov_b32_e32 v50, s7
.LBB253_6:
	s_or_b32 exec_lo, exec_lo, s8
.LBB253_7:
	s_delay_alu instid0(SALU_CYCLE_1)
	s_or_b32 exec_lo, exec_lo, s6
	s_lshl_b32 s2, s20, 1
	s_abs_i32 s6, s19
	s_abs_i32 s3, s2
	s_mov_b32 s22, 0
	v_cvt_f32_u32_e32 v2, s3
	s_sub_i32 s5, 0, s3
	s_delay_alu instid0(VALU_DEP_1) | instskip(SKIP_2) | instid1(VALU_DEP_1)
	v_rcp_iflag_f32_e32 v2, v2
	s_waitcnt_depctr 0xfff
	v_mul_f32_e32 v2, 0x4f7ffffe, v2
	v_cvt_u32_f32_e32 v2, v2
	s_delay_alu instid0(VALU_DEP_1) | instskip(NEXT) | instid1(VALU_DEP_1)
	v_readfirstlane_b32 s4, v2
	s_mul_i32 s5, s5, s4
	s_delay_alu instid0(SALU_CYCLE_1) | instskip(NEXT) | instid1(SALU_CYCLE_1)
	s_mul_hi_u32 s5, s4, s5
	s_add_i32 s4, s4, s5
	s_ashr_i32 s5, s19, 31
	s_mul_hi_u32 s4, s6, s4
	s_delay_alu instid0(SALU_CYCLE_1) | instskip(NEXT) | instid1(SALU_CYCLE_1)
	s_mul_i32 s4, s4, s3
	s_sub_i32 s4, s6, s4
	s_delay_alu instid0(SALU_CYCLE_1) | instskip(SKIP_2) | instid1(SALU_CYCLE_1)
	s_sub_i32 s6, s4, s3
	s_cmp_ge_u32 s4, s3
	s_cselect_b32 s4, s6, s4
	s_sub_i32 s6, s4, s3
	s_cmp_ge_u32 s4, s3
	s_cselect_b32 s3, s6, s4
	s_add_i32 s2, s2, s19
	s_xor_b32 s3, s3, s5
	s_delay_alu instid0(SALU_CYCLE_1) | instskip(NEXT) | instid1(SALU_CYCLE_1)
	s_sub_i32 s3, s3, s5
	s_sub_i32 s2, s2, s3
	s_cmp_eq_u32 s3, 0
	s_cselect_b32 s3, s19, s2
	s_delay_alu instid0(SALU_CYCLE_1)
	v_cmp_gt_u32_e32 vcc_lo, s3, v50
	s_and_b32 exec_lo, exec_lo, vcc_lo
	s_cbranch_execz .LBB253_88
; %bb.8:
	s_load_b256 s[4:11], s[0:1], 0x10
	s_min_u32 s23, s18, 0x2000
	s_cmp_lg_u32 s16, 0
	s_mul_i32 s2, s21, s20
	s_cselect_b32 s24, -1, 0
	s_cmp_lg_u32 s18, 0
	s_load_b64 s[12:13], s[0:1], 0x30
	s_cselect_b32 s21, -1, 0
	s_lshl_b32 s25, s20, 8
	s_add_i32 s26, s16, -8
	s_add_i32 s27, s19, -1
	s_lshl_b32 s28, s2, 1
	v_and_b32_e32 v0, 0x3ff, v0
	v_mbcnt_lo_u32_b32 v59, -1, 0
	s_delay_alu instid0(VALU_DEP_2)
	v_lshlrev_b32_e32 v60, 3, v0
	v_cmp_eq_u32_e64 s0, 31, v0
	v_lshlrev_b32_e32 v0, 4, v0
	s_waitcnt lgkmcnt(0)
	s_cmp_lg_u64 s[10:11], 0
	v_cvt_f32_u32_e32 v3, s4
	s_cselect_b32 s29, -1, 0
	s_abs_i32 s2, s5
	s_add_i32 s30, s19, -2
	v_cvt_f32_u32_e32 v2, s2
	v_rcp_iflag_f32_e32 v3, v3
	s_sub_i32 s14, 0, s2
	s_sub_i32 s15, 0, s4
	;; [unrolled: 1-line block ×3, first 2 shown]
	v_rcp_iflag_f32_e32 v2, v2
	v_lshl_add_u32 v61, v1, 9, v0
	v_lshl_add_u32 v53, v1, 8, v60
	v_mov_b32_e32 v52, 0
	s_mul_i32 s5, s23, 6
	s_delay_alu instid0(VALU_DEP_2) | instskip(SKIP_4) | instid1(VALU_DEP_2)
	v_add_nc_u32_e32 v63, s18, v53
	v_mad_u64_u32 v[54:55], null, s18, 3, v[53:54]
	s_waitcnt_depctr 0xfff
	v_mul_f32_e32 v2, 0x4f7ffffe, v2
	v_lshl_add_u32 v62, s18, 1, v53
	v_cvt_u32_f32_e32 v2, v2
	s_delay_alu instid0(VALU_DEP_1) | instskip(SKIP_1) | instid1(VALU_DEP_2)
	v_readfirstlane_b32 s1, v2
	v_mul_f32_e32 v2, 0x4f7ffffe, v3
	s_mul_i32 s14, s14, s1
	s_delay_alu instid0(VALU_DEP_1) | instskip(SKIP_1) | instid1(SALU_CYCLE_1)
	v_cvt_u32_f32_e32 v0, v2
	s_mul_hi_u32 s14, s1, s14
	s_add_i32 s1, s1, s14
	s_cmp_lt_u32 s2, 2
	s_delay_alu instid0(VALU_DEP_1) | instskip(SKIP_1) | instid1(SALU_CYCLE_1)
	v_mul_lo_u32 v1, s15, v0
	s_cselect_b32 s14, s31, 1
	s_sub_i32 s31, s14, s2
	s_cmp_ge_u32 s14, s2
	s_cselect_b32 s31, s31, s14
	s_lshr_b32 s14, s1, 31
	s_mul_hi_u32 s1, s1, 3
	s_mul_i32 s14, s14, s2
	s_mul_i32 s1, s1, s2
	s_sub_i32 s14, 2, s14
	v_mul_hi_u32 v1, v0, v1
	s_sub_i32 s15, s14, s2
	s_cmp_ge_u32 s14, s2
	s_mul_i32 s31, s31, s4
	s_cselect_b32 s14, s15, s14
	s_delay_alu instid0(SALU_CYCLE_1) | instskip(SKIP_1) | instid1(VALU_DEP_1)
	s_sub_i32 s15, s14, s2
	s_cmp_ge_u32 s14, s2
	v_add_nc_u32_e32 v64, v0, v1
	s_cselect_b32 s33, s15, s14
	s_sub_i32 s1, 3, s1
	s_mul_i32 s33, s33, s4
	s_sub_i32 s14, s1, s2
	s_cmp_ge_u32 s1, s2
	s_cselect_b32 s1, s14, s1
	s_delay_alu instid0(SALU_CYCLE_1)
	s_sub_i32 s14, s1, s2
	s_cmp_ge_u32 s1, s2
	s_cselect_b32 s37, s14, s1
	s_add_u32 s34, s12, 2
	s_addc_u32 s35, s13, 0
	s_lshl_b32 s20, s20, 9
	s_lshl_b32 s36, s23, 2
	s_mul_i32 s37, s37, s4
	s_lshl_b32 s38, s23, 1
	s_branch .LBB253_12
.LBB253_9:                              ;   in Loop: Header=BB253_12 Depth=1
	s_or_b32 exec_lo, exec_lo, s41
	v_mov_b32_e32 v50, s30
.LBB253_10:                             ;   in Loop: Header=BB253_12 Depth=1
	s_or_b32 exec_lo, exec_lo, s40
.LBB253_11:                             ;   in Loop: Header=BB253_12 Depth=1
	s_delay_alu instid0(SALU_CYCLE_1) | instskip(NEXT) | instid1(VALU_DEP_1)
	s_or_b32 exec_lo, exec_lo, s39
	v_cmp_le_u32_e32 vcc_lo, s3, v50
	s_or_b32 s22, vcc_lo, s22
	s_delay_alu instid0(SALU_CYCLE_1)
	s_and_not1_b32 exec_lo, exec_lo, s22
	s_cbranch_execz .LBB253_88
.LBB253_12:                             ; =>This Loop Header: Depth=1
                                        ;     Child Loop BB253_17 Depth 2
                                        ;       Child Loop BB253_22 Depth 3
                                        ;     Child Loop BB253_86 Depth 2
	v_mov_b32_e32 v65, v52
	v_mov_b32_e32 v66, v52
	v_mov_b32_e32 v67, v52
	v_mov_b32_e32 v68, v52
	v_mov_b32_e32 v70, v52
	v_mov_b32_e32 v71, v52
	v_mov_b32_e32 v69, v52
	v_mov_b32_e32 v72, v52
	s_and_not1_b32 vcc_lo, exec_lo, s24
	s_mov_b32 s14, 0
	s_cbranch_vccnz .LBB253_29
; %bb.13:                               ;   in Loop: Header=BB253_12 Depth=1
	s_waitcnt lgkmcnt(2)
	v_dual_mov_b32 v1, v52 :: v_dual_add_nc_u32 v0, 1, v50
	v_min_u32_e32 v2, s27, v50
	v_cmp_gt_u32_e64 s1, s19, v50
	v_dual_mov_b32 v72, 0 :: v_dual_mov_b32 v69, 0
	s_delay_alu instid0(VALU_DEP_4) | instskip(NEXT) | instid1(VALU_DEP_4)
	v_min_u32_e32 v0, s27, v0
	v_mul_lo_u32 v51, v2, s17
	v_dual_mov_b32 v71, 0 :: v_dual_mov_b32 v70, 0
	v_dual_mov_b32 v68, 0 :: v_dual_mov_b32 v67, 0
	s_delay_alu instid0(VALU_DEP_4) | instskip(SKIP_3) | instid1(VALU_DEP_3)
	v_mul_lo_u32 v0, v0, s17
	v_dual_mov_b32 v66, 0 :: v_dual_mov_b32 v65, 0
	v_lshlrev_b64 v[55:56], 1, v[51:52]
	s_mov_b32 s15, 0
	v_lshlrev_b64 v[57:58], 1, v[0:1]
	s_branch .LBB253_17
.LBB253_14:                             ;   in Loop: Header=BB253_17 Depth=2
	s_or_b32 exec_lo, exec_lo, s40
.LBB253_15:                             ;   in Loop: Header=BB253_17 Depth=2
	s_delay_alu instid0(SALU_CYCLE_1)
	s_or_b32 exec_lo, exec_lo, s39
	s_waitcnt lgkmcnt(3)
	v_and_b32_e32 v51, 0xffff0000, v44
	v_and_b32_e32 v74, 0xffff0000, v45
	v_lshlrev_b32_e32 v45, 16, v45
	s_waitcnt vmcnt(3)
	v_and_b32_e32 v78, 0xffff0000, v42
	s_waitcnt vmcnt(2)
	v_and_b32_e32 v81, 0xffff0000, v33
	v_and_b32_e32 v77, 0xffff0000, v46
	v_lshlrev_b32_e32 v46, 16, v46
	v_and_b32_e32 v82, 0xffff0000, v43
	v_and_b32_e32 v80, 0xffff0000, v32
	v_lshlrev_b32_e32 v42, 16, v42
	v_and_b32_e32 v76, 0xffff0000, v41
	v_lshlrev_b32_e32 v41, 16, v41
	v_lshlrev_b32_e32 v33, 16, v33
	;; [unrolled: 1-line block ×3, first 2 shown]
	s_delay_alu instid0(VALU_DEP_4) | instskip(NEXT) | instid1(VALU_DEP_1)
	v_mul_f32_e32 v79, v74, v76
	v_fmac_f32_e32 v79, v45, v41
	v_and_b32_e32 v73, 0xffff0000, v40
	v_lshlrev_b32_e32 v44, 16, v44
	s_delay_alu instid0(VALU_DEP_2) | instskip(NEXT) | instid1(VALU_DEP_1)
	v_dual_mul_f32 v75, v51, v73 :: v_dual_lshlrev_b32 v40, 16, v40
	v_fmac_f32_e32 v75, v44, v40
	s_delay_alu instid0(VALU_DEP_1) | instskip(NEXT) | instid1(VALU_DEP_1)
	v_add_f32_e32 v72, v72, v75
	v_add_f32_e32 v72, v72, v79
	v_and_b32_e32 v79, 0xffff0000, v47
	s_delay_alu instid0(VALU_DEP_1) | instskip(SKIP_1) | instid1(VALU_DEP_1)
	v_mul_f32_e32 v83, v79, v82
	v_mul_f32_e32 v51, v51, v80
	v_dual_fmac_f32 v51, v44, v32 :: v_dual_mul_f32 v44, v74, v81
	v_mul_f32_e32 v75, v77, v78
	s_delay_alu instid0(VALU_DEP_2) | instskip(NEXT) | instid1(VALU_DEP_2)
	v_add_f32_e32 v51, v69, v51
	v_dual_fmac_f32 v44, v45, v33 :: v_dual_fmac_f32 v75, v46, v42
	v_and_b32_e32 v74, 0xffff0000, v34
	s_delay_alu instid0(VALU_DEP_2) | instskip(SKIP_1) | instid1(VALU_DEP_2)
	v_dual_add_f32 v44, v51, v44 :: v_dual_add_f32 v69, v72, v75
	s_waitcnt lgkmcnt(2)
	v_dual_mul_f32 v45, v77, v74 :: v_dual_and_b32 v72, 0xffff0000, v36
	v_lshlrev_b32_e32 v47, 16, v47
	v_lshlrev_b32_e32 v34, 16, v34
	;; [unrolled: 1-line block ×3, first 2 shown]
	v_and_b32_e32 v75, 0xffff0000, v35
	v_lshlrev_b32_e32 v35, 16, v35
	s_delay_alu instid0(VALU_DEP_4) | instskip(SKIP_1) | instid1(VALU_DEP_2)
	v_fmac_f32_e32 v45, v46, v34
	v_dual_mul_f32 v46, v72, v73 :: v_dual_lshlrev_b32 v43, 16, v43
	v_dual_mul_f32 v79, v79, v75 :: v_dual_add_f32 v44, v44, v45
	s_delay_alu instid0(VALU_DEP_2) | instskip(NEXT) | instid1(VALU_DEP_2)
	v_dual_fmac_f32 v83, v47, v43 :: v_dual_fmac_f32 v46, v36, v40
	v_fmac_f32_e32 v79, v47, v35
	s_waitcnt lgkmcnt(1)
	v_and_b32_e32 v47, 0xffff0000, v28
	s_delay_alu instid0(VALU_DEP_3) | instskip(SKIP_4) | instid1(VALU_DEP_3)
	v_dual_add_f32 v69, v69, v83 :: v_dual_lshlrev_b32 v28, 16, v28
	v_and_b32_e32 v83, 0xffff0000, v39
	v_and_b32_e32 v51, 0xffff0000, v37
	v_dual_add_f32 v46, v71, v46 :: v_dual_lshlrev_b32 v37, 16, v37
	v_lshlrev_b32_e32 v39, 16, v39
	v_dual_add_f32 v44, v44, v79 :: v_dual_mul_f32 v45, v51, v76
	s_delay_alu instid0(VALU_DEP_1) | instskip(NEXT) | instid1(VALU_DEP_1)
	v_fmac_f32_e32 v45, v37, v41
	v_add_f32_e32 v45, v46, v45
	v_and_b32_e32 v77, 0xffff0000, v38
	v_lshlrev_b32_e32 v38, 16, v38
	v_mul_f32_e32 v46, v72, v80
	v_mul_f32_e32 v72, v83, v82
	s_delay_alu instid0(VALU_DEP_2) | instskip(NEXT) | instid1(VALU_DEP_1)
	v_dual_mul_f32 v71, v77, v78 :: v_dual_fmac_f32 v46, v36, v32
	v_fmac_f32_e32 v71, v38, v42
	s_delay_alu instid0(VALU_DEP_2) | instskip(NEXT) | instid1(VALU_DEP_2)
	v_add_f32_e32 v46, v70, v46
	v_dual_add_f32 v36, v45, v71 :: v_dual_mul_f32 v45, v51, v81
	v_mul_f32_e32 v51, v47, v73
	v_mul_f32_e32 v47, v47, v80
	s_delay_alu instid0(VALU_DEP_2) | instskip(NEXT) | instid1(VALU_DEP_2)
	v_fmac_f32_e32 v51, v28, v40
	v_dual_fmac_f32 v47, v28, v32 :: v_dual_lshlrev_b32 v28, 16, v31
	v_fmac_f32_e32 v45, v37, v33
	v_mul_f32_e32 v37, v77, v74
	s_delay_alu instid0(VALU_DEP_3) | instskip(NEXT) | instid1(VALU_DEP_3)
	v_add_f32_e32 v47, v67, v47
	v_add_f32_e32 v45, v46, v45
	v_and_b32_e32 v46, 0xffff0000, v29
	v_lshlrev_b32_e32 v29, 16, v29
	v_fmac_f32_e32 v37, v38, v34
	s_delay_alu instid0(VALU_DEP_3) | instskip(NEXT) | instid1(VALU_DEP_2)
	v_mul_f32_e32 v70, v46, v76
	v_dual_mul_f32 v38, v83, v75 :: v_dual_add_f32 v37, v45, v37
	s_delay_alu instid0(VALU_DEP_2) | instskip(SKIP_1) | instid1(VALU_DEP_1)
	v_fmac_f32_e32 v70, v29, v41
	v_fmac_f32_e32 v72, v39, v43
	v_add_f32_e32 v36, v36, v72
	s_delay_alu instid0(VALU_DEP_4) | instskip(SKIP_1) | instid1(VALU_DEP_2)
	v_fmac_f32_e32 v38, v39, v35
	v_add_f32_e32 v39, v68, v51
	v_add_f32_e32 v37, v37, v38
	s_delay_alu instid0(VALU_DEP_2) | instskip(NEXT) | instid1(VALU_DEP_1)
	v_dual_add_f32 v38, v39, v70 :: v_dual_and_b32 v39, 0xffff0000, v31
	v_dual_mul_f32 v31, v46, v81 :: v_dual_mul_f32 v46, v39, v82
	s_delay_alu instid0(VALU_DEP_1) | instskip(SKIP_1) | instid1(VALU_DEP_3)
	v_fmac_f32_e32 v31, v29, v33
	v_mul_f32_e32 v39, v39, v75
	v_fmac_f32_e32 v46, v28, v43
	s_delay_alu instid0(VALU_DEP_3)
	v_add_f32_e32 v31, v47, v31
	s_waitcnt lgkmcnt(0)
	v_and_b32_e32 v47, 0xffff0000, v25
	v_lshlrev_b32_e32 v25, 16, v25
	v_and_b32_e32 v45, 0xffff0000, v30
	v_dual_fmac_f32 v39, v28, v35 :: v_dual_lshlrev_b32 v30, 16, v30
	v_and_b32_e32 v28, 0xffff0000, v27
	v_lshlrev_b32_e32 v27, 16, v27
	s_delay_alu instid0(VALU_DEP_4) | instskip(SKIP_1) | instid1(VALU_DEP_2)
	v_mul_f32_e32 v29, v45, v74
	v_mul_f32_e32 v51, v45, v78
	v_fmac_f32_e32 v29, v30, v34
	s_delay_alu instid0(VALU_DEP_1) | instskip(NEXT) | instid1(VALU_DEP_3)
	v_add_f32_e32 v29, v31, v29
	v_fmac_f32_e32 v51, v30, v42
	v_and_b32_e32 v31, 0xffff0000, v26
	v_lshlrev_b32_e32 v26, 16, v26
	s_delay_alu instid0(VALU_DEP_3) | instskip(SKIP_1) | instid1(VALU_DEP_2)
	v_dual_add_f32 v38, v38, v51 :: v_dual_and_b32 v51, 0xffff0000, v24
	v_lshlrev_b32_e32 v24, 16, v24
	v_dual_add_f32 v30, v38, v46 :: v_dual_mul_f32 v45, v51, v73
	v_mul_f32_e32 v38, v47, v76
	s_delay_alu instid0(VALU_DEP_1) | instskip(NEXT) | instid1(VALU_DEP_1)
	v_dual_fmac_f32 v45, v24, v40 :: v_dual_fmac_f32 v38, v25, v41
	v_dual_mul_f32 v41, v31, v78 :: v_dual_add_f32 v40, v66, v45
	v_mul_f32_e32 v45, v51, v80
	s_delay_alu instid0(VALU_DEP_2)
	v_fmac_f32_e32 v41, v26, v42
	s_waitcnt vmcnt(1)
	v_and_b32_e32 v42, 0xffff0000, v18
	v_lshlrev_b32_e32 v18, 16, v18
	v_add_f32_e32 v38, v40, v38
	v_mul_f32_e32 v40, v28, v82
	v_mul_f32_e32 v28, v28, v75
	v_dual_fmac_f32 v45, v24, v32 :: v_dual_add_f32 v24, v29, v39
	s_delay_alu instid0(VALU_DEP_3) | instskip(NEXT) | instid1(VALU_DEP_3)
	v_fmac_f32_e32 v40, v27, v43
	v_fmac_f32_e32 v28, v27, v35
	s_waitcnt vmcnt(0)
	v_dual_mul_f32 v32, v47, v81 :: v_dual_and_b32 v27, 0xffff0000, v8
	v_dual_add_f32 v29, v38, v41 :: v_dual_lshlrev_b32 v8, 16, v8
	v_add_f32_e32 v38, v65, v45
	s_delay_alu instid0(VALU_DEP_3)
	v_fmac_f32_e32 v32, v25, v33
	v_and_b32_e32 v33, 0xffff0000, v21
	v_mul_f32_e32 v25, v31, v74
	v_and_b32_e32 v45, 0xffff0000, v14
	v_lshlrev_b32_e32 v14, 16, v14
	v_add_f32_e32 v32, v38, v32
	v_and_b32_e32 v38, 0xffff0000, v17
	v_and_b32_e32 v41, 0xffff0000, v16
	v_lshlrev_b32_e32 v16, 16, v16
	v_lshlrev_b32_e32 v21, 16, v21
	v_and_b32_e32 v39, 0xffff0000, v20
	v_lshlrev_b32_e32 v20, 16, v20
	v_lshlrev_b32_e32 v17, 16, v17
	s_delay_alu instid0(VALU_DEP_3) | instskip(SKIP_3) | instid1(VALU_DEP_4)
	v_mul_f32_e32 v31, v39, v41
	v_mul_f32_e32 v35, v39, v27
	v_and_b32_e32 v39, 0xffff0000, v9
	v_lshlrev_b32_e32 v9, 16, v9
	v_fmac_f32_e32 v31, v20, v16
	s_delay_alu instid0(VALU_DEP_3) | instskip(NEXT) | instid1(VALU_DEP_1)
	v_dual_fmac_f32 v35, v20, v8 :: v_dual_mul_f32 v20, v33, v39
	v_dual_add_f32 v35, v44, v35 :: v_dual_fmac_f32 v20, v21, v9
	s_delay_alu instid0(VALU_DEP_1) | instskip(NEXT) | instid1(VALU_DEP_1)
	v_dual_add_f32 v20, v35, v20 :: v_dual_and_b32 v35, 0xffff0000, v13
	v_dual_mul_f32 v44, v35, v38 :: v_dual_lshlrev_b32 v13, 16, v13
	v_fmac_f32_e32 v25, v26, v34
	v_mul_f32_e32 v26, v33, v38
	v_and_b32_e32 v34, 0xffff0000, v22
	v_and_b32_e32 v33, 0xffff0000, v10
	v_lshlrev_b32_e32 v22, 16, v22
	v_lshlrev_b32_e32 v10, 16, v10
	v_fmac_f32_e32 v26, v21, v17
	v_fmac_f32_e32 v44, v13, v17
	v_mul_f32_e32 v21, v34, v33
	v_add_f32_e32 v31, v69, v31
	s_delay_alu instid0(VALU_DEP_2) | instskip(SKIP_1) | instid1(VALU_DEP_3)
	v_fmac_f32_e32 v21, v22, v10
	v_mul_f32_e32 v43, v34, v42
	v_add_f32_e32 v26, v31, v26
	s_delay_alu instid0(VALU_DEP_2) | instskip(SKIP_2) | instid1(VALU_DEP_3)
	v_dual_add_f32 v20, v20, v21 :: v_dual_fmac_f32 v43, v22, v18
	v_and_b32_e32 v22, 0xffff0000, v11
	v_lshlrev_b32_e32 v11, 16, v11
	v_dual_add_f32 v26, v26, v43 :: v_dual_and_b32 v43, 0xffff0000, v12
	v_lshlrev_b32_e32 v12, 16, v12
	v_and_b32_e32 v31, 0xffff0000, v23
	s_delay_alu instid0(VALU_DEP_3) | instskip(SKIP_1) | instid1(VALU_DEP_2)
	v_dual_mul_f32 v34, v43, v41 :: v_dual_lshlrev_b32 v23, 16, v23
	v_dual_add_f32 v25, v32, v25 :: v_dual_and_b32 v32, 0xffff0000, v19
	v_dual_fmac_f32 v34, v12, v16 :: v_dual_lshlrev_b32 v19, 16, v19
	s_delay_alu instid0(VALU_DEP_1) | instskip(SKIP_4) | instid1(VALU_DEP_4)
	v_add_f32_e32 v34, v36, v34
	v_mul_f32_e32 v36, v45, v42
	v_add_f32_e32 v29, v29, v40
	v_mul_f32_e32 v40, v31, v32
	v_add_f32_e32 v21, v25, v28
	v_dual_fmac_f32 v36, v14, v18 :: v_dual_and_b32 v25, 0xffff0000, v15
	v_mul_f32_e32 v28, v35, v39
	s_delay_alu instid0(VALU_DEP_4) | instskip(NEXT) | instid1(VALU_DEP_1)
	v_fmac_f32_e32 v40, v23, v19
	v_dual_add_f32 v72, v26, v40 :: v_dual_lshlrev_b32 v15, 16, v15
	v_dual_mul_f32 v31, v31, v22 :: v_dual_and_b32 v26, 0xffff0000, v4
	s_delay_alu instid0(VALU_DEP_1) | instskip(SKIP_2) | instid1(VALU_DEP_3)
	v_dual_fmac_f32 v31, v23, v11 :: v_dual_lshlrev_b32 v4, 16, v4
	v_dual_add_f32 v23, v34, v44 :: v_dual_and_b32 v34, 0xffff0000, v5
	v_lshlrev_b32_e32 v5, 16, v5
	v_add_f32_e32 v69, v20, v31
	v_mul_f32_e32 v31, v26, v41
	s_delay_alu instid0(VALU_DEP_4) | instskip(NEXT) | instid1(VALU_DEP_2)
	v_add_f32_e32 v23, v23, v36
	v_fmac_f32_e32 v31, v4, v16
	s_delay_alu instid0(VALU_DEP_1) | instskip(SKIP_1) | instid1(VALU_DEP_1)
	v_add_f32_e32 v30, v30, v31
	v_mul_f32_e32 v20, v43, v27
	v_fmac_f32_e32 v20, v12, v8
	v_mul_f32_e32 v12, v25, v32
	s_delay_alu instid0(VALU_DEP_2) | instskip(NEXT) | instid1(VALU_DEP_2)
	v_add_f32_e32 v20, v37, v20
	v_fmac_f32_e32 v12, v15, v19
	v_dual_fmac_f32 v28, v13, v9 :: v_dual_mul_f32 v13, v34, v38
	v_mul_f32_e32 v35, v45, v33
	s_delay_alu instid0(VALU_DEP_3) | instskip(SKIP_1) | instid1(VALU_DEP_4)
	v_add_f32_e32 v71, v23, v12
	v_and_b32_e32 v23, 0xffff0000, v0
	v_fmac_f32_e32 v13, v5, v17
	s_delay_alu instid0(VALU_DEP_4)
	v_fmac_f32_e32 v35, v14, v10
	v_mul_f32_e32 v14, v25, v22
	v_lshlrev_b32_e32 v0, 16, v0
	v_add_f32_e32 v20, v20, v28
	v_add_f32_e32 v12, v30, v13
	v_and_b32_e32 v28, 0xffff0000, v6
	v_fmac_f32_e32 v14, v15, v11
	v_dual_mul_f32 v15, v26, v27 :: v_dual_mul_f32 v26, v23, v41
	v_lshlrev_b32_e32 v6, 16, v6
	s_delay_alu instid0(VALU_DEP_4) | instskip(NEXT) | instid1(VALU_DEP_3)
	v_mul_f32_e32 v31, v28, v42
	v_fmac_f32_e32 v15, v4, v8
	s_delay_alu instid0(VALU_DEP_4) | instskip(NEXT) | instid1(VALU_DEP_2)
	v_fmac_f32_e32 v26, v0, v16
	v_dual_add_f32 v15, v24, v15 :: v_dual_and_b32 v24, 0xffff0000, v1
	s_delay_alu instid0(VALU_DEP_1) | instskip(NEXT) | instid1(VALU_DEP_1)
	v_dual_mul_f32 v16, v24, v38 :: v_dual_lshlrev_b32 v1, 16, v1
	v_dual_fmac_f32 v16, v1, v17 :: v_dual_mul_f32 v17, v23, v27
	s_delay_alu instid0(VALU_DEP_1) | instskip(NEXT) | instid1(VALU_DEP_1)
	v_fmac_f32_e32 v17, v0, v8
	v_dual_mul_f32 v0, v24, v39 :: v_dual_add_f32 v17, v21, v17
	s_delay_alu instid0(VALU_DEP_1) | instskip(SKIP_3) | instid1(VALU_DEP_4)
	v_dual_fmac_f32 v0, v1, v9 :: v_dual_fmac_f32 v31, v6, v18
	v_add_f32_e32 v13, v20, v35
	v_mul_f32_e32 v25, v34, v39
	v_and_b32_e32 v20, 0xffff0000, v7
	v_add_f32_e32 v0, v17, v0
	s_delay_alu instid0(VALU_DEP_3) | instskip(SKIP_1) | instid1(VALU_DEP_2)
	v_dual_add_f32 v12, v12, v31 :: v_dual_fmac_f32 v25, v5, v9
	v_mul_f32_e32 v5, v28, v33
	v_dual_mul_f32 v4, v20, v32 :: v_dual_add_f32 v15, v15, v25
	s_delay_alu instid0(VALU_DEP_2) | instskip(NEXT) | instid1(VALU_DEP_1)
	v_fmac_f32_e32 v5, v6, v10
	v_dual_add_f32 v6, v29, v26 :: v_dual_add_f32 v5, v15, v5
	v_mul_f32_e32 v15, v20, v22
	v_and_b32_e32 v20, 0xffff0000, v2
	s_delay_alu instid0(VALU_DEP_3) | instskip(SKIP_2) | instid1(VALU_DEP_4)
	v_add_f32_e32 v6, v6, v16
	v_lshlrev_b32_e32 v2, 16, v2
	v_and_b32_e32 v16, 0xffff0000, v3
	v_dual_mul_f32 v8, v20, v42 :: v_dual_lshlrev_b32 v7, 16, v7
	v_mul_f32_e32 v1, v20, v33
	v_lshlrev_b32_e32 v3, 16, v3
	s_delay_alu instid0(VALU_DEP_3) | instskip(NEXT) | instid1(VALU_DEP_3)
	v_dual_mul_f32 v9, v16, v32 :: v_dual_fmac_f32 v8, v2, v18
	v_fmac_f32_e32 v1, v2, v10
	v_mul_f32_e32 v2, v16, v22
	v_fmac_f32_e32 v4, v7, v19
	s_delay_alu instid0(VALU_DEP_4) | instskip(NEXT) | instid1(VALU_DEP_4)
	v_dual_fmac_f32 v15, v7, v11 :: v_dual_add_f32 v6, v6, v8
	v_dual_fmac_f32 v9, v3, v19 :: v_dual_add_f32 v0, v0, v1
	s_delay_alu instid0(VALU_DEP_4) | instskip(SKIP_1) | instid1(VALU_DEP_4)
	v_fmac_f32_e32 v2, v3, v11
	v_add_f32_e32 v70, v13, v14
	v_dual_add_f32 v68, v12, v4 :: v_dual_add_f32 v67, v5, v15
	s_delay_alu instid0(VALU_DEP_3)
	v_dual_add_f32 v66, v6, v9 :: v_dual_add_f32 v65, v0, v2
.LBB253_16:                             ;   in Loop: Header=BB253_17 Depth=2
	s_or_b32 exec_lo, exec_lo, s2
	s_addk_i32 s15, 0x200
	s_delay_alu instid0(SALU_CYCLE_1)
	s_cmp_ge_u32 s15, s16
	s_cbranch_scc1 .LBB253_29
.LBB253_17:                             ;   Parent Loop BB253_12 Depth=1
                                        ; =>  This Loop Header: Depth=2
                                        ;       Child Loop BB253_22 Depth 3
	s_cmp_eq_u32 s15, 0
	s_cselect_b32 s39, -1, 0
	s_add_i32 s2, s14, s23
	s_delay_alu instid0(SALU_CYCLE_1) | instskip(SKIP_1) | instid1(SALU_CYCLE_1)
	s_cmp_eq_u32 s15, s2
	s_cselect_b32 s40, -1, 0
	s_or_b32 s40, s39, s40
	s_delay_alu instid0(SALU_CYCLE_1)
	s_and_not1_b32 vcc_lo, exec_lo, s40
	s_cbranch_vccz .LBB253_19
; %bb.18:                               ;   in Loop: Header=BB253_17 Depth=2
	s_and_saveexec_b32 s2, s1
	s_cbranch_execz .LBB253_16
	s_branch .LBB253_26
.LBB253_19:                             ;   in Loop: Header=BB253_17 Depth=2
	s_and_b32 s39, s39, exec_lo
	s_cselect_b32 s14, s14, s2
	s_and_not1_b32 vcc_lo, exec_lo, s21
	s_waitcnt vmcnt(0) lgkmcnt(0)
	s_waitcnt_vscnt null, 0x0
	s_barrier
	buffer_gl0_inv
	s_cbranch_vccnz .LBB253_25
; %bb.20:                               ;   in Loop: Header=BB253_17 Depth=2
	v_add_nc_u32_e32 v0, s14, v62
	v_dual_mov_b32 v4, v61 :: v_dual_add_nc_u32 v1, s14, v54
	v_add_nc_u32_e32 v2, s14, v63
	v_add_nc_u32_e32 v3, s14, v53
	s_mov_b32 s39, 0
	s_mov_b32 s40, 0
                                        ; implicit-def: $sgpr41
	s_branch .LBB253_22
.LBB253_21:                             ;   in Loop: Header=BB253_22 Depth=3
	s_or_b32 exec_lo, exec_lo, s2
	s_delay_alu instid0(SALU_CYCLE_1) | instskip(NEXT) | instid1(SALU_CYCLE_1)
	s_and_b32 s2, exec_lo, s41
	s_or_b32 s39, s2, s39
	s_delay_alu instid0(SALU_CYCLE_1)
	s_and_not1_b32 exec_lo, exec_lo, s39
	s_cbranch_execz .LBB253_24
.LBB253_22:                             ;   Parent Loop BB253_12 Depth=1
                                        ;     Parent Loop BB253_17 Depth=2
                                        ; =>    This Inner Loop Header: Depth=3
	s_delay_alu instid0(VALU_DEP_1) | instskip(SKIP_2) | instid1(VALU_DEP_2)
	v_add_nc_u32_e32 v51, s40, v3
	v_add_nc_u32_e32 v5, s40, v53
	s_or_b32 s41, s41, exec_lo
	v_cmp_gt_u32_e32 vcc_lo, s18, v51
	s_delay_alu instid0(VALU_DEP_2) | instskip(NEXT) | instid1(VALU_DEP_1)
	v_cmp_gt_u32_e64 s2, s23, v5
	s_and_b32 s42, s2, vcc_lo
	s_delay_alu instid0(SALU_CYCLE_1)
	s_and_saveexec_b32 s2, s42
	s_cbranch_execz .LBB253_21
; %bb.23:                               ;   in Loop: Header=BB253_22 Depth=3
	v_lshlrev_b64 v[5:6], 1, v[51:52]
	v_add_nc_u32_e32 v51, s40, v2
	v_add_nc_u32_e32 v21, s38, v4
	;; [unrolled: 1-line block ×3, first 2 shown]
	s_delay_alu instid0(VALU_DEP_3) | instskip(SKIP_3) | instid1(VALU_DEP_3)
	v_lshlrev_b64 v[7:8], 1, v[51:52]
	v_add_nc_u32_e32 v51, s40, v0
	v_add_co_u32 v5, vcc_lo, s8, v5
	v_add_co_ci_u32_e32 v6, vcc_lo, s9, v6, vcc_lo
	v_lshlrev_b64 v[13:14], 1, v[51:52]
	v_add_nc_u32_e32 v51, s40, v1
	v_add_co_u32 v9, vcc_lo, s8, v7
	v_add_co_ci_u32_e32 v10, vcc_lo, s9, v8, vcc_lo
	s_delay_alu instid0(VALU_DEP_3)
	v_lshlrev_b64 v[15:16], 1, v[51:52]
	v_add_co_u32 v13, vcc_lo, s8, v13
	v_add_co_ci_u32_e32 v14, vcc_lo, s9, v14, vcc_lo
	s_clause 0x1
	global_load_b128 v[5:8], v[5:6], off
	global_load_b128 v[9:12], v[9:10], off
	v_add_co_u32 v17, vcc_lo, s8, v15
	v_add_co_ci_u32_e32 v18, vcc_lo, s9, v16, vcc_lo
	s_clause 0x1
	global_load_b128 v[13:16], v[13:14], off
	global_load_b128 v[17:20], v[17:18], off
	s_add_i32 s40, s40, s25
	s_waitcnt vmcnt(3)
	ds_store_b128 v4, v[5:8]
	s_waitcnt vmcnt(2)
	ds_store_2addr_b64 v21, v[9:10], v[11:12] offset1:1
	s_cmp_ge_u32 s40, s23
	v_add_nc_u32_e32 v5, s5, v4
	s_cselect_b32 s42, -1, 0
	v_add_nc_u32_e32 v4, s20, v4
	s_and_not1_b32 s41, s41, exec_lo
	s_and_b32 s42, s42, exec_lo
	s_waitcnt vmcnt(1)
	ds_store_2addr_b32 v22, v13, v14 offset1:1
	ds_store_2addr_b32 v22, v15, v16 offset0:2 offset1:3
	s_or_b32 s41, s41, s42
	s_waitcnt vmcnt(0)
	ds_store_2addr_b64 v5, v[17:18], v[19:20] offset1:1
	s_branch .LBB253_21
.LBB253_24:                             ;   in Loop: Header=BB253_17 Depth=2
	s_or_b32 exec_lo, exec_lo, s39
.LBB253_25:                             ;   in Loop: Header=BB253_17 Depth=2
	s_waitcnt lgkmcnt(0)
	s_barrier
	buffer_gl0_inv
	s_and_saveexec_b32 s2, s1
	s_cbranch_execz .LBB253_16
.LBB253_26:                             ;   in Loop: Header=BB253_17 Depth=2
	v_add_nc_u32_e32 v73, s15, v60
	s_waitcnt vmcnt(2)
	v_dual_mov_b32 v15, 0 :: v_dual_mov_b32 v14, 0
	v_dual_mov_b32 v13, 0 :: v_dual_mov_b32 v12, 0
	s_delay_alu instid0(VALU_DEP_3) | instskip(SKIP_3) | instid1(VALU_DEP_4)
	v_min_u32_e32 v51, s26, v73
	v_dual_mov_b32 v23, 0 :: v_dual_add_nc_u32 v74, 0x100, v73
	v_dual_mov_b32 v22, 0 :: v_dual_mov_b32 v21, 0
	v_mov_b32_e32 v20, 0
	v_lshlrev_b64 v[0:1], 1, v[51:52]
	s_delay_alu instid0(VALU_DEP_4) | instskip(SKIP_2) | instid1(VALU_DEP_4)
	v_min_u32_e32 v51, s26, v74
	v_dual_mov_b32 v27, 0 :: v_dual_mov_b32 v26, 0
	v_dual_mov_b32 v25, 0 :: v_dual_mov_b32 v24, 0
	v_add_co_u32 v4, vcc_lo, s6, v0
	v_add_co_ci_u32_e32 v5, vcc_lo, s7, v1, vcc_lo
	v_lshlrev_b64 v[0:1], 1, v[51:52]
	s_delay_alu instid0(VALU_DEP_3) | instskip(SKIP_1) | instid1(VALU_DEP_3)
	v_add_co_u32 v2, vcc_lo, v4, v55
	s_waitcnt lgkmcnt(0)
	v_add_co_ci_u32_e32 v3, vcc_lo, v5, v56, vcc_lo
	v_dual_mov_b32 v31, 0 :: v_dual_mov_b32 v30, 0
	s_waitcnt vmcnt(0)
	v_add_co_u32 v6, vcc_lo, s6, v0
	v_add_co_ci_u32_e32 v7, vcc_lo, s7, v1, vcc_lo
	v_add_co_u32 v0, vcc_lo, v4, v57
	v_add_co_ci_u32_e32 v1, vcc_lo, v5, v58, vcc_lo
	s_delay_alu instid0(VALU_DEP_4) | instskip(NEXT) | instid1(VALU_DEP_4)
	v_add_co_u32 v4, vcc_lo, v6, v55
	v_add_co_ci_u32_e32 v5, vcc_lo, v7, v56, vcc_lo
	v_add_co_u32 v6, vcc_lo, v6, v57
	v_add_co_ci_u32_e32 v7, vcc_lo, v7, v58, vcc_lo
	s_clause 0x3
	global_load_b128 v[40:43], v[2:3], off slc dlc
	global_load_b128 v[32:35], v[0:1], off slc dlc
	global_load_b128 v[16:19], v[4:5], off slc dlc
	global_load_b128 v[8:11], v[6:7], off slc dlc
	v_dual_mov_b32 v3, 0 :: v_dual_mov_b32 v2, 0
	v_cmp_gt_u32_e32 vcc_lo, s16, v73
	v_dual_mov_b32 v1, 0 :: v_dual_mov_b32 v0, 0
	v_dual_mov_b32 v7, 0 :: v_dual_mov_b32 v6, 0
	v_dual_mov_b32 v5, 0 :: v_dual_mov_b32 v4, 0
	v_dual_mov_b32 v29, 0 :: v_dual_mov_b32 v28, 0
	v_dual_mov_b32 v39, 0 :: v_dual_mov_b32 v38, 0
	v_dual_mov_b32 v37, 0 :: v_dual_mov_b32 v36, 0
	v_dual_mov_b32 v47, 0 :: v_dual_mov_b32 v46, 0
	v_dual_mov_b32 v45, 0 :: v_dual_mov_b32 v44, 0
	s_and_saveexec_b32 s39, vcc_lo
	s_cbranch_execz .LBB253_15
; %bb.27:                               ;   in Loop: Header=BB253_17 Depth=2
	v_subrev_nc_u32_e32 v0, s14, v73
	v_cmp_gt_u32_e32 vcc_lo, s16, v74
	v_dual_mov_b32 v23, 0 :: v_dual_mov_b32 v14, 0
	v_dual_mov_b32 v13, 0 :: v_dual_mov_b32 v4, 0
	s_delay_alu instid0(VALU_DEP_4) | instskip(SKIP_1) | instid1(VALU_DEP_2)
	v_dual_mov_b32 v21, 0 :: v_dual_lshlrev_b32 v76, 1, v0
	v_dual_mov_b32 v15, 0 :: v_dual_mov_b32 v6, 0
	v_dual_mov_b32 v20, 0 :: v_dual_add_nc_u32 v75, s38, v76
	v_dual_mov_b32 v5, 0 :: v_dual_mov_b32 v0, 0
	v_dual_mov_b32 v7, 0 :: v_dual_mov_b32 v2, 0
	s_delay_alu instid0(VALU_DEP_3) | instskip(SKIP_2) | instid1(VALU_DEP_3)
	v_dual_mov_b32 v22, 0 :: v_dual_add_nc_u32 v73, s38, v75
	v_mov_b32_e32 v1, 0
	v_dual_mov_b32 v3, 0 :: v_dual_mov_b32 v12, 0
	v_add_nc_u32_e32 v51, s38, v73
	ds_load_b128 v[44:47], v76
	ds_load_b128 v[36:39], v75
	;; [unrolled: 1-line block ×4, first 2 shown]
	s_and_saveexec_b32 s40, vcc_lo
	s_cbranch_execz .LBB253_14
; %bb.28:                               ;   in Loop: Header=BB253_17 Depth=2
	ds_load_b128 v[20:23], v76 offset:512
	ds_load_b128 v[12:15], v75 offset:512
	;; [unrolled: 1-line block ×4, first 2 shown]
	s_branch .LBB253_14
.LBB253_29:                             ;   in Loop: Header=BB253_12 Depth=1
	s_mov_b32 s1, exec_lo
	v_cmpx_le_u32_e64 s19, v50
	s_xor_b32 s1, exec_lo, s1
; %bb.30:                               ;   in Loop: Header=BB253_12 Depth=1
	v_add_nc_u32_e32 v50, s28, v50
                                        ; implicit-def: $vgpr65
                                        ; implicit-def: $vgpr66
                                        ; implicit-def: $vgpr67
                                        ; implicit-def: $vgpr68
                                        ; implicit-def: $vgpr70
                                        ; implicit-def: $vgpr71
                                        ; implicit-def: $vgpr69
                                        ; implicit-def: $vgpr72
; %bb.31:                               ;   in Loop: Header=BB253_12 Depth=1
	s_and_not1_saveexec_b32 s39, s1
	s_cbranch_execz .LBB253_11
; %bb.32:                               ;   in Loop: Header=BB253_12 Depth=1
	v_cvt_i32_f32_e32 v0, v72
	s_waitcnt lgkmcnt(2)
	v_cvt_i32_f32_e32 v1, v69
	v_cvt_i32_f32_e32 v2, v71
	s_waitcnt lgkmcnt(0)
	v_xor_b32_e32 v3, 16, v59
	s_waitcnt vmcnt(0)
	v_cvt_i32_f32_e32 v6, v67
	v_cvt_f32_i32_dpp v0, v0 row_shr:8 row_mask:0xf bank_mask:0xf bound_ctrl:1
	v_cvt_f32_i32_dpp v1, v1 row_shr:8 row_mask:0xf bank_mask:0xf bound_ctrl:1
	;; [unrolled: 1-line block ×3, first 2 shown]
	v_cmp_gt_i32_e32 vcc_lo, 32, v3
	v_cvt_i32_f32_e32 v10, v66
	s_delay_alu instid0(VALU_DEP_4) | instskip(SKIP_2) | instid1(VALU_DEP_4)
	v_dual_add_f32 v0, v72, v0 :: v_dual_add_f32 v1, v69, v1
	v_cvt_i32_f32_e32 v4, v70
	v_cvt_f32_i32_dpp v6, v6 row_shr:8 row_mask:0xf bank_mask:0xf bound_ctrl:1
	v_cvt_f32_i32_dpp v10, v10 row_shr:8 row_mask:0xf bank_mask:0xf bound_ctrl:1
	s_delay_alu instid0(VALU_DEP_4)
	v_cvt_i32_f32_e32 v7, v0
	v_cvt_i32_f32_e32 v8, v1
	;; [unrolled: 1-line block ×3, first 2 shown]
	v_cvt_f32_i32_dpp v4, v4 row_shr:8 row_mask:0xf bank_mask:0xf bound_ctrl:1
	v_add_f32_e32 v6, v67, v6
	v_cvt_f32_i32_dpp v7, v7 row_shr:4 row_mask:0xf bank_mask:0xf bound_ctrl:1
	v_cvt_f32_i32_dpp v8, v8 row_shr:4 row_mask:0xf bank_mask:0xf bound_ctrl:1
	v_add_f32_e32 v2, v71, v2
	v_cvt_i32_f32_e32 v5, v68
	v_cvt_f32_i32_dpp v11, v11 row_shr:8 row_mask:0xf bank_mask:0xf bound_ctrl:1
	s_delay_alu instid0(VALU_DEP_4) | instskip(NEXT) | instid1(VALU_DEP_4)
	v_add_f32_e32 v1, v1, v8
	v_cvt_i32_f32_e32 v9, v2
	s_delay_alu instid0(VALU_DEP_4) | instskip(NEXT) | instid1(VALU_DEP_3)
	v_cvt_f32_i32_dpp v5, v5 row_shr:8 row_mask:0xf bank_mask:0xf bound_ctrl:1
	v_cvt_i32_f32_e32 v8, v1
	s_delay_alu instid0(VALU_DEP_3) | instskip(SKIP_1) | instid1(VALU_DEP_3)
	v_cvt_f32_i32_dpp v9, v9 row_shr:4 row_mask:0xf bank_mask:0xf bound_ctrl:1
	v_cndmask_b32_e32 v3, v59, v3, vcc_lo
	v_cvt_f32_i32_dpp v8, v8 row_shr:2 row_mask:0xf bank_mask:0xf bound_ctrl:1
	s_delay_alu instid0(VALU_DEP_3) | instskip(SKIP_1) | instid1(VALU_DEP_4)
	v_add_f32_e32 v2, v2, v9
	v_add_f32_e32 v0, v0, v7
	v_dual_add_f32 v3, v70, v4 :: v_dual_lshlrev_b32 v14, 2, v3
	s_delay_alu instid0(VALU_DEP_4) | instskip(NEXT) | instid1(VALU_DEP_4)
	v_add_f32_e32 v1, v1, v8
	v_cvt_i32_f32_e32 v9, v2
	s_delay_alu instid0(VALU_DEP_4) | instskip(NEXT) | instid1(VALU_DEP_2)
	v_cvt_i32_f32_e32 v7, v0
	v_cvt_f32_i32_dpp v9, v9 row_shr:2 row_mask:0xf bank_mask:0xf bound_ctrl:1
	s_delay_alu instid0(VALU_DEP_2) | instskip(NEXT) | instid1(VALU_DEP_1)
	v_cvt_f32_i32_dpp v7, v7 row_shr:2 row_mask:0xf bank_mask:0xf bound_ctrl:1
	v_add_f32_e32 v0, v0, v7
	v_cvt_i32_f32_e32 v7, v1
	s_delay_alu instid0(VALU_DEP_1) | instskip(SKIP_2) | instid1(VALU_DEP_3)
	v_cvt_f32_i32_dpp v7, v7 row_shr:1 row_mask:0xf bank_mask:0xf bound_ctrl:1
	v_add_f32_e32 v2, v2, v9
	v_add_f32_e32 v9, v66, v10
	;; [unrolled: 1-line block ×3, first 2 shown]
	v_cvt_i32_f32_e32 v1, v6
	s_delay_alu instid0(VALU_DEP_4)
	v_cvt_i32_f32_e32 v8, v2
	ds_bpermute_b32 v16, v14, v15
	v_cvt_f32_i32_dpp v1, v1 row_shr:4 row_mask:0xf bank_mask:0xf bound_ctrl:1
	v_add_f32_e32 v10, v65, v11
	v_cvt_i32_f32_e32 v11, v3
	v_cvt_f32_i32_dpp v8, v8 row_shr:1 row_mask:0xf bank_mask:0xf bound_ctrl:1
	s_delay_alu instid0(VALU_DEP_4) | instskip(NEXT) | instid1(VALU_DEP_3)
	v_add_f32_e32 v1, v6, v1
	v_cvt_f32_i32_dpp v7, v11 row_shr:4 row_mask:0xf bank_mask:0xf bound_ctrl:1
	v_add_f32_e32 v4, v68, v5
	v_cvt_i32_f32_e32 v5, v0
	s_delay_alu instid0(VALU_DEP_3) | instskip(SKIP_1) | instid1(VALU_DEP_3)
	v_add_f32_e32 v3, v3, v7
	v_cvt_i32_f32_e32 v7, v1
	v_cvt_f32_i32_dpp v5, v5 row_shr:1 row_mask:0xf bank_mask:0xf bound_ctrl:1
	s_delay_alu instid0(VALU_DEP_2) | instskip(NEXT) | instid1(VALU_DEP_2)
	v_cvt_f32_i32_dpp v7, v7 row_shr:2 row_mask:0xf bank_mask:0xf bound_ctrl:1
	v_add_f32_e32 v18, v0, v5
	v_cvt_i32_f32_e32 v0, v4
	v_cvt_i32_f32_e32 v5, v10
	s_delay_alu instid0(VALU_DEP_4) | instskip(SKIP_4) | instid1(VALU_DEP_3)
	v_add_f32_e32 v1, v1, v7
	ds_bpermute_b32 v19, v14, v18
	v_cvt_f32_i32_dpp v0, v0 row_shr:4 row_mask:0xf bank_mask:0xf bound_ctrl:1
	v_cvt_f32_i32_dpp v5, v5 row_shr:4 row_mask:0xf bank_mask:0xf bound_ctrl:1
	v_cvt_i32_f32_e32 v7, v1
	v_add_f32_e32 v0, v4, v0
	s_delay_alu instid0(VALU_DEP_2) | instskip(NEXT) | instid1(VALU_DEP_2)
	v_cvt_f32_i32_dpp v11, v7 row_shr:1 row_mask:0xf bank_mask:0xf bound_ctrl:1
	v_cvt_i32_f32_e32 v6, v0
	s_delay_alu instid0(VALU_DEP_1) | instskip(NEXT) | instid1(VALU_DEP_1)
	v_cvt_f32_i32_dpp v6, v6 row_shr:2 row_mask:0xf bank_mask:0xf bound_ctrl:1
	v_add_f32_e32 v0, v0, v6
	s_delay_alu instid0(VALU_DEP_1) | instskip(NEXT) | instid1(VALU_DEP_1)
	v_cvt_i32_f32_e32 v6, v0
	v_cvt_f32_i32_dpp v6, v6 row_shr:1 row_mask:0xf bank_mask:0xf bound_ctrl:1
	v_add_f32_e32 v4, v10, v5
	v_cvt_i32_f32_e32 v5, v3
	s_delay_alu instid0(VALU_DEP_3) | instskip(NEXT) | instid1(VALU_DEP_2)
	v_add_f32_e32 v7, v0, v6
	v_cvt_f32_i32_dpp v5, v5 row_shr:2 row_mask:0xf bank_mask:0xf bound_ctrl:1
	v_add_f32_e32 v12, v2, v8
	v_cvt_i32_f32_e32 v2, v9
	s_delay_alu instid0(VALU_DEP_3) | instskip(SKIP_2) | instid1(VALU_DEP_1)
	v_add_f32_e32 v3, v3, v5
	ds_bpermute_b32 v13, v14, v12
	v_cvt_f32_i32_dpp v2, v2 row_shr:4 row_mask:0xf bank_mask:0xf bound_ctrl:1
	v_add_f32_e32 v2, v9, v2
	v_cvt_i32_f32_e32 v9, v4
	s_delay_alu instid0(VALU_DEP_1) | instskip(NEXT) | instid1(VALU_DEP_1)
	v_cvt_f32_i32_dpp v9, v9 row_shr:2 row_mask:0xf bank_mask:0xf bound_ctrl:1
	v_add_f32_e32 v5, v4, v9
	s_delay_alu instid0(VALU_DEP_4) | instskip(SKIP_1) | instid1(VALU_DEP_3)
	v_cvt_i32_f32_e32 v8, v2
	v_cvt_i32_f32_e32 v4, v3
	;; [unrolled: 1-line block ×3, first 2 shown]
	s_delay_alu instid0(VALU_DEP_3) | instskip(NEXT) | instid1(VALU_DEP_3)
	v_cvt_f32_i32_dpp v8, v8 row_shr:2 row_mask:0xf bank_mask:0xf bound_ctrl:1
	v_cvt_f32_i32_dpp v4, v4 row_shr:1 row_mask:0xf bank_mask:0xf bound_ctrl:1
	s_delay_alu instid0(VALU_DEP_3) | instskip(NEXT) | instid1(VALU_DEP_3)
	v_cvt_f32_i32_dpp v9, v9 row_shr:1 row_mask:0xf bank_mask:0xf bound_ctrl:1
	v_add_f32_e32 v2, v2, v8
	s_delay_alu instid0(VALU_DEP_3) | instskip(SKIP_1) | instid1(VALU_DEP_4)
	v_add_f32_e32 v10, v3, v4
	v_add_f32_e32 v4, v1, v11
	;; [unrolled: 1-line block ×3, first 2 shown]
	s_delay_alu instid0(VALU_DEP_4) | instskip(SKIP_4) | instid1(VALU_DEP_1)
	v_cvt_i32_f32_e32 v8, v2
	ds_bpermute_b32 v11, v14, v10
	ds_bpermute_b32 v5, v14, v4
	;; [unrolled: 1-line block ×3, first 2 shown]
	v_cvt_f32_i32_dpp v8, v8 row_shr:1 row_mask:0xf bank_mask:0xf bound_ctrl:1
	v_add_f32_e32 v2, v2, v8
	ds_bpermute_b32 v8, v14, v7
	ds_bpermute_b32 v3, v14, v2
	s_and_saveexec_b32 s14, s0
	s_cbranch_execz .LBB253_83
; %bb.33:                               ;   in Loop: Header=BB253_12 Depth=1
	v_dual_mov_b32 v23, 0 :: v_dual_mov_b32 v22, 0
	v_dual_mov_b32 v21, 0 :: v_dual_mov_b32 v20, 0
	;; [unrolled: 1-line block ×4, first 2 shown]
	s_and_not1_b32 vcc_lo, exec_lo, s29
	s_cbranch_vccnz .LBB253_35
; %bb.34:                               ;   in Loop: Header=BB253_12 Depth=1
	v_dual_mov_b32 v21, v52 :: v_dual_add_nc_u32 v6, 1, v50
	v_mul_hi_u32 v9, v50, v64
	s_delay_alu instid0(VALU_DEP_2) | instskip(NEXT) | instid1(VALU_DEP_2)
	v_mul_hi_u32 v14, v6, v64
	v_mul_lo_u32 v9, v9, s4
	s_delay_alu instid0(VALU_DEP_2) | instskip(NEXT) | instid1(VALU_DEP_2)
	v_mul_lo_u32 v14, v14, s4
	v_sub_nc_u32_e32 v9, v50, v9
	s_delay_alu instid0(VALU_DEP_2) | instskip(NEXT) | instid1(VALU_DEP_2)
	v_sub_nc_u32_e32 v6, v6, v14
	v_subrev_nc_u32_e32 v14, s4, v9
	v_cmp_le_u32_e32 vcc_lo, s4, v9
	s_delay_alu instid0(VALU_DEP_3) | instskip(NEXT) | instid1(VALU_DEP_3)
	v_subrev_nc_u32_e32 v17, s4, v6
	v_cndmask_b32_e32 v9, v9, v14, vcc_lo
	v_cmp_le_u32_e32 vcc_lo, s4, v6
	s_delay_alu instid0(VALU_DEP_3) | instskip(NEXT) | instid1(VALU_DEP_3)
	v_cndmask_b32_e32 v6, v6, v17, vcc_lo
	v_subrev_nc_u32_e32 v14, s4, v9
	v_cmp_le_u32_e32 vcc_lo, s4, v9
	v_mov_b32_e32 v24, v52
	s_delay_alu instid0(VALU_DEP_4) | instskip(NEXT) | instid1(VALU_DEP_4)
	v_subrev_nc_u32_e32 v17, s4, v6
	v_cndmask_b32_e32 v51, v9, v14, vcc_lo
	v_cmp_le_u32_e32 vcc_lo, s4, v6
	v_mov_b32_e32 v23, v52
	v_mov_b32_e32 v27, v52
	s_delay_alu instid0(VALU_DEP_4)
	v_dual_mov_b32 v26, v52 :: v_dual_add_nc_u32 v25, s33, v51
	v_cndmask_b32_e32 v20, v6, v17, vcc_lo
	v_lshlrev_b64 v[28:29], 1, v[51:52]
	v_add_nc_u32_e32 v22, s31, v51
	v_add_nc_u32_e32 v51, s37, v51
	v_lshlrev_b64 v[32:33], 1, v[25:26]
	v_lshlrev_b64 v[30:31], 1, v[20:21]
	v_add_nc_u32_e32 v26, s33, v20
	v_lshlrev_b64 v[21:22], 1, v[22:23]
	v_add_co_u32 v28, vcc_lo, s10, v28
	v_add_nc_u32_e32 v23, s31, v20
	v_add_co_ci_u32_e32 v29, vcc_lo, s11, v29, vcc_lo
	v_add_co_u32 v30, vcc_lo, s10, v30
	v_add_co_ci_u32_e32 v31, vcc_lo, s11, v31, vcc_lo
	v_lshlrev_b64 v[34:35], 1, v[51:52]
	v_add_nc_u32_e32 v51, s37, v20
	v_lshlrev_b64 v[23:24], 1, v[23:24]
	v_add_co_u32 v20, vcc_lo, s10, v21
	v_add_co_ci_u32_e32 v21, vcc_lo, s11, v22, vcc_lo
	v_lshlrev_b64 v[25:26], 1, v[26:27]
	v_add_co_u32 v32, vcc_lo, s10, v32
	v_add_co_ci_u32_e32 v33, vcc_lo, s11, v33, vcc_lo
	v_add_co_u32 v36, vcc_lo, s10, v23
	v_add_co_ci_u32_e32 v37, vcc_lo, s11, v24, vcc_lo
	v_add_co_u32 v24, vcc_lo, s10, v25
	v_lshlrev_b64 v[22:23], 1, v[51:52]
	v_add_co_ci_u32_e32 v25, vcc_lo, s11, v26, vcc_lo
	v_add_co_u32 v26, vcc_lo, s10, v34
	v_add_co_ci_u32_e32 v27, vcc_lo, s11, v35, vcc_lo
	s_delay_alu instid0(VALU_DEP_4)
	v_add_co_u32 v34, vcc_lo, s10, v22
	v_add_co_ci_u32_e32 v35, vcc_lo, s11, v23, vcc_lo
	s_clause 0x7
	global_load_u16 v23, v[28:29], off
	global_load_u16 v22, v[30:31], off
	;; [unrolled: 1-line block ×8, first 2 shown]
.LBB253_35:                             ;   in Loop: Header=BB253_12 Depth=1
	v_cmp_ne_u32_e32 vcc_lo, 0, v48
	s_and_saveexec_b32 s2, vcc_lo
	s_cbranch_execnz .LBB253_43
; %bb.36:                               ;   in Loop: Header=BB253_12 Depth=1
	s_or_b32 exec_lo, exec_lo, s2
	v_cmp_ne_u32_e64 s1, 0, v49
	s_delay_alu instid0(VALU_DEP_1)
	s_and_saveexec_b32 s15, s1
	s_cbranch_execnz .LBB253_48
.LBB253_37:                             ;   in Loop: Header=BB253_12 Depth=1
	s_or_b32 exec_lo, exec_lo, s15
	v_add_nc_u32_e32 v51, s19, v50
	s_and_saveexec_b32 s15, vcc_lo
	s_cbranch_execnz .LBB253_53
.LBB253_38:                             ;   in Loop: Header=BB253_12 Depth=1
	s_or_b32 exec_lo, exec_lo, s15
	s_and_saveexec_b32 s15, s1
	s_cbranch_execnz .LBB253_58
.LBB253_39:                             ;   in Loop: Header=BB253_12 Depth=1
	s_or_b32 exec_lo, exec_lo, s15
	v_add_nc_u32_e32 v51, s19, v51
	s_and_saveexec_b32 s15, vcc_lo
	s_cbranch_execnz .LBB253_63
.LBB253_40:                             ;   in Loop: Header=BB253_12 Depth=1
	s_or_b32 exec_lo, exec_lo, s15
	s_and_saveexec_b32 s15, s1
	s_cbranch_execnz .LBB253_68
.LBB253_41:                             ;   in Loop: Header=BB253_12 Depth=1
	s_or_b32 exec_lo, exec_lo, s15
	v_add_nc_u32_e32 v51, s19, v51
	s_and_saveexec_b32 s2, vcc_lo
	s_cbranch_execnz .LBB253_73
.LBB253_42:                             ;   in Loop: Header=BB253_12 Depth=1
	s_or_b32 exec_lo, exec_lo, s2
	s_delay_alu instid0(SALU_CYCLE_1)
	s_and_b32 exec_lo, exec_lo, s1
	s_cbranch_execnz .LBB253_78
	s_branch .LBB253_83
.LBB253_43:                             ;   in Loop: Header=BB253_12 Depth=1
	s_waitcnt lgkmcnt(6)
	v_add_f32_e32 v18, v18, v19
	s_waitcnt vmcnt(7)
	v_lshlrev_b32_e32 v19, 16, v23
	s_delay_alu instid0(VALU_DEP_1) | instskip(NEXT) | instid1(VALU_DEP_1)
	v_add_f32_e32 v19, v18, v19
	v_and_b32_e32 v18, 0x7f800000, v19
	s_delay_alu instid0(VALU_DEP_1) | instskip(NEXT) | instid1(VALU_DEP_1)
	v_cmp_ne_u32_e64 s1, 0x7f800000, v18
                                        ; implicit-def: $vgpr18
	s_and_saveexec_b32 s15, s1
	s_delay_alu instid0(SALU_CYCLE_1)
	s_xor_b32 s1, exec_lo, s15
; %bb.44:                               ;   in Loop: Header=BB253_12 Depth=1
	v_bfe_u32 v18, v19, 16, 1
	s_delay_alu instid0(VALU_DEP_1)
	v_add3_u32 v18, v19, v18, 0x7fff
                                        ; implicit-def: $vgpr19
; %bb.45:                               ;   in Loop: Header=BB253_12 Depth=1
	s_and_not1_saveexec_b32 s15, s1
; %bb.46:                               ;   in Loop: Header=BB253_12 Depth=1
	v_and_b32_e32 v18, 0xffff, v19
	v_or_b32_e32 v23, 0x10000, v19
	s_delay_alu instid0(VALU_DEP_2) | instskip(NEXT) | instid1(VALU_DEP_1)
	v_cmp_eq_u32_e64 s1, 0, v18
	v_cndmask_b32_e64 v18, v23, v19, s1
; %bb.47:                               ;   in Loop: Header=BB253_12 Depth=1
	s_or_b32 exec_lo, exec_lo, s15
	v_mov_b32_e32 v51, v52
	s_delay_alu instid0(VALU_DEP_1) | instskip(NEXT) | instid1(VALU_DEP_1)
	v_lshlrev_b64 v[23:24], 1, v[50:51]
	v_add_co_u32 v23, s1, s12, v23
	s_delay_alu instid0(VALU_DEP_1) | instskip(SKIP_3) | instid1(VALU_DEP_1)
	v_add_co_ci_u32_e64 v24, s1, s13, v24, s1
	global_store_d16_hi_b16 v[23:24], v18, off
	s_or_b32 exec_lo, exec_lo, s2
	v_cmp_ne_u32_e64 s1, 0, v49
	s_and_saveexec_b32 s15, s1
	s_cbranch_execz .LBB253_37
.LBB253_48:                             ;   in Loop: Header=BB253_12 Depth=1
	s_waitcnt vmcnt(6) lgkmcnt(7)
	v_dual_add_f32 v15, v15, v16 :: v_dual_lshlrev_b32 v16, 16, v22
	s_delay_alu instid0(VALU_DEP_1) | instskip(NEXT) | instid1(VALU_DEP_1)
	v_add_f32_e32 v16, v15, v16
	v_and_b32_e32 v15, 0x7f800000, v16
	s_delay_alu instid0(VALU_DEP_1) | instskip(NEXT) | instid1(VALU_DEP_1)
	v_cmp_ne_u32_e64 s2, 0x7f800000, v15
                                        ; implicit-def: $vgpr15
	s_and_saveexec_b32 s40, s2
	s_delay_alu instid0(SALU_CYCLE_1)
	s_xor_b32 s2, exec_lo, s40
; %bb.49:                               ;   in Loop: Header=BB253_12 Depth=1
	v_bfe_u32 v15, v16, 16, 1
	s_delay_alu instid0(VALU_DEP_1)
	v_add3_u32 v15, v16, v15, 0x7fff
                                        ; implicit-def: $vgpr16
; %bb.50:                               ;   in Loop: Header=BB253_12 Depth=1
	s_and_not1_saveexec_b32 s40, s2
; %bb.51:                               ;   in Loop: Header=BB253_12 Depth=1
	v_and_b32_e32 v15, 0xffff, v16
	v_or_b32_e32 v18, 0x10000, v16
	s_delay_alu instid0(VALU_DEP_2) | instskip(NEXT) | instid1(VALU_DEP_1)
	v_cmp_eq_u32_e64 s2, 0, v15
	v_cndmask_b32_e64 v15, v18, v16, s2
; %bb.52:                               ;   in Loop: Header=BB253_12 Depth=1
	s_or_b32 exec_lo, exec_lo, s40
	v_mov_b32_e32 v51, v52
	s_waitcnt lgkmcnt(6)
	s_delay_alu instid0(VALU_DEP_1) | instskip(NEXT) | instid1(VALU_DEP_1)
	v_lshlrev_b64 v[18:19], 1, v[50:51]
	v_add_co_u32 v18, s2, s34, v18
	s_delay_alu instid0(VALU_DEP_1)
	v_add_co_ci_u32_e64 v19, s2, s35, v19, s2
	global_store_d16_hi_b16 v[18:19], v15, off
	s_or_b32 exec_lo, exec_lo, s15
	v_add_nc_u32_e32 v51, s19, v50
	s_and_saveexec_b32 s15, vcc_lo
	s_cbranch_execz .LBB253_38
.LBB253_53:                             ;   in Loop: Header=BB253_12 Depth=1
	s_waitcnt lgkmcnt(5)
	v_add_f32_e32 v12, v12, v13
	s_waitcnt vmcnt(5)
	v_lshlrev_b32_e32 v13, 16, v21
	s_delay_alu instid0(VALU_DEP_1) | instskip(NEXT) | instid1(VALU_DEP_1)
	v_add_f32_e32 v13, v12, v13
	v_and_b32_e32 v12, 0x7f800000, v13
	s_delay_alu instid0(VALU_DEP_1) | instskip(NEXT) | instid1(VALU_DEP_1)
	v_cmp_ne_u32_e64 s2, 0x7f800000, v12
                                        ; implicit-def: $vgpr12
	s_and_saveexec_b32 s40, s2
	s_delay_alu instid0(SALU_CYCLE_1)
	s_xor_b32 s2, exec_lo, s40
; %bb.54:                               ;   in Loop: Header=BB253_12 Depth=1
	v_bfe_u32 v12, v13, 16, 1
	s_delay_alu instid0(VALU_DEP_1)
	v_add3_u32 v12, v13, v12, 0x7fff
                                        ; implicit-def: $vgpr13
; %bb.55:                               ;   in Loop: Header=BB253_12 Depth=1
	s_and_not1_saveexec_b32 s40, s2
; %bb.56:                               ;   in Loop: Header=BB253_12 Depth=1
	v_and_b32_e32 v12, 0xffff, v13
	v_or_b32_e32 v15, 0x10000, v13
	s_delay_alu instid0(VALU_DEP_2) | instskip(NEXT) | instid1(VALU_DEP_1)
	v_cmp_eq_u32_e64 s2, 0, v12
	v_cndmask_b32_e64 v12, v15, v13, s2
; %bb.57:                               ;   in Loop: Header=BB253_12 Depth=1
	s_or_b32 exec_lo, exec_lo, s40
	v_lshlrev_b64 v[15:16], 1, v[51:52]
	s_delay_alu instid0(VALU_DEP_1) | instskip(NEXT) | instid1(VALU_DEP_1)
	v_add_co_u32 v15, s2, s12, v15
	v_add_co_ci_u32_e64 v16, s2, s13, v16, s2
	global_store_d16_hi_b16 v[15:16], v12, off
	s_or_b32 exec_lo, exec_lo, s15
	s_and_saveexec_b32 s15, s1
	s_cbranch_execz .LBB253_39
.LBB253_58:                             ;   in Loop: Header=BB253_12 Depth=1
	s_waitcnt vmcnt(4) lgkmcnt(4)
	v_dual_add_f32 v10, v10, v11 :: v_dual_lshlrev_b32 v11, 16, v20
	s_delay_alu instid0(VALU_DEP_1) | instskip(NEXT) | instid1(VALU_DEP_1)
	v_add_f32_e32 v11, v10, v11
	v_and_b32_e32 v10, 0x7f800000, v11
	s_delay_alu instid0(VALU_DEP_1) | instskip(NEXT) | instid1(VALU_DEP_1)
	v_cmp_ne_u32_e64 s2, 0x7f800000, v10
                                        ; implicit-def: $vgpr10
	s_and_saveexec_b32 s40, s2
	s_delay_alu instid0(SALU_CYCLE_1)
	s_xor_b32 s2, exec_lo, s40
; %bb.59:                               ;   in Loop: Header=BB253_12 Depth=1
	v_bfe_u32 v10, v11, 16, 1
	s_delay_alu instid0(VALU_DEP_1)
	v_add3_u32 v10, v11, v10, 0x7fff
                                        ; implicit-def: $vgpr11
; %bb.60:                               ;   in Loop: Header=BB253_12 Depth=1
	s_and_not1_saveexec_b32 s40, s2
; %bb.61:                               ;   in Loop: Header=BB253_12 Depth=1
	v_and_b32_e32 v10, 0xffff, v11
	v_or_b32_e32 v12, 0x10000, v11
	s_delay_alu instid0(VALU_DEP_2) | instskip(NEXT) | instid1(VALU_DEP_1)
	v_cmp_eq_u32_e64 s2, 0, v10
	v_cndmask_b32_e64 v10, v12, v11, s2
; %bb.62:                               ;   in Loop: Header=BB253_12 Depth=1
	s_or_b32 exec_lo, exec_lo, s40
	v_dual_mov_b32 v12, v52 :: v_dual_add_nc_u32 v11, 1, v51
	s_delay_alu instid0(VALU_DEP_1) | instskip(NEXT) | instid1(VALU_DEP_1)
	v_lshlrev_b64 v[11:12], 1, v[11:12]
	v_add_co_u32 v11, s2, s12, v11
	s_delay_alu instid0(VALU_DEP_1)
	v_add_co_ci_u32_e64 v12, s2, s13, v12, s2
	global_store_d16_hi_b16 v[11:12], v10, off
	s_or_b32 exec_lo, exec_lo, s15
	v_add_nc_u32_e32 v51, s19, v51
	s_and_saveexec_b32 s15, vcc_lo
	s_cbranch_execz .LBB253_40
.LBB253_63:                             ;   in Loop: Header=BB253_12 Depth=1
	s_waitcnt vmcnt(3) lgkmcnt(1)
	v_dual_add_f32 v7, v7, v8 :: v_dual_lshlrev_b32 v8, 16, v17
	s_delay_alu instid0(VALU_DEP_1) | instskip(NEXT) | instid1(VALU_DEP_1)
	v_add_f32_e32 v8, v7, v8
	v_and_b32_e32 v7, 0x7f800000, v8
	s_delay_alu instid0(VALU_DEP_1) | instskip(NEXT) | instid1(VALU_DEP_1)
	v_cmp_ne_u32_e64 s2, 0x7f800000, v7
                                        ; implicit-def: $vgpr7
	s_and_saveexec_b32 s40, s2
	s_delay_alu instid0(SALU_CYCLE_1)
	s_xor_b32 s2, exec_lo, s40
; %bb.64:                               ;   in Loop: Header=BB253_12 Depth=1
	v_bfe_u32 v7, v8, 16, 1
	s_delay_alu instid0(VALU_DEP_1)
	v_add3_u32 v7, v8, v7, 0x7fff
                                        ; implicit-def: $vgpr8
; %bb.65:                               ;   in Loop: Header=BB253_12 Depth=1
	s_and_not1_saveexec_b32 s40, s2
; %bb.66:                               ;   in Loop: Header=BB253_12 Depth=1
	v_and_b32_e32 v7, 0xffff, v8
	v_or_b32_e32 v10, 0x10000, v8
	s_delay_alu instid0(VALU_DEP_2) | instskip(NEXT) | instid1(VALU_DEP_1)
	v_cmp_eq_u32_e64 s2, 0, v7
	v_cndmask_b32_e64 v7, v10, v8, s2
; %bb.67:                               ;   in Loop: Header=BB253_12 Depth=1
	s_or_b32 exec_lo, exec_lo, s40
	v_lshlrev_b64 v[10:11], 1, v[51:52]
	s_delay_alu instid0(VALU_DEP_1) | instskip(NEXT) | instid1(VALU_DEP_1)
	v_add_co_u32 v10, s2, s12, v10
	v_add_co_ci_u32_e64 v11, s2, s13, v11, s2
	global_store_d16_hi_b16 v[10:11], v7, off
	s_or_b32 exec_lo, exec_lo, s15
	s_and_saveexec_b32 s15, s1
	s_cbranch_execz .LBB253_41
.LBB253_68:                             ;   in Loop: Header=BB253_12 Depth=1
	s_waitcnt vmcnt(2) lgkmcnt(3)
	v_dual_add_f32 v4, v4, v5 :: v_dual_lshlrev_b32 v5, 16, v14
	s_delay_alu instid0(VALU_DEP_1) | instskip(NEXT) | instid1(VALU_DEP_1)
	v_add_f32_e32 v5, v4, v5
	v_and_b32_e32 v4, 0x7f800000, v5
	s_delay_alu instid0(VALU_DEP_1) | instskip(NEXT) | instid1(VALU_DEP_1)
	v_cmp_ne_u32_e64 s2, 0x7f800000, v4
                                        ; implicit-def: $vgpr4
	s_and_saveexec_b32 s40, s2
	s_delay_alu instid0(SALU_CYCLE_1)
	s_xor_b32 s2, exec_lo, s40
; %bb.69:                               ;   in Loop: Header=BB253_12 Depth=1
	v_bfe_u32 v4, v5, 16, 1
	s_delay_alu instid0(VALU_DEP_1)
	v_add3_u32 v4, v5, v4, 0x7fff
                                        ; implicit-def: $vgpr5
; %bb.70:                               ;   in Loop: Header=BB253_12 Depth=1
	s_and_not1_saveexec_b32 s40, s2
; %bb.71:                               ;   in Loop: Header=BB253_12 Depth=1
	v_and_b32_e32 v4, 0xffff, v5
	v_or_b32_e32 v7, 0x10000, v5
	s_delay_alu instid0(VALU_DEP_2) | instskip(NEXT) | instid1(VALU_DEP_1)
	v_cmp_eq_u32_e64 s2, 0, v4
	v_cndmask_b32_e64 v4, v7, v5, s2
; %bb.72:                               ;   in Loop: Header=BB253_12 Depth=1
	s_or_b32 exec_lo, exec_lo, s40
	s_waitcnt lgkmcnt(1)
	v_dual_mov_b32 v8, v52 :: v_dual_add_nc_u32 v7, 1, v51
	s_delay_alu instid0(VALU_DEP_1) | instskip(NEXT) | instid1(VALU_DEP_1)
	v_lshlrev_b64 v[7:8], 1, v[7:8]
	v_add_co_u32 v7, s2, s12, v7
	s_delay_alu instid0(VALU_DEP_1)
	v_add_co_ci_u32_e64 v8, s2, s13, v8, s2
	global_store_d16_hi_b16 v[7:8], v4, off
	s_or_b32 exec_lo, exec_lo, s15
	v_add_nc_u32_e32 v51, s19, v51
	s_and_saveexec_b32 s2, vcc_lo
	s_cbranch_execz .LBB253_42
.LBB253_73:                             ;   in Loop: Header=BB253_12 Depth=1
	s_waitcnt vmcnt(1) lgkmcnt(0)
	v_dual_add_f32 v2, v2, v3 :: v_dual_lshlrev_b32 v3, 16, v9
	s_delay_alu instid0(VALU_DEP_1) | instskip(NEXT) | instid1(VALU_DEP_1)
	v_add_f32_e32 v3, v2, v3
	v_and_b32_e32 v2, 0x7f800000, v3
	s_delay_alu instid0(VALU_DEP_1) | instskip(SKIP_1) | instid1(SALU_CYCLE_1)
	v_cmp_ne_u32_e32 vcc_lo, 0x7f800000, v2
                                        ; implicit-def: $vgpr2
	s_and_saveexec_b32 s15, vcc_lo
	s_xor_b32 s15, exec_lo, s15
; %bb.74:                               ;   in Loop: Header=BB253_12 Depth=1
	v_bfe_u32 v2, v3, 16, 1
	s_delay_alu instid0(VALU_DEP_1)
	v_add3_u32 v2, v3, v2, 0x7fff
                                        ; implicit-def: $vgpr3
; %bb.75:                               ;   in Loop: Header=BB253_12 Depth=1
	s_and_not1_saveexec_b32 s15, s15
; %bb.76:                               ;   in Loop: Header=BB253_12 Depth=1
	v_and_b32_e32 v2, 0xffff, v3
	v_or_b32_e32 v4, 0x10000, v3
	s_delay_alu instid0(VALU_DEP_2) | instskip(NEXT) | instid1(VALU_DEP_2)
	v_cmp_eq_u32_e32 vcc_lo, 0, v2
	v_cndmask_b32_e32 v2, v4, v3, vcc_lo
; %bb.77:                               ;   in Loop: Header=BB253_12 Depth=1
	s_or_b32 exec_lo, exec_lo, s15
	v_lshlrev_b64 v[3:4], 1, v[51:52]
	s_delay_alu instid0(VALU_DEP_1) | instskip(NEXT) | instid1(VALU_DEP_2)
	v_add_co_u32 v3, vcc_lo, s12, v3
	v_add_co_ci_u32_e32 v4, vcc_lo, s13, v4, vcc_lo
	global_store_d16_hi_b16 v[3:4], v2, off
	s_or_b32 exec_lo, exec_lo, s2
	s_delay_alu instid0(SALU_CYCLE_1)
	s_and_b32 exec_lo, exec_lo, s1
	s_cbranch_execz .LBB253_83
.LBB253_78:                             ;   in Loop: Header=BB253_12 Depth=1
	s_waitcnt vmcnt(0) lgkmcnt(2)
	v_dual_add_f32 v0, v0, v1 :: v_dual_lshlrev_b32 v1, 16, v6
	s_delay_alu instid0(VALU_DEP_1) | instskip(NEXT) | instid1(VALU_DEP_1)
	v_add_f32_e32 v1, v0, v1
	v_and_b32_e32 v0, 0x7f800000, v1
	s_delay_alu instid0(VALU_DEP_1) | instskip(SKIP_1) | instid1(SALU_CYCLE_1)
	v_cmp_ne_u32_e32 vcc_lo, 0x7f800000, v0
                                        ; implicit-def: $vgpr0
	s_and_saveexec_b32 s1, vcc_lo
	s_xor_b32 s1, exec_lo, s1
; %bb.79:                               ;   in Loop: Header=BB253_12 Depth=1
	v_bfe_u32 v0, v1, 16, 1
	s_delay_alu instid0(VALU_DEP_1)
	v_add3_u32 v0, v1, v0, 0x7fff
                                        ; implicit-def: $vgpr1
; %bb.80:                               ;   in Loop: Header=BB253_12 Depth=1
	s_and_not1_saveexec_b32 s1, s1
; %bb.81:                               ;   in Loop: Header=BB253_12 Depth=1
	v_and_b32_e32 v0, 0xffff, v1
	v_or_b32_e32 v2, 0x10000, v1
	s_delay_alu instid0(VALU_DEP_2) | instskip(NEXT) | instid1(VALU_DEP_2)
	v_cmp_eq_u32_e32 vcc_lo, 0, v0
	v_cndmask_b32_e32 v0, v2, v1, vcc_lo
; %bb.82:                               ;   in Loop: Header=BB253_12 Depth=1
	s_or_b32 exec_lo, exec_lo, s1
	v_add_nc_u32_e32 v51, 1, v51
	s_delay_alu instid0(VALU_DEP_1) | instskip(NEXT) | instid1(VALU_DEP_1)
	v_lshlrev_b64 v[1:2], 1, v[51:52]
	v_add_co_u32 v1, vcc_lo, s12, v1
	s_delay_alu instid0(VALU_DEP_2)
	v_add_co_ci_u32_e32 v2, vcc_lo, s13, v2, vcc_lo
	global_store_d16_hi_b16 v[1:2], v0, off
.LBB253_83:                             ;   in Loop: Header=BB253_12 Depth=1
	s_or_b32 exec_lo, exec_lo, s14
	v_add_nc_u32_e32 v50, s28, v50
	s_delay_alu instid0(VALU_DEP_1) | instskip(SKIP_1) | instid1(VALU_DEP_2)
	v_add_nc_u32_e32 v0, 2, v50
	v_cmp_gt_u32_e32 vcc_lo, s19, v50
	v_cmp_le_u32_e64 s1, s19, v0
	s_delay_alu instid0(VALU_DEP_1) | instskip(NEXT) | instid1(SALU_CYCLE_1)
	s_and_b32 s1, vcc_lo, s1
	s_and_saveexec_b32 s40, s1
	s_cbranch_execz .LBB253_10
; %bb.84:                               ;   in Loop: Header=BB253_12 Depth=1
	s_mov_b32 s41, exec_lo
	v_cmpx_ne_u32_e64 s30, v50
	s_cbranch_execz .LBB253_9
; %bb.85:                               ;   in Loop: Header=BB253_12 Depth=1
	v_subrev_nc_u32_e32 v0, s30, v50
	s_mov_b32 s42, 0
	s_mov_b64 s[14:15], 0
	s_delay_alu instid0(VALU_DEP_1)
	v_cmp_lt_u32_e32 vcc_lo, 1, v0
	v_cndmask_b32_e32 v0, 1, v0, vcc_lo
.LBB253_86:                             ;   Parent Loop BB253_12 Depth=1
                                        ; =>  This Inner Loop Header: Depth=2
	s_cmp_lg_u32 s14, 1
	s_cselect_b32 vcc_lo, -1, 0
	s_cmp_lg_u32 s14, 0
	v_cndmask_b32_e32 v49, 0, v49, vcc_lo
	s_cselect_b32 s1, -1, 0
	s_add_u32 s14, s14, 1
	v_cndmask_b32_e64 v48, 0, v48, s1
	v_cmp_eq_u32_e64 s2, s14, v0
	s_addc_u32 s15, s15, 0
	s_delay_alu instid0(VALU_DEP_1) | instskip(NEXT) | instid1(SALU_CYCLE_1)
	s_or_b32 s42, s2, s42
	s_and_not1_b32 exec_lo, exec_lo, s42
	s_cbranch_execnz .LBB253_86
; %bb.87:                               ;   in Loop: Header=BB253_12 Depth=1
	s_or_b32 exec_lo, exec_lo, s42
	s_branch .LBB253_9
.LBB253_88:
	s_nop 0
	s_sendmsg sendmsg(MSG_DEALLOC_VGPRS)
	s_endpgm
	.section	.rodata,"a",@progbits
	.p2align	6, 0x0
	.amdhsa_kernel _Z16wvSplitK_hf_big_I14__hip_bfloat16Li32ELi2ELi16ELi8ELi2ELi4EEviiiiiiPKT_S3_S3_PS1_ii
		.amdhsa_group_segment_fixed_size 65536
		.amdhsa_private_segment_fixed_size 0
		.amdhsa_kernarg_size 64
		.amdhsa_user_sgpr_count 15
		.amdhsa_user_sgpr_dispatch_ptr 0
		.amdhsa_user_sgpr_queue_ptr 0
		.amdhsa_user_sgpr_kernarg_segment_ptr 1
		.amdhsa_user_sgpr_dispatch_id 0
		.amdhsa_user_sgpr_private_segment_size 0
		.amdhsa_wavefront_size32 1
		.amdhsa_uses_dynamic_stack 0
		.amdhsa_enable_private_segment 0
		.amdhsa_system_sgpr_workgroup_id_x 1
		.amdhsa_system_sgpr_workgroup_id_y 0
		.amdhsa_system_sgpr_workgroup_id_z 0
		.amdhsa_system_sgpr_workgroup_info 0
		.amdhsa_system_vgpr_workitem_id 1
		.amdhsa_next_free_vgpr 84
		.amdhsa_next_free_sgpr 43
		.amdhsa_reserve_vcc 1
		.amdhsa_float_round_mode_32 0
		.amdhsa_float_round_mode_16_64 0
		.amdhsa_float_denorm_mode_32 3
		.amdhsa_float_denorm_mode_16_64 3
		.amdhsa_dx10_clamp 1
		.amdhsa_ieee_mode 1
		.amdhsa_fp16_overflow 0
		.amdhsa_workgroup_processor_mode 1
		.amdhsa_memory_ordered 1
		.amdhsa_forward_progress 0
		.amdhsa_shared_vgpr_count 0
		.amdhsa_exception_fp_ieee_invalid_op 0
		.amdhsa_exception_fp_denorm_src 0
		.amdhsa_exception_fp_ieee_div_zero 0
		.amdhsa_exception_fp_ieee_overflow 0
		.amdhsa_exception_fp_ieee_underflow 0
		.amdhsa_exception_fp_ieee_inexact 0
		.amdhsa_exception_int_div_zero 0
	.end_amdhsa_kernel
	.section	.text._Z16wvSplitK_hf_big_I14__hip_bfloat16Li32ELi2ELi16ELi8ELi2ELi4EEviiiiiiPKT_S3_S3_PS1_ii,"axG",@progbits,_Z16wvSplitK_hf_big_I14__hip_bfloat16Li32ELi2ELi16ELi8ELi2ELi4EEviiiiiiPKT_S3_S3_PS1_ii,comdat
.Lfunc_end253:
	.size	_Z16wvSplitK_hf_big_I14__hip_bfloat16Li32ELi2ELi16ELi8ELi2ELi4EEviiiiiiPKT_S3_S3_PS1_ii, .Lfunc_end253-_Z16wvSplitK_hf_big_I14__hip_bfloat16Li32ELi2ELi16ELi8ELi2ELi4EEviiiiiiPKT_S3_S3_PS1_ii
                                        ; -- End function
	.section	.AMDGPU.csdata,"",@progbits
; Kernel info:
; codeLenInByte = 6460
; NumSgprs: 45
; NumVgprs: 84
; ScratchSize: 0
; MemoryBound: 0
; FloatMode: 240
; IeeeMode: 1
; LDSByteSize: 65536 bytes/workgroup (compile time only)
; SGPRBlocks: 5
; VGPRBlocks: 10
; NumSGPRsForWavesPerEU: 45
; NumVGPRsForWavesPerEU: 84
; Occupancy: 8
; WaveLimiterHint : 0
; COMPUTE_PGM_RSRC2:SCRATCH_EN: 0
; COMPUTE_PGM_RSRC2:USER_SGPR: 15
; COMPUTE_PGM_RSRC2:TRAP_HANDLER: 0
; COMPUTE_PGM_RSRC2:TGID_X_EN: 1
; COMPUTE_PGM_RSRC2:TGID_Y_EN: 0
; COMPUTE_PGM_RSRC2:TGID_Z_EN: 0
; COMPUTE_PGM_RSRC2:TIDIG_COMP_CNT: 1
	.section	.text._Z16wvSplitK_hf_sml_I14__hip_bfloat16Li32ELi3ELi16ELi8ELi2ELi4EEviiiiiiPKT_S3_S3_PS1_ii,"axG",@progbits,_Z16wvSplitK_hf_sml_I14__hip_bfloat16Li32ELi3ELi16ELi8ELi2ELi4EEviiiiiiPKT_S3_S3_PS1_ii,comdat
	.protected	_Z16wvSplitK_hf_sml_I14__hip_bfloat16Li32ELi3ELi16ELi8ELi2ELi4EEviiiiiiPKT_S3_S3_PS1_ii ; -- Begin function _Z16wvSplitK_hf_sml_I14__hip_bfloat16Li32ELi3ELi16ELi8ELi2ELi4EEviiiiiiPKT_S3_S3_PS1_ii
	.globl	_Z16wvSplitK_hf_sml_I14__hip_bfloat16Li32ELi3ELi16ELi8ELi2ELi4EEviiiiiiPKT_S3_S3_PS1_ii
	.p2align	8
	.type	_Z16wvSplitK_hf_sml_I14__hip_bfloat16Li32ELi3ELi16ELi8ELi2ELi4EEviiiiiiPKT_S3_S3_PS1_ii,@function
_Z16wvSplitK_hf_sml_I14__hip_bfloat16Li32ELi3ELi16ELi8ELi2ELi4EEviiiiiiPKT_S3_S3_PS1_ii: ; @_Z16wvSplitK_hf_sml_I14__hip_bfloat16Li32ELi3ELi16ELi8ELi2ELi4EEviiiiiiPKT_S3_S3_PS1_ii
; %bb.0:
	s_load_b128 s[4:7], s[0:1], 0x0
	v_and_b32_e32 v1, 0x3ff, v0
	v_bfe_u32 v0, v0, 10, 10
	s_mov_b32 s8, exec_lo
	s_delay_alu instid0(VALU_DEP_2) | instskip(NEXT) | instid1(VALU_DEP_1)
	v_lshlrev_b32_e32 v66, 3, v1
	v_lshl_add_u32 v3, v0, 8, v66
	s_waitcnt lgkmcnt(0)
	s_lshl_b32 s14, s6, 2
	s_delay_alu instid0(SALU_CYCLE_1)
	s_min_u32 s9, s14, 0x8000
	s_delay_alu instid0(VALU_DEP_1) | instid1(SALU_CYCLE_1)
	v_cmpx_gt_u32_e64 s9, v3
	s_cbranch_execz .LBB254_9
; %bb.1:
	s_load_b64 s[2:3], s[0:1], 0x20
	v_lshlrev_b32_e32 v2, 1, v3
	v_add_nc_u32_e32 v8, 0x1000, v3
	s_mov_b32 s10, exec_lo
	s_waitcnt lgkmcnt(0)
	global_load_b128 v[4:7], v2, s[2:3]
	s_waitcnt vmcnt(0)
	ds_store_b128 v2, v[4:7]
	v_cmpx_gt_u32_e64 s9, v8
	s_xor_b32 s10, exec_lo, s10
	s_cbranch_execz .LBB254_9
; %bb.2:
	v_add_co_u32 v4, s2, s2, v2
	s_delay_alu instid0(VALU_DEP_1) | instskip(SKIP_1) | instid1(VALU_DEP_3)
	v_add_co_ci_u32_e64 v5, null, s3, 0, s2
	v_add_nc_u32_e32 v10, 0x2000, v3
	v_add_co_u32 v6, vcc_lo, 0x2000, v4
	s_delay_alu instid0(VALU_DEP_3)
	v_add_co_ci_u32_e32 v7, vcc_lo, 0, v5, vcc_lo
	s_mov_b32 s2, exec_lo
	global_load_b128 v[6:9], v[6:7], off
	s_waitcnt vmcnt(0)
	ds_store_b128 v2, v[6:9] offset:8192
	v_cmpx_gt_u32_e64 s9, v10
	s_xor_b32 s2, exec_lo, s2
	s_cbranch_execz .LBB254_9
; %bb.3:
	v_add_co_u32 v6, vcc_lo, 0x4000, v4
	v_add_co_ci_u32_e32 v7, vcc_lo, 0, v5, vcc_lo
	v_add_nc_u32_e32 v10, 0x3000, v3
	s_mov_b32 s2, exec_lo
	global_load_b128 v[6:9], v[6:7], off
	s_waitcnt vmcnt(0)
	ds_store_b128 v2, v[6:9] offset:16384
	v_cmpx_gt_u32_e64 s9, v10
	s_xor_b32 s2, exec_lo, s2
	s_cbranch_execz .LBB254_9
; %bb.4:
	v_add_co_u32 v6, vcc_lo, 0x6000, v4
	v_add_co_ci_u32_e32 v7, vcc_lo, 0, v5, vcc_lo
	v_add_nc_u32_e32 v10, 0x4000, v3
	;; [unrolled: 11-line block ×5, first 2 shown]
	s_mov_b32 s2, exec_lo
	global_load_b128 v[6:9], v[6:7], off
	s_waitcnt vmcnt(0)
	ds_store_b128 v2, v[6:9] offset:49152
	v_cmpx_gt_u32_e64 s9, v3
	s_xor_b32 s2, exec_lo, s2
	s_cbranch_execz .LBB254_9
; %bb.8:
	v_add_co_u32 v3, vcc_lo, 0xe000, v4
	v_add_co_ci_u32_e32 v4, vcc_lo, 0, v5, vcc_lo
	global_load_b128 v[3:6], v[3:4], off
	s_waitcnt vmcnt(0)
	ds_store_b128 v2, v[3:6] offset:57344
.LBB254_9:
	s_or_b32 exec_lo, exec_lo, s8
	s_load_b64 s[16:17], s[0:1], 0x38
	s_waitcnt lgkmcnt(0)
	s_barrier
	buffer_gl0_inv
	s_mov_b32 s2, exec_lo
	v_cmpx_gt_u32_e64 s16, v0
	s_cbranch_execz .LBB254_72
; %bb.10:
	s_load_b64 s[2:3], s[0:1], 0x10
	v_mad_u64_u32 v[2:3], null, s15, s16, v[0:1]
	s_delay_alu instid0(VALU_DEP_1) | instskip(NEXT) | instid1(VALU_DEP_1)
	v_lshl_add_u32 v48, v2, 1, v2
	v_cmp_gt_u32_e32 vcc_lo, s7, v48
	s_and_b32 exec_lo, exec_lo, vcc_lo
	s_cbranch_execz .LBB254_72
; %bb.11:
	s_clause 0x1
	s_load_b128 s[8:11], s[0:1], 0x28
	s_load_b64 s[12:13], s[0:1], 0x18
	s_cmp_lg_u32 s4, 0
	s_waitcnt lgkmcnt(0)
	v_cvt_f32_u32_e32 v2, s2
	s_cselect_b32 s1, -1, 0
	s_add_i32 s15, s4, -8
	s_add_i32 s18, s7, -1
	v_mbcnt_lo_u32_b32 v3, -1, 0
	v_rcp_iflag_f32_e32 v2, v2
	v_cmp_eq_u32_e64 s0, 31, v1
	s_mul_i32 s17, s16, s17
	s_mul_i32 s16, s6, 6
	;; [unrolled: 1-line block ×3, first 2 shown]
	v_lshlrev_b32_e32 v67, 4, v1
	v_xor_b32_e32 v1, 16, v3
	s_delay_alu instid0(VALU_DEP_1)
	v_cmp_gt_i32_e32 vcc_lo, 32, v1
	s_cmp_lg_u64 s[8:9], 0
	v_mov_b32_e32 v50, 0
	s_cselect_b32 s19, -1, 0
	s_abs_i32 s20, s3
	v_cndmask_b32_e32 v1, v3, v1, vcc_lo
	v_cvt_f32_u32_e32 v0, s20
	s_sub_i32 s22, 0, s20
	s_sub_i32 s23, 0, s2
	;; [unrolled: 1-line block ×3, first 2 shown]
	s_mov_b32 s3, 0
	v_rcp_iflag_f32_e32 v0, v0
	v_lshlrev_b32_e32 v68, 2, v1
	s_waitcnt_depctr 0xfff
	v_mul_f32_e32 v0, 0x4f7ffffe, v0
	s_delay_alu instid0(VALU_DEP_1) | instskip(NEXT) | instid1(VALU_DEP_1)
	v_cvt_u32_f32_e32 v0, v0
	v_readfirstlane_b32 s21, v0
	v_mul_f32_e32 v0, 0x4f7ffffe, v2
	s_delay_alu instid0(VALU_DEP_2) | instskip(NEXT) | instid1(VALU_DEP_1)
	s_mul_i32 s22, s22, s21
	v_cvt_u32_f32_e32 v0, v0
	s_mul_hi_u32 s22, s21, s22
	s_delay_alu instid0(SALU_CYCLE_1) | instskip(SKIP_1) | instid1(VALU_DEP_1)
	s_add_i32 s21, s21, s22
	s_cmp_lt_u32 s20, 2
	v_mul_lo_u32 v2, s23, v0
	s_cselect_b32 s22, s24, 1
	s_delay_alu instid0(SALU_CYCLE_1)
	s_sub_i32 s24, s22, s20
	s_cmp_ge_u32 s22, s20
	s_cselect_b32 s22, s24, s22
	s_lshr_b32 s24, s21, 31
	s_mul_hi_u32 s21, s21, 3
	s_mul_i32 s24, s24, s20
	s_mul_i32 s21, s21, s20
	s_sub_i32 s23, 2, s24
	v_mul_hi_u32 v2, v0, v2
	s_sub_i32 s24, s23, s20
	s_cmp_ge_u32 s23, s20
	s_cselect_b32 s23, s24, s23
	s_delay_alu instid0(SALU_CYCLE_1) | instskip(SKIP_1) | instid1(VALU_DEP_1)
	s_sub_i32 s24, s23, s20
	s_cmp_ge_u32 s23, s20
	v_add_nc_u32_e32 v69, v0, v2
	s_cselect_b32 s23, s24, s23
	s_sub_i32 s21, 3, s21
	s_delay_alu instid0(SALU_CYCLE_1) | instskip(SKIP_2) | instid1(SALU_CYCLE_1)
	s_sub_i32 s24, s21, s20
	s_cmp_ge_u32 s21, s20
	s_cselect_b32 s21, s24, s21
	s_sub_i32 s24, s21, s20
	s_cmp_ge_u32 s21, s20
	s_mul_i32 s20, s22, s2
	s_cselect_b32 s22, s24, s21
	s_mul_i32 s21, s23, s2
	s_mul_i32 s22, s22, s2
	s_lshl_b32 s6, s6, 1
	s_branch .LBB254_14
.LBB254_12:                             ;   in Loop: Header=BB254_14 Depth=1
	s_or_b32 exec_lo, exec_lo, s24
	v_add_nc_u32_e32 v49, 2, v49
	s_delay_alu instid0(VALU_DEP_1) | instskip(NEXT) | instid1(VALU_DEP_1)
	v_lshlrev_b64 v[1:2], 1, v[49:50]
	v_add_co_u32 v1, vcc_lo, s10, v1
	s_delay_alu instid0(VALU_DEP_2)
	v_add_co_ci_u32_e32 v2, vcc_lo, s11, v2, vcc_lo
	global_store_d16_hi_b16 v[1:2], v0, off
.LBB254_13:                             ;   in Loop: Header=BB254_14 Depth=1
	s_or_b32 exec_lo, exec_lo, s23
	v_add_nc_u32_e32 v48, s17, v48
	s_delay_alu instid0(VALU_DEP_1) | instskip(SKIP_1) | instid1(SALU_CYCLE_1)
	v_cmp_le_u32_e32 vcc_lo, s7, v48
	s_or_b32 s3, vcc_lo, s3
	s_and_not1_b32 exec_lo, exec_lo, s3
	s_cbranch_execz .LBB254_72
.LBB254_14:                             ; =>This Loop Header: Depth=1
                                        ;     Child Loop BB254_18 Depth 2
	v_dual_mov_b32 v72, v50 :: v_dual_add_nc_u32 v51, 2, v48
	v_mov_b32_e32 v71, v50
	v_mov_b32_e32 v73, v50
	;; [unrolled: 1-line block ×11, first 2 shown]
	s_and_not1_b32 vcc_lo, exec_lo, s1
	s_cbranch_vccnz .LBB254_21
; %bb.15:                               ;   in Loop: Header=BB254_14 Depth=1
	s_waitcnt lgkmcnt(8)
	v_dual_mov_b32 v1, v50 :: v_dual_add_nc_u32 v0, 1, v48
	v_min_u32_e32 v2, s18, v48
	v_min_u32_e32 v4, s18, v51
	s_waitcnt lgkmcnt(0)
	v_dual_mov_b32 v3, v50 :: v_dual_mov_b32 v70, v67
	v_min_u32_e32 v0, s18, v0
	v_mul_lo_u32 v49, v2, s5
	v_mul_lo_u32 v2, v4, s5
	v_dual_mov_b32 v77, 0 :: v_dual_mov_b32 v80, 0
	s_delay_alu instid0(VALU_DEP_4)
	v_mul_lo_u32 v0, v0, s5
	v_dual_mov_b32 v82, 0 :: v_dual_mov_b32 v81, 0
	v_dual_mov_b32 v78, 0 :: v_dual_mov_b32 v79, 0
	v_lshlrev_b64 v[52:53], 1, v[49:50]
	v_lshlrev_b64 v[54:55], 1, v[2:3]
	v_dual_mov_b32 v76, 0 :: v_dual_mov_b32 v75, 0
	v_lshlrev_b64 v[56:57], 1, v[0:1]
	v_dual_mov_b32 v74, 0 :: v_dual_mov_b32 v73, 0
	v_dual_mov_b32 v72, 0 :: v_dual_mov_b32 v71, 0
	s_mov_b32 s23, 0
	s_branch .LBB254_18
.LBB254_16:                             ;   in Loop: Header=BB254_18 Depth=2
	s_or_b32 exec_lo, exec_lo, s25
.LBB254_17:                             ;   in Loop: Header=BB254_18 Depth=2
	s_delay_alu instid0(SALU_CYCLE_1)
	s_or_b32 exec_lo, exec_lo, s24
	s_waitcnt vmcnt(5)
	v_and_b32_e32 v83, 0xffff0000, v40
	s_waitcnt lgkmcnt(4)
	v_and_b32_e32 v91, 0xffff0000, v47
	v_and_b32_e32 v93, 0xffff0000, v43
	;; [unrolled: 1-line block ×4, first 2 shown]
	v_lshlrev_b32_e32 v47, 16, v47
	v_add_nc_u32_e32 v70, 0x400, v70
	v_mul_f32_e32 v96, v91, v93
	v_dual_mul_f32 v85, v49, v83 :: v_dual_lshlrev_b32 v44, 16, v44
	v_and_b32_e32 v84, 0xffff0000, v45
	s_waitcnt vmcnt(4)
	v_and_b32_e32 v92, 0xffff0000, v37
	v_lshlrev_b32_e32 v37, 16, v37
	v_and_b32_e32 v87, 0xffff0000, v46
	v_and_b32_e32 v86, 0xffff0000, v41
	v_lshlrev_b32_e32 v40, 16, v40
	s_addk_i32 s23, 0x200
	s_waitcnt lgkmcnt(3)
	v_and_b32_e32 v98, 0xffff0000, v34
	s_cmp_ge_u32 s23, s4
	v_mul_f32_e32 v89, v84, v86
	v_fmac_f32_e32 v85, v44, v40
	v_dual_mul_f32 v94, v84, v92 :: v_dual_lshlrev_b32 v45, 16, v45
	v_lshlrev_b32_e32 v43, 16, v43
	v_lshlrev_b32_e32 v41, 16, v41
	s_delay_alu instid0(VALU_DEP_4) | instskip(NEXT) | instid1(VALU_DEP_4)
	v_dual_add_f32 v77, v77, v85 :: v_dual_lshlrev_b32 v34, 16, v34
	v_fmac_f32_e32 v94, v45, v37
	s_delay_alu instid0(VALU_DEP_4) | instskip(NEXT) | instid1(VALU_DEP_4)
	v_fmac_f32_e32 v96, v47, v43
	v_dual_fmac_f32 v89, v45, v41 :: v_dual_lshlrev_b32 v46, 16, v46
	v_dual_mul_f32 v85, v87, v88 :: v_dual_lshlrev_b32 v42, 16, v42
	s_delay_alu instid0(VALU_DEP_2) | instskip(NEXT) | instid1(VALU_DEP_2)
	v_dual_add_f32 v77, v77, v89 :: v_dual_and_b32 v90, 0xffff0000, v36
	v_dual_fmac_f32 v85, v46, v42 :: v_dual_lshlrev_b32 v36, 16, v36
	s_delay_alu instid0(VALU_DEP_2) | instskip(NEXT) | instid1(VALU_DEP_2)
	v_mul_f32_e32 v89, v49, v90
	v_add_f32_e32 v77, v77, v85
	s_waitcnt vmcnt(3)
	v_and_b32_e32 v85, 0xffff0000, v28
	v_lshlrev_b32_e32 v28, 16, v28
	v_fmac_f32_e32 v89, v44, v36
	v_dual_add_f32 v77, v77, v96 :: v_dual_and_b32 v96, 0xffff0000, v30
	s_delay_alu instid0(VALU_DEP_4) | instskip(NEXT) | instid1(VALU_DEP_3)
	v_dual_mul_f32 v49, v49, v85 :: v_dual_lshlrev_b32 v30, 16, v30
	v_add_f32_e32 v80, v80, v89
	s_delay_alu instid0(VALU_DEP_2) | instskip(NEXT) | instid1(VALU_DEP_2)
	v_fmac_f32_e32 v49, v44, v28
	v_add_f32_e32 v80, v80, v94
	v_and_b32_e32 v94, 0xffff0000, v39
	v_lshlrev_b32_e32 v39, 16, v39
	s_delay_alu instid0(VALU_DEP_4) | instskip(SKIP_2) | instid1(VALU_DEP_1)
	v_dual_add_f32 v49, v82, v49 :: v_dual_and_b32 v82, 0xffff0000, v32
	v_lshlrev_b32_e32 v32, 16, v32
	v_and_b32_e32 v95, 0xffff0000, v38
	v_dual_mul_f32 v89, v87, v95 :: v_dual_lshlrev_b32 v38, 16, v38
	s_delay_alu instid0(VALU_DEP_1) | instskip(NEXT) | instid1(VALU_DEP_1)
	v_fmac_f32_e32 v89, v46, v38
	v_add_f32_e32 v80, v80, v89
	v_and_b32_e32 v89, 0xffff0000, v29
	v_lshlrev_b32_e32 v29, 16, v29
	s_delay_alu instid0(VALU_DEP_2) | instskip(SKIP_1) | instid1(VALU_DEP_2)
	v_mul_f32_e32 v44, v84, v89
	v_mul_f32_e32 v84, v91, v94
	v_dual_fmac_f32 v44, v45, v29 :: v_dual_mul_f32 v45, v87, v96
	s_delay_alu instid0(VALU_DEP_1) | instskip(NEXT) | instid1(VALU_DEP_2)
	v_dual_mul_f32 v87, v82, v83 :: v_dual_add_f32 v44, v49, v44
	v_dual_fmac_f32 v45, v46, v30 :: v_dual_and_b32 v46, 0xffff0000, v31
	v_lshlrev_b32_e32 v31, 16, v31
	s_delay_alu instid0(VALU_DEP_3) | instskip(NEXT) | instid1(VALU_DEP_3)
	v_fmac_f32_e32 v87, v32, v40
	v_dual_add_f32 v44, v44, v45 :: v_dual_mul_f32 v91, v91, v46
	v_fmac_f32_e32 v84, v47, v39
	s_delay_alu instid0(VALU_DEP_3) | instskip(NEXT) | instid1(VALU_DEP_3)
	v_add_f32_e32 v78, v78, v87
	v_fmac_f32_e32 v91, v47, v31
	v_mul_f32_e32 v47, v82, v90
	s_delay_alu instid0(VALU_DEP_1) | instskip(NEXT) | instid1(VALU_DEP_1)
	v_dual_mul_f32 v82, v82, v85 :: v_dual_fmac_f32 v47, v32, v36
	v_fmac_f32_e32 v82, v32, v28
	s_delay_alu instid0(VALU_DEP_2) | instskip(SKIP_1) | instid1(VALU_DEP_1)
	v_add_f32_e32 v47, v76, v47
	v_mul_f32_e32 v76, v98, v95
	v_dual_fmac_f32 v76, v34, v38 :: v_dual_and_b32 v49, 0xffff0000, v33
	v_dual_add_f32 v44, v44, v91 :: v_dual_lshlrev_b32 v33, 16, v33
	s_delay_alu instid0(VALU_DEP_2) | instskip(SKIP_1) | instid1(VALU_DEP_1)
	v_dual_mul_f32 v87, v98, v88 :: v_dual_mul_f32 v32, v49, v89
	v_mul_f32_e32 v97, v49, v86
	v_fmac_f32_e32 v97, v33, v41
	s_delay_alu instid0(VALU_DEP_1) | instskip(NEXT) | instid1(VALU_DEP_4)
	v_dual_add_f32 v45, v78, v97 :: v_dual_add_f32 v78, v80, v84
	v_dual_mul_f32 v84, v49, v92 :: v_dual_fmac_f32 v87, v34, v42
	v_fmac_f32_e32 v32, v33, v29
	v_dual_add_f32 v49, v81, v82 :: v_dual_and_b32 v80, 0xffff0000, v35
	s_delay_alu instid0(VALU_DEP_3) | instskip(SKIP_1) | instid1(VALU_DEP_3)
	v_dual_fmac_f32 v84, v33, v37 :: v_dual_mul_f32 v33, v98, v96
	v_lshlrev_b32_e32 v35, 16, v35
	v_dual_mul_f32 v81, v80, v94 :: v_dual_add_f32 v32, v49, v32
	s_delay_alu instid0(VALU_DEP_3) | instskip(SKIP_2) | instid1(VALU_DEP_2)
	v_add_f32_e32 v47, v47, v84
	s_waitcnt lgkmcnt(2)
	v_dual_fmac_f32 v33, v34, v30 :: v_dual_lshlrev_b32 v34, 16, v64
	v_add_f32_e32 v47, v47, v76
	v_dual_add_f32 v45, v45, v87 :: v_dual_and_b32 v76, 0xffff0000, v64
	v_mul_f32_e32 v87, v80, v93
	v_dual_mul_f32 v80, v80, v46 :: v_dual_fmac_f32 v81, v35, v39
	s_delay_alu instid0(VALU_DEP_3) | instskip(NEXT) | instid1(VALU_DEP_2)
	v_dual_mul_f32 v49, v76, v83 :: v_dual_and_b32 v64, 0xffff0000, v65
	v_fmac_f32_e32 v80, v35, v31
	s_delay_alu instid0(VALU_DEP_4) | instskip(NEXT) | instid1(VALU_DEP_3)
	v_fmac_f32_e32 v87, v35, v43
	v_fmac_f32_e32 v49, v34, v40
	v_add_f32_e32 v35, v47, v81
	s_delay_alu instid0(VALU_DEP_2) | instskip(SKIP_1) | instid1(VALU_DEP_1)
	v_add_f32_e32 v47, v79, v49
	v_mul_f32_e32 v79, v76, v90
	v_dual_mul_f32 v76, v76, v85 :: v_dual_fmac_f32 v79, v34, v36
	s_delay_alu instid0(VALU_DEP_1) | instskip(SKIP_3) | instid1(VALU_DEP_4)
	v_fmac_f32_e32 v76, v34, v28
	v_mul_f32_e32 v34, v64, v89
	v_add_f32_e32 v32, v32, v33
	v_lshlrev_b32_e32 v33, 16, v65
	v_dual_mul_f32 v65, v64, v86 :: v_dual_add_f32 v74, v74, v76
	s_waitcnt lgkmcnt(1)
	v_and_b32_e32 v49, 0xffff0000, v62
	v_dual_add_f32 v45, v45, v87 :: v_dual_add_f32 v32, v32, v80
	s_delay_alu instid0(VALU_DEP_3) | instskip(NEXT) | instid1(VALU_DEP_3)
	v_dual_fmac_f32 v65, v33, v41 :: v_dual_lshlrev_b32 v62, 16, v62
	v_mul_f32_e32 v80, v49, v88
	s_waitcnt lgkmcnt(0)
	v_and_b32_e32 v76, 0xffff0000, v25
	v_lshlrev_b32_e32 v25, 16, v25
	v_add_f32_e32 v47, v47, v65
	v_dual_fmac_f32 v80, v62, v42 :: v_dual_and_b32 v65, 0xffff0000, v63
	v_mul_f32_e32 v81, v64, v92
	v_lshlrev_b32_e32 v63, 16, v63
	v_add_f32_e32 v75, v75, v79
	s_delay_alu instid0(VALU_DEP_4) | instskip(NEXT) | instid1(VALU_DEP_1)
	v_dual_add_f32 v47, v47, v80 :: v_dual_mul_f32 v80, v65, v94
	v_dual_fmac_f32 v80, v63, v39 :: v_dual_fmac_f32 v81, v33, v37
	v_fmac_f32_e32 v34, v33, v29
	v_mul_f32_e32 v79, v49, v95
	v_mul_f32_e32 v33, v49, v96
	s_delay_alu instid0(VALU_DEP_3) | instskip(NEXT) | instid1(VALU_DEP_3)
	v_dual_add_f32 v75, v75, v81 :: v_dual_add_f32 v34, v74, v34
	v_fmac_f32_e32 v79, v62, v38
	s_delay_alu instid0(VALU_DEP_1) | instskip(SKIP_1) | instid1(VALU_DEP_2)
	v_dual_fmac_f32 v33, v62, v30 :: v_dual_add_f32 v64, v75, v79
	v_and_b32_e32 v75, 0xffff0000, v24
	v_dual_add_f32 v33, v34, v33 :: v_dual_lshlrev_b32 v24, 16, v24
	s_delay_alu instid0(VALU_DEP_2) | instskip(NEXT) | instid1(VALU_DEP_1)
	v_dual_add_f32 v64, v64, v80 :: v_dual_mul_f32 v49, v75, v83
	v_fmac_f32_e32 v49, v24, v40
	v_mul_f32_e32 v40, v76, v86
	s_delay_alu instid0(VALU_DEP_2) | instskip(SKIP_2) | instid1(VALU_DEP_4)
	v_add_f32_e32 v34, v73, v49
	v_mul_f32_e32 v82, v65, v93
	v_mul_f32_e32 v62, v65, v46
	v_dual_fmac_f32 v40, v25, v41 :: v_dual_and_b32 v49, 0xffff0000, v26
	v_lshlrev_b32_e32 v26, 16, v26
	s_delay_alu instid0(VALU_DEP_2) | instskip(SKIP_1) | instid1(VALU_DEP_4)
	v_add_f32_e32 v34, v34, v40
	v_fmac_f32_e32 v82, v63, v43
	v_dual_fmac_f32 v62, v63, v31 :: v_dual_mul_f32 v63, v49, v88
	v_and_b32_e32 v40, 0xffff0000, v27
	v_lshlrev_b32_e32 v27, 16, v27
	s_delay_alu instid0(VALU_DEP_2) | instskip(NEXT) | instid1(VALU_DEP_1)
	v_dual_fmac_f32 v63, v26, v42 :: v_dual_mul_f32 v42, v40, v93
	v_add_f32_e32 v34, v34, v63
	s_delay_alu instid0(VALU_DEP_2) | instskip(SKIP_2) | instid1(VALU_DEP_2)
	v_fmac_f32_e32 v42, v27, v43
	v_mul_f32_e32 v41, v75, v90
	v_mul_f32_e32 v43, v75, v85
	v_fmac_f32_e32 v41, v24, v36
	v_dual_mul_f32 v36, v76, v92 :: v_dual_add_f32 v47, v47, v82
	s_delay_alu instid0(VALU_DEP_3) | instskip(SKIP_2) | instid1(VALU_DEP_3)
	v_dual_fmac_f32 v43, v24, v28 :: v_dual_add_f32 v24, v34, v42
	s_waitcnt vmcnt(2)
	v_and_b32_e32 v42, 0xffff0000, v18
	v_fmac_f32_e32 v36, v25, v37
	v_dual_mul_f32 v34, v76, v89 :: v_dual_mul_f32 v37, v49, v95
	v_dual_add_f32 v41, v72, v41 :: v_dual_lshlrev_b32 v18, 16, v18
	s_delay_alu instid0(VALU_DEP_2) | instskip(SKIP_1) | instid1(VALU_DEP_1)
	v_fmac_f32_e32 v37, v26, v38
	v_mul_f32_e32 v38, v40, v94
	v_dual_fmac_f32 v38, v27, v39 :: v_dual_and_b32 v39, 0xffff0000, v16
	v_lshlrev_b32_e32 v16, 16, v16
	v_add_f32_e32 v36, v41, v36
	v_fmac_f32_e32 v34, v25, v29
	v_mul_f32_e32 v25, v49, v96
	s_waitcnt vmcnt(0)
	v_and_b32_e32 v49, 0xffff0000, v5
	v_add_f32_e32 v28, v36, v37
	v_dual_add_f32 v36, v71, v43 :: v_dual_and_b32 v37, 0xffff0000, v20
	v_fmac_f32_e32 v25, v26, v30
	v_mul_f32_e32 v30, v40, v46
	v_and_b32_e32 v40, 0xffff0000, v22
	s_delay_alu instid0(VALU_DEP_4)
	v_add_f32_e32 v34, v36, v34
	v_and_b32_e32 v36, 0xffff0000, v21
	v_dual_add_f32 v28, v28, v38 :: v_dual_and_b32 v41, 0xffff0000, v17
	v_dual_mul_f32 v29, v37, v39 :: v_dual_lshlrev_b32 v20, 16, v20
	v_lshlrev_b32_e32 v22, 16, v22
	v_and_b32_e32 v38, 0xffff0000, v13
	s_delay_alu instid0(VALU_DEP_4)
	v_dual_mul_f32 v26, v36, v41 :: v_dual_add_f32 v33, v33, v62
	v_dual_fmac_f32 v30, v27, v31 :: v_dual_and_b32 v27, 0xffff0000, v12
	v_and_b32_e32 v31, 0xffff0000, v19
	v_lshlrev_b32_e32 v19, 16, v19
	v_mul_f32_e32 v43, v40, v42
	v_fmac_f32_e32 v29, v20, v16
	v_lshlrev_b32_e32 v21, 16, v21
	v_dual_add_f32 v25, v34, v25 :: v_dual_lshlrev_b32 v12, 16, v12
	s_delay_alu instid0(VALU_DEP_4) | instskip(SKIP_2) | instid1(VALU_DEP_4)
	v_fmac_f32_e32 v43, v22, v18
	v_dual_mul_f32 v34, v37, v27 :: v_dual_lshlrev_b32 v17, 16, v17
	v_add_f32_e32 v29, v77, v29
	v_add_f32_e32 v25, v25, v30
	s_delay_alu instid0(VALU_DEP_3) | instskip(NEXT) | instid1(VALU_DEP_4)
	v_fmac_f32_e32 v26, v21, v17
	v_fmac_f32_e32 v34, v20, v12
	s_delay_alu instid0(VALU_DEP_2) | instskip(NEXT) | instid1(VALU_DEP_2)
	v_add_f32_e32 v26, v29, v26
	v_add_f32_e32 v30, v78, v34
	v_and_b32_e32 v34, 0xffff0000, v14
	v_and_b32_e32 v29, 0xffff0000, v23
	v_lshlrev_b32_e32 v14, 16, v14
	v_lshlrev_b32_e32 v23, 16, v23
	v_dual_add_f32 v26, v26, v43 :: v_dual_lshlrev_b32 v13, 16, v13
	s_delay_alu instid0(VALU_DEP_4) | instskip(NEXT) | instid1(VALU_DEP_1)
	v_dual_mul_f32 v46, v29, v31 :: v_dual_mul_f32 v43, v36, v38
	v_dual_fmac_f32 v46, v23, v19 :: v_dual_lshlrev_b32 v5, 16, v5
	s_delay_alu instid0(VALU_DEP_1) | instskip(NEXT) | instid1(VALU_DEP_3)
	v_dual_add_f32 v77, v26, v46 :: v_dual_and_b32 v26, 0xffff0000, v4
	v_dual_fmac_f32 v43, v21, v13 :: v_dual_lshlrev_b32 v4, 16, v4
	v_mul_f32_e32 v46, v40, v34
	s_delay_alu instid0(VALU_DEP_3) | instskip(NEXT) | instid1(VALU_DEP_1)
	v_mul_f32_e32 v37, v37, v26
	v_fmac_f32_e32 v37, v20, v4
	v_mul_f32_e32 v20, v36, v49
	v_and_b32_e32 v36, 0xffff0000, v6
	v_add_f32_e32 v30, v30, v43
	v_dual_fmac_f32 v46, v22, v14 :: v_dual_and_b32 v43, 0xffff0000, v15
	s_delay_alu instid0(VALU_DEP_4) | instskip(SKIP_2) | instid1(VALU_DEP_4)
	v_fmac_f32_e32 v20, v21, v5
	v_dual_add_f32 v37, v44, v37 :: v_dual_lshlrev_b32 v6, 16, v6
	v_lshlrev_b32_e32 v15, 16, v15
	v_mul_f32_e32 v62, v29, v43
	v_add_f32_e32 v30, v30, v46
	s_delay_alu instid0(VALU_DEP_4) | instskip(SKIP_1) | instid1(VALU_DEP_4)
	v_add_f32_e32 v20, v37, v20
	v_mul_f32_e32 v40, v40, v36
	v_dual_fmac_f32 v62, v23, v15 :: v_dual_and_b32 v21, 0xffff0000, v8
	s_delay_alu instid0(VALU_DEP_2) | instskip(NEXT) | instid1(VALU_DEP_2)
	v_fmac_f32_e32 v40, v22, v6
	v_add_f32_e32 v80, v30, v62
	s_delay_alu instid0(VALU_DEP_3) | instskip(SKIP_3) | instid1(VALU_DEP_3)
	v_mul_f32_e32 v30, v21, v39
	v_and_b32_e32 v37, 0xffff0000, v7
	v_lshlrev_b32_e32 v8, 16, v8
	v_dual_add_f32 v20, v20, v40 :: v_dual_lshlrev_b32 v7, 16, v7
	v_dual_mul_f32 v29, v29, v37 :: v_dual_and_b32 v40, 0xffff0000, v10
	v_and_b32_e32 v22, 0xffff0000, v9
	s_delay_alu instid0(VALU_DEP_4) | instskip(NEXT) | instid1(VALU_DEP_2)
	v_dual_fmac_f32 v30, v8, v16 :: v_dual_lshlrev_b32 v9, 16, v9
	v_dual_fmac_f32 v29, v23, v7 :: v_dual_mul_f32 v44, v22, v41
	v_mul_f32_e32 v23, v21, v27
	s_delay_alu instid0(VALU_DEP_3) | instskip(SKIP_2) | instid1(VALU_DEP_4)
	v_add_f32_e32 v30, v45, v30
	v_mul_f32_e32 v45, v40, v42
	v_mul_f32_e32 v21, v21, v26
	v_dual_fmac_f32 v44, v9, v17 :: v_dual_fmac_f32 v23, v8, v12
	v_lshlrev_b32_e32 v10, 16, v10
	s_delay_alu instid0(VALU_DEP_3) | instskip(NEXT) | instid1(VALU_DEP_3)
	v_dual_mul_f32 v46, v22, v38 :: v_dual_fmac_f32 v21, v8, v4
	v_dual_add_f32 v30, v30, v44 :: v_dual_add_f32 v23, v35, v23
	s_delay_alu instid0(VALU_DEP_3) | instskip(NEXT) | instid1(VALU_DEP_3)
	v_dual_fmac_f32 v45, v10, v18 :: v_dual_and_b32 v44, 0xffff0000, v11
	v_dual_fmac_f32 v46, v9, v13 :: v_dual_lshlrev_b32 v11, 16, v11
	v_mul_f32_e32 v35, v40, v34
	s_delay_alu instid0(VALU_DEP_3) | instskip(NEXT) | instid1(VALU_DEP_4)
	v_mul_f32_e32 v62, v44, v31
	v_add_f32_e32 v30, v30, v45
	s_delay_alu instid0(VALU_DEP_4) | instskip(NEXT) | instid1(VALU_DEP_3)
	v_dual_add_f32 v82, v20, v29 :: v_dual_add_f32 v23, v23, v46
	v_dual_fmac_f32 v35, v10, v14 :: v_dual_fmac_f32 v62, v11, v19
	v_mul_f32_e32 v8, v22, v49
	v_add_f32_e32 v21, v32, v21
	s_delay_alu instid0(VALU_DEP_3) | instskip(NEXT) | instid1(VALU_DEP_4)
	v_dual_add_f32 v20, v23, v35 :: v_dual_lshlrev_b32 v29, 16, v60
	v_dual_add_f32 v78, v30, v62 :: v_dual_and_b32 v23, 0xffff0000, v60
	v_and_b32_e32 v32, 0xffff0000, v61
	v_lshlrev_b32_e32 v35, 16, v58
	v_lshlrev_b32_e32 v45, 16, v59
	s_delay_alu instid0(VALU_DEP_4) | instskip(NEXT) | instid1(VALU_DEP_1)
	v_mul_f32_e32 v30, v23, v39
	v_fmac_f32_e32 v30, v29, v16
	v_dual_fmac_f32 v8, v9, v5 :: v_dual_mul_f32 v9, v40, v36
	v_mul_f32_e32 v22, v44, v43
	s_delay_alu instid0(VALU_DEP_2) | instskip(SKIP_1) | instid1(VALU_DEP_3)
	v_dual_add_f32 v8, v21, v8 :: v_dual_fmac_f32 v9, v10, v6
	v_lshlrev_b32_e32 v10, 16, v61
	v_dual_mul_f32 v21, v32, v41 :: v_dual_fmac_f32 v22, v11, v15
	s_delay_alu instid0(VALU_DEP_3) | instskip(NEXT) | instid1(VALU_DEP_2)
	v_dual_add_f32 v8, v8, v9 :: v_dual_add_f32 v9, v47, v30
	v_dual_mul_f32 v30, v23, v27 :: v_dual_fmac_f32 v21, v10, v17
	s_delay_alu instid0(VALU_DEP_3) | instskip(NEXT) | instid1(VALU_DEP_2)
	v_add_f32_e32 v76, v20, v22
	v_dual_mul_f32 v23, v23, v26 :: v_dual_fmac_f32 v30, v29, v12
	s_delay_alu instid0(VALU_DEP_3) | instskip(SKIP_1) | instid1(VALU_DEP_3)
	v_add_f32_e32 v9, v9, v21
	v_and_b32_e32 v21, 0xffff0000, v59
	v_fmac_f32_e32 v23, v29, v4
	s_delay_alu instid0(VALU_DEP_4) | instskip(SKIP_1) | instid1(VALU_DEP_4)
	v_dual_add_f32 v30, v64, v30 :: v_dual_and_b32 v29, 0xffff0000, v1
	v_and_b32_e32 v20, 0xffff0000, v58
	v_dual_mul_f32 v46, v21, v31 :: v_dual_lshlrev_b32 v1, 16, v1
	s_delay_alu instid0(VALU_DEP_4) | instskip(NEXT) | instid1(VALU_DEP_3)
	v_add_f32_e32 v23, v33, v23
	v_mul_f32_e32 v47, v20, v34
	v_mul_f32_e32 v22, v44, v37
	;; [unrolled: 1-line block ×3, first 2 shown]
	s_delay_alu instid0(VALU_DEP_3) | instskip(SKIP_1) | instid1(VALU_DEP_4)
	v_dual_fmac_f32 v46, v45, v19 :: v_dual_fmac_f32 v47, v35, v14
	v_mul_f32_e32 v40, v20, v42
	v_fmac_f32_e32 v22, v11, v7
	s_delay_alu instid0(VALU_DEP_1) | instskip(NEXT) | instid1(VALU_DEP_3)
	v_dual_add_f32 v81, v8, v22 :: v_dual_and_b32 v8, 0xffff0000, v0
	v_fmac_f32_e32 v40, v35, v18
	s_delay_alu instid0(VALU_DEP_1) | instskip(NEXT) | instid1(VALU_DEP_1)
	v_dual_add_f32 v9, v9, v40 :: v_dual_fmac_f32 v44, v10, v13
	v_add_f32_e32 v79, v9, v46
	s_delay_alu instid0(VALU_DEP_2) | instskip(NEXT) | instid1(VALU_DEP_1)
	v_dual_add_f32 v11, v30, v44 :: v_dual_mul_f32 v30, v32, v49
	v_add_f32_e32 v9, v11, v47
	s_delay_alu instid0(VALU_DEP_2) | instskip(SKIP_3) | instid1(VALU_DEP_2)
	v_dual_mul_f32 v11, v8, v39 :: v_dual_fmac_f32 v30, v10, v5
	v_mul_f32_e32 v22, v21, v43
	v_dual_mul_f32 v21, v21, v37 :: v_dual_and_b32 v10, 0xffff0000, v2
	v_lshlrev_b32_e32 v0, 16, v0
	v_dual_fmac_f32 v21, v45, v7 :: v_dual_lshlrev_b32 v2, 16, v2
	s_delay_alu instid0(VALU_DEP_2) | instskip(SKIP_1) | instid1(VALU_DEP_2)
	v_dual_fmac_f32 v11, v0, v16 :: v_dual_mul_f32 v16, v29, v41
	v_dual_add_f32 v23, v23, v30 :: v_dual_fmac_f32 v22, v45, v15
	v_dual_add_f32 v11, v24, v11 :: v_dual_fmac_f32 v16, v1, v17
	v_mul_f32_e32 v17, v10, v42
	s_delay_alu instid0(VALU_DEP_2) | instskip(NEXT) | instid1(VALU_DEP_2)
	v_add_f32_e32 v11, v11, v16
	v_dual_fmac_f32 v17, v2, v18 :: v_dual_mul_f32 v20, v20, v36
	s_delay_alu instid0(VALU_DEP_1) | instskip(NEXT) | instid1(VALU_DEP_2)
	v_dual_mul_f32 v18, v8, v27 :: v_dual_add_f32 v11, v11, v17
	v_dual_fmac_f32 v20, v35, v6 :: v_dual_and_b32 v17, 0xffff0000, v3
	v_dual_mul_f32 v8, v8, v26 :: v_dual_lshlrev_b32 v3, 16, v3
	s_delay_alu instid0(VALU_DEP_3) | instskip(SKIP_1) | instid1(VALU_DEP_1)
	v_fmac_f32_e32 v18, v0, v12
	v_mul_f32_e32 v12, v29, v38
	v_dual_fmac_f32 v12, v1, v13 :: v_dual_mul_f32 v13, v10, v34
	s_delay_alu instid0(VALU_DEP_4) | instskip(SKIP_1) | instid1(VALU_DEP_2)
	v_dual_fmac_f32 v8, v0, v4 :: v_dual_add_f32 v75, v9, v22
	v_mul_f32_e32 v0, v29, v49
	v_add_f32_e32 v8, v25, v8
	s_delay_alu instid0(VALU_DEP_2) | instskip(SKIP_1) | instid1(VALU_DEP_2)
	v_dual_fmac_f32 v0, v1, v5 :: v_dual_mul_f32 v1, v10, v36
	v_dual_mul_f32 v5, v17, v43 :: v_dual_add_f32 v16, v23, v20
	v_dual_fmac_f32 v13, v2, v14 :: v_dual_add_f32 v0, v8, v0
	s_delay_alu instid0(VALU_DEP_3) | instskip(NEXT) | instid1(VALU_DEP_3)
	v_dual_fmac_f32 v1, v2, v6 :: v_dual_mul_f32 v2, v17, v37
	v_dual_fmac_f32 v5, v3, v15 :: v_dual_add_f32 v4, v28, v18
	s_delay_alu instid0(VALU_DEP_4) | instskip(NEXT) | instid1(VALU_DEP_3)
	v_add_f32_e32 v74, v16, v21
	v_add_f32_e32 v0, v0, v1
	s_delay_alu instid0(VALU_DEP_4) | instskip(SKIP_2) | instid1(VALU_DEP_2)
	v_fmac_f32_e32 v2, v3, v7
	v_mul_f32_e32 v20, v17, v31
	v_add_f32_e32 v4, v4, v12
	v_dual_add_f32 v71, v0, v2 :: v_dual_fmac_f32 v20, v3, v19
	s_delay_alu instid0(VALU_DEP_1) | instskip(NEXT) | instid1(VALU_DEP_1)
	v_dual_add_f32 v4, v4, v13 :: v_dual_add_f32 v73, v11, v20
	v_add_f32_e32 v72, v4, v5
	s_cbranch_scc1 .LBB254_21
.LBB254_18:                             ;   Parent Loop BB254_14 Depth=1
                                        ; =>  This Inner Loop Header: Depth=2
	v_dual_mov_b32 v59, 0 :: v_dual_add_nc_u32 v20, s23, v66
	v_dual_mov_b32 v58, 0 :: v_dual_mov_b32 v61, 0
	v_mov_b32_e32 v60, 0
	s_delay_alu instid0(VALU_DEP_3) | instskip(SKIP_3) | instid1(VALU_DEP_4)
	v_min_u32_e32 v49, s15, v20
	v_add_nc_u32_e32 v83, 0x100, v20
	v_dual_mov_b32 v23, 0 :: v_dual_mov_b32 v22, 0
	v_mov_b32_e32 v21, 0
	v_lshlrev_b64 v[0:1], 1, v[49:50]
	s_delay_alu instid0(VALU_DEP_4) | instskip(SKIP_2) | instid1(VALU_DEP_4)
	v_min_u32_e32 v49, s15, v83
	v_dual_mov_b32 v27, 0 :: v_dual_mov_b32 v26, 0
	v_dual_mov_b32 v25, 0 :: v_dual_mov_b32 v24, 0
	v_add_co_u32 v6, vcc_lo, s12, v0
	v_add_co_ci_u32_e32 v7, vcc_lo, s13, v1, vcc_lo
	v_lshlrev_b64 v[0:1], 1, v[49:50]
	s_delay_alu instid0(VALU_DEP_3) | instskip(NEXT) | instid1(VALU_DEP_3)
	v_add_co_u32 v2, vcc_lo, v6, v52
	v_add_co_ci_u32_e32 v3, vcc_lo, v7, v53, vcc_lo
	v_add_co_u32 v4, vcc_lo, v6, v56
	v_add_co_ci_u32_e32 v5, vcc_lo, v7, v57, vcc_lo
	;; [unrolled: 2-line block ×4, first 2 shown]
	s_delay_alu instid0(VALU_DEP_4) | instskip(NEXT) | instid1(VALU_DEP_4)
	v_add_co_u32 v6, vcc_lo, v10, v52
	v_add_co_ci_u32_e32 v7, vcc_lo, v11, v53, vcc_lo
	v_add_co_u32 v8, vcc_lo, v10, v56
	v_add_co_ci_u32_e32 v9, vcc_lo, v11, v57, vcc_lo
	;; [unrolled: 2-line block ×3, first 2 shown]
	s_clause 0x5
	global_load_b128 v[40:43], v[2:3], off slc dlc
	global_load_b128 v[36:39], v[4:5], off slc dlc
	global_load_b128 v[28:31], v[0:1], off slc dlc
	global_load_b128 v[16:19], v[6:7], off slc dlc
	global_load_b128 v[12:15], v[8:9], off slc dlc
	global_load_b128 v[4:7], v[10:11], off slc dlc
	v_mov_b32_e32 v3, 0
	v_cmp_gt_u32_e32 vcc_lo, s4, v20
	v_dual_mov_b32 v2, 0 :: v_dual_mov_b32 v1, 0
	v_dual_mov_b32 v0, 0 :: v_dual_mov_b32 v11, 0
	;; [unrolled: 1-line block ×3, first 2 shown]
	v_mov_b32_e32 v8, 0
	v_dual_mov_b32 v20, 0 :: v_dual_mov_b32 v63, 0
	v_dual_mov_b32 v62, 0 :: v_dual_mov_b32 v65, 0
	;; [unrolled: 1-line block ×6, first 2 shown]
	v_mov_b32_e32 v44, 0
	s_and_saveexec_b32 s24, vcc_lo
	s_cbranch_execz .LBB254_17
; %bb.19:                               ;   in Loop: Header=BB254_18 Depth=2
	v_dual_mov_b32 v20, 0 :: v_dual_add_nc_u32 v85, s6, v70
	v_dual_mov_b32 v22, 0 :: v_dual_add_nc_u32 v49, s14, v70
	v_dual_mov_b32 v21, 0 :: v_dual_add_nc_u32 v84, s16, v70
	ds_load_b128 v[44:47], v70
	ds_load_b128 v[32:35], v85
	ds_load_2addr_b32 v[64:65], v49 offset1:1
	ds_load_2addr_b32 v[62:63], v49 offset0:2 offset1:3
	ds_load_b128 v[24:27], v84
	v_dual_mov_b32 v23, 0 :: v_dual_mov_b32 v8, 0
	v_dual_mov_b32 v9, 0 :: v_dual_mov_b32 v10, 0
	;; [unrolled: 1-line block ×6, first 2 shown]
	v_mov_b32_e32 v3, 0
	s_mov_b32 s25, exec_lo
	v_cmpx_gt_u32_e64 s4, v83
	s_cbranch_execz .LBB254_16
; %bb.20:                               ;   in Loop: Header=BB254_18 Depth=2
	ds_load_b128 v[20:23], v70 offset:512
	ds_load_b128 v[8:11], v85 offset:512
	ds_load_2addr_b32 v[60:61], v49 offset0:128 offset1:129
	ds_load_2addr_b32 v[58:59], v49 offset0:130 offset1:131
	ds_load_b128 v[0:3], v84 offset:512
	s_branch .LBB254_16
.LBB254_21:                             ;   in Loop: Header=BB254_14 Depth=1
	; sched_barrier mask(0x00000000)
	s_delay_alu instid0(VALU_DEP_1)
	v_cvt_i32_f32_e32 v0, v77
	s_waitcnt lgkmcnt(8)
	v_cvt_i32_f32_e32 v1, v80
	v_cvt_i32_f32_e32 v2, v82
	s_waitcnt lgkmcnt(0)
	v_cvt_i32_f32_e32 v3, v78
	v_cvt_i32_f32_e32 v5, v81
	v_cvt_f32_i32_dpp v0, v0 row_shr:8 row_mask:0xf bank_mask:0xf bound_ctrl:1
	v_cvt_f32_i32_dpp v1, v1 row_shr:8 row_mask:0xf bank_mask:0xf bound_ctrl:1
	;; [unrolled: 1-line block ×3, first 2 shown]
	v_cvt_i32_f32_e32 v4, v76
	v_cvt_f32_i32_dpp v3, v3 row_shr:8 row_mask:0xf bank_mask:0xf bound_ctrl:1
	s_delay_alu instid0(VALU_DEP_4) | instskip(SKIP_3) | instid1(VALU_DEP_4)
	v_dual_add_f32 v0, v77, v0 :: v_dual_add_f32 v1, v80, v1
	v_cvt_f32_i32_dpp v5, v5 row_shr:8 row_mask:0xf bank_mask:0xf bound_ctrl:1
	v_add_f32_e32 v2, v82, v2
	v_cvt_f32_i32_dpp v4, v4 row_shr:8 row_mask:0xf bank_mask:0xf bound_ctrl:1
	v_cvt_i32_f32_e32 v7, v0
	v_cvt_i32_f32_e32 v8, v1
	v_add_f32_e32 v5, v81, v5
	s_delay_alu instid0(VALU_DEP_4) | instskip(NEXT) | instid1(VALU_DEP_4)
	v_dual_add_f32 v3, v78, v3 :: v_dual_add_f32 v4, v76, v4
	v_cvt_f32_i32_dpp v7, v7 row_shr:4 row_mask:0xf bank_mask:0xf bound_ctrl:1
	s_delay_alu instid0(VALU_DEP_4) | instskip(SKIP_3) | instid1(VALU_DEP_4)
	v_cvt_f32_i32_dpp v8, v8 row_shr:4 row_mask:0xf bank_mask:0xf bound_ctrl:1
	v_cvt_i32_f32_e32 v6, v79
	v_cvt_i32_f32_e32 v12, v5
	;; [unrolled: 1-line block ×3, first 2 shown]
	v_dual_add_f32 v0, v0, v7 :: v_dual_add_f32 v1, v1, v8
	v_cvt_i32_f32_e32 v7, v2
	v_cvt_i32_f32_e32 v8, v3
	v_cvt_f32_i32_dpp v6, v6 row_shr:8 row_mask:0xf bank_mask:0xf bound_ctrl:1
	s_delay_alu instid0(VALU_DEP_4)
	v_cvt_i32_f32_e32 v9, v0
	v_cvt_i32_f32_e32 v10, v1
	v_cvt_f32_i32_dpp v7, v7 row_shr:4 row_mask:0xf bank_mask:0xf bound_ctrl:1
	v_cvt_f32_i32_dpp v8, v8 row_shr:4 row_mask:0xf bank_mask:0xf bound_ctrl:1
	;; [unrolled: 1-line block ×5, first 2 shown]
	s_delay_alu instid0(VALU_DEP_4) | instskip(NEXT) | instid1(VALU_DEP_2)
	v_dual_add_f32 v2, v2, v7 :: v_dual_add_f32 v3, v3, v8
	v_dual_add_f32 v0, v0, v9 :: v_dual_add_f32 v1, v1, v10
	v_cvt_f32_i32_dpp v9, v12 row_shr:4 row_mask:0xf bank_mask:0xf bound_ctrl:1
	v_add_f32_e32 v6, v79, v6
	s_delay_alu instid0(VALU_DEP_3) | instskip(NEXT) | instid1(VALU_DEP_4)
	v_cvt_i32_f32_e32 v7, v0
	v_cvt_i32_f32_e32 v12, v1
	s_delay_alu instid0(VALU_DEP_4) | instskip(SKIP_4) | instid1(VALU_DEP_4)
	v_add_f32_e32 v5, v5, v9
	v_cvt_i32_f32_e32 v9, v2
	v_cvt_i32_f32_e32 v13, v6
	v_cvt_f32_i32_dpp v7, v7 row_shr:1 row_mask:0xf bank_mask:0xf bound_ctrl:1
	v_cvt_f32_i32_dpp v8, v12 row_shr:1 row_mask:0xf bank_mask:0xf bound_ctrl:1
	;; [unrolled: 1-line block ×3, first 2 shown]
	s_delay_alu instid0(VALU_DEP_4) | instskip(NEXT) | instid1(VALU_DEP_4)
	v_cvt_f32_i32_dpp v10, v13 row_shr:4 row_mask:0xf bank_mask:0xf bound_ctrl:1
	v_add_f32_e32 v26, v0, v7
	s_delay_alu instid0(VALU_DEP_3) | instskip(SKIP_2) | instid1(VALU_DEP_1)
	v_add_f32_e32 v2, v2, v9
	v_add_f32_e32 v0, v1, v8
	v_cvt_i32_f32_e32 v8, v5
	v_cvt_f32_i32_dpp v8, v8 row_shr:2 row_mask:0xf bank_mask:0xf bound_ctrl:1
	v_add_f32_e32 v6, v6, v10
	v_cvt_i32_f32_e32 v10, v3
	s_delay_alu instid0(VALU_DEP_3) | instskip(NEXT) | instid1(VALU_DEP_2)
	v_add_f32_e32 v5, v5, v8
	v_cvt_f32_i32_dpp v10, v10 row_shr:2 row_mask:0xf bank_mask:0xf bound_ctrl:1
	v_add_f32_e32 v4, v4, v11
	v_cvt_i32_f32_e32 v11, v6
	s_delay_alu instid0(VALU_DEP_3) | instskip(SKIP_1) | instid1(VALU_DEP_4)
	v_add_f32_e32 v3, v3, v10
	v_cvt_i32_f32_e32 v10, v5
	v_cvt_i32_f32_e32 v7, v4
	s_delay_alu instid0(VALU_DEP_4) | instskip(NEXT) | instid1(VALU_DEP_4)
	v_cvt_f32_i32_dpp v11, v11 row_shr:2 row_mask:0xf bank_mask:0xf bound_ctrl:1
	v_cvt_i32_f32_e32 v8, v3
	s_delay_alu instid0(VALU_DEP_4) | instskip(NEXT) | instid1(VALU_DEP_4)
	v_cvt_f32_i32_dpp v10, v10 row_shr:1 row_mask:0xf bank_mask:0xf bound_ctrl:1
	v_cvt_f32_i32_dpp v7, v7 row_shr:2 row_mask:0xf bank_mask:0xf bound_ctrl:1
	s_delay_alu instid0(VALU_DEP_3) | instskip(NEXT) | instid1(VALU_DEP_3)
	v_cvt_f32_i32_dpp v8, v8 row_shr:1 row_mask:0xf bank_mask:0xf bound_ctrl:1
	v_add_f32_e32 v12, v5, v10
	v_cvt_i32_f32_e32 v5, v72
	s_delay_alu instid0(VALU_DEP_3) | instskip(SKIP_1) | instid1(VALU_DEP_3)
	v_add_f32_e32 v20, v3, v8
	v_cvt_i32_f32_e32 v3, v74
	v_cvt_f32_i32_dpp v5, v5 row_shr:8 row_mask:0xf bank_mask:0xf bound_ctrl:1
	s_delay_alu instid0(VALU_DEP_2) | instskip(NEXT) | instid1(VALU_DEP_2)
	v_cvt_f32_i32_dpp v3, v3 row_shr:8 row_mask:0xf bank_mask:0xf bound_ctrl:1
	v_add_f32_e32 v5, v72, v5
	ds_bpermute_b32 v13, v68, v12
	v_add_f32_e32 v3, v74, v3
	v_cvt_i32_f32_e32 v14, v5
	ds_bpermute_b32 v21, v68, v20
	v_cvt_i32_f32_e32 v10, v3
	v_cvt_f32_i32_dpp v14, v14 row_shr:4 row_mask:0xf bank_mask:0xf bound_ctrl:1
	s_delay_alu instid0(VALU_DEP_2) | instskip(NEXT) | instid1(VALU_DEP_2)
	v_cvt_f32_i32_dpp v10, v10 row_shr:4 row_mask:0xf bank_mask:0xf bound_ctrl:1
	v_add_f32_e32 v5, v5, v14
	s_delay_alu instid0(VALU_DEP_2) | instskip(NEXT) | instid1(VALU_DEP_2)
	v_add_f32_e32 v3, v3, v10
	v_cvt_i32_f32_e32 v14, v5
	ds_bpermute_b32 v27, v68, v26
	v_cvt_i32_f32_e32 v10, v3
	v_cvt_f32_i32_dpp v14, v14 row_shr:2 row_mask:0xf bank_mask:0xf bound_ctrl:1
	s_delay_alu instid0(VALU_DEP_2) | instskip(SKIP_2) | instid1(VALU_DEP_4)
	v_cvt_f32_i32_dpp v10, v10 row_shr:2 row_mask:0xf bank_mask:0xf bound_ctrl:1
	v_add_f32_e32 v4, v4, v7
	v_cvt_i32_f32_e32 v7, v2
	v_add_f32_e32 v5, v5, v14
	s_delay_alu instid0(VALU_DEP_4) | instskip(NEXT) | instid1(VALU_DEP_4)
	v_add_f32_e32 v3, v3, v10
	v_cvt_i32_f32_e32 v9, v4
	s_delay_alu instid0(VALU_DEP_4) | instskip(NEXT) | instid1(VALU_DEP_4)
	v_cvt_f32_i32_dpp v7, v7 row_shr:1 row_mask:0xf bank_mask:0xf bound_ctrl:1
	v_cvt_i32_f32_e32 v14, v5
	s_delay_alu instid0(VALU_DEP_4) | instskip(NEXT) | instid1(VALU_DEP_4)
	v_cvt_i32_f32_e32 v10, v3
	v_cvt_f32_i32_dpp v9, v9 row_shr:1 row_mask:0xf bank_mask:0xf bound_ctrl:1
	v_add_f32_e32 v6, v6, v11
	v_add_f32_e32 v23, v2, v7
	v_cvt_i32_f32_e32 v2, v75
	v_cvt_f32_i32_dpp v10, v10 row_shr:1 row_mask:0xf bank_mask:0xf bound_ctrl:1
	v_add_f32_e32 v17, v4, v9
	v_cvt_i32_f32_e32 v11, v6
	v_cvt_i32_f32_e32 v4, v73
	v_cvt_f32_i32_dpp v2, v2 row_shr:8 row_mask:0xf bank_mask:0xf bound_ctrl:1
	v_add_f32_e32 v10, v3, v10
	ds_bpermute_b32 v1, v68, v0
	v_cvt_f32_i32_dpp v11, v11 row_shr:1 row_mask:0xf bank_mask:0xf bound_ctrl:1
	v_cvt_f32_i32_dpp v4, v4 row_shr:8 row_mask:0xf bank_mask:0xf bound_ctrl:1
	ds_bpermute_b32 v24, v68, v23
	ds_bpermute_b32 v18, v68, v17
	v_cvt_f32_i32_dpp v16, v14 row_shr:1 row_mask:0xf bank_mask:0xf bound_ctrl:1
	v_add_f32_e32 v8, v6, v11
	v_cvt_i32_f32_e32 v6, v71
	v_add_f32_e32 v4, v73, v4
	ds_bpermute_b32 v9, v68, v8
	v_cvt_f32_i32_dpp v6, v6 row_shr:8 row_mask:0xf bank_mask:0xf bound_ctrl:1
	v_cvt_i32_f32_e32 v11, v4
	s_delay_alu instid0(VALU_DEP_2) | instskip(NEXT) | instid1(VALU_DEP_2)
	v_add_f32_e32 v6, v71, v6
	v_cvt_f32_i32_dpp v11, v11 row_shr:4 row_mask:0xf bank_mask:0xf bound_ctrl:1
	s_delay_alu instid0(VALU_DEP_2) | instskip(NEXT) | instid1(VALU_DEP_2)
	v_cvt_i32_f32_e32 v15, v6
	v_add_f32_e32 v4, v4, v11
	s_delay_alu instid0(VALU_DEP_2) | instskip(NEXT) | instid1(VALU_DEP_2)
	v_cvt_f32_i32_dpp v15, v15 row_shr:4 row_mask:0xf bank_mask:0xf bound_ctrl:1
	v_cvt_i32_f32_e32 v11, v4
	s_delay_alu instid0(VALU_DEP_2) | instskip(NEXT) | instid1(VALU_DEP_2)
	v_add_f32_e32 v6, v6, v15
	v_cvt_f32_i32_dpp v11, v11 row_shr:2 row_mask:0xf bank_mask:0xf bound_ctrl:1
	s_delay_alu instid0(VALU_DEP_2) | instskip(NEXT) | instid1(VALU_DEP_2)
	v_cvt_i32_f32_e32 v15, v6
	v_add_f32_e32 v4, v4, v11
	s_delay_alu instid0(VALU_DEP_2) | instskip(SKIP_1) | instid1(VALU_DEP_3)
	v_cvt_f32_i32_dpp v15, v15 row_shr:2 row_mask:0xf bank_mask:0xf bound_ctrl:1
	v_add_f32_e32 v2, v75, v2
	v_cvt_i32_f32_e32 v11, v4
	s_delay_alu instid0(VALU_DEP_2) | instskip(NEXT) | instid1(VALU_DEP_2)
	v_cvt_i32_f32_e32 v7, v2
	v_cvt_f32_i32_dpp v11, v11 row_shr:1 row_mask:0xf bank_mask:0xf bound_ctrl:1
	s_delay_alu instid0(VALU_DEP_2) | instskip(NEXT) | instid1(VALU_DEP_1)
	v_cvt_f32_i32_dpp v7, v7 row_shr:4 row_mask:0xf bank_mask:0xf bound_ctrl:1
	v_add_f32_e32 v2, v2, v7
	s_delay_alu instid0(VALU_DEP_1) | instskip(NEXT) | instid1(VALU_DEP_1)
	v_cvt_i32_f32_e32 v7, v2
	v_cvt_f32_i32_dpp v7, v7 row_shr:2 row_mask:0xf bank_mask:0xf bound_ctrl:1
	s_delay_alu instid0(VALU_DEP_1) | instskip(SKIP_1) | instid1(VALU_DEP_2)
	v_add_f32_e32 v2, v2, v7
	v_add_f32_e32 v7, v6, v15
	v_cvt_i32_f32_e32 v6, v2
	s_delay_alu instid0(VALU_DEP_2) | instskip(NEXT) | instid1(VALU_DEP_2)
	v_cvt_i32_f32_e32 v15, v7
	v_cvt_f32_i32_dpp v6, v6 row_shr:1 row_mask:0xf bank_mask:0xf bound_ctrl:1
	s_delay_alu instid0(VALU_DEP_2) | instskip(NEXT) | instid1(VALU_DEP_2)
	v_cvt_f32_i32_dpp v15, v15 row_shr:1 row_mask:0xf bank_mask:0xf bound_ctrl:1
	v_add_f32_e32 v14, v2, v6
	v_add_f32_e32 v6, v4, v11
	;; [unrolled: 1-line block ×3, first 2 shown]
	s_delay_alu instid0(VALU_DEP_4)
	v_add_f32_e32 v2, v7, v15
	ds_bpermute_b32 v11, v68, v10
	ds_bpermute_b32 v15, v68, v14
	;; [unrolled: 1-line block ×5, first 2 shown]
	s_and_saveexec_b32 s23, s0
	s_cbranch_execz .LBB254_13
; %bb.22:                               ;   in Loop: Header=BB254_14 Depth=1
	v_dual_mov_b32 v35, 0 :: v_dual_mov_b32 v34, 0
	v_dual_mov_b32 v33, 0 :: v_dual_mov_b32 v32, 0
	;; [unrolled: 1-line block ×6, first 2 shown]
	s_and_not1_b32 vcc_lo, exec_lo, s19
	s_cbranch_vccnz .LBB254_24
; %bb.23:                               ;   in Loop: Header=BB254_14 Depth=1
	v_dual_mov_b32 v29, v50 :: v_dual_add_nc_u32 v16, 1, v48
	v_mul_hi_u32 v19, v48, v69
	v_mul_hi_u32 v22, v51, v69
	v_mov_b32_e32 v44, v50
	s_delay_alu instid0(VALU_DEP_4) | instskip(NEXT) | instid1(VALU_DEP_4)
	v_mul_hi_u32 v25, v16, v69
	v_mul_lo_u32 v19, v19, s2
	s_delay_alu instid0(VALU_DEP_4) | instskip(NEXT) | instid1(VALU_DEP_3)
	v_mul_lo_u32 v22, v22, s2
	v_mul_lo_u32 v25, v25, s2
	s_delay_alu instid0(VALU_DEP_3) | instskip(NEXT) | instid1(VALU_DEP_3)
	v_sub_nc_u32_e32 v19, v48, v19
	v_sub_nc_u32_e32 v22, v51, v22
	s_delay_alu instid0(VALU_DEP_3) | instskip(NEXT) | instid1(VALU_DEP_3)
	v_sub_nc_u32_e32 v16, v16, v25
	v_subrev_nc_u32_e32 v25, s2, v19
	v_cmp_le_u32_e32 vcc_lo, s2, v19
	s_delay_alu instid0(VALU_DEP_4) | instskip(NEXT) | instid1(VALU_DEP_4)
	v_subrev_nc_u32_e32 v28, s2, v22
	v_subrev_nc_u32_e32 v30, s2, v16
	s_delay_alu instid0(VALU_DEP_4) | instskip(SKIP_1) | instid1(VALU_DEP_4)
	v_cndmask_b32_e32 v19, v19, v25, vcc_lo
	v_cmp_le_u32_e32 vcc_lo, s2, v22
	v_cndmask_b32_e32 v22, v22, v28, vcc_lo
	v_cmp_le_u32_e32 vcc_lo, s2, v16
	v_mov_b32_e32 v31, v50
	v_subrev_nc_u32_e32 v25, s2, v19
	s_delay_alu instid0(VALU_DEP_4) | instskip(SKIP_3) | instid1(VALU_DEP_3)
	v_subrev_nc_u32_e32 v28, s2, v22
	v_cndmask_b32_e32 v16, v16, v30, vcc_lo
	v_cmp_le_u32_e32 vcc_lo, s2, v19
	v_mov_b32_e32 v34, v50
	v_subrev_nc_u32_e32 v32, s2, v16
	v_cndmask_b32_e32 v49, v19, v25, vcc_lo
	v_cmp_le_u32_e32 vcc_lo, s2, v22
	s_delay_alu instid0(VALU_DEP_2) | instskip(SKIP_3) | instid1(VALU_DEP_3)
	v_lshlrev_b64 v[37:38], 1, v[49:50]
	v_dual_cndmask_b32 v30, v22, v28 :: v_dual_add_nc_u32 v43, s21, v49
	v_cmp_le_u32_e32 vcc_lo, s2, v16
	v_mov_b32_e32 v33, v50
	v_dual_mov_b32 v36, v50 :: v_dual_add_nc_u32 v35, s20, v30
	v_lshlrev_b64 v[39:40], 1, v[30:31]
	v_cndmask_b32_e32 v28, v16, v32, vcc_lo
	v_add_nc_u32_e32 v32, s20, v49
	v_add_co_u32 v37, vcc_lo, s8, v37
	v_add_co_ci_u32_e32 v38, vcc_lo, s9, v38, vcc_lo
	s_delay_alu instid0(VALU_DEP_4) | instskip(NEXT) | instid1(VALU_DEP_4)
	v_lshlrev_b64 v[41:42], 1, v[28:29]
	v_lshlrev_b64 v[31:32], 1, v[32:33]
	v_add_nc_u32_e32 v33, s20, v28
	v_add_co_u32 v39, vcc_lo, s8, v39
	v_add_co_ci_u32_e32 v40, vcc_lo, s9, v40, vcc_lo
	s_delay_alu instid0(VALU_DEP_3)
	v_lshlrev_b64 v[33:34], 1, v[33:34]
	v_add_co_u32 v41, vcc_lo, s8, v41
	v_add_co_ci_u32_e32 v42, vcc_lo, s9, v42, vcc_lo
	v_add_co_u32 v31, vcc_lo, s8, v31
	v_add_co_ci_u32_e32 v32, vcc_lo, s9, v32, vcc_lo
	v_lshlrev_b64 v[35:36], 1, v[35:36]
	v_add_co_u32 v45, vcc_lo, s8, v33
	v_add_co_ci_u32_e32 v46, vcc_lo, s9, v34, vcc_lo
	v_lshlrev_b64 v[33:34], 1, v[43:44]
	v_add_nc_u32_e32 v43, s21, v28
	v_add_co_u32 v52, vcc_lo, s8, v35
	v_add_co_ci_u32_e32 v53, vcc_lo, s9, v36, vcc_lo
	s_delay_alu instid0(VALU_DEP_3) | instskip(SKIP_4) | instid1(VALU_DEP_4)
	v_lshlrev_b64 v[35:36], 1, v[43:44]
	v_add_nc_u32_e32 v43, s21, v30
	v_add_co_u32 v54, vcc_lo, s8, v33
	v_add_nc_u32_e32 v49, s22, v49
	v_add_co_ci_u32_e32 v55, vcc_lo, s9, v34, vcc_lo
	v_lshlrev_b64 v[33:34], 1, v[43:44]
	v_add_co_u32 v43, vcc_lo, s8, v35
	v_add_co_ci_u32_e32 v44, vcc_lo, s9, v36, vcc_lo
	v_lshlrev_b64 v[35:36], 1, v[49:50]
	v_add_nc_u32_e32 v49, s22, v28
	v_add_co_u32 v56, vcc_lo, s8, v33
	v_add_co_ci_u32_e32 v57, vcc_lo, s9, v34, vcc_lo
	s_delay_alu instid0(VALU_DEP_3) | instskip(SKIP_3) | instid1(VALU_DEP_3)
	v_lshlrev_b64 v[28:29], 1, v[49:50]
	v_add_nc_u32_e32 v49, s22, v30
	v_add_co_u32 v58, vcc_lo, s8, v35
	v_add_co_ci_u32_e32 v59, vcc_lo, s9, v36, vcc_lo
	v_lshlrev_b64 v[33:34], 1, v[49:50]
	v_add_co_u32 v60, vcc_lo, s8, v28
	v_add_co_ci_u32_e32 v61, vcc_lo, s9, v29, vcc_lo
	s_delay_alu instid0(VALU_DEP_3) | instskip(NEXT) | instid1(VALU_DEP_4)
	v_add_co_u32 v62, vcc_lo, s8, v33
	v_add_co_ci_u32_e32 v63, vcc_lo, s9, v34, vcc_lo
	s_clause 0xb
	global_load_u16 v35, v[37:38], off
	global_load_u16 v34, v[41:42], off
	global_load_u16 v33, v[39:40], off
	global_load_u16 v32, v[31:32], off
	global_load_u16 v31, v[45:46], off
	global_load_u16 v30, v[52:53], off
	global_load_u16 v29, v[54:55], off
	global_load_u16 v28, v[43:44], off
	global_load_u16 v25, v[56:57], off
	global_load_u16 v22, v[58:59], off
	global_load_u16 v19, v[60:61], off
	global_load_u16 v16, v[62:63], off
.LBB254_24:                             ;   in Loop: Header=BB254_14 Depth=1
	s_waitcnt lgkmcnt(9)
	v_add_f32_e32 v26, v26, v27
	s_waitcnt vmcnt(11)
	v_lshlrev_b32_e32 v27, 16, v35
	s_delay_alu instid0(VALU_DEP_1) | instskip(NEXT) | instid1(VALU_DEP_1)
	v_add_f32_e32 v27, v26, v27
	v_and_b32_e32 v26, 0x7f800000, v27
	s_delay_alu instid0(VALU_DEP_1) | instskip(SKIP_1) | instid1(SALU_CYCLE_1)
	v_cmp_ne_u32_e32 vcc_lo, 0x7f800000, v26
                                        ; implicit-def: $vgpr26
	s_and_saveexec_b32 s24, vcc_lo
	s_xor_b32 s24, exec_lo, s24
; %bb.25:                               ;   in Loop: Header=BB254_14 Depth=1
	v_bfe_u32 v26, v27, 16, 1
	s_delay_alu instid0(VALU_DEP_1)
	v_add3_u32 v26, v27, v26, 0x7fff
                                        ; implicit-def: $vgpr27
; %bb.26:                               ;   in Loop: Header=BB254_14 Depth=1
	s_and_not1_saveexec_b32 s24, s24
; %bb.27:                               ;   in Loop: Header=BB254_14 Depth=1
	v_and_b32_e32 v26, 0xffff, v27
	v_or_b32_e32 v35, 0x10000, v27
	s_delay_alu instid0(VALU_DEP_2) | instskip(NEXT) | instid1(VALU_DEP_2)
	v_cmp_eq_u32_e32 vcc_lo, 0, v26
	v_cndmask_b32_e32 v26, v35, v27, vcc_lo
; %bb.28:                               ;   in Loop: Header=BB254_14 Depth=1
	s_or_b32 exec_lo, exec_lo, s24
	s_waitcnt vmcnt(10) lgkmcnt(8)
	v_dual_add_f32 v0, v0, v1 :: v_dual_lshlrev_b32 v1, 16, v34
	s_mov_b32 s24, exec_lo
	s_delay_alu instid0(VALU_DEP_1) | instskip(NEXT) | instid1(VALU_DEP_1)
	v_add_f32_e32 v27, v0, v1
	v_dual_mov_b32 v49, v50 :: v_dual_and_b32 v34, 0x7f800000, v27
	s_delay_alu instid0(VALU_DEP_1) | instskip(NEXT) | instid1(VALU_DEP_1)
	v_lshlrev_b64 v[0:1], 1, v[48:49]
	v_add_co_u32 v0, vcc_lo, s10, v0
	s_delay_alu instid0(VALU_DEP_2)
	v_add_co_ci_u32_e32 v1, vcc_lo, s11, v1, vcc_lo
	global_store_d16_hi_b16 v[0:1], v26, off
                                        ; implicit-def: $vgpr26
	v_cmpx_ne_u32_e32 0x7f800000, v34
	s_xor_b32 s24, exec_lo, s24
; %bb.29:                               ;   in Loop: Header=BB254_14 Depth=1
	v_bfe_u32 v26, v27, 16, 1
	s_delay_alu instid0(VALU_DEP_1)
	v_add3_u32 v26, v27, v26, 0x7fff
                                        ; implicit-def: $vgpr27
; %bb.30:                               ;   in Loop: Header=BB254_14 Depth=1
	s_and_not1_saveexec_b32 s24, s24
; %bb.31:                               ;   in Loop: Header=BB254_14 Depth=1
	v_and_b32_e32 v26, 0xffff, v27
	v_or_b32_e32 v34, 0x10000, v27
	s_delay_alu instid0(VALU_DEP_2) | instskip(NEXT) | instid1(VALU_DEP_2)
	v_cmp_eq_u32_e32 vcc_lo, 0, v26
	v_cndmask_b32_e32 v26, v34, v27, vcc_lo
; %bb.32:                               ;   in Loop: Header=BB254_14 Depth=1
	s_or_b32 exec_lo, exec_lo, s24
	s_waitcnt vmcnt(9) lgkmcnt(7)
	v_dual_add_f32 v23, v23, v24 :: v_dual_lshlrev_b32 v24, 16, v33
	s_mov_b32 s24, exec_lo
	global_store_d16_hi_b16 v[0:1], v26, off offset:2
                                        ; implicit-def: $vgpr0
	v_add_f32_e32 v23, v23, v24
	s_delay_alu instid0(VALU_DEP_1) | instskip(NEXT) | instid1(VALU_DEP_1)
	v_and_b32_e32 v24, 0x7f800000, v23
	v_cmpx_ne_u32_e32 0x7f800000, v24
	s_xor_b32 s24, exec_lo, s24
; %bb.33:                               ;   in Loop: Header=BB254_14 Depth=1
	v_bfe_u32 v0, v23, 16, 1
	s_delay_alu instid0(VALU_DEP_1)
	v_add3_u32 v0, v23, v0, 0x7fff
                                        ; implicit-def: $vgpr23
; %bb.34:                               ;   in Loop: Header=BB254_14 Depth=1
	s_and_not1_saveexec_b32 s24, s24
; %bb.35:                               ;   in Loop: Header=BB254_14 Depth=1
	v_and_b32_e32 v0, 0xffff, v23
	v_or_b32_e32 v1, 0x10000, v23
	s_delay_alu instid0(VALU_DEP_2) | instskip(NEXT) | instid1(VALU_DEP_2)
	v_cmp_eq_u32_e32 vcc_lo, 0, v0
	v_cndmask_b32_e32 v0, v1, v23, vcc_lo
; %bb.36:                               ;   in Loop: Header=BB254_14 Depth=1
	s_or_b32 exec_lo, exec_lo, s24
	s_waitcnt vmcnt(8)
	v_dual_add_f32 v1, v20, v21 :: v_dual_lshlrev_b32 v20, 16, v32
	v_mov_b32_e32 v52, v50
	s_mov_b32 s24, exec_lo
	s_delay_alu instid0(VALU_DEP_2) | instskip(NEXT) | instid1(VALU_DEP_2)
	v_add_f32_e32 v1, v1, v20
	v_lshlrev_b64 v[20:21], 1, v[51:52]
	s_delay_alu instid0(VALU_DEP_2) | instskip(NEXT) | instid1(VALU_DEP_2)
	v_and_b32_e32 v23, 0x7f800000, v1
	v_add_co_u32 v20, vcc_lo, s10, v20
	s_delay_alu instid0(VALU_DEP_3)
	v_add_co_ci_u32_e32 v21, vcc_lo, s11, v21, vcc_lo
	global_store_d16_hi_b16 v[20:21], v0, off
                                        ; implicit-def: $vgpr0
	v_cmpx_ne_u32_e32 0x7f800000, v23
	s_xor_b32 s24, exec_lo, s24
; %bb.37:                               ;   in Loop: Header=BB254_14 Depth=1
	v_bfe_u32 v0, v1, 16, 1
	s_delay_alu instid0(VALU_DEP_1)
	v_add3_u32 v0, v1, v0, 0x7fff
                                        ; implicit-def: $vgpr1
; %bb.38:                               ;   in Loop: Header=BB254_14 Depth=1
	s_and_not1_saveexec_b32 s24, s24
; %bb.39:                               ;   in Loop: Header=BB254_14 Depth=1
	v_and_b32_e32 v0, 0xffff, v1
	v_or_b32_e32 v20, 0x10000, v1
	s_delay_alu instid0(VALU_DEP_2) | instskip(NEXT) | instid1(VALU_DEP_2)
	v_cmp_eq_u32_e32 vcc_lo, 0, v0
	v_cndmask_b32_e32 v0, v20, v1, vcc_lo
; %bb.40:                               ;   in Loop: Header=BB254_14 Depth=1
	s_or_b32 exec_lo, exec_lo, s24
	s_waitcnt lgkmcnt(6)
	v_add_f32_e32 v1, v17, v18
	s_waitcnt vmcnt(7)
	v_lshlrev_b32_e32 v17, 16, v31
	v_add_nc_u32_e32 v49, s7, v48
	s_mov_b32 s24, exec_lo
	s_delay_alu instid0(VALU_DEP_2) | instskip(NEXT) | instid1(VALU_DEP_2)
	v_add_f32_e32 v1, v1, v17
	v_lshlrev_b64 v[17:18], 1, v[49:50]
	s_delay_alu instid0(VALU_DEP_2) | instskip(NEXT) | instid1(VALU_DEP_2)
	v_and_b32_e32 v20, 0x7f800000, v1
	v_add_co_u32 v17, vcc_lo, s10, v17
	s_delay_alu instid0(VALU_DEP_3)
	v_add_co_ci_u32_e32 v18, vcc_lo, s11, v18, vcc_lo
	global_store_d16_hi_b16 v[17:18], v0, off
                                        ; implicit-def: $vgpr0
	v_cmpx_ne_u32_e32 0x7f800000, v20
	s_xor_b32 s24, exec_lo, s24
; %bb.41:                               ;   in Loop: Header=BB254_14 Depth=1
	v_bfe_u32 v0, v1, 16, 1
	s_delay_alu instid0(VALU_DEP_1)
	v_add3_u32 v0, v1, v0, 0x7fff
                                        ; implicit-def: $vgpr1
; %bb.42:                               ;   in Loop: Header=BB254_14 Depth=1
	s_and_not1_saveexec_b32 s24, s24
; %bb.43:                               ;   in Loop: Header=BB254_14 Depth=1
	v_and_b32_e32 v0, 0xffff, v1
	v_or_b32_e32 v17, 0x10000, v1
	s_delay_alu instid0(VALU_DEP_2) | instskip(NEXT) | instid1(VALU_DEP_2)
	v_cmp_eq_u32_e32 vcc_lo, 0, v0
	v_cndmask_b32_e32 v0, v17, v1, vcc_lo
; %bb.44:                               ;   in Loop: Header=BB254_14 Depth=1
	s_or_b32 exec_lo, exec_lo, s24
	v_add_f32_e32 v1, v12, v13
	v_dual_mov_b32 v13, v50 :: v_dual_add_nc_u32 v12, 1, v49
	s_waitcnt vmcnt(6)
	v_lshlrev_b32_e32 v17, 16, v30
	s_mov_b32 s24, exec_lo
	s_delay_alu instid0(VALU_DEP_2) | instskip(NEXT) | instid1(VALU_DEP_2)
	v_lshlrev_b64 v[12:13], 1, v[12:13]
	v_add_f32_e32 v1, v1, v17
	s_delay_alu instid0(VALU_DEP_1) | instskip(NEXT) | instid1(VALU_DEP_3)
	v_and_b32_e32 v17, 0x7f800000, v1
	v_add_co_u32 v12, vcc_lo, s10, v12
	s_delay_alu instid0(VALU_DEP_4)
	v_add_co_ci_u32_e32 v13, vcc_lo, s11, v13, vcc_lo
	global_store_d16_hi_b16 v[12:13], v0, off
                                        ; implicit-def: $vgpr0
	v_cmpx_ne_u32_e32 0x7f800000, v17
	s_xor_b32 s24, exec_lo, s24
; %bb.45:                               ;   in Loop: Header=BB254_14 Depth=1
	v_bfe_u32 v0, v1, 16, 1
	s_delay_alu instid0(VALU_DEP_1)
	v_add3_u32 v0, v1, v0, 0x7fff
                                        ; implicit-def: $vgpr1
; %bb.46:                               ;   in Loop: Header=BB254_14 Depth=1
	s_and_not1_saveexec_b32 s24, s24
; %bb.47:                               ;   in Loop: Header=BB254_14 Depth=1
	v_and_b32_e32 v0, 0xffff, v1
	v_or_b32_e32 v12, 0x10000, v1
	s_delay_alu instid0(VALU_DEP_2) | instskip(NEXT) | instid1(VALU_DEP_2)
	v_cmp_eq_u32_e32 vcc_lo, 0, v0
	v_cndmask_b32_e32 v0, v12, v1, vcc_lo
; %bb.48:                               ;   in Loop: Header=BB254_14 Depth=1
	s_or_b32 exec_lo, exec_lo, s24
	s_waitcnt lgkmcnt(5)
	v_add_f32_e32 v1, v8, v9
	v_dual_mov_b32 v9, v50 :: v_dual_add_nc_u32 v8, 2, v49
	s_waitcnt vmcnt(5)
	v_lshlrev_b32_e32 v12, 16, v29
	s_mov_b32 s24, exec_lo
	s_delay_alu instid0(VALU_DEP_2) | instskip(NEXT) | instid1(VALU_DEP_2)
	v_lshlrev_b64 v[8:9], 1, v[8:9]
	v_add_f32_e32 v1, v1, v12
	s_delay_alu instid0(VALU_DEP_1) | instskip(NEXT) | instid1(VALU_DEP_3)
	v_and_b32_e32 v12, 0x7f800000, v1
	v_add_co_u32 v8, vcc_lo, s10, v8
	s_delay_alu instid0(VALU_DEP_4)
	v_add_co_ci_u32_e32 v9, vcc_lo, s11, v9, vcc_lo
	global_store_d16_hi_b16 v[8:9], v0, off
                                        ; implicit-def: $vgpr0
	v_cmpx_ne_u32_e32 0x7f800000, v12
	s_xor_b32 s24, exec_lo, s24
; %bb.49:                               ;   in Loop: Header=BB254_14 Depth=1
	v_bfe_u32 v0, v1, 16, 1
	s_delay_alu instid0(VALU_DEP_1)
	v_add3_u32 v0, v1, v0, 0x7fff
                                        ; implicit-def: $vgpr1
; %bb.50:                               ;   in Loop: Header=BB254_14 Depth=1
	s_and_not1_saveexec_b32 s24, s24
; %bb.51:                               ;   in Loop: Header=BB254_14 Depth=1
	v_and_b32_e32 v0, 0xffff, v1
	v_or_b32_e32 v8, 0x10000, v1
	s_delay_alu instid0(VALU_DEP_2) | instskip(NEXT) | instid1(VALU_DEP_2)
	v_cmp_eq_u32_e32 vcc_lo, 0, v0
	v_cndmask_b32_e32 v0, v8, v1, vcc_lo
; %bb.52:                               ;   in Loop: Header=BB254_14 Depth=1
	s_or_b32 exec_lo, exec_lo, s24
	s_waitcnt vmcnt(4) lgkmcnt(3)
	v_dual_add_f32 v1, v14, v15 :: v_dual_lshlrev_b32 v8, 16, v28
	v_add_nc_u32_e32 v49, s7, v49
	s_mov_b32 s24, exec_lo
	s_delay_alu instid0(VALU_DEP_2) | instskip(NEXT) | instid1(VALU_DEP_2)
	v_add_f32_e32 v1, v1, v8
	v_lshlrev_b64 v[8:9], 1, v[49:50]
	s_delay_alu instid0(VALU_DEP_2) | instskip(NEXT) | instid1(VALU_DEP_2)
	v_and_b32_e32 v12, 0x7f800000, v1
	v_add_co_u32 v8, vcc_lo, s10, v8
	s_delay_alu instid0(VALU_DEP_3)
	v_add_co_ci_u32_e32 v9, vcc_lo, s11, v9, vcc_lo
	global_store_d16_hi_b16 v[8:9], v0, off
                                        ; implicit-def: $vgpr0
	v_cmpx_ne_u32_e32 0x7f800000, v12
	s_xor_b32 s24, exec_lo, s24
; %bb.53:                               ;   in Loop: Header=BB254_14 Depth=1
	v_bfe_u32 v0, v1, 16, 1
	s_delay_alu instid0(VALU_DEP_1)
	v_add3_u32 v0, v1, v0, 0x7fff
                                        ; implicit-def: $vgpr1
; %bb.54:                               ;   in Loop: Header=BB254_14 Depth=1
	s_and_not1_saveexec_b32 s24, s24
; %bb.55:                               ;   in Loop: Header=BB254_14 Depth=1
	v_and_b32_e32 v0, 0xffff, v1
	v_or_b32_e32 v8, 0x10000, v1
	s_delay_alu instid0(VALU_DEP_2) | instskip(NEXT) | instid1(VALU_DEP_2)
	v_cmp_eq_u32_e32 vcc_lo, 0, v0
	v_cndmask_b32_e32 v0, v8, v1, vcc_lo
; %bb.56:                               ;   in Loop: Header=BB254_14 Depth=1
	s_or_b32 exec_lo, exec_lo, s24
	v_dual_add_f32 v1, v10, v11 :: v_dual_add_nc_u32 v8, 1, v49
	s_waitcnt vmcnt(3)
	v_dual_mov_b32 v9, v50 :: v_dual_lshlrev_b32 v10, 16, v25
	s_mov_b32 s24, exec_lo
	s_delay_alu instid0(VALU_DEP_1) | instskip(NEXT) | instid1(VALU_DEP_2)
	v_add_f32_e32 v1, v1, v10
	v_lshlrev_b64 v[8:9], 1, v[8:9]
	s_delay_alu instid0(VALU_DEP_2) | instskip(NEXT) | instid1(VALU_DEP_2)
	v_and_b32_e32 v10, 0x7f800000, v1
	v_add_co_u32 v8, vcc_lo, s10, v8
	s_delay_alu instid0(VALU_DEP_3)
	v_add_co_ci_u32_e32 v9, vcc_lo, s11, v9, vcc_lo
	global_store_d16_hi_b16 v[8:9], v0, off
                                        ; implicit-def: $vgpr0
	v_cmpx_ne_u32_e32 0x7f800000, v10
	s_xor_b32 s24, exec_lo, s24
; %bb.57:                               ;   in Loop: Header=BB254_14 Depth=1
	v_bfe_u32 v0, v1, 16, 1
	s_delay_alu instid0(VALU_DEP_1)
	v_add3_u32 v0, v1, v0, 0x7fff
                                        ; implicit-def: $vgpr1
; %bb.58:                               ;   in Loop: Header=BB254_14 Depth=1
	s_and_not1_saveexec_b32 s24, s24
; %bb.59:                               ;   in Loop: Header=BB254_14 Depth=1
	v_and_b32_e32 v0, 0xffff, v1
	v_or_b32_e32 v8, 0x10000, v1
	s_delay_alu instid0(VALU_DEP_2) | instskip(NEXT) | instid1(VALU_DEP_2)
	v_cmp_eq_u32_e32 vcc_lo, 0, v0
	v_cndmask_b32_e32 v0, v8, v1, vcc_lo
; %bb.60:                               ;   in Loop: Header=BB254_14 Depth=1
	s_or_b32 exec_lo, exec_lo, s24
	s_waitcnt lgkmcnt(2)
	v_dual_add_f32 v1, v6, v7 :: v_dual_add_nc_u32 v6, 2, v49
	s_waitcnt vmcnt(2)
	v_dual_mov_b32 v7, v50 :: v_dual_lshlrev_b32 v8, 16, v22
	s_mov_b32 s24, exec_lo
	s_delay_alu instid0(VALU_DEP_1) | instskip(NEXT) | instid1(VALU_DEP_2)
	v_add_f32_e32 v1, v1, v8
	v_lshlrev_b64 v[6:7], 1, v[6:7]
	s_delay_alu instid0(VALU_DEP_2) | instskip(NEXT) | instid1(VALU_DEP_2)
	v_and_b32_e32 v8, 0x7f800000, v1
	v_add_co_u32 v6, vcc_lo, s10, v6
	s_delay_alu instid0(VALU_DEP_3)
	v_add_co_ci_u32_e32 v7, vcc_lo, s11, v7, vcc_lo
	global_store_d16_hi_b16 v[6:7], v0, off
                                        ; implicit-def: $vgpr0
	v_cmpx_ne_u32_e32 0x7f800000, v8
	s_xor_b32 s24, exec_lo, s24
; %bb.61:                               ;   in Loop: Header=BB254_14 Depth=1
	v_bfe_u32 v0, v1, 16, 1
	s_delay_alu instid0(VALU_DEP_1)
	v_add3_u32 v0, v1, v0, 0x7fff
                                        ; implicit-def: $vgpr1
; %bb.62:                               ;   in Loop: Header=BB254_14 Depth=1
	s_and_not1_saveexec_b32 s24, s24
; %bb.63:                               ;   in Loop: Header=BB254_14 Depth=1
	v_and_b32_e32 v0, 0xffff, v1
	v_or_b32_e32 v6, 0x10000, v1
	s_delay_alu instid0(VALU_DEP_2) | instskip(NEXT) | instid1(VALU_DEP_2)
	v_cmp_eq_u32_e32 vcc_lo, 0, v0
	v_cndmask_b32_e32 v0, v6, v1, vcc_lo
; %bb.64:                               ;   in Loop: Header=BB254_14 Depth=1
	s_or_b32 exec_lo, exec_lo, s24
	s_waitcnt vmcnt(1) lgkmcnt(1)
	v_dual_add_f32 v1, v4, v5 :: v_dual_lshlrev_b32 v4, 16, v19
	v_add_nc_u32_e32 v49, s7, v49
	s_mov_b32 s24, exec_lo
	s_delay_alu instid0(VALU_DEP_2) | instskip(NEXT) | instid1(VALU_DEP_2)
	v_add_f32_e32 v1, v1, v4
	v_lshlrev_b64 v[4:5], 1, v[49:50]
	s_delay_alu instid0(VALU_DEP_2) | instskip(NEXT) | instid1(VALU_DEP_2)
	v_and_b32_e32 v6, 0x7f800000, v1
	v_add_co_u32 v4, vcc_lo, s10, v4
	s_delay_alu instid0(VALU_DEP_3)
	v_add_co_ci_u32_e32 v5, vcc_lo, s11, v5, vcc_lo
	global_store_d16_hi_b16 v[4:5], v0, off
                                        ; implicit-def: $vgpr0
	v_cmpx_ne_u32_e32 0x7f800000, v6
	s_xor_b32 s24, exec_lo, s24
; %bb.65:                               ;   in Loop: Header=BB254_14 Depth=1
	v_bfe_u32 v0, v1, 16, 1
	s_delay_alu instid0(VALU_DEP_1)
	v_add3_u32 v0, v1, v0, 0x7fff
                                        ; implicit-def: $vgpr1
; %bb.66:                               ;   in Loop: Header=BB254_14 Depth=1
	s_and_not1_saveexec_b32 s24, s24
; %bb.67:                               ;   in Loop: Header=BB254_14 Depth=1
	v_and_b32_e32 v0, 0xffff, v1
	v_or_b32_e32 v4, 0x10000, v1
	s_delay_alu instid0(VALU_DEP_2) | instskip(NEXT) | instid1(VALU_DEP_2)
	v_cmp_eq_u32_e32 vcc_lo, 0, v0
	v_cndmask_b32_e32 v0, v4, v1, vcc_lo
; %bb.68:                               ;   in Loop: Header=BB254_14 Depth=1
	s_or_b32 exec_lo, exec_lo, s24
	s_waitcnt lgkmcnt(0)
	v_dual_add_f32 v1, v2, v3 :: v_dual_add_nc_u32 v2, 1, v49
	s_waitcnt vmcnt(0)
	v_dual_mov_b32 v3, v50 :: v_dual_lshlrev_b32 v4, 16, v16
	s_mov_b32 s24, exec_lo
	s_delay_alu instid0(VALU_DEP_1) | instskip(NEXT) | instid1(VALU_DEP_2)
	v_add_f32_e32 v1, v1, v4
	v_lshlrev_b64 v[2:3], 1, v[2:3]
	s_delay_alu instid0(VALU_DEP_2) | instskip(NEXT) | instid1(VALU_DEP_2)
	v_and_b32_e32 v4, 0x7f800000, v1
	v_add_co_u32 v2, vcc_lo, s10, v2
	s_delay_alu instid0(VALU_DEP_3)
	v_add_co_ci_u32_e32 v3, vcc_lo, s11, v3, vcc_lo
	global_store_d16_hi_b16 v[2:3], v0, off
                                        ; implicit-def: $vgpr0
	v_cmpx_ne_u32_e32 0x7f800000, v4
	s_xor_b32 s24, exec_lo, s24
; %bb.69:                               ;   in Loop: Header=BB254_14 Depth=1
	v_bfe_u32 v0, v1, 16, 1
	s_delay_alu instid0(VALU_DEP_1)
	v_add3_u32 v0, v1, v0, 0x7fff
                                        ; implicit-def: $vgpr1
; %bb.70:                               ;   in Loop: Header=BB254_14 Depth=1
	s_and_not1_saveexec_b32 s24, s24
	s_cbranch_execz .LBB254_12
; %bb.71:                               ;   in Loop: Header=BB254_14 Depth=1
	v_and_b32_e32 v0, 0xffff, v1
	v_or_b32_e32 v2, 0x10000, v1
	s_delay_alu instid0(VALU_DEP_2) | instskip(NEXT) | instid1(VALU_DEP_2)
	v_cmp_eq_u32_e32 vcc_lo, 0, v0
	v_cndmask_b32_e32 v0, v2, v1, vcc_lo
	s_branch .LBB254_12
.LBB254_72:
	s_nop 0
	s_sendmsg sendmsg(MSG_DEALLOC_VGPRS)
	s_endpgm
	.section	.rodata,"a",@progbits
	.p2align	6, 0x0
	.amdhsa_kernel _Z16wvSplitK_hf_sml_I14__hip_bfloat16Li32ELi3ELi16ELi8ELi2ELi4EEviiiiiiPKT_S3_S3_PS1_ii
		.amdhsa_group_segment_fixed_size 65536
		.amdhsa_private_segment_fixed_size 0
		.amdhsa_kernarg_size 64
		.amdhsa_user_sgpr_count 15
		.amdhsa_user_sgpr_dispatch_ptr 0
		.amdhsa_user_sgpr_queue_ptr 0
		.amdhsa_user_sgpr_kernarg_segment_ptr 1
		.amdhsa_user_sgpr_dispatch_id 0
		.amdhsa_user_sgpr_private_segment_size 0
		.amdhsa_wavefront_size32 1
		.amdhsa_uses_dynamic_stack 0
		.amdhsa_enable_private_segment 0
		.amdhsa_system_sgpr_workgroup_id_x 1
		.amdhsa_system_sgpr_workgroup_id_y 0
		.amdhsa_system_sgpr_workgroup_id_z 0
		.amdhsa_system_sgpr_workgroup_info 0
		.amdhsa_system_vgpr_workitem_id 1
		.amdhsa_next_free_vgpr 99
		.amdhsa_next_free_sgpr 26
		.amdhsa_reserve_vcc 1
		.amdhsa_float_round_mode_32 0
		.amdhsa_float_round_mode_16_64 0
		.amdhsa_float_denorm_mode_32 3
		.amdhsa_float_denorm_mode_16_64 3
		.amdhsa_dx10_clamp 1
		.amdhsa_ieee_mode 1
		.amdhsa_fp16_overflow 0
		.amdhsa_workgroup_processor_mode 1
		.amdhsa_memory_ordered 1
		.amdhsa_forward_progress 0
		.amdhsa_shared_vgpr_count 0
		.amdhsa_exception_fp_ieee_invalid_op 0
		.amdhsa_exception_fp_denorm_src 0
		.amdhsa_exception_fp_ieee_div_zero 0
		.amdhsa_exception_fp_ieee_overflow 0
		.amdhsa_exception_fp_ieee_underflow 0
		.amdhsa_exception_fp_ieee_inexact 0
		.amdhsa_exception_int_div_zero 0
	.end_amdhsa_kernel
	.section	.text._Z16wvSplitK_hf_sml_I14__hip_bfloat16Li32ELi3ELi16ELi8ELi2ELi4EEviiiiiiPKT_S3_S3_PS1_ii,"axG",@progbits,_Z16wvSplitK_hf_sml_I14__hip_bfloat16Li32ELi3ELi16ELi8ELi2ELi4EEviiiiiiPKT_S3_S3_PS1_ii,comdat
.Lfunc_end254:
	.size	_Z16wvSplitK_hf_sml_I14__hip_bfloat16Li32ELi3ELi16ELi8ELi2ELi4EEviiiiiiPKT_S3_S3_PS1_ii, .Lfunc_end254-_Z16wvSplitK_hf_sml_I14__hip_bfloat16Li32ELi3ELi16ELi8ELi2ELi4EEviiiiiiPKT_S3_S3_PS1_ii
                                        ; -- End function
	.section	.AMDGPU.csdata,"",@progbits
; Kernel info:
; codeLenInByte = 7380
; NumSgprs: 28
; NumVgprs: 99
; ScratchSize: 0
; MemoryBound: 0
; FloatMode: 240
; IeeeMode: 1
; LDSByteSize: 65536 bytes/workgroup (compile time only)
; SGPRBlocks: 3
; VGPRBlocks: 12
; NumSGPRsForWavesPerEU: 28
; NumVGPRsForWavesPerEU: 99
; Occupancy: 8
; WaveLimiterHint : 0
; COMPUTE_PGM_RSRC2:SCRATCH_EN: 0
; COMPUTE_PGM_RSRC2:USER_SGPR: 15
; COMPUTE_PGM_RSRC2:TRAP_HANDLER: 0
; COMPUTE_PGM_RSRC2:TGID_X_EN: 1
; COMPUTE_PGM_RSRC2:TGID_Y_EN: 0
; COMPUTE_PGM_RSRC2:TGID_Z_EN: 0
; COMPUTE_PGM_RSRC2:TIDIG_COMP_CNT: 1
	.section	.text._Z12wvSplitK_hf_I14__hip_bfloat16Li32ELi3ELi16ELi8ELi2ELi4EEviiiiiiPKT_S3_S3_PS1_ii,"axG",@progbits,_Z12wvSplitK_hf_I14__hip_bfloat16Li32ELi3ELi16ELi8ELi2ELi4EEviiiiiiPKT_S3_S3_PS1_ii,comdat
	.protected	_Z12wvSplitK_hf_I14__hip_bfloat16Li32ELi3ELi16ELi8ELi2ELi4EEviiiiiiPKT_S3_S3_PS1_ii ; -- Begin function _Z12wvSplitK_hf_I14__hip_bfloat16Li32ELi3ELi16ELi8ELi2ELi4EEviiiiiiPKT_S3_S3_PS1_ii
	.globl	_Z12wvSplitK_hf_I14__hip_bfloat16Li32ELi3ELi16ELi8ELi2ELi4EEviiiiiiPKT_S3_S3_PS1_ii
	.p2align	8
	.type	_Z12wvSplitK_hf_I14__hip_bfloat16Li32ELi3ELi16ELi8ELi2ELi4EEviiiiiiPKT_S3_S3_PS1_ii,@function
_Z12wvSplitK_hf_I14__hip_bfloat16Li32ELi3ELi16ELi8ELi2ELi4EEviiiiiiPKT_S3_S3_PS1_ii: ; @_Z12wvSplitK_hf_I14__hip_bfloat16Li32ELi3ELi16ELi8ELi2ELi4EEviiiiiiPKT_S3_S3_PS1_ii
; %bb.0:
	s_clause 0x1
	s_load_b64 s[18:19], s[0:1], 0x38
	s_load_b128 s[4:7], s[0:1], 0x0
	v_bfe_u32 v1, v0, 10, 10
	s_mov_b32 s8, 1
	s_delay_alu instid0(SALU_CYCLE_1) | instskip(SKIP_1) | instid1(SALU_CYCLE_1)
	s_mov_b32 s9, s8
	s_mov_b32 s10, s8
	v_mov_b32_e32 v58, s10
	v_dual_mov_b32 v56, s8 :: v_dual_mov_b32 v57, s9
	s_waitcnt lgkmcnt(0)
	v_mad_u64_u32 v[2:3], null, s15, s18, v[1:2]
	s_clause 0x1
	s_load_b64 s[12:13], s[0:1], 0x20
	s_load_b64 s[14:15], s[0:1], 0x10
	s_delay_alu instid0(VALU_DEP_1) | instskip(NEXT) | instid1(VALU_DEP_1)
	v_lshl_add_u32 v60, v2, 1, v2
	v_add_nc_u32_e32 v2, 3, v60
	v_cmp_gt_u32_e32 vcc_lo, s7, v60
	s_delay_alu instid0(VALU_DEP_2) | instskip(NEXT) | instid1(VALU_DEP_1)
	v_cmp_le_u32_e64 s2, s7, v2
	s_and_b32 s2, vcc_lo, s2
	s_delay_alu instid0(SALU_CYCLE_1)
	s_and_saveexec_b32 s11, s2
	s_cbranch_execz .LBB255_6
; %bb.1:
	v_dual_mov_b32 v58, s10 :: v_dual_mov_b32 v57, s9
	v_mov_b32_e32 v56, s8
	s_add_i32 s16, s7, -3
	s_mov_b32 s17, exec_lo
	v_cmpx_ne_u32_e64 s16, v60
	s_cbranch_execz .LBB255_5
; %bb.2:
	v_subrev_nc_u32_e32 v2, s16, v60
	s_mov_b32 s20, 0
	s_mov_b64 s[2:3], 0
	s_mov_b32 s9, s8
	s_mov_b32 s10, s8
	v_cmp_lt_u32_e32 vcc_lo, 1, v2
	v_cndmask_b32_e32 v2, 1, v2, vcc_lo
.LBB255_3:                              ; =>This Inner Loop Header: Depth=1
	s_cmp_lg_u32 s2, 2
	s_cselect_b32 s10, s10, 0
	s_cmp_lg_u32 s2, 1
	s_cselect_b32 s9, s9, 0
	;; [unrolled: 2-line block ×3, first 2 shown]
	s_add_u32 s2, s2, 1
	v_dual_mov_b32 v58, s10 :: v_dual_mov_b32 v57, s9
	v_cmp_eq_u32_e32 vcc_lo, s2, v2
	v_mov_b32_e32 v56, s8
	s_addc_u32 s3, s3, 0
	s_or_b32 s20, vcc_lo, s20
	s_delay_alu instid0(SALU_CYCLE_1)
	s_and_not1_b32 exec_lo, exec_lo, s20
	s_cbranch_execnz .LBB255_3
; %bb.4:
	s_or_b32 exec_lo, exec_lo, s20
	v_mov_b32_e32 v60, s16
.LBB255_5:
	s_or_b32 exec_lo, exec_lo, s17
.LBB255_6:
	s_delay_alu instid0(SALU_CYCLE_1) | instskip(SKIP_4) | instid1(VALU_DEP_1)
	s_or_b32 exec_lo, exec_lo, s11
	v_and_b32_e32 v0, 0x3ff, v0
	s_lshl_b32 s20, s6, 2
	s_mov_b32 s2, exec_lo
	s_min_u32 s3, s20, 0x8000
	v_lshlrev_b32_e32 v59, 3, v0
	s_delay_alu instid0(VALU_DEP_1) | instskip(NEXT) | instid1(VALU_DEP_1)
	v_lshl_add_u32 v3, v1, 8, v59
	v_cmpx_gt_u32_e64 s3, v3
	s_cbranch_execz .LBB255_15
; %bb.7:
	v_lshlrev_b32_e32 v2, 1, v3
	v_add_nc_u32_e32 v8, 0x1000, v3
	s_mov_b32 s8, exec_lo
	s_waitcnt lgkmcnt(0)
	global_load_b128 v[4:7], v2, s[12:13]
	s_waitcnt vmcnt(0)
	ds_store_b128 v2, v[4:7]
	v_cmpx_gt_u32_e64 s3, v8
	s_xor_b32 s8, exec_lo, s8
	s_cbranch_execz .LBB255_15
; %bb.8:
	v_add_co_u32 v4, s8, s12, v2
	s_delay_alu instid0(VALU_DEP_1) | instskip(SKIP_1) | instid1(VALU_DEP_3)
	v_add_co_ci_u32_e64 v5, null, s13, 0, s8
	v_add_nc_u32_e32 v10, 0x2000, v3
	v_add_co_u32 v6, vcc_lo, 0x2000, v4
	s_delay_alu instid0(VALU_DEP_3)
	v_add_co_ci_u32_e32 v7, vcc_lo, 0, v5, vcc_lo
	s_mov_b32 s8, exec_lo
	global_load_b128 v[6:9], v[6:7], off
	s_waitcnt vmcnt(0)
	ds_store_b128 v2, v[6:9] offset:8192
	v_cmpx_gt_u32_e64 s3, v10
	s_xor_b32 s8, exec_lo, s8
	s_cbranch_execz .LBB255_15
; %bb.9:
	v_add_co_u32 v6, vcc_lo, 0x4000, v4
	v_add_co_ci_u32_e32 v7, vcc_lo, 0, v5, vcc_lo
	v_add_nc_u32_e32 v10, 0x3000, v3
	s_mov_b32 s8, exec_lo
	global_load_b128 v[6:9], v[6:7], off
	s_waitcnt vmcnt(0)
	ds_store_b128 v2, v[6:9] offset:16384
	v_cmpx_gt_u32_e64 s3, v10
	s_xor_b32 s8, exec_lo, s8
	s_cbranch_execz .LBB255_15
; %bb.10:
	v_add_co_u32 v6, vcc_lo, 0x6000, v4
	v_add_co_ci_u32_e32 v7, vcc_lo, 0, v5, vcc_lo
	v_add_nc_u32_e32 v10, 0x4000, v3
	;; [unrolled: 11-line block ×5, first 2 shown]
	global_load_b128 v[6:9], v[6:7], off
	v_cmp_gt_u32_e32 vcc_lo, s3, v3
	s_waitcnt vmcnt(0)
	ds_store_b128 v2, v[6:9] offset:49152
	s_and_saveexec_b32 s3, vcc_lo
	s_delay_alu instid0(SALU_CYCLE_1)
	s_xor_b32 s3, exec_lo, s3
	s_cbranch_execz .LBB255_15
; %bb.14:
	v_add_co_u32 v3, vcc_lo, 0xe000, v4
	v_add_co_ci_u32_e32 v4, vcc_lo, 0, v5, vcc_lo
	global_load_b128 v[3:6], v[3:4], off
	s_waitcnt vmcnt(0)
	ds_store_b128 v2, v[3:6] offset:57344
.LBB255_15:
	s_or_b32 exec_lo, exec_lo, s2
	v_cmp_gt_u32_e32 vcc_lo, s18, v1
	v_cmp_gt_u32_e64 s2, s7, v60
	s_waitcnt lgkmcnt(0)
	s_barrier
	buffer_gl0_inv
	s_and_b32 s2, vcc_lo, s2
	s_delay_alu instid0(SALU_CYCLE_1)
	s_and_saveexec_b32 s3, s2
	s_cbranch_execz .LBB255_138
; %bb.16:
	s_clause 0x1
	s_load_b128 s[8:11], s[0:1], 0x28
	s_load_b64 s[16:17], s[0:1], 0x18
	s_cmp_lg_u32 s4, 0
	v_mbcnt_lo_u32_b32 v2, -1, 0
	s_cselect_b32 s21, -1, 0
	s_add_i32 s22, s4, -8
	s_add_i32 s23, s7, -1
	v_cvt_f32_u32_e32 v3, s14
	v_cmp_eq_u32_e64 s0, 31, v0
	s_mul_i32 s26, s18, s19
	v_mad_u64_u32 v[63:64], null, s6, 3, v[59:60]
	s_mul_i32 s26, s26, 3
	v_dual_mov_b32 v62, 0 :: v_dual_add_nc_u32 v79, s6, v59
	s_waitcnt lgkmcnt(0)
	s_cmp_lg_u64 s[8:9], 0
	s_cselect_b32 s24, -1, 0
	s_abs_i32 s1, s15
	s_add_i32 s25, s7, -3
	v_cvt_f32_u32_e32 v1, s1
	s_sub_i32 s3, 0, s1
	s_sub_i32 s18, 0, s14
	;; [unrolled: 1-line block ×3, first 2 shown]
	s_mov_b32 s15, 0
	v_rcp_iflag_f32_e32 v1, v1
	s_waitcnt_depctr 0xfff
	v_mul_f32_e32 v1, 0x4f7ffffe, v1
	s_delay_alu instid0(VALU_DEP_1) | instskip(NEXT) | instid1(VALU_DEP_1)
	v_cvt_u32_f32_e32 v1, v1
	v_readfirstlane_b32 s2, v1
	v_xor_b32_e32 v1, 16, v2
	s_delay_alu instid0(VALU_DEP_2) | instskip(NEXT) | instid1(VALU_DEP_1)
	s_mul_i32 s3, s3, s2
	v_cmp_gt_i32_e32 vcc_lo, 32, v1
	v_lshlrev_b32_e32 v78, 4, v0
	v_rcp_iflag_f32_e32 v0, v3
	s_mul_hi_u32 s3, s2, s3
	v_cndmask_b32_e32 v1, v2, v1, vcc_lo
	s_add_i32 s2, s2, s3
	s_cmp_lt_u32 s1, 2
	s_cselect_b32 s3, s19, 1
	s_delay_alu instid0(VALU_DEP_1)
	v_lshlrev_b32_e32 v80, 2, v1
	s_sub_i32 s19, s3, s1
	s_cmp_ge_u32 s3, s1
	s_waitcnt_depctr 0xfff
	v_mul_f32_e32 v0, 0x4f7ffffe, v0
	s_cselect_b32 s28, s19, s3
	s_lshr_b32 s3, s2, 31
	s_mul_hi_u32 s2, s2, 3
	s_mul_i32 s3, s3, s1
	v_cvt_u32_f32_e32 v0, v0
	s_sub_i32 s3, 2, s3
	s_mul_i32 s2, s2, s1
	s_sub_i32 s19, s3, s1
	s_cmp_ge_u32 s3, s1
	v_mul_lo_u32 v2, s18, v0
	s_cselect_b32 s3, s19, s3
	s_mul_i32 s28, s28, s14
	s_sub_i32 s18, s3, s1
	s_cmp_ge_u32 s3, s1
	s_cselect_b32 s29, s18, s3
	s_sub_i32 s2, 3, s2
	s_delay_alu instid0(VALU_DEP_1) | instskip(SKIP_4) | instid1(SALU_CYCLE_1)
	v_mul_hi_u32 v2, v0, v2
	s_sub_i32 s3, s2, s1
	s_cmp_ge_u32 s2, s1
	s_mul_i32 s29, s29, s14
	s_cselect_b32 s2, s3, s2
	s_sub_i32 s3, s2, s1
	s_cmp_ge_u32 s2, s1
	s_delay_alu instid0(VALU_DEP_1)
	v_add_nc_u32_e32 v81, v0, v2
	s_cselect_b32 s30, s3, s2
	s_lshl_b32 s27, s6, 1
	s_mul_i32 s30, s30, s14
	v_add_nc_u32_e32 v82, s27, v59
	s_mul_i32 s6, s6, 6
	s_branch .LBB255_19
.LBB255_17:                             ;   in Loop: Header=BB255_19 Depth=1
	s_or_b32 exec_lo, exec_lo, s33
	v_mov_b32_e32 v60, s25
.LBB255_18:                             ;   in Loop: Header=BB255_19 Depth=1
	s_or_b32 exec_lo, exec_lo, s31
	s_delay_alu instid0(VALU_DEP_1) | instskip(SKIP_1) | instid1(SALU_CYCLE_1)
	v_cmp_le_u32_e32 vcc_lo, s7, v60
	s_or_b32 s15, vcc_lo, s15
	s_and_not1_b32 exec_lo, exec_lo, s15
	s_cbranch_execz .LBB255_138
.LBB255_19:                             ; =>This Loop Header: Depth=1
                                        ;     Child Loop BB255_24 Depth 2
                                        ;     Child Loop BB255_136 Depth 2
	v_dual_mov_b32 v84, v62 :: v_dual_add_nc_u32 v65, 1, v60
	v_dual_mov_b32 v83, v62 :: v_dual_add_nc_u32 v64, 2, v60
	v_mov_b32_e32 v85, v62
	v_mov_b32_e32 v88, v62
	;; [unrolled: 1-line block ×10, first 2 shown]
	s_and_not1_b32 vcc_lo, exec_lo, s21
	s_cbranch_vccnz .LBB255_58
; %bb.20:                               ;   in Loop: Header=BB255_19 Depth=1
	v_min_u32_e32 v0, s23, v60
	s_waitcnt lgkmcnt(3)
	v_min_u32_e32 v1, s23, v65
	v_min_u32_e32 v2, s23, v64
	s_waitcnt lgkmcnt(0)
	v_dual_mov_b32 v3, v62 :: v_dual_mov_b32 v90, 0
	v_mul_lo_u32 v61, v0, s5
	v_mul_lo_u32 v0, v1, s5
	;; [unrolled: 1-line block ×3, first 2 shown]
	v_dual_mov_b32 v1, v62 :: v_dual_mov_b32 v92, 0
	v_dual_mov_b32 v87, v78 :: v_dual_mov_b32 v86, 0
	;; [unrolled: 1-line block ×3, first 2 shown]
	v_lshlrev_b64 v[66:67], 1, v[61:62]
	s_delay_alu instid0(VALU_DEP_4)
	v_lshlrev_b64 v[68:69], 1, v[0:1]
	v_lshlrev_b64 v[70:71], 1, v[2:3]
	v_dual_mov_b32 v93, 0 :: v_dual_mov_b32 v88, 0
	v_dual_mov_b32 v91, 0 :: v_dual_mov_b32 v84, 0
	v_mov_b32_e32 v89, 0
	v_mov_b32_e32 v85, 0
	;; [unrolled: 1-line block ×3, first 2 shown]
	s_mov_b32 s1, 0
	s_branch .LBB255_24
.LBB255_21:                             ;   in Loop: Header=BB255_24 Depth=2
	s_or_b32 exec_lo, exec_lo, s18
.LBB255_22:                             ;   in Loop: Header=BB255_24 Depth=2
	s_delay_alu instid0(SALU_CYCLE_1)
	s_or_b32 exec_lo, exec_lo, s3
.LBB255_23:                             ;   in Loop: Header=BB255_24 Depth=2
	s_delay_alu instid0(SALU_CYCLE_1)
	s_or_b32 exec_lo, exec_lo, s2
	s_waitcnt vmcnt(0) lgkmcnt(0)
	v_and_b32_e32 v99, 0xffff0000, v49
	v_lshlrev_b32_e32 v98, 16, v48
	v_and_b32_e32 v61, 0xffff0000, v41
	v_and_b32_e32 v72, 0xffff0000, v40
	v_lshlrev_b32_e32 v102, 16, v50
	v_and_b32_e32 v101, 0xffff0000, v50
	v_lshlrev_b32_e32 v73, 16, v40
	;; [unrolled: 2-line block ×3, first 2 shown]
	v_mul_f32_e32 v75, v99, v61
	v_and_b32_e32 v41, 0xffff0000, v42
	v_lshlrev_b32_e32 v40, 16, v42
	v_mul_f32_e32 v74, v97, v72
	v_and_b32_e32 v96, 0xffff0000, v32
	v_lshlrev_b32_e32 v108, 16, v54
	v_dual_mul_f32 v50, v101, v41 :: v_dual_and_b32 v111, 0xffff0000, v12
	s_delay_alu instid0(VALU_DEP_4) | instskip(SKIP_2) | instid1(VALU_DEP_3)
	v_fmac_f32_e32 v74, v98, v73
	s_addk_i32 s1, 0x200
	v_mul_f32_e32 v106, v97, v96
	v_fmac_f32_e32 v50, v102, v40
	s_cmp_ge_u32 s1, s4
	v_add_f32_e32 v42, v92, v74
	v_and_b32_e32 v92, 0xffff0000, v51
	v_lshlrev_b32_e32 v100, 16, v49
	v_and_b32_e32 v49, 0xffff0000, v36
	v_lshlrev_b32_e32 v109, 16, v55
	v_add_nc_u32_e32 v87, 0x400, v87
	s_delay_alu instid0(VALU_DEP_3) | instskip(SKIP_1) | instid1(VALU_DEP_2)
	v_dual_fmac_f32 v75, v100, v48 :: v_dual_mul_f32 v76, v97, v49
	v_and_b32_e32 v97, 0xffff0000, v33
	v_dual_add_f32 v74, v42, v75 :: v_dual_lshlrev_b32 v77, 16, v32
	v_lshlrev_b32_e32 v42, 16, v36
	v_lshlrev_b32_e32 v103, 16, v51
	s_delay_alu instid0(VALU_DEP_3) | instskip(SKIP_1) | instid1(VALU_DEP_1)
	v_dual_add_f32 v104, v74, v50 :: v_dual_lshlrev_b32 v51, 16, v37
	v_and_b32_e32 v74, 0xffff0000, v37
	v_mul_f32_e32 v37, v99, v74
	v_fmac_f32_e32 v76, v98, v42
	v_dual_fmac_f32 v106, v98, v77 :: v_dual_and_b32 v75, 0xffff0000, v38
	v_and_b32_e32 v50, 0xffff0000, v43
	s_delay_alu instid0(VALU_DEP_2) | instskip(NEXT) | instid1(VALU_DEP_2)
	v_dual_mul_f32 v98, v99, v97 :: v_dual_add_f32 v93, v93, v106
	v_mul_f32_e32 v105, v92, v50
	v_fmac_f32_e32 v37, v100, v51
	v_lshlrev_b32_e32 v32, 16, v39
	v_dual_add_f32 v43, v95, v76 :: v_dual_lshlrev_b32 v36, 16, v43
	v_mul_f32_e32 v95, v101, v75
	s_delay_alu instid0(VALU_DEP_2) | instskip(SKIP_2) | instid1(VALU_DEP_2)
	v_add_f32_e32 v107, v43, v37
	v_and_b32_e32 v37, 0xffff0000, v39
	v_lshlrev_b32_e32 v43, 16, v33
	v_mul_f32_e32 v39, v92, v37
	s_delay_alu instid0(VALU_DEP_2) | instskip(SKIP_1) | instid1(VALU_DEP_2)
	v_fmac_f32_e32 v98, v100, v43
	v_and_b32_e32 v100, 0xffff0000, v26
	v_add_f32_e32 v93, v93, v98
	s_delay_alu instid0(VALU_DEP_4) | instskip(SKIP_1) | instid1(VALU_DEP_2)
	v_dual_fmac_f32 v39, v103, v32 :: v_dual_lshlrev_b32 v76, 16, v38
	v_dual_fmac_f32 v105, v103, v36 :: v_dual_and_b32 v38, 0xffff0000, v34
	v_fmac_f32_e32 v95, v102, v76
	s_delay_alu instid0(VALU_DEP_1) | instskip(SKIP_2) | instid1(VALU_DEP_3)
	v_dual_add_f32 v95, v107, v95 :: v_dual_and_b32 v98, 0xffff0000, v24
	v_and_b32_e32 v107, 0xffff0000, v54
	v_and_b32_e32 v99, 0xffff0000, v25
	v_add_f32_e32 v95, v95, v39
	v_lshlrev_b32_e32 v39, 16, v24
	v_lshlrev_b32_e32 v33, 16, v34
	v_dual_mul_f32 v34, v101, v38 :: v_dual_add_f32 v101, v104, v105
	v_and_b32_e32 v105, 0xffff0000, v53
	v_and_b32_e32 v54, 0xffff0000, v16
	s_delay_alu instid0(VALU_DEP_3) | instskip(NEXT) | instid1(VALU_DEP_1)
	v_fmac_f32_e32 v34, v102, v33
	v_dual_add_f32 v93, v93, v34 :: v_dual_and_b32 v102, 0xffff0000, v52
	v_lshlrev_b32_e32 v106, 16, v53
	v_dual_mul_f32 v26, v107, v100 :: v_dual_lshlrev_b32 v53, 16, v26
	v_lshlrev_b32_e32 v104, 16, v52
	s_delay_alu instid0(VALU_DEP_4) | instskip(NEXT) | instid1(VALU_DEP_3)
	v_mul_f32_e32 v24, v102, v98
	v_fmac_f32_e32 v26, v108, v53
	v_dual_mul_f32 v25, v105, v99 :: v_dual_lshlrev_b32 v52, 16, v25
	v_and_b32_e32 v34, 0xffff0000, v35
	v_lshlrev_b32_e32 v35, 16, v35
	s_delay_alu instid0(VALU_DEP_2) | instskip(SKIP_1) | instid1(VALU_DEP_2)
	v_dual_fmac_f32 v25, v106, v52 :: v_dual_mul_f32 v92, v92, v34
	v_fmac_f32_e32 v24, v104, v39
	v_fmac_f32_e32 v92, v103, v35
	s_delay_alu instid0(VALU_DEP_2) | instskip(NEXT) | instid1(VALU_DEP_2)
	v_add_f32_e32 v24, v101, v24
	v_add_f32_e32 v93, v93, v92
	s_delay_alu instid0(VALU_DEP_2) | instskip(NEXT) | instid1(VALU_DEP_1)
	v_dual_add_f32 v101, v24, v25 :: v_dual_lshlrev_b32 v24, 16, v27
	v_dual_add_f32 v101, v101, v26 :: v_dual_and_b32 v26, 0xffff0000, v17
	v_and_b32_e32 v103, 0xffff0000, v55
	v_mul_f32_e32 v55, v102, v54
	v_dual_mul_f32 v102, v102, v111 :: v_dual_lshlrev_b32 v17, 16, v17
	s_delay_alu instid0(VALU_DEP_4) | instskip(NEXT) | instid1(VALU_DEP_1)
	v_dual_mul_f32 v110, v105, v26 :: v_dual_and_b32 v25, 0xffff0000, v27
	v_fmac_f32_e32 v110, v106, v17
	s_delay_alu instid0(VALU_DEP_2) | instskip(SKIP_2) | instid1(VALU_DEP_3)
	v_mul_f32_e32 v27, v103, v25
	v_and_b32_e32 v112, 0xffff0000, v13
	v_lshlrev_b32_e32 v13, 16, v13
	v_fmac_f32_e32 v27, v109, v24
	s_delay_alu instid0(VALU_DEP_1) | instskip(SKIP_2) | instid1(VALU_DEP_3)
	v_dual_add_f32 v92, v101, v27 :: v_dual_lshlrev_b32 v101, 16, v12
	v_and_b32_e32 v27, 0xffff0000, v18
	v_lshlrev_b32_e32 v18, 16, v18
	v_fmac_f32_e32 v102, v104, v101
	v_lshlrev_b32_e32 v16, 16, v16
	s_delay_alu instid0(VALU_DEP_2) | instskip(NEXT) | instid1(VALU_DEP_2)
	v_dual_add_f32 v93, v93, v102 :: v_dual_lshlrev_b32 v12, 16, v19
	v_fmac_f32_e32 v55, v104, v16
	s_delay_alu instid0(VALU_DEP_1) | instskip(SKIP_1) | instid1(VALU_DEP_2)
	v_add_f32_e32 v55, v95, v55
	v_mul_f32_e32 v95, v107, v27
	v_add_f32_e32 v110, v55, v110
	s_delay_alu instid0(VALU_DEP_2) | instskip(SKIP_2) | instid1(VALU_DEP_3)
	v_fmac_f32_e32 v95, v108, v18
	v_dual_mul_f32 v104, v105, v112 :: v_dual_and_b32 v55, 0xffff0000, v19
	v_and_b32_e32 v19, 0xffff0000, v14
	v_dual_add_f32 v95, v110, v95 :: v_dual_lshlrev_b32 v14, 16, v14
	s_delay_alu instid0(VALU_DEP_3) | instskip(NEXT) | instid1(VALU_DEP_3)
	v_mul_f32_e32 v105, v103, v55
	v_mul_f32_e32 v102, v107, v19
	v_fmac_f32_e32 v104, v106, v13
	v_and_b32_e32 v106, 0xffff0000, v20
	s_delay_alu instid0(VALU_DEP_3) | instskip(NEXT) | instid1(VALU_DEP_3)
	v_dual_fmac_f32 v105, v109, v12 :: v_dual_fmac_f32 v102, v108, v14
	v_dual_add_f32 v93, v93, v104 :: v_dual_and_b32 v104, 0xffff0000, v15
	s_delay_alu instid0(VALU_DEP_3) | instskip(NEXT) | instid1(VALU_DEP_2)
	v_dual_mul_f32 v107, v106, v72 :: v_dual_and_b32 v108, 0xffff0000, v21
	v_dual_add_f32 v93, v93, v102 :: v_dual_lshlrev_b32 v20, 16, v20
	s_delay_alu instid0(VALU_DEP_3) | instskip(SKIP_1) | instid1(VALU_DEP_4)
	v_mul_f32_e32 v103, v103, v104
	v_lshlrev_b32_e32 v21, 16, v21
	v_dual_mul_f32 v102, v108, v61 :: v_dual_lshlrev_b32 v15, 16, v15
	v_add_f32_e32 v95, v95, v105
	v_and_b32_e32 v105, 0xffff0000, v22
	v_lshlrev_b32_e32 v22, 16, v22
	s_delay_alu instid0(VALU_DEP_4) | instskip(SKIP_2) | instid1(VALU_DEP_2)
	v_fmac_f32_e32 v102, v21, v48
	v_fmac_f32_e32 v103, v109, v15
	;; [unrolled: 1-line block ×3, first 2 shown]
	v_add_f32_e32 v93, v93, v103
	v_mul_f32_e32 v103, v106, v49
	s_delay_alu instid0(VALU_DEP_1) | instskip(NEXT) | instid1(VALU_DEP_1)
	v_dual_mul_f32 v106, v106, v96 :: v_dual_fmac_f32 v103, v20, v42
	v_fmac_f32_e32 v106, v20, v77
	v_mul_f32_e32 v20, v108, v97
	s_delay_alu instid0(VALU_DEP_2) | instskip(SKIP_4) | instid1(VALU_DEP_2)
	v_add_f32_e32 v86, v86, v106
	v_and_b32_e32 v106, 0xffff0000, v45
	v_add_f32_e32 v90, v90, v103
	v_add_f32_e32 v91, v91, v107
	v_lshlrev_b32_e32 v45, 16, v45
	v_dual_add_f32 v91, v91, v102 :: v_dual_and_b32 v102, 0xffff0000, v23
	s_delay_alu instid0(VALU_DEP_1) | instskip(SKIP_1) | instid1(VALU_DEP_2)
	v_dual_mul_f32 v110, v102, v50 :: v_dual_lshlrev_b32 v23, 16, v23
	v_dual_fmac_f32 v20, v21, v43 :: v_dual_mul_f32 v109, v108, v74
	v_fmac_f32_e32 v110, v23, v36
	s_delay_alu instid0(VALU_DEP_2) | instskip(SKIP_2) | instid1(VALU_DEP_3)
	v_dual_add_f32 v20, v86, v20 :: v_dual_fmac_f32 v109, v21, v51
	v_mul_f32_e32 v103, v105, v75
	v_dual_mul_f32 v86, v106, v99 :: v_dual_lshlrev_b32 v21, 16, v44
	v_add_f32_e32 v90, v90, v109
	s_delay_alu instid0(VALU_DEP_3) | instskip(SKIP_3) | instid1(VALU_DEP_4)
	v_fmac_f32_e32 v103, v22, v76
	v_mul_f32_e32 v107, v105, v41
	v_mul_f32_e32 v105, v105, v38
	v_fmac_f32_e32 v86, v45, v52
	v_add_f32_e32 v90, v90, v103
	s_delay_alu instid0(VALU_DEP_4) | instskip(NEXT) | instid1(VALU_DEP_4)
	v_fmac_f32_e32 v107, v22, v40
	v_dual_fmac_f32 v105, v22, v33 :: v_dual_and_b32 v22, 0xffff0000, v46
	s_delay_alu instid0(VALU_DEP_2) | instskip(NEXT) | instid1(VALU_DEP_1)
	v_dual_add_f32 v91, v91, v107 :: v_dual_lshlrev_b32 v46, 16, v46
	v_dual_add_f32 v20, v20, v105 :: v_dual_add_f32 v91, v91, v110
	v_mul_f32_e32 v103, v102, v37
	v_dual_mul_f32 v102, v102, v34 :: v_dual_and_b32 v107, 0xffff0000, v44
	s_delay_alu instid0(VALU_DEP_1) | instskip(NEXT) | instid1(VALU_DEP_2)
	v_mul_f32_e32 v44, v107, v98
	v_fmac_f32_e32 v102, v23, v35
	s_delay_alu instid0(VALU_DEP_2) | instskip(NEXT) | instid1(VALU_DEP_2)
	v_fmac_f32_e32 v44, v21, v39
	v_add_f32_e32 v20, v20, v102
	s_delay_alu instid0(VALU_DEP_2) | instskip(SKIP_2) | instid1(VALU_DEP_3)
	v_add_f32_e32 v44, v91, v44
	v_mul_f32_e32 v91, v22, v100
	v_fmac_f32_e32 v103, v23, v32
	v_add_f32_e32 v23, v44, v86
	v_mul_f32_e32 v44, v107, v54
	s_delay_alu instid0(VALU_DEP_3) | instskip(SKIP_1) | instid1(VALU_DEP_3)
	v_add_f32_e32 v86, v90, v103
	v_dual_fmac_f32 v91, v46, v53 :: v_dual_and_b32 v90, 0xffff0000, v47
	v_dual_mul_f32 v103, v107, v111 :: v_dual_fmac_f32 v44, v21, v16
	s_delay_alu instid0(VALU_DEP_2) | instskip(NEXT) | instid1(VALU_DEP_2)
	v_dual_mul_f32 v102, v90, v25 :: v_dual_add_f32 v23, v23, v91
	v_add_f32_e32 v44, v86, v44
	v_mul_f32_e32 v86, v22, v27
	s_delay_alu instid0(VALU_DEP_1) | instskip(NEXT) | instid1(VALU_DEP_1)
	v_dual_fmac_f32 v86, v46, v18 :: v_dual_lshlrev_b32 v47, 16, v47
	v_dual_mul_f32 v91, v106, v26 :: v_dual_fmac_f32 v102, v47, v24
	s_delay_alu instid0(VALU_DEP_1) | instskip(NEXT) | instid1(VALU_DEP_1)
	v_fmac_f32_e32 v91, v45, v17
	v_dual_add_f32 v44, v44, v91 :: v_dual_add_f32 v91, v23, v102
	s_delay_alu instid0(VALU_DEP_1) | instskip(SKIP_2) | instid1(VALU_DEP_3)
	v_dual_mul_f32 v22, v22, v19 :: v_dual_add_f32 v23, v44, v86
	v_dual_fmac_f32 v103, v21, v101 :: v_dual_and_b32 v44, 0xffff0000, v4
	v_mul_f32_e32 v21, v106, v112
	v_fmac_f32_e32 v22, v46, v14
	v_and_b32_e32 v46, 0xffff0000, v5
	v_lshlrev_b32_e32 v4, 16, v4
	s_delay_alu instid0(VALU_DEP_4) | instskip(NEXT) | instid1(VALU_DEP_1)
	v_dual_add_f32 v20, v20, v103 :: v_dual_fmac_f32 v21, v45, v13
	v_dual_mul_f32 v45, v90, v55 :: v_dual_add_f32 v20, v20, v21
	v_mul_f32_e32 v21, v44, v72
	v_mul_f32_e32 v86, v90, v104
	s_delay_alu instid0(VALU_DEP_3) | instskip(NEXT) | instid1(VALU_DEP_3)
	v_dual_fmac_f32 v45, v47, v12 :: v_dual_add_f32 v20, v20, v22
	v_fmac_f32_e32 v21, v4, v73
	s_delay_alu instid0(VALU_DEP_3) | instskip(SKIP_2) | instid1(VALU_DEP_3)
	v_dual_fmac_f32 v86, v47, v15 :: v_dual_lshlrev_b32 v5, 16, v5
	v_mul_f32_e32 v22, v46, v61
	v_mul_f32_e32 v47, v46, v74
	v_dual_add_f32 v21, v89, v21 :: v_dual_add_f32 v86, v20, v86
	v_dual_add_f32 v90, v23, v45 :: v_dual_and_b32 v23, 0xffff0000, v6
	s_delay_alu instid0(VALU_DEP_4) | instskip(SKIP_2) | instid1(VALU_DEP_4)
	v_fmac_f32_e32 v22, v5, v48
	v_mul_f32_e32 v20, v44, v49
	v_dual_fmac_f32 v47, v5, v51 :: v_dual_lshlrev_b32 v6, 16, v6
	v_mul_f32_e32 v45, v23, v41
	s_delay_alu instid0(VALU_DEP_4) | instskip(NEXT) | instid1(VALU_DEP_4)
	v_dual_add_f32 v21, v21, v22 :: v_dual_and_b32 v22, 0xffff0000, v7
	v_dual_fmac_f32 v20, v4, v42 :: v_dual_lshlrev_b32 v7, 16, v7
	s_delay_alu instid0(VALU_DEP_3) | instskip(NEXT) | instid1(VALU_DEP_3)
	v_fmac_f32_e32 v45, v6, v40
	v_dual_mul_f32 v44, v44, v96 :: v_dual_mul_f32 v89, v22, v50
	s_delay_alu instid0(VALU_DEP_3) | instskip(NEXT) | instid1(VALU_DEP_3)
	v_add_f32_e32 v20, v94, v20
	v_dual_mul_f32 v94, v23, v75 :: v_dual_add_f32 v21, v21, v45
	v_mul_f32_e32 v45, v22, v37
	s_delay_alu instid0(VALU_DEP_3) | instskip(NEXT) | instid1(VALU_DEP_3)
	v_dual_fmac_f32 v89, v7, v36 :: v_dual_add_f32 v20, v20, v47
	v_fmac_f32_e32 v94, v6, v76
	s_delay_alu instid0(VALU_DEP_3) | instskip(SKIP_1) | instid1(VALU_DEP_3)
	v_dual_fmac_f32 v44, v4, v77 :: v_dual_fmac_f32 v45, v7, v32
	v_mul_f32_e32 v4, v46, v97
	v_dual_add_f32 v21, v21, v89 :: v_dual_add_f32 v20, v20, v94
	s_delay_alu instid0(VALU_DEP_3) | instskip(SKIP_1) | instid1(VALU_DEP_4)
	v_add_f32_e32 v44, v88, v44
	v_mul_f32_e32 v22, v22, v34
	v_dual_fmac_f32 v4, v5, v43 :: v_dual_mul_f32 v5, v23, v38
	v_and_b32_e32 v46, 0xffff0000, v28
	v_dual_add_f32 v20, v20, v45 :: v_dual_lshlrev_b32 v23, 16, v28
	v_and_b32_e32 v45, 0xffff0000, v29
	s_delay_alu instid0(VALU_DEP_4) | instskip(NEXT) | instid1(VALU_DEP_4)
	v_fmac_f32_e32 v5, v6, v33
	v_mul_f32_e32 v28, v46, v98
	v_add_f32_e32 v4, v44, v4
	v_dual_fmac_f32 v22, v7, v35 :: v_dual_mul_f32 v7, v46, v54
	v_dual_mul_f32 v29, v45, v99 :: v_dual_lshlrev_b32 v6, 16, v29
	s_delay_alu instid0(VALU_DEP_2) | instskip(NEXT) | instid1(VALU_DEP_2)
	v_dual_add_f32 v4, v4, v5 :: v_dual_fmac_f32 v7, v23, v16
	v_dual_fmac_f32 v28, v23, v39 :: v_dual_fmac_f32 v29, v6, v52
	s_delay_alu instid0(VALU_DEP_1) | instskip(SKIP_1) | instid1(VALU_DEP_4)
	v_add_f32_e32 v5, v21, v28
	v_and_b32_e32 v21, 0xffff0000, v30
	v_dual_add_f32 v7, v20, v7 :: v_dual_lshlrev_b32 v28, 16, v30
	s_delay_alu instid0(VALU_DEP_3) | instskip(NEXT) | instid1(VALU_DEP_3)
	v_add_f32_e32 v5, v5, v29
	v_dual_mul_f32 v30, v21, v100 :: v_dual_and_b32 v29, 0xffff0000, v31
	v_lshlrev_b32_e32 v31, 16, v31
	v_mul_f32_e32 v20, v21, v27
	s_delay_alu instid0(VALU_DEP_3) | instskip(SKIP_3) | instid1(VALU_DEP_3)
	v_mul_f32_e32 v47, v29, v25
	v_mul_f32_e32 v44, v45, v26
	v_add_f32_e32 v4, v4, v22
	v_mul_f32_e32 v22, v45, v112
	v_dual_fmac_f32 v47, v31, v24 :: v_dual_fmac_f32 v44, v6, v17
	v_fmac_f32_e32 v30, v28, v53
	s_delay_alu instid0(VALU_DEP_2) | instskip(NEXT) | instid1(VALU_DEP_2)
	v_dual_fmac_f32 v22, v6, v13 :: v_dual_add_f32 v7, v7, v44
	v_add_f32_e32 v5, v5, v30
	s_delay_alu instid0(VALU_DEP_1) | instskip(NEXT) | instid1(VALU_DEP_1)
	v_dual_fmac_f32 v20, v28, v18 :: v_dual_add_f32 v89, v5, v47
	v_dual_mul_f32 v30, v46, v111 :: v_dual_add_f32 v5, v7, v20
	v_dual_mul_f32 v6, v21, v19 :: v_dual_and_b32 v7, 0xffff0000, v0
	v_dual_mul_f32 v21, v29, v55 :: v_dual_lshlrev_b32 v0, 16, v0
	s_delay_alu instid0(VALU_DEP_2) | instskip(NEXT) | instid1(VALU_DEP_3)
	v_mul_f32_e32 v20, v7, v72
	v_fmac_f32_e32 v6, v28, v14
	v_dual_mul_f32 v28, v29, v104 :: v_dual_mul_f32 v29, v7, v49
	v_fmac_f32_e32 v30, v23, v101
	v_and_b32_e32 v23, 0xffff0000, v1
	v_fmac_f32_e32 v20, v0, v73
	v_lshlrev_b32_e32 v1, 16, v1
	v_fmac_f32_e32 v29, v0, v42
	v_dual_add_f32 v4, v4, v30 :: v_dual_fmac_f32 v21, v31, v12
	v_mul_f32_e32 v7, v7, v96
	s_delay_alu instid0(VALU_DEP_3) | instskip(NEXT) | instid1(VALU_DEP_3)
	v_add_f32_e32 v29, v84, v29
	v_add_f32_e32 v4, v4, v22
	v_fmac_f32_e32 v28, v31, v15
	v_add_f32_e32 v94, v5, v21
	s_delay_alu instid0(VALU_DEP_3) | instskip(SKIP_3) | instid1(VALU_DEP_2)
	v_add_f32_e32 v4, v4, v6
	v_add_f32_e32 v6, v85, v20
	v_and_b32_e32 v20, 0xffff0000, v2
	v_lshlrev_b32_e32 v2, 16, v2
	v_dual_mul_f32 v30, v20, v41 :: v_dual_mul_f32 v41, v23, v74
	v_fmac_f32_e32 v7, v0, v77
	s_delay_alu instid0(VALU_DEP_2) | instskip(NEXT) | instid1(VALU_DEP_2)
	v_dual_mul_f32 v0, v23, v97 :: v_dual_fmac_f32 v41, v1, v51
	v_add_f32_e32 v7, v83, v7
	v_mul_f32_e32 v42, v20, v75
	s_delay_alu instid0(VALU_DEP_3) | instskip(NEXT) | instid1(VALU_DEP_4)
	v_fmac_f32_e32 v0, v1, v43
	v_dual_mul_f32 v20, v20, v38 :: v_dual_add_f32 v29, v29, v41
	v_add_f32_e32 v88, v4, v28
	s_delay_alu instid0(VALU_DEP_4) | instskip(SKIP_3) | instid1(VALU_DEP_4)
	v_fmac_f32_e32 v42, v2, v76
	v_mul_f32_e32 v22, v23, v61
	v_dual_add_f32 v0, v7, v0 :: v_dual_lshlrev_b32 v7, 16, v9
	v_and_b32_e32 v23, 0xffff0000, v8
	v_add_f32_e32 v29, v29, v42
	s_delay_alu instid0(VALU_DEP_4) | instskip(SKIP_3) | instid1(VALU_DEP_4)
	v_fmac_f32_e32 v22, v1, v48
	v_lshlrev_b32_e32 v1, 16, v8
	v_fmac_f32_e32 v30, v2, v40
	v_mul_f32_e32 v8, v23, v98
	v_add_f32_e32 v6, v6, v22
	v_and_b32_e32 v22, 0xffff0000, v3
	v_lshlrev_b32_e32 v3, 16, v3
	s_delay_alu instid0(VALU_DEP_4) | instskip(NEXT) | instid1(VALU_DEP_3)
	v_fmac_f32_e32 v8, v1, v39
	v_mul_f32_e32 v40, v22, v50
	s_delay_alu instid0(VALU_DEP_1) | instskip(SKIP_1) | instid1(VALU_DEP_1)
	v_fmac_f32_e32 v40, v3, v36
	v_and_b32_e32 v36, 0xffff0000, v9
	v_dual_mul_f32 v9, v36, v99 :: v_dual_fmac_f32 v20, v2, v33
	s_delay_alu instid0(VALU_DEP_1)
	v_dual_fmac_f32 v9, v7, v52 :: v_dual_and_b32 v2, 0xffff0000, v10
	v_add_f32_e32 v6, v6, v30
	v_mul_f32_e32 v30, v22, v37
	v_mul_f32_e32 v22, v22, v34
	v_add_f32_e32 v0, v0, v20
	v_mul_f32_e32 v20, v23, v111
	v_add_f32_e32 v6, v6, v40
	v_fmac_f32_e32 v30, v3, v32
	v_fmac_f32_e32 v22, v3, v35
	s_delay_alu instid0(VALU_DEP_4) | instskip(NEXT) | instid1(VALU_DEP_4)
	v_fmac_f32_e32 v20, v1, v101
	v_add_f32_e32 v6, v6, v8
	v_lshlrev_b32_e32 v8, 16, v10
	v_mul_f32_e32 v10, v2, v100
	s_delay_alu instid0(VALU_DEP_3) | instskip(NEXT) | instid1(VALU_DEP_2)
	v_dual_add_f32 v0, v0, v22 :: v_dual_add_f32 v3, v6, v9
	v_dual_mul_f32 v9, v23, v54 :: v_dual_fmac_f32 v10, v8, v53
	s_delay_alu instid0(VALU_DEP_2) | instskip(SKIP_1) | instid1(VALU_DEP_3)
	v_add_f32_e32 v0, v0, v20
	v_add_f32_e32 v6, v29, v30
	v_fmac_f32_e32 v9, v1, v16
	v_mul_f32_e32 v1, v36, v112
	v_dual_add_f32 v3, v3, v10 :: v_dual_and_b32 v10, 0xffff0000, v11
	s_delay_alu instid0(VALU_DEP_3) | instskip(NEXT) | instid1(VALU_DEP_3)
	v_dual_add_f32 v6, v6, v9 :: v_dual_lshlrev_b32 v11, 16, v11
	v_fmac_f32_e32 v1, v7, v13
	v_mul_f32_e32 v9, v2, v27
	v_mul_f32_e32 v2, v2, v19
	;; [unrolled: 1-line block ×3, first 2 shown]
	s_delay_alu instid0(VALU_DEP_4) | instskip(NEXT) | instid1(VALU_DEP_4)
	v_add_f32_e32 v0, v0, v1
	v_fmac_f32_e32 v9, v8, v18
	s_delay_alu instid0(VALU_DEP_4) | instskip(NEXT) | instid1(VALU_DEP_4)
	v_dual_mul_f32 v1, v10, v104 :: v_dual_fmac_f32 v2, v8, v14
	v_fmac_f32_e32 v22, v11, v24
	s_delay_alu instid0(VALU_DEP_2) | instskip(NEXT) | instid1(VALU_DEP_3)
	v_dual_fmac_f32 v1, v11, v15 :: v_dual_mul_f32 v16, v36, v26
	v_add_f32_e32 v0, v0, v2
	s_delay_alu instid0(VALU_DEP_3) | instskip(NEXT) | instid1(VALU_DEP_3)
	v_add_f32_e32 v85, v3, v22
	v_dual_fmac_f32 v16, v7, v17 :: v_dual_mul_f32 v7, v10, v55
	s_delay_alu instid0(VALU_DEP_1) | instskip(NEXT) | instid1(VALU_DEP_1)
	v_dual_add_f32 v83, v0, v1 :: v_dual_add_f32 v6, v6, v16
	v_dual_fmac_f32 v7, v11, v12 :: v_dual_add_f32 v6, v6, v9
	s_delay_alu instid0(VALU_DEP_1)
	v_add_f32_e32 v84, v6, v7
	s_cbranch_scc1 .LBB255_58
.LBB255_24:                             ;   Parent Loop BB255_19 Depth=1
                                        ; =>  This Inner Loop Header: Depth=2
	v_add_nc_u32_e32 v73, s1, v59
	s_waitcnt vmcnt(6)
	v_dual_mov_b32 v31, 0 :: v_dual_mov_b32 v30, 0
	s_waitcnt vmcnt(5)
	v_dual_mov_b32 v29, 0 :: v_dual_mov_b32 v28, 0
	v_min_u32_e32 v61, s22, v73
	v_dual_mov_b32 v47, 0 :: v_dual_add_nc_u32 v72, 0x100, v73
	v_dual_mov_b32 v46, 0 :: v_dual_mov_b32 v45, 0
	v_mov_b32_e32 v44, 0
	s_delay_alu instid0(VALU_DEP_4) | instskip(NEXT) | instid1(VALU_DEP_4)
	v_lshlrev_b64 v[0:1], 1, v[61:62]
	v_min_u32_e32 v61, s22, v72
	v_dual_mov_b32 v55, 0 :: v_dual_mov_b32 v54, 0
	v_dual_mov_b32 v53, 0 :: v_dual_mov_b32 v52, 0
	s_delay_alu instid0(VALU_DEP_4) | instskip(SKIP_2) | instid1(VALU_DEP_3)
	v_add_co_u32 v6, vcc_lo, s16, v0
	v_add_co_ci_u32_e32 v7, vcc_lo, s17, v1, vcc_lo
	v_lshlrev_b64 v[0:1], 1, v[61:62]
	v_add_co_u32 v2, vcc_lo, v6, v66
	s_delay_alu instid0(VALU_DEP_3)
	v_add_co_ci_u32_e32 v3, vcc_lo, v7, v67, vcc_lo
	v_add_co_u32 v4, vcc_lo, v6, v68
	v_add_co_ci_u32_e32 v5, vcc_lo, v7, v69, vcc_lo
	s_waitcnt vmcnt(0)
	v_add_co_u32 v10, vcc_lo, s16, v0
	v_add_co_ci_u32_e32 v11, vcc_lo, s17, v1, vcc_lo
	v_add_co_u32 v0, vcc_lo, v6, v70
	v_add_co_ci_u32_e32 v1, vcc_lo, v7, v71, vcc_lo
	s_delay_alu instid0(VALU_DEP_4) | instskip(NEXT) | instid1(VALU_DEP_4)
	v_add_co_u32 v6, vcc_lo, v10, v66
	v_add_co_ci_u32_e32 v7, vcc_lo, v11, v67, vcc_lo
	v_add_co_u32 v8, vcc_lo, v10, v68
	v_add_co_ci_u32_e32 v9, vcc_lo, v11, v69, vcc_lo
	;; [unrolled: 2-line block ×3, first 2 shown]
	s_clause 0x5
	global_load_b128 v[40:43], v[2:3], off slc dlc
	global_load_b128 v[36:39], v[4:5], off slc dlc
	;; [unrolled: 1-line block ×6, first 2 shown]
	v_dual_mov_b32 v11, 0 :: v_dual_mov_b32 v10, 0
	v_cmp_gt_u32_e32 vcc_lo, s4, v73
	v_dual_mov_b32 v9, 0 :: v_dual_mov_b32 v8, 0
	v_dual_mov_b32 v3, 0 :: v_dual_mov_b32 v2, 0
	;; [unrolled: 1-line block ×9, first 2 shown]
	s_and_saveexec_b32 s2, vcc_lo
	s_cbranch_execz .LBB255_23
; %bb.25:                               ;   in Loop: Header=BB255_24 Depth=2
	s_mov_b32 s3, exec_lo
                                        ; implicit-def: $vgpr51
	v_cmpx_lt_u32_e32 0x7fff, v73
	s_xor_b32 s3, exec_lo, s3
	s_cbranch_execz .LBB255_27
; %bb.26:                               ;   in Loop: Header=BB255_24 Depth=2
	v_mov_b32_e32 v74, v62
	s_delay_alu instid0(VALU_DEP_1) | instskip(NEXT) | instid1(VALU_DEP_1)
	v_lshlrev_b64 v[0:1], 1, v[73:74]
	v_add_co_u32 v0, vcc_lo, s12, v0
	s_delay_alu instid0(VALU_DEP_2)
	v_add_co_ci_u32_e32 v1, vcc_lo, s13, v1, vcc_lo
	global_load_b128 v[48:51], v[0:1], off
.LBB255_27:                             ;   in Loop: Header=BB255_24 Depth=2
	s_and_not1_saveexec_b32 s3, s3
	s_cbranch_execz .LBB255_29
; %bb.28:                               ;   in Loop: Header=BB255_24 Depth=2
	s_waitcnt vmcnt(0)
	ds_load_b128 v[48:51], v87
.LBB255_29:                             ;   in Loop: Header=BB255_24 Depth=2
	s_or_b32 exec_lo, exec_lo, s3
	v_add_nc_u32_e32 v61, s1, v79
	s_mov_b32 s3, exec_lo
                                        ; implicit-def: $vgpr23
	s_delay_alu instid0(VALU_DEP_1)
	v_cmpx_lt_u32_e32 0x7fff, v61
	s_xor_b32 s3, exec_lo, s3
	s_cbranch_execz .LBB255_31
; %bb.30:                               ;   in Loop: Header=BB255_24 Depth=2
	v_lshlrev_b64 v[0:1], 1, v[61:62]
	s_delay_alu instid0(VALU_DEP_1) | instskip(NEXT) | instid1(VALU_DEP_2)
	v_add_co_u32 v0, vcc_lo, s12, v0
	v_add_co_ci_u32_e32 v1, vcc_lo, s13, v1, vcc_lo
	global_load_b128 v[20:23], v[0:1], off
.LBB255_31:                             ;   in Loop: Header=BB255_24 Depth=2
	s_and_not1_saveexec_b32 s3, s3
	s_cbranch_execz .LBB255_33
; %bb.32:                               ;   in Loop: Header=BB255_24 Depth=2
	v_add_nc_u32_e32 v0, s27, v87
	s_waitcnt vmcnt(0)
	ds_load_b128 v[20:23], v0
.LBB255_33:                             ;   in Loop: Header=BB255_24 Depth=2
	s_or_b32 exec_lo, exec_lo, s3
	v_add_nc_u32_e32 v76, s1, v82
	s_mov_b32 s3, exec_lo
                                        ; implicit-def: $vgpr7
	s_delay_alu instid0(VALU_DEP_1)
	v_cmpx_lt_u32_e32 0x7fff, v76
	s_xor_b32 s3, exec_lo, s3
	s_cbranch_execz .LBB255_35
; %bb.34:                               ;   in Loop: Header=BB255_24 Depth=2
	v_mov_b32_e32 v77, v62
	s_delay_alu instid0(VALU_DEP_1) | instskip(NEXT) | instid1(VALU_DEP_1)
	v_lshlrev_b64 v[0:1], 1, v[76:77]
	v_add_co_u32 v0, vcc_lo, s12, v0
	s_delay_alu instid0(VALU_DEP_2)
	v_add_co_ci_u32_e32 v1, vcc_lo, s13, v1, vcc_lo
	global_load_b128 v[4:7], v[0:1], off
.LBB255_35:                             ;   in Loop: Header=BB255_24 Depth=2
	s_and_not1_saveexec_b32 s3, s3
	s_cbranch_execz .LBB255_37
; %bb.36:                               ;   in Loop: Header=BB255_24 Depth=2
	v_add_nc_u32_e32 v0, s20, v87
	s_waitcnt vmcnt(0)
	ds_load_2addr_b32 v[4:5], v0 offset1:1
	ds_load_2addr_b32 v[6:7], v0 offset0:2 offset1:3
.LBB255_37:                             ;   in Loop: Header=BB255_24 Depth=2
	s_or_b32 exec_lo, exec_lo, s3
	v_add_nc_u32_e32 v74, s1, v63
	s_mov_b32 s3, exec_lo
                                        ; implicit-def: $vgpr3
	s_delay_alu instid0(VALU_DEP_1)
	v_cmpx_lt_u32_e32 0x7fff, v74
	s_xor_b32 s3, exec_lo, s3
	s_cbranch_execz .LBB255_39
; %bb.38:                               ;   in Loop: Header=BB255_24 Depth=2
	v_mov_b32_e32 v75, v62
	s_delay_alu instid0(VALU_DEP_1) | instskip(NEXT) | instid1(VALU_DEP_1)
	v_lshlrev_b64 v[0:1], 1, v[74:75]
	v_add_co_u32 v0, vcc_lo, s12, v0
	s_delay_alu instid0(VALU_DEP_2)
	v_add_co_ci_u32_e32 v1, vcc_lo, s13, v1, vcc_lo
	global_load_b128 v[0:3], v[0:1], off
.LBB255_39:                             ;   in Loop: Header=BB255_24 Depth=2
	s_and_not1_saveexec_b32 s3, s3
	s_cbranch_execz .LBB255_41
; %bb.40:                               ;   in Loop: Header=BB255_24 Depth=2
	s_waitcnt vmcnt(0)
	v_add_nc_u32_e32 v0, s6, v87
	ds_load_b128 v[0:3], v0
.LBB255_41:                             ;   in Loop: Header=BB255_24 Depth=2
	s_or_b32 exec_lo, exec_lo, s3
	v_dual_mov_b32 v11, 0 :: v_dual_mov_b32 v10, 0
	v_dual_mov_b32 v9, 0 :: v_dual_mov_b32 v8, 0
	;; [unrolled: 1-line block ×8, first 2 shown]
	s_mov_b32 s3, exec_lo
	v_cmpx_gt_u32_e64 s4, v72
	s_cbranch_execz .LBB255_22
; %bb.42:                               ;   in Loop: Header=BB255_24 Depth=2
	s_mov_b32 s18, exec_lo
                                        ; implicit-def: $vgpr55
	v_cmpx_lt_u32_e32 0x7fff, v72
	s_xor_b32 s18, exec_lo, s18
	s_cbranch_execz .LBB255_44
; %bb.43:                               ;   in Loop: Header=BB255_24 Depth=2
	v_mov_b32_e32 v73, v62
	s_delay_alu instid0(VALU_DEP_1) | instskip(NEXT) | instid1(VALU_DEP_1)
	v_lshlrev_b64 v[8:9], 1, v[72:73]
	v_add_co_u32 v8, vcc_lo, s12, v8
	s_delay_alu instid0(VALU_DEP_2)
	v_add_co_ci_u32_e32 v9, vcc_lo, s13, v9, vcc_lo
	global_load_b128 v[52:55], v[8:9], off
.LBB255_44:                             ;   in Loop: Header=BB255_24 Depth=2
	s_and_not1_saveexec_b32 s18, s18
	s_cbranch_execz .LBB255_46
; %bb.45:                               ;   in Loop: Header=BB255_24 Depth=2
	s_waitcnt vmcnt(0)
	ds_load_b128 v[52:55], v87 offset:512
.LBB255_46:                             ;   in Loop: Header=BB255_24 Depth=2
	s_or_b32 exec_lo, exec_lo, s18
	v_add_nc_u32_e32 v61, 0x100, v61
	s_mov_b32 s18, exec_lo
                                        ; implicit-def: $vgpr47
	s_delay_alu instid0(VALU_DEP_1)
	v_cmpx_lt_u32_e32 0x7fff, v61
	s_xor_b32 s18, exec_lo, s18
	s_cbranch_execz .LBB255_48
; %bb.47:                               ;   in Loop: Header=BB255_24 Depth=2
	v_lshlrev_b64 v[8:9], 1, v[61:62]
	s_delay_alu instid0(VALU_DEP_1) | instskip(NEXT) | instid1(VALU_DEP_2)
	v_add_co_u32 v8, vcc_lo, s12, v8
	v_add_co_ci_u32_e32 v9, vcc_lo, s13, v9, vcc_lo
	global_load_b128 v[44:47], v[8:9], off
.LBB255_48:                             ;   in Loop: Header=BB255_24 Depth=2
	s_and_not1_saveexec_b32 s18, s18
	s_cbranch_execz .LBB255_50
; %bb.49:                               ;   in Loop: Header=BB255_24 Depth=2
	v_add_nc_u32_e32 v8, s27, v87
	s_waitcnt vmcnt(0)
	ds_load_b128 v[44:47], v8 offset:512
.LBB255_50:                             ;   in Loop: Header=BB255_24 Depth=2
	s_or_b32 exec_lo, exec_lo, s18
	v_add_nc_u32_e32 v61, 0x100, v76
	s_mov_b32 s18, exec_lo
                                        ; implicit-def: $vgpr31
	s_delay_alu instid0(VALU_DEP_1)
	v_cmpx_lt_u32_e32 0x7fff, v61
	s_xor_b32 s18, exec_lo, s18
	s_cbranch_execz .LBB255_52
; %bb.51:                               ;   in Loop: Header=BB255_24 Depth=2
	v_lshlrev_b64 v[8:9], 1, v[61:62]
	s_delay_alu instid0(VALU_DEP_1) | instskip(NEXT) | instid1(VALU_DEP_2)
	v_add_co_u32 v8, vcc_lo, s12, v8
	v_add_co_ci_u32_e32 v9, vcc_lo, s13, v9, vcc_lo
	global_load_b128 v[28:31], v[8:9], off
.LBB255_52:                             ;   in Loop: Header=BB255_24 Depth=2
	s_and_not1_saveexec_b32 s18, s18
	s_cbranch_execz .LBB255_54
; %bb.53:                               ;   in Loop: Header=BB255_24 Depth=2
	v_add_nc_u32_e32 v8, s20, v87
	s_waitcnt vmcnt(0)
	ds_load_2addr_b32 v[28:29], v8 offset0:128 offset1:129
	ds_load_2addr_b32 v[30:31], v8 offset0:130 offset1:131
.LBB255_54:                             ;   in Loop: Header=BB255_24 Depth=2
	s_or_b32 exec_lo, exec_lo, s18
	v_add_nc_u32_e32 v61, 0x100, v74
	s_mov_b32 s18, exec_lo
                                        ; implicit-def: $vgpr11
	s_delay_alu instid0(VALU_DEP_1)
	v_cmpx_lt_u32_e32 0x7fff, v61
	s_xor_b32 s18, exec_lo, s18
	s_cbranch_execz .LBB255_56
; %bb.55:                               ;   in Loop: Header=BB255_24 Depth=2
	v_lshlrev_b64 v[8:9], 1, v[61:62]
	s_delay_alu instid0(VALU_DEP_1) | instskip(NEXT) | instid1(VALU_DEP_2)
	v_add_co_u32 v8, vcc_lo, s12, v8
	v_add_co_ci_u32_e32 v9, vcc_lo, s13, v9, vcc_lo
	global_load_b128 v[8:11], v[8:9], off
.LBB255_56:                             ;   in Loop: Header=BB255_24 Depth=2
	s_and_not1_saveexec_b32 s18, s18
	s_cbranch_execz .LBB255_21
; %bb.57:                               ;   in Loop: Header=BB255_24 Depth=2
	s_waitcnt vmcnt(0)
	v_add_nc_u32_e32 v8, s6, v87
	ds_load_b128 v[8:11], v8 offset:512
	s_branch .LBB255_21
.LBB255_58:                             ;   in Loop: Header=BB255_19 Depth=1
	s_delay_alu instid0(VALU_DEP_1)
	v_cvt_i32_f32_e32 v0, v92
	s_waitcnt lgkmcnt(3)
	v_cvt_i32_f32_e32 v1, v95
	s_waitcnt lgkmcnt(1)
	v_cvt_i32_f32_e32 v5, v86
	v_cvt_i32_f32_e32 v2, v93
	s_waitcnt lgkmcnt(0)
	v_cvt_i32_f32_e32 v3, v91
	v_cvt_f32_i32_dpp v0, v0 row_shr:8 row_mask:0xf bank_mask:0xf bound_ctrl:1
	v_cvt_f32_i32_dpp v1, v1 row_shr:8 row_mask:0xf bank_mask:0xf bound_ctrl:1
	;; [unrolled: 1-line block ×3, first 2 shown]
	v_cvt_i32_f32_e32 v4, v90
	v_cvt_f32_i32_dpp v2, v2 row_shr:8 row_mask:0xf bank_mask:0xf bound_ctrl:1
	s_delay_alu instid0(VALU_DEP_4) | instskip(SKIP_1) | instid1(VALU_DEP_4)
	v_dual_add_f32 v0, v92, v0 :: v_dual_add_f32 v1, v95, v1
	v_cvt_f32_i32_dpp v3, v3 row_shr:8 row_mask:0xf bank_mask:0xf bound_ctrl:1
	v_cvt_f32_i32_dpp v4, v4 row_shr:8 row_mask:0xf bank_mask:0xf bound_ctrl:1
	s_delay_alu instid0(VALU_DEP_4) | instskip(NEXT) | instid1(VALU_DEP_4)
	v_add_f32_e32 v2, v93, v2
	v_cvt_i32_f32_e32 v7, v0
	v_cvt_i32_f32_e32 v8, v1
	v_add_f32_e32 v3, v91, v3
	v_cvt_i32_f32_e32 v6, v89
	s_delay_alu instid0(VALU_DEP_4) | instskip(SKIP_2) | instid1(VALU_DEP_4)
	v_cvt_f32_i32_dpp v7, v7 row_shr:4 row_mask:0xf bank_mask:0xf bound_ctrl:1
	v_add_f32_e32 v5, v86, v5
	v_cvt_f32_i32_dpp v8, v8 row_shr:4 row_mask:0xf bank_mask:0xf bound_ctrl:1
	v_cvt_f32_i32_dpp v6, v6 row_shr:8 row_mask:0xf bank_mask:0xf bound_ctrl:1
	s_delay_alu instid0(VALU_DEP_4) | instskip(SKIP_2) | instid1(VALU_DEP_3)
	v_add_f32_e32 v0, v0, v7
	v_cvt_i32_f32_e32 v7, v2
	v_cvt_i32_f32_e32 v12, v5
	;; [unrolled: 1-line block ×3, first 2 shown]
	s_delay_alu instid0(VALU_DEP_3) | instskip(NEXT) | instid1(VALU_DEP_2)
	v_cvt_f32_i32_dpp v7, v7 row_shr:4 row_mask:0xf bank_mask:0xf bound_ctrl:1
	v_cvt_f32_i32_dpp v9, v9 row_shr:2 row_mask:0xf bank_mask:0xf bound_ctrl:1
	v_add_f32_e32 v1, v1, v8
	v_cvt_i32_f32_e32 v8, v3
	s_delay_alu instid0(VALU_DEP_3) | instskip(SKIP_1) | instid1(VALU_DEP_3)
	v_add_f32_e32 v0, v0, v9
	s_waitcnt vmcnt(0)
	v_cvt_i32_f32_e32 v10, v1
	s_delay_alu instid0(VALU_DEP_3)
	v_cvt_f32_i32_dpp v8, v8 row_shr:4 row_mask:0xf bank_mask:0xf bound_ctrl:1
	v_cvt_f32_i32_dpp v9, v12 row_shr:4 row_mask:0xf bank_mask:0xf bound_ctrl:1
	v_add_f32_e32 v6, v89, v6
	v_add_f32_e32 v2, v2, v7
	v_cvt_f32_i32_dpp v10, v10 row_shr:2 row_mask:0xf bank_mask:0xf bound_ctrl:1
	v_add_f32_e32 v4, v90, v4
	v_add_f32_e32 v3, v3, v8
	;; [unrolled: 1-line block ×3, first 2 shown]
	v_cvt_i32_f32_e32 v9, v2
	v_add_f32_e32 v1, v1, v10
	v_cvt_i32_f32_e32 v13, v6
	v_cvt_i32_f32_e32 v11, v4
	;; [unrolled: 1-line block ×3, first 2 shown]
	s_delay_alu instid0(VALU_DEP_4) | instskip(NEXT) | instid1(VALU_DEP_4)
	v_cvt_i32_f32_e32 v12, v1
	v_cvt_f32_i32_dpp v10, v13 row_shr:4 row_mask:0xf bank_mask:0xf bound_ctrl:1
	s_delay_alu instid0(VALU_DEP_4) | instskip(NEXT) | instid1(VALU_DEP_4)
	v_cvt_f32_i32_dpp v11, v11 row_shr:4 row_mask:0xf bank_mask:0xf bound_ctrl:1
	v_cvt_f32_i32_dpp v7, v7 row_shr:1 row_mask:0xf bank_mask:0xf bound_ctrl:1
	s_delay_alu instid0(VALU_DEP_4) | instskip(NEXT) | instid1(VALU_DEP_4)
	v_cvt_f32_i32_dpp v8, v12 row_shr:1 row_mask:0xf bank_mask:0xf bound_ctrl:1
	v_add_f32_e32 v6, v6, v10
	v_cvt_i32_f32_e32 v10, v3
	s_delay_alu instid0(VALU_DEP_3) | instskip(SKIP_2) | instid1(VALU_DEP_4)
	v_dual_add_f32 v27, v0, v7 :: v_dual_add_f32 v24, v1, v8
	v_cvt_i32_f32_e32 v1, v5
	v_cvt_f32_i32_dpp v8, v9 row_shr:2 row_mask:0xf bank_mask:0xf bound_ctrl:1
	v_cvt_f32_i32_dpp v9, v10 row_shr:2 row_mask:0xf bank_mask:0xf bound_ctrl:1
	v_add_f32_e32 v4, v4, v11
	v_cvt_i32_f32_e32 v7, v6
	v_cvt_f32_i32_dpp v1, v1 row_shr:2 row_mask:0xf bank_mask:0xf bound_ctrl:1
	s_delay_alu instid0(VALU_DEP_4) | instskip(NEXT) | instid1(VALU_DEP_4)
	v_dual_add_f32 v2, v2, v8 :: v_dual_add_f32 v3, v3, v9
	v_cvt_i32_f32_e32 v0, v4
	s_delay_alu instid0(VALU_DEP_4) | instskip(NEXT) | instid1(VALU_DEP_4)
	v_cvt_f32_i32_dpp v7, v7 row_shr:2 row_mask:0xf bank_mask:0xf bound_ctrl:1
	v_add_f32_e32 v1, v5, v1
	s_delay_alu instid0(VALU_DEP_4) | instskip(SKIP_4) | instid1(VALU_DEP_2)
	v_cvt_i32_f32_e32 v5, v2
	ds_bpermute_b32 v29, v80, v27
	v_cvt_f32_i32_dpp v0, v0 row_shr:2 row_mask:0xf bank_mask:0xf bound_ctrl:1
	v_cvt_i32_f32_e32 v8, v1
	v_cvt_f32_i32_dpp v5, v5 row_shr:1 row_mask:0xf bank_mask:0xf bound_ctrl:1
	v_cvt_f32_i32_dpp v8, v8 row_shr:1 row_mask:0xf bank_mask:0xf bound_ctrl:1
	s_delay_alu instid0(VALU_DEP_2) | instskip(SKIP_1) | instid1(VALU_DEP_3)
	v_add_f32_e32 v22, v2, v5
	v_cvt_i32_f32_e32 v2, v85
	v_add_f32_e32 v13, v1, v8
	v_cvt_i32_f32_e32 v1, v88
	s_delay_alu instid0(VALU_DEP_3) | instskip(SKIP_3) | instid1(VALU_DEP_1)
	v_cvt_f32_i32_dpp v2, v2 row_shr:8 row_mask:0xf bank_mask:0xf bound_ctrl:1
	ds_bpermute_b32 v23, v80, v22
	ds_bpermute_b32 v14, v80, v13
	v_cvt_f32_i32_dpp v1, v1 row_shr:8 row_mask:0xf bank_mask:0xf bound_ctrl:1
	v_dual_add_f32 v2, v85, v2 :: v_dual_add_f32 v1, v88, v1
	v_add_f32_e32 v0, v4, v0
	v_add_f32_e32 v4, v6, v7
	v_cvt_i32_f32_e32 v6, v3
	s_delay_alu instid0(VALU_DEP_1) | instskip(NEXT) | instid1(VALU_DEP_1)
	v_cvt_f32_i32_dpp v6, v6 row_shr:1 row_mask:0xf bank_mask:0xf bound_ctrl:1
	v_add_f32_e32 v19, v3, v6
	v_cvt_i32_f32_e32 v6, v1
	v_cvt_i32_f32_e32 v3, v84
	ds_bpermute_b32 v25, v80, v24
	ds_bpermute_b32 v20, v80, v19
	v_cvt_f32_i32_dpp v6, v6 row_shr:4 row_mask:0xf bank_mask:0xf bound_ctrl:1
	v_cvt_f32_i32_dpp v3, v3 row_shr:8 row_mask:0xf bank_mask:0xf bound_ctrl:1
	s_delay_alu instid0(VALU_DEP_2) | instskip(SKIP_1) | instid1(VALU_DEP_3)
	v_add_f32_e32 v1, v1, v6
	v_cvt_i32_f32_e32 v7, v0
	v_add_f32_e32 v3, v84, v3
	s_delay_alu instid0(VALU_DEP_3) | instskip(NEXT) | instid1(VALU_DEP_3)
	v_cvt_i32_f32_e32 v6, v1
	v_cvt_f32_i32_dpp v7, v7 row_shr:1 row_mask:0xf bank_mask:0xf bound_ctrl:1
	s_delay_alu instid0(VALU_DEP_3) | instskip(NEXT) | instid1(VALU_DEP_3)
	v_cvt_i32_f32_e32 v10, v3
	v_cvt_f32_i32_dpp v6, v6 row_shr:2 row_mask:0xf bank_mask:0xf bound_ctrl:1
	s_delay_alu instid0(VALU_DEP_3)
	v_add_f32_e32 v16, v0, v7
	v_cvt_i32_f32_e32 v0, v94
	v_cvt_i32_f32_e32 v7, v2
	v_cvt_f32_i32_dpp v10, v10 row_shr:4 row_mask:0xf bank_mask:0xf bound_ctrl:1
	v_add_f32_e32 v1, v1, v6
	ds_bpermute_b32 v17, v80, v16
	v_cvt_f32_i32_dpp v0, v0 row_shr:8 row_mask:0xf bank_mask:0xf bound_ctrl:1
	v_cvt_f32_i32_dpp v7, v7 row_shr:4 row_mask:0xf bank_mask:0xf bound_ctrl:1
	v_add_f32_e32 v3, v3, v10
	v_cvt_i32_f32_e32 v9, v4
	v_cvt_i32_f32_e32 v6, v1
	v_add_f32_e32 v0, v94, v0
	s_delay_alu instid0(VALU_DEP_4) | instskip(NEXT) | instid1(VALU_DEP_4)
	v_cvt_i32_f32_e32 v10, v3
	v_cvt_f32_i32_dpp v9, v9 row_shr:1 row_mask:0xf bank_mask:0xf bound_ctrl:1
	s_delay_alu instid0(VALU_DEP_4) | instskip(NEXT) | instid1(VALU_DEP_4)
	v_cvt_f32_i32_dpp v6, v6 row_shr:1 row_mask:0xf bank_mask:0xf bound_ctrl:1
	v_cvt_i32_f32_e32 v5, v0
	s_delay_alu instid0(VALU_DEP_4) | instskip(NEXT) | instid1(VALU_DEP_4)
	v_cvt_f32_i32_dpp v10, v10 row_shr:2 row_mask:0xf bank_mask:0xf bound_ctrl:1
	v_add_f32_e32 v8, v4, v9
	v_cvt_i32_f32_e32 v4, v83
	s_delay_alu instid0(VALU_DEP_4)
	v_cvt_f32_i32_dpp v5, v5 row_shr:4 row_mask:0xf bank_mask:0xf bound_ctrl:1
	v_add_f32_e32 v6, v1, v6
	v_add_f32_e32 v3, v3, v10
	ds_bpermute_b32 v9, v80, v8
	v_cvt_f32_i32_dpp v4, v4 row_shr:8 row_mask:0xf bank_mask:0xf bound_ctrl:1
	v_add_f32_e32 v0, v0, v5
	v_cvt_i32_f32_e32 v10, v3
	s_delay_alu instid0(VALU_DEP_3) | instskip(NEXT) | instid1(VALU_DEP_3)
	v_add_f32_e32 v4, v83, v4
	v_cvt_i32_f32_e32 v5, v0
	s_delay_alu instid0(VALU_DEP_3) | instskip(NEXT) | instid1(VALU_DEP_3)
	v_cvt_f32_i32_dpp v10, v10 row_shr:1 row_mask:0xf bank_mask:0xf bound_ctrl:1
	v_cvt_i32_f32_e32 v11, v4
	s_delay_alu instid0(VALU_DEP_3) | instskip(NEXT) | instid1(VALU_DEP_2)
	v_cvt_f32_i32_dpp v5, v5 row_shr:2 row_mask:0xf bank_mask:0xf bound_ctrl:1
	v_cvt_f32_i32_dpp v11, v11 row_shr:4 row_mask:0xf bank_mask:0xf bound_ctrl:1
	s_delay_alu instid0(VALU_DEP_2) | instskip(NEXT) | instid1(VALU_DEP_2)
	v_add_f32_e32 v0, v0, v5
	v_add_f32_e32 v4, v4, v11
	s_delay_alu instid0(VALU_DEP_1) | instskip(NEXT) | instid1(VALU_DEP_1)
	v_cvt_i32_f32_e32 v11, v4
	v_cvt_f32_i32_dpp v11, v11 row_shr:2 row_mask:0xf bank_mask:0xf bound_ctrl:1
	s_delay_alu instid0(VALU_DEP_1) | instskip(SKIP_1) | instid1(VALU_DEP_2)
	v_add_f32_e32 v5, v4, v11
	v_cvt_i32_f32_e32 v4, v0
	v_cvt_i32_f32_e32 v11, v5
	s_delay_alu instid0(VALU_DEP_2) | instskip(SKIP_1) | instid1(VALU_DEP_3)
	v_cvt_f32_i32_dpp v4, v4 row_shr:1 row_mask:0xf bank_mask:0xf bound_ctrl:1
	v_add_f32_e32 v2, v2, v7
	v_cvt_f32_i32_dpp v12, v11 row_shr:1 row_mask:0xf bank_mask:0xf bound_ctrl:1
	s_delay_alu instid0(VALU_DEP_3) | instskip(NEXT) | instid1(VALU_DEP_3)
	v_add_f32_e32 v11, v0, v4
	v_cvt_i32_f32_e32 v7, v2
	s_delay_alu instid0(VALU_DEP_3) | instskip(SKIP_4) | instid1(VALU_DEP_1)
	v_add_f32_e32 v0, v5, v12
	ds_bpermute_b32 v12, v80, v11
	v_cvt_f32_i32_dpp v7, v7 row_shr:2 row_mask:0xf bank_mask:0xf bound_ctrl:1
	ds_bpermute_b32 v1, v80, v0
	v_add_f32_e32 v2, v2, v7
	v_cvt_i32_f32_e32 v7, v2
	s_delay_alu instid0(VALU_DEP_1) | instskip(NEXT) | instid1(VALU_DEP_1)
	v_cvt_f32_i32_dpp v7, v7 row_shr:1 row_mask:0xf bank_mask:0xf bound_ctrl:1
	v_add_f32_e32 v4, v2, v7
	v_add_f32_e32 v2, v3, v10
	ds_bpermute_b32 v7, v80, v6
	ds_bpermute_b32 v5, v80, v4
	;; [unrolled: 1-line block ×3, first 2 shown]
	s_and_saveexec_b32 s18, s0
	s_cbranch_execz .LBB255_133
; %bb.59:                               ;   in Loop: Header=BB255_19 Depth=1
	v_dual_mov_b32 v35, 0 :: v_dual_mov_b32 v34, 0
	v_dual_mov_b32 v33, 0 :: v_dual_mov_b32 v32, 0
	;; [unrolled: 1-line block ×5, first 2 shown]
	v_mov_b32_e32 v18, 0
	v_mov_b32_e32 v10, 0
	s_and_not1_b32 vcc_lo, exec_lo, s24
	s_cbranch_vccnz .LBB255_61
; %bb.60:                               ;   in Loop: Header=BB255_19 Depth=1
	v_mul_hi_u32 v10, v60, v81
	v_mul_hi_u32 v15, v65, v81
	;; [unrolled: 1-line block ×3, first 2 shown]
	s_delay_alu instid0(VALU_DEP_3) | instskip(NEXT) | instid1(VALU_DEP_3)
	v_mul_lo_u32 v10, v10, s14
	v_mul_lo_u32 v15, v15, s14
	s_delay_alu instid0(VALU_DEP_3) | instskip(NEXT) | instid1(VALU_DEP_3)
	v_mul_lo_u32 v18, v18, s14
	v_sub_nc_u32_e32 v10, v60, v10
	s_delay_alu instid0(VALU_DEP_3) | instskip(NEXT) | instid1(VALU_DEP_3)
	v_sub_nc_u32_e32 v15, v65, v15
	v_sub_nc_u32_e32 v18, v64, v18
	s_delay_alu instid0(VALU_DEP_3) | instskip(SKIP_1) | instid1(VALU_DEP_4)
	v_subrev_nc_u32_e32 v21, s14, v10
	v_cmp_le_u32_e32 vcc_lo, s14, v10
	v_subrev_nc_u32_e32 v26, s14, v15
	s_delay_alu instid0(VALU_DEP_4) | instskip(NEXT) | instid1(VALU_DEP_4)
	v_subrev_nc_u32_e32 v28, s14, v18
	v_cndmask_b32_e32 v10, v10, v21, vcc_lo
	v_cmp_le_u32_e32 vcc_lo, s14, v15
	s_delay_alu instid0(VALU_DEP_4) | instskip(SKIP_1) | instid1(VALU_DEP_4)
	v_cndmask_b32_e32 v15, v15, v26, vcc_lo
	v_cmp_le_u32_e32 vcc_lo, s14, v18
	v_subrev_nc_u32_e32 v21, s14, v10
	s_delay_alu instid0(VALU_DEP_3) | instskip(SKIP_2) | instid1(VALU_DEP_2)
	v_subrev_nc_u32_e32 v26, s14, v15
	v_cndmask_b32_e32 v18, v18, v28, vcc_lo
	v_cmp_le_u32_e32 vcc_lo, s14, v10
	v_subrev_nc_u32_e32 v28, s14, v18
	v_cndmask_b32_e32 v61, v10, v21, vcc_lo
	v_cmp_le_u32_e32 vcc_lo, s14, v15
	v_mov_b32_e32 v31, v62
	v_dual_mov_b32 v37, v62 :: v_dual_cndmask_b32 v30, v15, v26
	v_cmp_le_u32_e32 vcc_lo, s14, v18
	v_mov_b32_e32 v35, v62
	v_mov_b32_e32 v45, v62
	s_delay_alu instid0(VALU_DEP_4) | instskip(SKIP_2) | instid1(VALU_DEP_2)
	v_lshlrev_b64 v[40:41], 1, v[30:31]
	v_cndmask_b32_e32 v32, v18, v28, vcc_lo
	v_add_nc_u32_e32 v36, s28, v30
	v_add_nc_u32_e32 v44, s28, v32
	v_lshlrev_b64 v[38:39], 1, v[61:62]
	v_dual_mov_b32 v33, v62 :: v_dual_add_nc_u32 v34, s28, v61
	s_delay_alu instid0(VALU_DEP_1) | instskip(NEXT) | instid1(VALU_DEP_3)
	v_lshlrev_b64 v[42:43], 1, v[32:33]
	v_add_co_u32 v38, vcc_lo, s8, v38
	s_delay_alu instid0(VALU_DEP_4) | instskip(NEXT) | instid1(VALU_DEP_4)
	v_add_co_ci_u32_e32 v39, vcc_lo, s9, v39, vcc_lo
	v_lshlrev_b64 v[33:34], 1, v[34:35]
	v_add_co_u32 v40, vcc_lo, s8, v40
	v_add_co_ci_u32_e32 v41, vcc_lo, s9, v41, vcc_lo
	v_add_co_u32 v42, vcc_lo, s8, v42
	v_add_co_ci_u32_e32 v43, vcc_lo, s9, v43, vcc_lo
	;; [unrolled: 2-line block ×3, first 2 shown]
	v_lshlrev_b64 v[33:34], 1, v[44:45]
	v_add_nc_u32_e32 v44, s29, v61
	v_lshlrev_b64 v[35:36], 1, v[36:37]
	v_add_nc_u32_e32 v61, s30, v61
	s_delay_alu instid0(VALU_DEP_2) | instskip(NEXT) | instid1(VALU_DEP_3)
	v_add_co_u32 v48, vcc_lo, s8, v35
	v_add_co_ci_u32_e32 v49, vcc_lo, s9, v36, vcc_lo
	v_lshlrev_b64 v[35:36], 1, v[44:45]
	v_add_nc_u32_e32 v44, s29, v30
	v_add_co_u32 v50, vcc_lo, s8, v33
	v_add_co_ci_u32_e32 v51, vcc_lo, s9, v34, vcc_lo
	s_delay_alu instid0(VALU_DEP_3) | instskip(SKIP_3) | instid1(VALU_DEP_3)
	v_lshlrev_b64 v[33:34], 1, v[44:45]
	v_add_nc_u32_e32 v44, s29, v32
	v_add_co_u32 v52, vcc_lo, s8, v35
	v_add_co_ci_u32_e32 v53, vcc_lo, s9, v36, vcc_lo
	v_lshlrev_b64 v[35:36], 1, v[44:45]
	v_add_co_u32 v44, vcc_lo, s8, v33
	v_add_co_ci_u32_e32 v45, vcc_lo, s9, v34, vcc_lo
	v_lshlrev_b64 v[33:34], 1, v[61:62]
	v_add_nc_u32_e32 v61, s30, v30
	v_add_co_u32 v54, vcc_lo, s8, v35
	v_add_co_ci_u32_e32 v55, vcc_lo, s9, v36, vcc_lo
	s_delay_alu instid0(VALU_DEP_3) | instskip(SKIP_3) | instid1(VALU_DEP_3)
	v_lshlrev_b64 v[30:31], 1, v[61:62]
	v_add_nc_u32_e32 v61, s30, v32
	v_add_co_u32 v36, vcc_lo, s8, v33
	v_add_co_ci_u32_e32 v37, vcc_lo, s9, v34, vcc_lo
	v_lshlrev_b64 v[32:33], 1, v[61:62]
	v_add_co_u32 v66, vcc_lo, s8, v30
	v_add_co_ci_u32_e32 v67, vcc_lo, s9, v31, vcc_lo
	s_delay_alu instid0(VALU_DEP_3) | instskip(NEXT) | instid1(VALU_DEP_4)
	v_add_co_u32 v68, vcc_lo, s8, v32
	v_add_co_ci_u32_e32 v69, vcc_lo, s9, v33, vcc_lo
	s_clause 0xb
	global_load_u16 v35, v[38:39], off
	global_load_u16 v34, v[40:41], off
	;; [unrolled: 1-line block ×12, first 2 shown]
.LBB255_61:                             ;   in Loop: Header=BB255_19 Depth=1
	v_cmp_ne_u32_e32 vcc_lo, 0, v56
	s_and_saveexec_b32 s2, vcc_lo
	s_cbranch_execnz .LBB255_73
; %bb.62:                               ;   in Loop: Header=BB255_19 Depth=1
	s_or_b32 exec_lo, exec_lo, s2
	v_cmp_ne_u32_e64 s1, 0, v57
	s_delay_alu instid0(VALU_DEP_1)
	s_and_saveexec_b32 s3, s1
	s_cbranch_execnz .LBB255_78
.LBB255_63:                             ;   in Loop: Header=BB255_19 Depth=1
	s_or_b32 exec_lo, exec_lo, s3
	v_cmp_ne_u32_e64 s2, 0, v58
	s_delay_alu instid0(VALU_DEP_1)
	s_and_saveexec_b32 s19, s2
	s_cbranch_execnz .LBB255_83
.LBB255_64:                             ;   in Loop: Header=BB255_19 Depth=1
	s_or_b32 exec_lo, exec_lo, s19
	v_add_nc_u32_e32 v61, s7, v60
	s_and_saveexec_b32 s19, vcc_lo
	s_cbranch_execnz .LBB255_88
.LBB255_65:                             ;   in Loop: Header=BB255_19 Depth=1
	s_or_b32 exec_lo, exec_lo, s19
	s_and_saveexec_b32 s19, s1
	s_cbranch_execnz .LBB255_93
.LBB255_66:                             ;   in Loop: Header=BB255_19 Depth=1
	s_or_b32 exec_lo, exec_lo, s19
	s_and_saveexec_b32 s19, s2
	s_cbranch_execnz .LBB255_98
.LBB255_67:                             ;   in Loop: Header=BB255_19 Depth=1
	s_or_b32 exec_lo, exec_lo, s19
	v_add_nc_u32_e32 v61, s7, v61
	s_and_saveexec_b32 s19, vcc_lo
	s_cbranch_execnz .LBB255_103
.LBB255_68:                             ;   in Loop: Header=BB255_19 Depth=1
	s_or_b32 exec_lo, exec_lo, s19
	s_and_saveexec_b32 s19, s1
	s_cbranch_execnz .LBB255_108
.LBB255_69:                             ;   in Loop: Header=BB255_19 Depth=1
	s_or_b32 exec_lo, exec_lo, s19
	s_and_saveexec_b32 s19, s2
	s_cbranch_execnz .LBB255_113
.LBB255_70:                             ;   in Loop: Header=BB255_19 Depth=1
	s_or_b32 exec_lo, exec_lo, s19
	v_add_nc_u32_e32 v61, s7, v61
	s_and_saveexec_b32 s3, vcc_lo
	s_cbranch_execnz .LBB255_118
.LBB255_71:                             ;   in Loop: Header=BB255_19 Depth=1
	s_or_b32 exec_lo, exec_lo, s3
	s_and_saveexec_b32 s3, s1
	s_cbranch_execnz .LBB255_123
.LBB255_72:                             ;   in Loop: Header=BB255_19 Depth=1
	s_or_b32 exec_lo, exec_lo, s3
	s_delay_alu instid0(SALU_CYCLE_1)
	s_and_b32 exec_lo, exec_lo, s2
	s_cbranch_execnz .LBB255_128
	s_branch .LBB255_133
.LBB255_73:                             ;   in Loop: Header=BB255_19 Depth=1
	s_waitcnt lgkmcnt(11)
	v_add_f32_e32 v27, v27, v29
	s_waitcnt vmcnt(11)
	v_lshlrev_b32_e32 v29, 16, v35
	s_delay_alu instid0(VALU_DEP_1) | instskip(NEXT) | instid1(VALU_DEP_1)
	v_add_f32_e32 v29, v27, v29
	v_and_b32_e32 v27, 0x7f800000, v29
	s_delay_alu instid0(VALU_DEP_1) | instskip(NEXT) | instid1(VALU_DEP_1)
	v_cmp_ne_u32_e64 s1, 0x7f800000, v27
                                        ; implicit-def: $vgpr27
	s_and_saveexec_b32 s3, s1
	s_delay_alu instid0(SALU_CYCLE_1)
	s_xor_b32 s1, exec_lo, s3
; %bb.74:                               ;   in Loop: Header=BB255_19 Depth=1
	v_bfe_u32 v27, v29, 16, 1
	s_delay_alu instid0(VALU_DEP_1)
	v_add3_u32 v27, v29, v27, 0x7fff
                                        ; implicit-def: $vgpr29
; %bb.75:                               ;   in Loop: Header=BB255_19 Depth=1
	s_and_not1_saveexec_b32 s3, s1
; %bb.76:                               ;   in Loop: Header=BB255_19 Depth=1
	v_and_b32_e32 v27, 0xffff, v29
	v_or_b32_e32 v35, 0x10000, v29
	s_delay_alu instid0(VALU_DEP_2) | instskip(NEXT) | instid1(VALU_DEP_1)
	v_cmp_eq_u32_e64 s1, 0, v27
	v_cndmask_b32_e64 v27, v35, v29, s1
; %bb.77:                               ;   in Loop: Header=BB255_19 Depth=1
	s_or_b32 exec_lo, exec_lo, s3
	v_mov_b32_e32 v61, v62
	s_delay_alu instid0(VALU_DEP_1) | instskip(NEXT) | instid1(VALU_DEP_1)
	v_lshlrev_b64 v[35:36], 1, v[60:61]
	v_add_co_u32 v35, s1, s10, v35
	s_delay_alu instid0(VALU_DEP_1) | instskip(SKIP_3) | instid1(VALU_DEP_1)
	v_add_co_ci_u32_e64 v36, s1, s11, v36, s1
	global_store_d16_hi_b16 v[35:36], v27, off
	s_or_b32 exec_lo, exec_lo, s2
	v_cmp_ne_u32_e64 s1, 0, v57
	s_and_saveexec_b32 s3, s1
	s_cbranch_execz .LBB255_63
.LBB255_78:                             ;   in Loop: Header=BB255_19 Depth=1
	s_waitcnt vmcnt(10) lgkmcnt(8)
	v_dual_add_f32 v24, v24, v25 :: v_dual_lshlrev_b32 v25, 16, v34
	s_delay_alu instid0(VALU_DEP_1) | instskip(NEXT) | instid1(VALU_DEP_1)
	v_add_f32_e32 v25, v24, v25
	v_and_b32_e32 v24, 0x7f800000, v25
	s_delay_alu instid0(VALU_DEP_1) | instskip(NEXT) | instid1(VALU_DEP_1)
	v_cmp_ne_u32_e64 s2, 0x7f800000, v24
                                        ; implicit-def: $vgpr24
	s_and_saveexec_b32 s19, s2
	s_delay_alu instid0(SALU_CYCLE_1)
	s_xor_b32 s2, exec_lo, s19
; %bb.79:                               ;   in Loop: Header=BB255_19 Depth=1
	v_bfe_u32 v24, v25, 16, 1
	s_delay_alu instid0(VALU_DEP_1)
	v_add3_u32 v24, v25, v24, 0x7fff
                                        ; implicit-def: $vgpr25
; %bb.80:                               ;   in Loop: Header=BB255_19 Depth=1
	s_and_not1_saveexec_b32 s19, s2
; %bb.81:                               ;   in Loop: Header=BB255_19 Depth=1
	v_and_b32_e32 v24, 0xffff, v25
	v_or_b32_e32 v27, 0x10000, v25
	s_delay_alu instid0(VALU_DEP_2) | instskip(NEXT) | instid1(VALU_DEP_1)
	v_cmp_eq_u32_e64 s2, 0, v24
	v_cndmask_b32_e64 v24, v27, v25, s2
; %bb.82:                               ;   in Loop: Header=BB255_19 Depth=1
	s_or_b32 exec_lo, exec_lo, s19
	v_mov_b32_e32 v66, v62
	s_delay_alu instid0(VALU_DEP_1) | instskip(NEXT) | instid1(VALU_DEP_1)
	v_lshlrev_b64 v[34:35], 1, v[65:66]
	v_add_co_u32 v34, s2, s10, v34
	s_delay_alu instid0(VALU_DEP_1) | instskip(SKIP_3) | instid1(VALU_DEP_1)
	v_add_co_ci_u32_e64 v35, s2, s11, v35, s2
	global_store_d16_hi_b16 v[34:35], v24, off
	s_or_b32 exec_lo, exec_lo, s3
	v_cmp_ne_u32_e64 s2, 0, v58
	s_and_saveexec_b32 s19, s2
	s_cbranch_execz .LBB255_64
.LBB255_83:                             ;   in Loop: Header=BB255_19 Depth=1
	s_waitcnt vmcnt(9) lgkmcnt(10)
	v_dual_add_f32 v22, v22, v23 :: v_dual_lshlrev_b32 v23, 16, v33
	s_delay_alu instid0(VALU_DEP_1) | instskip(NEXT) | instid1(VALU_DEP_1)
	v_add_f32_e32 v23, v22, v23
	v_and_b32_e32 v22, 0x7f800000, v23
	s_delay_alu instid0(VALU_DEP_1) | instskip(NEXT) | instid1(VALU_DEP_1)
	v_cmp_ne_u32_e64 s3, 0x7f800000, v22
                                        ; implicit-def: $vgpr22
	s_and_saveexec_b32 s31, s3
	s_delay_alu instid0(SALU_CYCLE_1)
	s_xor_b32 s3, exec_lo, s31
; %bb.84:                               ;   in Loop: Header=BB255_19 Depth=1
	v_bfe_u32 v22, v23, 16, 1
	s_delay_alu instid0(VALU_DEP_1)
	v_add3_u32 v22, v23, v22, 0x7fff
                                        ; implicit-def: $vgpr23
; %bb.85:                               ;   in Loop: Header=BB255_19 Depth=1
	s_and_not1_saveexec_b32 s31, s3
; %bb.86:                               ;   in Loop: Header=BB255_19 Depth=1
	v_and_b32_e32 v22, 0xffff, v23
	v_or_b32_e32 v24, 0x10000, v23
	s_delay_alu instid0(VALU_DEP_2) | instskip(NEXT) | instid1(VALU_DEP_1)
	v_cmp_eq_u32_e64 s3, 0, v22
	v_cndmask_b32_e64 v22, v24, v23, s3
; %bb.87:                               ;   in Loop: Header=BB255_19 Depth=1
	s_or_b32 exec_lo, exec_lo, s31
	v_mov_b32_e32 v65, v62
	s_delay_alu instid0(VALU_DEP_1) | instskip(NEXT) | instid1(VALU_DEP_1)
	v_lshlrev_b64 v[23:24], 1, v[64:65]
	v_add_co_u32 v23, s3, s10, v23
	s_delay_alu instid0(VALU_DEP_1)
	v_add_co_ci_u32_e64 v24, s3, s11, v24, s3
	global_store_d16_hi_b16 v[23:24], v22, off
	s_or_b32 exec_lo, exec_lo, s19
	v_add_nc_u32_e32 v61, s7, v60
	s_and_saveexec_b32 s19, vcc_lo
	s_cbranch_execz .LBB255_65
.LBB255_88:                             ;   in Loop: Header=BB255_19 Depth=1
	s_waitcnt lgkmcnt(7)
	v_add_f32_e32 v19, v19, v20
	s_waitcnt vmcnt(8)
	v_lshlrev_b32_e32 v20, 16, v32
	s_delay_alu instid0(VALU_DEP_1) | instskip(NEXT) | instid1(VALU_DEP_1)
	v_add_f32_e32 v20, v19, v20
	v_and_b32_e32 v19, 0x7f800000, v20
	s_delay_alu instid0(VALU_DEP_1) | instskip(NEXT) | instid1(VALU_DEP_1)
	v_cmp_ne_u32_e64 s3, 0x7f800000, v19
                                        ; implicit-def: $vgpr19
	s_and_saveexec_b32 s31, s3
	s_delay_alu instid0(SALU_CYCLE_1)
	s_xor_b32 s3, exec_lo, s31
; %bb.89:                               ;   in Loop: Header=BB255_19 Depth=1
	v_bfe_u32 v19, v20, 16, 1
	s_delay_alu instid0(VALU_DEP_1)
	v_add3_u32 v19, v20, v19, 0x7fff
                                        ; implicit-def: $vgpr20
; %bb.90:                               ;   in Loop: Header=BB255_19 Depth=1
	s_and_not1_saveexec_b32 s31, s3
; %bb.91:                               ;   in Loop: Header=BB255_19 Depth=1
	v_and_b32_e32 v19, 0xffff, v20
	v_or_b32_e32 v22, 0x10000, v20
	s_delay_alu instid0(VALU_DEP_2) | instskip(NEXT) | instid1(VALU_DEP_1)
	v_cmp_eq_u32_e64 s3, 0, v19
	v_cndmask_b32_e64 v19, v22, v20, s3
; %bb.92:                               ;   in Loop: Header=BB255_19 Depth=1
	s_or_b32 exec_lo, exec_lo, s31
	v_lshlrev_b64 v[22:23], 1, v[61:62]
	s_delay_alu instid0(VALU_DEP_1) | instskip(NEXT) | instid1(VALU_DEP_1)
	v_add_co_u32 v22, s3, s10, v22
	v_add_co_ci_u32_e64 v23, s3, s11, v23, s3
	global_store_d16_hi_b16 v[22:23], v19, off
	s_or_b32 exec_lo, exec_lo, s19
	s_and_saveexec_b32 s19, s1
	s_cbranch_execz .LBB255_66
.LBB255_93:                             ;   in Loop: Header=BB255_19 Depth=1
	s_waitcnt vmcnt(7) lgkmcnt(6)
	v_dual_add_f32 v16, v16, v17 :: v_dual_lshlrev_b32 v17, 16, v31
	s_delay_alu instid0(VALU_DEP_1) | instskip(NEXT) | instid1(VALU_DEP_1)
	v_add_f32_e32 v17, v16, v17
	v_and_b32_e32 v16, 0x7f800000, v17
	s_delay_alu instid0(VALU_DEP_1) | instskip(NEXT) | instid1(VALU_DEP_1)
	v_cmp_ne_u32_e64 s3, 0x7f800000, v16
                                        ; implicit-def: $vgpr16
	s_and_saveexec_b32 s31, s3
	s_delay_alu instid0(SALU_CYCLE_1)
	s_xor_b32 s3, exec_lo, s31
; %bb.94:                               ;   in Loop: Header=BB255_19 Depth=1
	v_bfe_u32 v16, v17, 16, 1
	s_delay_alu instid0(VALU_DEP_1)
	v_add3_u32 v16, v17, v16, 0x7fff
                                        ; implicit-def: $vgpr17
; %bb.95:                               ;   in Loop: Header=BB255_19 Depth=1
	s_and_not1_saveexec_b32 s31, s3
; %bb.96:                               ;   in Loop: Header=BB255_19 Depth=1
	v_and_b32_e32 v16, 0xffff, v17
	v_or_b32_e32 v19, 0x10000, v17
	s_delay_alu instid0(VALU_DEP_2) | instskip(NEXT) | instid1(VALU_DEP_1)
	v_cmp_eq_u32_e64 s3, 0, v16
	v_cndmask_b32_e64 v16, v19, v17, s3
; %bb.97:                               ;   in Loop: Header=BB255_19 Depth=1
	s_or_b32 exec_lo, exec_lo, s31
	v_dual_mov_b32 v20, v62 :: v_dual_add_nc_u32 v19, 1, v61
	s_delay_alu instid0(VALU_DEP_1) | instskip(NEXT) | instid1(VALU_DEP_1)
	v_lshlrev_b64 v[19:20], 1, v[19:20]
	v_add_co_u32 v19, s3, s10, v19
	s_delay_alu instid0(VALU_DEP_1)
	v_add_co_ci_u32_e64 v20, s3, s11, v20, s3
	global_store_d16_hi_b16 v[19:20], v16, off
	s_or_b32 exec_lo, exec_lo, s19
	s_and_saveexec_b32 s19, s2
	s_cbranch_execz .LBB255_67
.LBB255_98:                             ;   in Loop: Header=BB255_19 Depth=1
	s_waitcnt lgkmcnt(9)
	v_add_f32_e32 v13, v13, v14
	s_waitcnt vmcnt(6)
	v_lshlrev_b32_e32 v14, 16, v30
	s_delay_alu instid0(VALU_DEP_1) | instskip(NEXT) | instid1(VALU_DEP_1)
	v_add_f32_e32 v14, v13, v14
	v_and_b32_e32 v13, 0x7f800000, v14
	s_delay_alu instid0(VALU_DEP_1) | instskip(NEXT) | instid1(VALU_DEP_1)
	v_cmp_ne_u32_e64 s3, 0x7f800000, v13
                                        ; implicit-def: $vgpr13
	s_and_saveexec_b32 s31, s3
	s_delay_alu instid0(SALU_CYCLE_1)
	s_xor_b32 s3, exec_lo, s31
; %bb.99:                               ;   in Loop: Header=BB255_19 Depth=1
	v_bfe_u32 v13, v14, 16, 1
	s_delay_alu instid0(VALU_DEP_1)
	v_add3_u32 v13, v14, v13, 0x7fff
                                        ; implicit-def: $vgpr14
; %bb.100:                              ;   in Loop: Header=BB255_19 Depth=1
	s_and_not1_saveexec_b32 s31, s3
; %bb.101:                              ;   in Loop: Header=BB255_19 Depth=1
	v_and_b32_e32 v13, 0xffff, v14
	v_or_b32_e32 v16, 0x10000, v14
	s_delay_alu instid0(VALU_DEP_2) | instskip(NEXT) | instid1(VALU_DEP_1)
	v_cmp_eq_u32_e64 s3, 0, v13
	v_cndmask_b32_e64 v13, v16, v14, s3
; %bb.102:                              ;   in Loop: Header=BB255_19 Depth=1
	s_or_b32 exec_lo, exec_lo, s31
	s_waitcnt lgkmcnt(6)
	v_dual_mov_b32 v17, v62 :: v_dual_add_nc_u32 v16, 2, v61
	s_delay_alu instid0(VALU_DEP_1) | instskip(NEXT) | instid1(VALU_DEP_1)
	v_lshlrev_b64 v[16:17], 1, v[16:17]
	v_add_co_u32 v16, s3, s10, v16
	s_delay_alu instid0(VALU_DEP_1)
	v_add_co_ci_u32_e64 v17, s3, s11, v17, s3
	global_store_d16_hi_b16 v[16:17], v13, off
	s_or_b32 exec_lo, exec_lo, s19
	v_add_nc_u32_e32 v61, s7, v61
	s_and_saveexec_b32 s19, vcc_lo
	s_cbranch_execz .LBB255_68
.LBB255_103:                            ;   in Loop: Header=BB255_19 Depth=1
	s_waitcnt vmcnt(5) lgkmcnt(5)
	v_dual_add_f32 v8, v8, v9 :: v_dual_lshlrev_b32 v9, 16, v28
	s_delay_alu instid0(VALU_DEP_1) | instskip(NEXT) | instid1(VALU_DEP_1)
	v_add_f32_e32 v9, v8, v9
	v_and_b32_e32 v8, 0x7f800000, v9
	s_delay_alu instid0(VALU_DEP_1) | instskip(NEXT) | instid1(VALU_DEP_1)
	v_cmp_ne_u32_e64 s3, 0x7f800000, v8
                                        ; implicit-def: $vgpr8
	s_and_saveexec_b32 s31, s3
	s_delay_alu instid0(SALU_CYCLE_1)
	s_xor_b32 s3, exec_lo, s31
; %bb.104:                              ;   in Loop: Header=BB255_19 Depth=1
	v_bfe_u32 v8, v9, 16, 1
	s_delay_alu instid0(VALU_DEP_1)
	v_add3_u32 v8, v9, v8, 0x7fff
                                        ; implicit-def: $vgpr9
; %bb.105:                              ;   in Loop: Header=BB255_19 Depth=1
	s_and_not1_saveexec_b32 s31, s3
; %bb.106:                              ;   in Loop: Header=BB255_19 Depth=1
	v_and_b32_e32 v8, 0xffff, v9
	v_or_b32_e32 v13, 0x10000, v9
	s_delay_alu instid0(VALU_DEP_2) | instskip(NEXT) | instid1(VALU_DEP_1)
	v_cmp_eq_u32_e64 s3, 0, v8
	v_cndmask_b32_e64 v8, v13, v9, s3
; %bb.107:                              ;   in Loop: Header=BB255_19 Depth=1
	s_or_b32 exec_lo, exec_lo, s31
	v_lshlrev_b64 v[13:14], 1, v[61:62]
	s_delay_alu instid0(VALU_DEP_1) | instskip(NEXT) | instid1(VALU_DEP_1)
	v_add_co_u32 v13, s3, s10, v13
	v_add_co_ci_u32_e64 v14, s3, s11, v14, s3
	global_store_d16_hi_b16 v[13:14], v8, off
	s_or_b32 exec_lo, exec_lo, s19
	s_and_saveexec_b32 s19, s1
	s_cbranch_execz .LBB255_69
.LBB255_108:                            ;   in Loop: Header=BB255_19 Depth=1
	s_waitcnt vmcnt(4) lgkmcnt(4)
	v_dual_add_f32 v8, v11, v12 :: v_dual_lshlrev_b32 v9, 16, v26
	s_delay_alu instid0(VALU_DEP_1) | instskip(NEXT) | instid1(VALU_DEP_1)
	v_add_f32_e32 v9, v8, v9
	v_and_b32_e32 v8, 0x7f800000, v9
	s_delay_alu instid0(VALU_DEP_1) | instskip(NEXT) | instid1(VALU_DEP_1)
	v_cmp_ne_u32_e64 s3, 0x7f800000, v8
                                        ; implicit-def: $vgpr8
	s_and_saveexec_b32 s31, s3
	s_delay_alu instid0(SALU_CYCLE_1)
	s_xor_b32 s3, exec_lo, s31
; %bb.109:                              ;   in Loop: Header=BB255_19 Depth=1
	v_bfe_u32 v8, v9, 16, 1
	s_delay_alu instid0(VALU_DEP_1)
	v_add3_u32 v8, v9, v8, 0x7fff
                                        ; implicit-def: $vgpr9
; %bb.110:                              ;   in Loop: Header=BB255_19 Depth=1
	s_and_not1_saveexec_b32 s31, s3
; %bb.111:                              ;   in Loop: Header=BB255_19 Depth=1
	v_and_b32_e32 v8, 0xffff, v9
	v_or_b32_e32 v11, 0x10000, v9
	s_delay_alu instid0(VALU_DEP_2) | instskip(NEXT) | instid1(VALU_DEP_1)
	v_cmp_eq_u32_e64 s3, 0, v8
	v_cndmask_b32_e64 v8, v11, v9, s3
; %bb.112:                              ;   in Loop: Header=BB255_19 Depth=1
	s_or_b32 exec_lo, exec_lo, s31
	v_dual_mov_b32 v12, v62 :: v_dual_add_nc_u32 v11, 1, v61
	s_delay_alu instid0(VALU_DEP_1) | instskip(NEXT) | instid1(VALU_DEP_1)
	v_lshlrev_b64 v[11:12], 1, v[11:12]
	v_add_co_u32 v11, s3, s10, v11
	s_delay_alu instid0(VALU_DEP_1)
	v_add_co_ci_u32_e64 v12, s3, s11, v12, s3
	global_store_d16_hi_b16 v[11:12], v8, off
	s_or_b32 exec_lo, exec_lo, s19
	s_and_saveexec_b32 s19, s2
	s_cbranch_execz .LBB255_70
.LBB255_113:                            ;   in Loop: Header=BB255_19 Depth=1
	s_waitcnt vmcnt(3) lgkmcnt(2)
	v_dual_add_f32 v6, v6, v7 :: v_dual_lshlrev_b32 v7, 16, v21
	s_delay_alu instid0(VALU_DEP_1) | instskip(NEXT) | instid1(VALU_DEP_1)
	v_add_f32_e32 v7, v6, v7
	v_and_b32_e32 v6, 0x7f800000, v7
	s_delay_alu instid0(VALU_DEP_1) | instskip(NEXT) | instid1(VALU_DEP_1)
	v_cmp_ne_u32_e64 s3, 0x7f800000, v6
                                        ; implicit-def: $vgpr6
	s_and_saveexec_b32 s31, s3
	s_delay_alu instid0(SALU_CYCLE_1)
	s_xor_b32 s3, exec_lo, s31
; %bb.114:                              ;   in Loop: Header=BB255_19 Depth=1
	v_bfe_u32 v6, v7, 16, 1
	s_delay_alu instid0(VALU_DEP_1)
	v_add3_u32 v6, v7, v6, 0x7fff
                                        ; implicit-def: $vgpr7
; %bb.115:                              ;   in Loop: Header=BB255_19 Depth=1
	s_and_not1_saveexec_b32 s31, s3
; %bb.116:                              ;   in Loop: Header=BB255_19 Depth=1
	v_and_b32_e32 v6, 0xffff, v7
	v_or_b32_e32 v8, 0x10000, v7
	s_delay_alu instid0(VALU_DEP_2) | instskip(NEXT) | instid1(VALU_DEP_1)
	v_cmp_eq_u32_e64 s3, 0, v6
	v_cndmask_b32_e64 v6, v8, v7, s3
; %bb.117:                              ;   in Loop: Header=BB255_19 Depth=1
	s_or_b32 exec_lo, exec_lo, s31
	v_dual_mov_b32 v8, v62 :: v_dual_add_nc_u32 v7, 2, v61
	s_delay_alu instid0(VALU_DEP_1) | instskip(NEXT) | instid1(VALU_DEP_1)
	v_lshlrev_b64 v[7:8], 1, v[7:8]
	v_add_co_u32 v7, s3, s10, v7
	s_delay_alu instid0(VALU_DEP_1)
	v_add_co_ci_u32_e64 v8, s3, s11, v8, s3
	global_store_d16_hi_b16 v[7:8], v6, off
	s_or_b32 exec_lo, exec_lo, s19
	v_add_nc_u32_e32 v61, s7, v61
	s_and_saveexec_b32 s3, vcc_lo
	s_cbranch_execz .LBB255_71
.LBB255_118:                            ;   in Loop: Header=BB255_19 Depth=1
	s_waitcnt vmcnt(2) lgkmcnt(1)
	v_dual_add_f32 v4, v4, v5 :: v_dual_lshlrev_b32 v5, 16, v18
	s_delay_alu instid0(VALU_DEP_1) | instskip(NEXT) | instid1(VALU_DEP_1)
	v_add_f32_e32 v5, v4, v5
	v_and_b32_e32 v4, 0x7f800000, v5
	s_delay_alu instid0(VALU_DEP_1) | instskip(SKIP_1) | instid1(SALU_CYCLE_1)
	v_cmp_ne_u32_e32 vcc_lo, 0x7f800000, v4
                                        ; implicit-def: $vgpr4
	s_and_saveexec_b32 s19, vcc_lo
	s_xor_b32 s19, exec_lo, s19
; %bb.119:                              ;   in Loop: Header=BB255_19 Depth=1
	v_bfe_u32 v4, v5, 16, 1
	s_delay_alu instid0(VALU_DEP_1)
	v_add3_u32 v4, v5, v4, 0x7fff
                                        ; implicit-def: $vgpr5
; %bb.120:                              ;   in Loop: Header=BB255_19 Depth=1
	s_and_not1_saveexec_b32 s19, s19
; %bb.121:                              ;   in Loop: Header=BB255_19 Depth=1
	v_and_b32_e32 v4, 0xffff, v5
	v_or_b32_e32 v6, 0x10000, v5
	s_delay_alu instid0(VALU_DEP_2) | instskip(NEXT) | instid1(VALU_DEP_2)
	v_cmp_eq_u32_e32 vcc_lo, 0, v4
	v_cndmask_b32_e32 v4, v6, v5, vcc_lo
; %bb.122:                              ;   in Loop: Header=BB255_19 Depth=1
	s_or_b32 exec_lo, exec_lo, s19
	v_lshlrev_b64 v[5:6], 1, v[61:62]
	s_delay_alu instid0(VALU_DEP_1) | instskip(NEXT) | instid1(VALU_DEP_2)
	v_add_co_u32 v5, vcc_lo, s10, v5
	v_add_co_ci_u32_e32 v6, vcc_lo, s11, v6, vcc_lo
	global_store_d16_hi_b16 v[5:6], v4, off
	s_or_b32 exec_lo, exec_lo, s3
	s_and_saveexec_b32 s3, s1
	s_cbranch_execz .LBB255_72
.LBB255_123:                            ;   in Loop: Header=BB255_19 Depth=1
	s_waitcnt lgkmcnt(0)
	v_add_f32_e32 v2, v2, v3
	s_waitcnt vmcnt(1)
	v_lshlrev_b32_e32 v3, 16, v15
	s_delay_alu instid0(VALU_DEP_1) | instskip(NEXT) | instid1(VALU_DEP_1)
	v_add_f32_e32 v3, v2, v3
	v_and_b32_e32 v2, 0x7f800000, v3
	s_delay_alu instid0(VALU_DEP_1) | instskip(SKIP_1) | instid1(SALU_CYCLE_1)
	v_cmp_ne_u32_e32 vcc_lo, 0x7f800000, v2
                                        ; implicit-def: $vgpr2
	s_and_saveexec_b32 s1, vcc_lo
	s_xor_b32 s1, exec_lo, s1
; %bb.124:                              ;   in Loop: Header=BB255_19 Depth=1
	v_bfe_u32 v2, v3, 16, 1
	s_delay_alu instid0(VALU_DEP_1)
	v_add3_u32 v2, v3, v2, 0x7fff
                                        ; implicit-def: $vgpr3
; %bb.125:                              ;   in Loop: Header=BB255_19 Depth=1
	s_and_not1_saveexec_b32 s1, s1
; %bb.126:                              ;   in Loop: Header=BB255_19 Depth=1
	v_and_b32_e32 v2, 0xffff, v3
	v_or_b32_e32 v4, 0x10000, v3
	s_delay_alu instid0(VALU_DEP_2) | instskip(NEXT) | instid1(VALU_DEP_2)
	v_cmp_eq_u32_e32 vcc_lo, 0, v2
	v_cndmask_b32_e32 v2, v4, v3, vcc_lo
; %bb.127:                              ;   in Loop: Header=BB255_19 Depth=1
	s_or_b32 exec_lo, exec_lo, s1
	v_dual_mov_b32 v4, v62 :: v_dual_add_nc_u32 v3, 1, v61
	s_delay_alu instid0(VALU_DEP_1) | instskip(NEXT) | instid1(VALU_DEP_1)
	v_lshlrev_b64 v[3:4], 1, v[3:4]
	v_add_co_u32 v3, vcc_lo, s10, v3
	s_delay_alu instid0(VALU_DEP_2) | instskip(SKIP_2) | instid1(SALU_CYCLE_1)
	v_add_co_ci_u32_e32 v4, vcc_lo, s11, v4, vcc_lo
	global_store_d16_hi_b16 v[3:4], v2, off
	s_or_b32 exec_lo, exec_lo, s3
	s_and_b32 exec_lo, exec_lo, s2
	s_cbranch_execz .LBB255_133
.LBB255_128:                            ;   in Loop: Header=BB255_19 Depth=1
	s_waitcnt vmcnt(0) lgkmcnt(3)
	v_dual_add_f32 v0, v0, v1 :: v_dual_lshlrev_b32 v1, 16, v10
	s_delay_alu instid0(VALU_DEP_1) | instskip(NEXT) | instid1(VALU_DEP_1)
	v_add_f32_e32 v1, v0, v1
	v_and_b32_e32 v0, 0x7f800000, v1
	s_delay_alu instid0(VALU_DEP_1) | instskip(SKIP_1) | instid1(SALU_CYCLE_1)
	v_cmp_ne_u32_e32 vcc_lo, 0x7f800000, v0
                                        ; implicit-def: $vgpr0
	s_and_saveexec_b32 s1, vcc_lo
	s_xor_b32 s1, exec_lo, s1
; %bb.129:                              ;   in Loop: Header=BB255_19 Depth=1
	v_bfe_u32 v0, v1, 16, 1
	s_delay_alu instid0(VALU_DEP_1)
	v_add3_u32 v0, v1, v0, 0x7fff
                                        ; implicit-def: $vgpr1
; %bb.130:                              ;   in Loop: Header=BB255_19 Depth=1
	s_and_not1_saveexec_b32 s1, s1
; %bb.131:                              ;   in Loop: Header=BB255_19 Depth=1
	v_and_b32_e32 v0, 0xffff, v1
	v_or_b32_e32 v2, 0x10000, v1
	s_delay_alu instid0(VALU_DEP_2) | instskip(NEXT) | instid1(VALU_DEP_2)
	v_cmp_eq_u32_e32 vcc_lo, 0, v0
	v_cndmask_b32_e32 v0, v2, v1, vcc_lo
; %bb.132:                              ;   in Loop: Header=BB255_19 Depth=1
	s_or_b32 exec_lo, exec_lo, s1
	v_add_nc_u32_e32 v61, 2, v61
	s_delay_alu instid0(VALU_DEP_1) | instskip(NEXT) | instid1(VALU_DEP_1)
	v_lshlrev_b64 v[1:2], 1, v[61:62]
	v_add_co_u32 v1, vcc_lo, s10, v1
	s_delay_alu instid0(VALU_DEP_2)
	v_add_co_ci_u32_e32 v2, vcc_lo, s11, v2, vcc_lo
	global_store_d16_hi_b16 v[1:2], v0, off
.LBB255_133:                            ;   in Loop: Header=BB255_19 Depth=1
	s_or_b32 exec_lo, exec_lo, s18
	v_add_nc_u32_e32 v60, s26, v60
	s_delay_alu instid0(VALU_DEP_1) | instskip(SKIP_1) | instid1(VALU_DEP_2)
	v_add_nc_u32_e32 v0, 3, v60
	v_cmp_gt_u32_e32 vcc_lo, s7, v60
	v_cmp_le_u32_e64 s1, s7, v0
	s_delay_alu instid0(VALU_DEP_1) | instskip(NEXT) | instid1(SALU_CYCLE_1)
	s_and_b32 s1, vcc_lo, s1
	s_and_saveexec_b32 s31, s1
	s_cbranch_execz .LBB255_18
; %bb.134:                              ;   in Loop: Header=BB255_19 Depth=1
	s_mov_b32 s33, exec_lo
	v_cmpx_ne_u32_e64 s25, v60
	s_cbranch_execz .LBB255_17
; %bb.135:                              ;   in Loop: Header=BB255_19 Depth=1
	v_subrev_nc_u32_e32 v0, s25, v60
	s_mov_b32 s34, 0
	s_mov_b64 s[18:19], 0
	s_delay_alu instid0(VALU_DEP_1)
	v_cmp_lt_u32_e32 vcc_lo, 1, v0
	v_cndmask_b32_e32 v0, 1, v0, vcc_lo
	.p2align	6
.LBB255_136:                            ;   Parent Loop BB255_19 Depth=1
                                        ; =>  This Inner Loop Header: Depth=2
	s_cmp_lg_u32 s18, 2
	s_cselect_b32 vcc_lo, -1, 0
	s_cmp_lg_u32 s18, 1
	v_cndmask_b32_e32 v58, 0, v58, vcc_lo
	s_cselect_b32 s1, -1, 0
	s_cmp_lg_u32 s18, 0
	v_cndmask_b32_e64 v57, 0, v57, s1
	s_cselect_b32 s2, -1, 0
	s_add_u32 s18, s18, 1
	v_cndmask_b32_e64 v56, 0, v56, s2
	v_cmp_eq_u32_e64 s3, s18, v0
	s_addc_u32 s19, s19, 0
	s_delay_alu instid0(VALU_DEP_1) | instskip(NEXT) | instid1(SALU_CYCLE_1)
	s_or_b32 s34, s3, s34
	s_and_not1_b32 exec_lo, exec_lo, s34
	s_cbranch_execnz .LBB255_136
; %bb.137:                              ;   in Loop: Header=BB255_19 Depth=1
	s_or_b32 exec_lo, exec_lo, s34
	s_branch .LBB255_17
.LBB255_138:
	s_nop 0
	s_sendmsg sendmsg(MSG_DEALLOC_VGPRS)
	s_endpgm
	.section	.rodata,"a",@progbits
	.p2align	6, 0x0
	.amdhsa_kernel _Z12wvSplitK_hf_I14__hip_bfloat16Li32ELi3ELi16ELi8ELi2ELi4EEviiiiiiPKT_S3_S3_PS1_ii
		.amdhsa_group_segment_fixed_size 65536
		.amdhsa_private_segment_fixed_size 0
		.amdhsa_kernarg_size 64
		.amdhsa_user_sgpr_count 15
		.amdhsa_user_sgpr_dispatch_ptr 0
		.amdhsa_user_sgpr_queue_ptr 0
		.amdhsa_user_sgpr_kernarg_segment_ptr 1
		.amdhsa_user_sgpr_dispatch_id 0
		.amdhsa_user_sgpr_private_segment_size 0
		.amdhsa_wavefront_size32 1
		.amdhsa_uses_dynamic_stack 0
		.amdhsa_enable_private_segment 0
		.amdhsa_system_sgpr_workgroup_id_x 1
		.amdhsa_system_sgpr_workgroup_id_y 0
		.amdhsa_system_sgpr_workgroup_id_z 0
		.amdhsa_system_sgpr_workgroup_info 0
		.amdhsa_system_vgpr_workitem_id 1
		.amdhsa_next_free_vgpr 113
		.amdhsa_next_free_sgpr 35
		.amdhsa_reserve_vcc 1
		.amdhsa_float_round_mode_32 0
		.amdhsa_float_round_mode_16_64 0
		.amdhsa_float_denorm_mode_32 3
		.amdhsa_float_denorm_mode_16_64 3
		.amdhsa_dx10_clamp 1
		.amdhsa_ieee_mode 1
		.amdhsa_fp16_overflow 0
		.amdhsa_workgroup_processor_mode 1
		.amdhsa_memory_ordered 1
		.amdhsa_forward_progress 0
		.amdhsa_shared_vgpr_count 0
		.amdhsa_exception_fp_ieee_invalid_op 0
		.amdhsa_exception_fp_denorm_src 0
		.amdhsa_exception_fp_ieee_div_zero 0
		.amdhsa_exception_fp_ieee_overflow 0
		.amdhsa_exception_fp_ieee_underflow 0
		.amdhsa_exception_fp_ieee_inexact 0
		.amdhsa_exception_int_div_zero 0
	.end_amdhsa_kernel
	.section	.text._Z12wvSplitK_hf_I14__hip_bfloat16Li32ELi3ELi16ELi8ELi2ELi4EEviiiiiiPKT_S3_S3_PS1_ii,"axG",@progbits,_Z12wvSplitK_hf_I14__hip_bfloat16Li32ELi3ELi16ELi8ELi2ELi4EEviiiiiiPKT_S3_S3_PS1_ii,comdat
.Lfunc_end255:
	.size	_Z12wvSplitK_hf_I14__hip_bfloat16Li32ELi3ELi16ELi8ELi2ELi4EEviiiiiiPKT_S3_S3_PS1_ii, .Lfunc_end255-_Z12wvSplitK_hf_I14__hip_bfloat16Li32ELi3ELi16ELi8ELi2ELi4EEviiiiiiPKT_S3_S3_PS1_ii
                                        ; -- End function
	.section	.AMDGPU.csdata,"",@progbits
; Kernel info:
; codeLenInByte = 8988
; NumSgprs: 37
; NumVgprs: 113
; ScratchSize: 0
; MemoryBound: 0
; FloatMode: 240
; IeeeMode: 1
; LDSByteSize: 65536 bytes/workgroup (compile time only)
; SGPRBlocks: 4
; VGPRBlocks: 14
; NumSGPRsForWavesPerEU: 37
; NumVGPRsForWavesPerEU: 113
; Occupancy: 8
; WaveLimiterHint : 0
; COMPUTE_PGM_RSRC2:SCRATCH_EN: 0
; COMPUTE_PGM_RSRC2:USER_SGPR: 15
; COMPUTE_PGM_RSRC2:TRAP_HANDLER: 0
; COMPUTE_PGM_RSRC2:TGID_X_EN: 1
; COMPUTE_PGM_RSRC2:TGID_Y_EN: 0
; COMPUTE_PGM_RSRC2:TGID_Z_EN: 0
; COMPUTE_PGM_RSRC2:TIDIG_COMP_CNT: 1
	.section	.text._Z16wvSplitK_hf_big_I14__hip_bfloat16Li32ELi3ELi16ELi8ELi2ELi4EEviiiiiiPKT_S3_S3_PS1_ii,"axG",@progbits,_Z16wvSplitK_hf_big_I14__hip_bfloat16Li32ELi3ELi16ELi8ELi2ELi4EEviiiiiiPKT_S3_S3_PS1_ii,comdat
	.protected	_Z16wvSplitK_hf_big_I14__hip_bfloat16Li32ELi3ELi16ELi8ELi2ELi4EEviiiiiiPKT_S3_S3_PS1_ii ; -- Begin function _Z16wvSplitK_hf_big_I14__hip_bfloat16Li32ELi3ELi16ELi8ELi2ELi4EEviiiiiiPKT_S3_S3_PS1_ii
	.globl	_Z16wvSplitK_hf_big_I14__hip_bfloat16Li32ELi3ELi16ELi8ELi2ELi4EEviiiiiiPKT_S3_S3_PS1_ii
	.p2align	8
	.type	_Z16wvSplitK_hf_big_I14__hip_bfloat16Li32ELi3ELi16ELi8ELi2ELi4EEviiiiiiPKT_S3_S3_PS1_ii,@function
_Z16wvSplitK_hf_big_I14__hip_bfloat16Li32ELi3ELi16ELi8ELi2ELi4EEviiiiiiPKT_S3_S3_PS1_ii: ; @_Z16wvSplitK_hf_big_I14__hip_bfloat16Li32ELi3ELi16ELi8ELi2ELi4EEviiiiiiPKT_S3_S3_PS1_ii
; %bb.0:
	s_load_b64 s[20:21], s[0:1], 0x38
	v_bfe_u32 v1, v0, 10, 10
	s_mov_b32 s2, exec_lo
	s_waitcnt lgkmcnt(0)
	s_delay_alu instid0(VALU_DEP_1)
	v_cmpx_gt_u32_e64 s20, v1
	s_cbranch_execz .LBB256_112
; %bb.1:
	s_load_b128 s[16:19], s[0:1], 0x0
	v_mad_u64_u32 v[2:3], null, s15, s20, v[1:2]
	s_mov_b32 s4, 1
	s_delay_alu instid0(SALU_CYCLE_1) | instskip(SKIP_1) | instid1(SALU_CYCLE_1)
	s_mov_b32 s5, s4
	s_mov_b32 s6, s4
	v_mov_b32_e32 v58, s6
	s_delay_alu instid0(VALU_DEP_2) | instskip(SKIP_1) | instid1(VALU_DEP_2)
	v_lshl_add_u32 v59, v2, 1, v2
	v_dual_mov_b32 v56, s4 :: v_dual_mov_b32 v57, s5
	v_add_nc_u32_e32 v2, 3, v59
	s_waitcnt lgkmcnt(0)
	v_cmp_gt_u32_e32 vcc_lo, s19, v59
	s_delay_alu instid0(VALU_DEP_2) | instskip(NEXT) | instid1(VALU_DEP_1)
	v_cmp_le_u32_e64 s2, s19, v2
	s_and_b32 s2, vcc_lo, s2
	s_delay_alu instid0(SALU_CYCLE_1)
	s_and_saveexec_b32 s7, s2
	s_cbranch_execz .LBB256_7
; %bb.2:
	v_dual_mov_b32 v58, s6 :: v_dual_mov_b32 v57, s5
	v_mov_b32_e32 v56, s4
	s_add_i32 s8, s19, -3
	s_mov_b32 s9, exec_lo
	v_cmpx_ne_u32_e64 s8, v59
	s_cbranch_execz .LBB256_6
; %bb.3:
	v_subrev_nc_u32_e32 v2, s8, v59
	s_mov_b32 s10, 0
	s_mov_b64 s[2:3], 0
	s_mov_b32 s5, s4
	s_mov_b32 s6, s4
	v_cmp_lt_u32_e32 vcc_lo, 1, v2
	v_cndmask_b32_e32 v2, 1, v2, vcc_lo
.LBB256_4:                              ; =>This Inner Loop Header: Depth=1
	s_cmp_lg_u32 s2, 2
	s_cselect_b32 s6, s6, 0
	s_cmp_lg_u32 s2, 1
	s_cselect_b32 s5, s5, 0
	;; [unrolled: 2-line block ×3, first 2 shown]
	s_add_u32 s2, s2, 1
	v_dual_mov_b32 v58, s6 :: v_dual_mov_b32 v57, s5
	v_cmp_eq_u32_e32 vcc_lo, s2, v2
	v_mov_b32_e32 v56, s4
	s_addc_u32 s3, s3, 0
	s_or_b32 s10, vcc_lo, s10
	s_delay_alu instid0(SALU_CYCLE_1)
	s_and_not1_b32 exec_lo, exec_lo, s10
	s_cbranch_execnz .LBB256_4
; %bb.5:
	s_or_b32 exec_lo, exec_lo, s10
	v_mov_b32_e32 v59, s8
.LBB256_6:
	s_or_b32 exec_lo, exec_lo, s9
.LBB256_7:
	s_delay_alu instid0(SALU_CYCLE_1)
	s_or_b32 exec_lo, exec_lo, s7
	s_mul_i32 s2, s20, 3
	s_abs_i32 s6, s19
	s_abs_i32 s3, s2
	s_mov_b32 s23, 0
	v_cvt_f32_u32_e32 v2, s3
	s_sub_i32 s5, 0, s3
	s_delay_alu instid0(VALU_DEP_1) | instskip(SKIP_2) | instid1(VALU_DEP_1)
	v_rcp_iflag_f32_e32 v2, v2
	s_waitcnt_depctr 0xfff
	v_mul_f32_e32 v2, 0x4f7ffffe, v2
	v_cvt_u32_f32_e32 v2, v2
	s_delay_alu instid0(VALU_DEP_1) | instskip(NEXT) | instid1(VALU_DEP_1)
	v_readfirstlane_b32 s4, v2
	s_mul_i32 s5, s5, s4
	s_delay_alu instid0(SALU_CYCLE_1) | instskip(NEXT) | instid1(SALU_CYCLE_1)
	s_mul_hi_u32 s5, s4, s5
	s_add_i32 s4, s4, s5
	s_ashr_i32 s5, s19, 31
	s_mul_hi_u32 s4, s6, s4
	s_delay_alu instid0(SALU_CYCLE_1) | instskip(NEXT) | instid1(SALU_CYCLE_1)
	s_mul_i32 s4, s4, s3
	s_sub_i32 s4, s6, s4
	s_delay_alu instid0(SALU_CYCLE_1) | instskip(SKIP_2) | instid1(SALU_CYCLE_1)
	s_sub_i32 s6, s4, s3
	s_cmp_ge_u32 s4, s3
	s_cselect_b32 s4, s6, s4
	s_sub_i32 s6, s4, s3
	s_cmp_ge_u32 s4, s3
	s_cselect_b32 s3, s6, s4
	s_add_i32 s4, s2, s19
	s_xor_b32 s3, s3, s5
	s_delay_alu instid0(SALU_CYCLE_1) | instskip(NEXT) | instid1(SALU_CYCLE_1)
	s_sub_i32 s3, s3, s5
	s_sub_i32 s4, s4, s3
	s_cmp_eq_u32 s3, 0
	s_cselect_b32 s22, s19, s4
	s_delay_alu instid0(SALU_CYCLE_1)
	v_cmp_gt_u32_e32 vcc_lo, s22, v59
	s_and_b32 exec_lo, exec_lo, vcc_lo
	s_cbranch_execz .LBB256_112
; %bb.8:
	s_load_b256 s[4:11], s[0:1], 0x10
	s_min_u32 s24, s18, 0x2000
	s_cmp_lg_u32 s16, 0
	s_load_b64 s[12:13], s[0:1], 0x30
	s_cselect_b32 s25, -1, 0
	s_cmp_lg_u32 s18, 0
	v_and_b32_e32 v0, 0x3ff, v0
	s_cselect_b32 s26, -1, 0
	s_lshl_b32 s27, s20, 8
	s_add_i32 s28, s16, -8
	s_add_i32 s29, s19, -1
	v_lshlrev_b32_e32 v72, 3, v0
	v_cmp_eq_u32_e64 s0, 31, v0
	v_lshlrev_b32_e32 v0, 4, v0
	v_mbcnt_lo_u32_b32 v71, -1, 0
	s_delay_alu instid0(VALU_DEP_4) | instskip(SKIP_1) | instid1(VALU_DEP_4)
	v_lshl_add_u32 v63, v1, 8, v72
	v_mov_b32_e32 v62, 0
	v_lshl_add_u32 v73, v1, 9, v0
	s_waitcnt lgkmcnt(0)
	s_cmp_lg_u64 s[10:11], 0
	v_add_nc_u32_e32 v75, s18, v63
	s_cselect_b32 s30, -1, 0
	s_abs_i32 s3, s5
	v_cvt_f32_u32_e32 v3, s4
	v_cvt_f32_u32_e32 v2, s3
	s_mul_i32 s5, s2, s21
	s_sub_i32 s2, 0, s3
	s_add_i32 s31, s19, -3
	v_rcp_iflag_f32_e32 v3, v3
	v_rcp_iflag_f32_e32 v2, v2
	s_sub_i32 s14, 0, s4
	s_sub_i32 s15, 1, s3
	v_mad_u64_u32 v[64:65], null, s18, 3, v[63:64]
	v_lshl_add_u32 v74, s18, 1, v63
	s_mul_i32 s21, s24, 6
	s_waitcnt_depctr 0xfff
	v_mul_f32_e32 v2, 0x4f7ffffe, v2
	s_delay_alu instid0(VALU_DEP_1) | instskip(NEXT) | instid1(VALU_DEP_1)
	v_cvt_u32_f32_e32 v2, v2
	v_readfirstlane_b32 s1, v2
	v_mul_f32_e32 v2, 0x4f7ffffe, v3
	s_delay_alu instid0(VALU_DEP_2) | instskip(NEXT) | instid1(VALU_DEP_1)
	s_mul_i32 s2, s2, s1
	v_cvt_u32_f32_e32 v0, v2
	s_mul_hi_u32 s2, s1, s2
	s_delay_alu instid0(SALU_CYCLE_1) | instskip(SKIP_1) | instid1(VALU_DEP_1)
	s_add_i32 s1, s1, s2
	s_cmp_lt_u32 s3, 2
	v_mul_lo_u32 v1, s14, v0
	s_cselect_b32 s2, s15, 1
	s_delay_alu instid0(SALU_CYCLE_1)
	s_sub_i32 s15, s2, s3
	s_cmp_ge_u32 s2, s3
	s_cselect_b32 s33, s15, s2
	s_lshr_b32 s2, s1, 31
	s_mul_hi_u32 s1, s1, 3
	s_mul_i32 s2, s2, s3
	s_mul_i32 s1, s1, s3
	s_sub_i32 s2, 2, s2
	v_mul_hi_u32 v1, v0, v1
	s_sub_i32 s14, s2, s3
	s_cmp_ge_u32 s2, s3
	s_mul_i32 s33, s33, s4
	s_cselect_b32 s2, s14, s2
	s_delay_alu instid0(SALU_CYCLE_1) | instskip(SKIP_1) | instid1(VALU_DEP_1)
	s_sub_i32 s14, s2, s3
	s_cmp_ge_u32 s2, s3
	v_add_nc_u32_e32 v76, v0, v1
	s_cselect_b32 s34, s14, s2
	s_sub_i32 s1, 3, s1
	s_mul_i32 s34, s34, s4
	s_sub_i32 s2, s1, s3
	s_cmp_ge_u32 s1, s3
	s_cselect_b32 s1, s2, s1
	s_delay_alu instid0(SALU_CYCLE_1)
	s_sub_i32 s2, s1, s3
	s_cmp_ge_u32 s1, s3
	s_cselect_b32 s38, s2, s1
	s_add_u32 s35, s12, 2
	s_addc_u32 s36, s13, 0
	s_lshl_b32 s20, s20, 9
	s_lshl_b32 s37, s24, 2
	s_mul_i32 s38, s38, s4
	s_lshl_b32 s39, s24, 1
	s_branch .LBB256_12
.LBB256_9:                              ;   in Loop: Header=BB256_12 Depth=1
	s_or_b32 exec_lo, exec_lo, s42
	v_mov_b32_e32 v59, s31
.LBB256_10:                             ;   in Loop: Header=BB256_12 Depth=1
	s_or_b32 exec_lo, exec_lo, s41
.LBB256_11:                             ;   in Loop: Header=BB256_12 Depth=1
	s_delay_alu instid0(SALU_CYCLE_1) | instskip(NEXT) | instid1(VALU_DEP_1)
	s_or_b32 exec_lo, exec_lo, s40
	v_cmp_le_u32_e32 vcc_lo, s22, v59
	s_or_b32 s23, vcc_lo, s23
	s_delay_alu instid0(SALU_CYCLE_1)
	s_and_not1_b32 exec_lo, exec_lo, s23
	s_cbranch_execz .LBB256_112
.LBB256_12:                             ; =>This Loop Header: Depth=1
                                        ;     Child Loop BB256_17 Depth 2
                                        ;       Child Loop BB256_22 Depth 3
                                        ;     Child Loop BB256_110 Depth 2
	v_mov_b32_e32 v60, v62
	v_mov_b32_e32 v77, v62
	;; [unrolled: 1-line block ×12, first 2 shown]
	s_and_not1_b32 vcc_lo, exec_lo, s25
	s_mov_b32 s3, 0
	s_cbranch_vccnz .LBB256_29
; %bb.13:                               ;   in Loop: Header=BB256_12 Depth=1
	v_add_nc_u32_e32 v0, 1, v59
	s_waitcnt lgkmcnt(3)
	v_dual_mov_b32 v84, 0 :: v_dual_add_nc_u32 v1, 2, v59
	v_min_u32_e32 v2, s29, v59
	s_waitcnt lgkmcnt(0)
	v_dual_mov_b32 v3, v62 :: v_dual_mov_b32 v86, 0
	s_delay_alu instid0(VALU_DEP_3)
	v_min_u32_e32 v4, s29, v1
	v_mov_b32_e32 v1, v62
	v_min_u32_e32 v0, s29, v0
	v_mul_lo_u32 v61, v2, s17
	v_cmp_gt_u32_e64 s1, s19, v59
	v_mul_lo_u32 v2, v4, s17
	v_dual_mov_b32 v87, 0 :: v_dual_mov_b32 v82, 0
	v_mul_lo_u32 v0, v0, s17
	v_dual_mov_b32 v81, 0 :: v_dual_mov_b32 v80, 0
	v_lshlrev_b64 v[65:66], 1, v[61:62]
	v_dual_mov_b32 v85, 0 :: v_dual_mov_b32 v78, 0
	v_lshlrev_b64 v[69:70], 1, v[2:3]
	;; [unrolled: 2-line block ×3, first 2 shown]
	v_mov_b32_e32 v79, 0
	v_mov_b32_e32 v77, 0
	s_mov_b32 s14, 0
	s_branch .LBB256_17
.LBB256_14:                             ;   in Loop: Header=BB256_17 Depth=2
	s_or_b32 exec_lo, exec_lo, s40
.LBB256_15:                             ;   in Loop: Header=BB256_17 Depth=2
	s_delay_alu instid0(SALU_CYCLE_1)
	s_or_b32 exec_lo, exec_lo, s15
	s_waitcnt lgkmcnt(3)
	v_and_b32_e32 v96, 0xffff0000, v55
	s_waitcnt vmcnt(5)
	v_and_b32_e32 v98, 0xffff0000, v51
	v_and_b32_e32 v89, 0xffff0000, v53
	;; [unrolled: 1-line block ×4, first 2 shown]
	s_delay_alu instid0(VALU_DEP_4)
	v_dual_mul_f32 v101, v96, v98 :: v_dual_lshlrev_b32 v52, 16, v52
	s_waitcnt vmcnt(4)
	v_and_b32_e32 v97, 0xffff0000, v45
	v_and_b32_e32 v88, 0xffff0000, v48
	v_lshlrev_b32_e32 v48, 16, v48
	v_dual_mul_f32 v94, v89, v91 :: v_dual_lshlrev_b32 v45, 16, v45
	s_delay_alu instid0(VALU_DEP_4) | instskip(NEXT) | instid1(VALU_DEP_4)
	v_mul_f32_e32 v99, v89, v97
	v_dual_mul_f32 v90, v61, v88 :: v_dual_lshlrev_b32 v53, 16, v53
	v_and_b32_e32 v100, 0xffff0000, v46
	v_and_b32_e32 v95, 0xffff0000, v44
	v_lshlrev_b32_e32 v44, 16, v44
	s_delay_alu instid0(VALU_DEP_4)
	v_fmac_f32_e32 v90, v52, v48
	v_dual_fmac_f32 v99, v53, v45 :: v_dual_and_b32 v92, 0xffff0000, v54
	v_and_b32_e32 v93, 0xffff0000, v50
	v_lshlrev_b32_e32 v55, 16, v55
	v_lshlrev_b32_e32 v46, 16, v46
	;; [unrolled: 1-line block ×5, first 2 shown]
	v_add_f32_e32 v84, v84, v90
	s_delay_alu instid0(VALU_DEP_4) | instskip(SKIP_3) | instid1(VALU_DEP_3)
	v_dual_mul_f32 v90, v92, v93 :: v_dual_fmac_f32 v101, v55, v51
	v_lshlrev_b32_e32 v49, 16, v49
	s_waitcnt lgkmcnt(2)
	v_and_b32_e32 v103, 0xffff0000, v42
	v_fmac_f32_e32 v90, v54, v50
	s_delay_alu instid0(VALU_DEP_3) | instskip(NEXT) | instid1(VALU_DEP_1)
	v_fmac_f32_e32 v94, v53, v49
	v_add_f32_e32 v84, v84, v94
	v_mul_f32_e32 v94, v61, v95
	s_delay_alu instid0(VALU_DEP_1) | instskip(NEXT) | instid1(VALU_DEP_1)
	v_fmac_f32_e32 v94, v52, v44
	v_dual_add_f32 v87, v87, v94 :: v_dual_mul_f32 v94, v92, v100
	s_delay_alu instid0(VALU_DEP_1) | instskip(SKIP_3) | instid1(VALU_DEP_3)
	v_dual_add_f32 v87, v87, v99 :: v_dual_fmac_f32 v94, v54, v46
	v_dual_add_f32 v84, v84, v90 :: v_dual_and_b32 v99, 0xffff0000, v47
	v_lshlrev_b32_e32 v47, 16, v47
	s_waitcnt vmcnt(3)
	v_dual_add_f32 v87, v87, v94 :: v_dual_and_b32 v94, 0xffff0000, v37
	s_delay_alu instid0(VALU_DEP_3) | instskip(SKIP_4) | instid1(VALU_DEP_1)
	v_add_f32_e32 v84, v84, v101
	v_lshlrev_b32_e32 v37, 16, v37
	v_and_b32_e32 v101, 0xffff0000, v38
	v_lshlrev_b32_e32 v38, 16, v38
	v_and_b32_e32 v90, 0xffff0000, v36
	v_dual_mul_f32 v61, v61, v90 :: v_dual_lshlrev_b32 v36, 16, v36
	s_delay_alu instid0(VALU_DEP_1) | instskip(SKIP_1) | instid1(VALU_DEP_2)
	v_dual_fmac_f32 v61, v52, v36 :: v_dual_mul_f32 v52, v89, v94
	v_mul_f32_e32 v89, v96, v99
	v_add_f32_e32 v61, v86, v61
	s_delay_alu instid0(VALU_DEP_2) | instskip(NEXT) | instid1(VALU_DEP_1)
	v_dual_fmac_f32 v52, v53, v37 :: v_dual_fmac_f32 v89, v55, v47
	v_dual_mul_f32 v53, v92, v101 :: v_dual_add_f32 v52, v61, v52
	v_and_b32_e32 v61, 0xffff0000, v41
	v_and_b32_e32 v86, 0xffff0000, v40
	v_lshlrev_b32_e32 v40, 16, v40
	v_lshlrev_b32_e32 v41, 16, v41
	s_delay_alu instid0(VALU_DEP_4) | instskip(NEXT) | instid1(VALU_DEP_4)
	v_dual_fmac_f32 v53, v54, v38 :: v_dual_mul_f32 v102, v61, v91
	v_mul_f32_e32 v92, v86, v88
	s_delay_alu instid0(VALU_DEP_2) | instskip(NEXT) | instid1(VALU_DEP_3)
	v_add_f32_e32 v52, v52, v53
	v_fmac_f32_e32 v102, v41, v49
	s_delay_alu instid0(VALU_DEP_3) | instskip(NEXT) | instid1(VALU_DEP_1)
	v_fmac_f32_e32 v92, v40, v48
	v_add_f32_e32 v82, v82, v92
	s_delay_alu instid0(VALU_DEP_1) | instskip(SKIP_3) | instid1(VALU_DEP_3)
	v_dual_add_f32 v53, v82, v102 :: v_dual_add_f32 v82, v87, v89
	v_dual_mul_f32 v89, v61, v97 :: v_dual_lshlrev_b32 v42, 16, v42
	v_and_b32_e32 v87, 0xffff0000, v43
	v_lshlrev_b32_e32 v43, 16, v43
	v_fmac_f32_e32 v89, v41, v45
	v_mul_f32_e32 v92, v103, v93
	s_delay_alu instid0(VALU_DEP_1) | instskip(SKIP_2) | instid1(VALU_DEP_2)
	v_fmac_f32_e32 v92, v42, v50
	v_and_b32_e32 v54, 0xffff0000, v39
	v_lshlrev_b32_e32 v39, 16, v39
	v_dual_add_f32 v53, v53, v92 :: v_dual_mul_f32 v96, v96, v54
	v_mul_f32_e32 v92, v87, v98
	s_delay_alu instid0(VALU_DEP_1) | instskip(NEXT) | instid1(VALU_DEP_3)
	v_fmac_f32_e32 v92, v43, v51
	v_fmac_f32_e32 v96, v55, v39
	v_mul_f32_e32 v55, v86, v95
	s_delay_alu instid0(VALU_DEP_3) | instskip(NEXT) | instid1(VALU_DEP_2)
	v_add_f32_e32 v53, v53, v92
	v_fmac_f32_e32 v55, v40, v44
	s_delay_alu instid0(VALU_DEP_1) | instskip(SKIP_1) | instid1(VALU_DEP_2)
	v_add_f32_e32 v55, v81, v55
	v_mul_f32_e32 v81, v103, v100
	v_dual_add_f32 v52, v52, v96 :: v_dual_add_f32 v55, v55, v89
	s_delay_alu instid0(VALU_DEP_2) | instskip(NEXT) | instid1(VALU_DEP_1)
	v_fmac_f32_e32 v81, v42, v46
	v_dual_mul_f32 v86, v86, v90 :: v_dual_add_f32 v55, v55, v81
	s_delay_alu instid0(VALU_DEP_1) | instskip(SKIP_2) | instid1(VALU_DEP_2)
	v_fmac_f32_e32 v86, v40, v36
	s_waitcnt lgkmcnt(1)
	v_dual_mul_f32 v40, v61, v94 :: v_dual_and_b32 v81, 0xffff0000, v32
	v_add_f32_e32 v61, v85, v86
	v_mul_f32_e32 v85, v87, v99
	v_mul_f32_e32 v86, v87, v54
	s_delay_alu instid0(VALU_DEP_2) | instskip(SKIP_1) | instid1(VALU_DEP_3)
	v_dual_fmac_f32 v85, v43, v47 :: v_dual_fmac_f32 v40, v41, v37
	v_mul_f32_e32 v41, v103, v101
	v_fmac_f32_e32 v86, v43, v39
	s_delay_alu instid0(VALU_DEP_3) | instskip(NEXT) | instid1(VALU_DEP_4)
	v_add_f32_e32 v43, v55, v85
	v_dual_add_f32 v40, v61, v40 :: v_dual_and_b32 v55, 0xffff0000, v34
	v_and_b32_e32 v61, 0xffff0000, v33
	v_dual_fmac_f32 v41, v42, v38 :: v_dual_lshlrev_b32 v32, 16, v32
	v_dual_mul_f32 v42, v81, v88 :: v_dual_lshlrev_b32 v33, 16, v33
	s_delay_alu instid0(VALU_DEP_4) | instskip(NEXT) | instid1(VALU_DEP_3)
	v_mul_f32_e32 v85, v55, v93
	v_dual_add_f32 v40, v40, v41 :: v_dual_mul_f32 v41, v61, v91
	s_delay_alu instid0(VALU_DEP_3) | instskip(NEXT) | instid1(VALU_DEP_2)
	v_fmac_f32_e32 v42, v32, v48
	v_dual_fmac_f32 v41, v33, v49 :: v_dual_lshlrev_b32 v34, 16, v34
	s_delay_alu instid0(VALU_DEP_2) | instskip(SKIP_1) | instid1(VALU_DEP_2)
	v_dual_add_f32 v42, v83, v42 :: v_dual_mul_f32 v83, v81, v95
	v_mul_f32_e32 v81, v81, v90
	v_fmac_f32_e32 v83, v32, v44
	s_delay_alu instid0(VALU_DEP_3) | instskip(SKIP_1) | instid1(VALU_DEP_3)
	v_dual_add_f32 v41, v42, v41 :: v_dual_add_f32 v40, v40, v86
	v_mul_f32_e32 v86, v61, v97
	v_dual_add_f32 v80, v80, v83 :: v_dual_mul_f32 v83, v55, v100
	v_dual_fmac_f32 v85, v34, v50 :: v_dual_and_b32 v42, 0xffff0000, v35
	s_delay_alu instid0(VALU_DEP_3) | instskip(SKIP_1) | instid1(VALU_DEP_3)
	v_dual_fmac_f32 v86, v33, v45 :: v_dual_lshlrev_b32 v35, 16, v35
	v_fmac_f32_e32 v81, v32, v36
	v_mul_f32_e32 v87, v42, v98
	s_delay_alu instid0(VALU_DEP_4) | instskip(SKIP_1) | instid1(VALU_DEP_3)
	v_add_f32_e32 v41, v41, v85
	v_dual_mul_f32 v85, v42, v99 :: v_dual_mul_f32 v32, v61, v94
	v_dual_add_f32 v80, v80, v86 :: v_dual_fmac_f32 v87, v35, v51
	v_fmac_f32_e32 v83, v34, v46
	v_mul_f32_e32 v42, v42, v54
	s_delay_alu instid0(VALU_DEP_4)
	v_fmac_f32_e32 v32, v33, v37
	v_add_f32_e32 v79, v79, v81
	v_mul_f32_e32 v33, v55, v101
	s_waitcnt lgkmcnt(0)
	v_and_b32_e32 v81, 0xffff0000, v29
	v_add_f32_e32 v41, v41, v87
	v_dual_fmac_f32 v42, v35, v39 :: v_dual_lshlrev_b32 v29, 16, v29
	s_delay_alu instid0(VALU_DEP_3) | instskip(SKIP_3) | instid1(VALU_DEP_4)
	v_dual_fmac_f32 v33, v34, v38 :: v_dual_mul_f32 v34, v81, v91
	v_dual_add_f32 v61, v80, v83 :: v_dual_add_f32 v32, v79, v32
	v_and_b32_e32 v80, 0xffff0000, v28
	v_lshlrev_b32_e32 v28, 16, v28
	v_dual_fmac_f32 v34, v29, v49 :: v_dual_fmac_f32 v85, v35, v47
	s_delay_alu instid0(VALU_DEP_4) | instskip(NEXT) | instid1(VALU_DEP_4)
	v_add_f32_e32 v32, v32, v33
	v_mul_f32_e32 v55, v80, v88
	s_delay_alu instid0(VALU_DEP_2) | instskip(NEXT) | instid1(VALU_DEP_2)
	v_dual_add_f32 v61, v61, v85 :: v_dual_add_f32 v32, v32, v42
	v_dual_fmac_f32 v55, v28, v48 :: v_dual_and_b32 v48, 0xffff0000, v30
	s_delay_alu instid0(VALU_DEP_1) | instskip(NEXT) | instid1(VALU_DEP_1)
	v_dual_add_f32 v33, v78, v55 :: v_dual_lshlrev_b32 v30, 16, v30
	v_dual_add_f32 v33, v33, v34 :: v_dual_and_b32 v34, 0xffff0000, v31
	s_delay_alu instid0(VALU_DEP_3) | instskip(SKIP_1) | instid1(VALU_DEP_3)
	v_mul_f32_e32 v49, v48, v93
	v_lshlrev_b32_e32 v31, 16, v31
	v_mul_f32_e32 v42, v34, v99
	s_delay_alu instid0(VALU_DEP_3) | instskip(SKIP_2) | instid1(VALU_DEP_3)
	v_fmac_f32_e32 v49, v30, v50
	v_mul_f32_e32 v50, v34, v98
	v_mul_f32_e32 v34, v34, v54
	v_dual_fmac_f32 v42, v31, v47 :: v_dual_add_f32 v33, v33, v49
	s_delay_alu instid0(VALU_DEP_3) | instskip(SKIP_4) | instid1(VALU_DEP_3)
	v_fmac_f32_e32 v50, v31, v51
	v_mul_f32_e32 v35, v80, v95
	v_mul_f32_e32 v49, v80, v90
	s_waitcnt vmcnt(2)
	v_dual_fmac_f32 v34, v31, v39 :: v_dual_and_b32 v47, 0xffff0000, v22
	v_dual_fmac_f32 v35, v28, v44 :: v_dual_lshlrev_b32 v22, 16, v22
	s_delay_alu instid0(VALU_DEP_3) | instskip(SKIP_2) | instid1(VALU_DEP_3)
	v_dual_mul_f32 v44, v81, v97 :: v_dual_fmac_f32 v49, v28, v36
	v_add_f32_e32 v28, v33, v50
	s_waitcnt vmcnt(0)
	v_dual_add_f32 v35, v77, v35 :: v_dual_and_b32 v50, 0xffff0000, v9
	s_delay_alu instid0(VALU_DEP_3) | instskip(SKIP_2) | instid1(VALU_DEP_3)
	v_fmac_f32_e32 v44, v29, v45
	v_add_f32_e32 v36, v60, v49
	v_mul_f32_e32 v45, v48, v100
	v_add_f32_e32 v35, v35, v44
	s_delay_alu instid0(VALU_DEP_2) | instskip(SKIP_1) | instid1(VALU_DEP_2)
	v_dual_fmac_f32 v45, v30, v46 :: v_dual_and_b32 v44, 0xffff0000, v24
	v_and_b32_e32 v46, 0xffff0000, v21
	v_dual_add_f32 v33, v35, v45 :: v_dual_lshlrev_b32 v24, 16, v24
	v_mul_f32_e32 v35, v81, v94
	v_and_b32_e32 v45, 0xffff0000, v20
	s_delay_alu instid0(VALU_DEP_2) | instskip(SKIP_1) | instid1(VALU_DEP_3)
	v_dual_fmac_f32 v35, v29, v37 :: v_dual_lshlrev_b32 v20, 16, v20
	v_mul_f32_e32 v29, v48, v101
	v_mul_f32_e32 v37, v44, v45
	s_delay_alu instid0(VALU_DEP_2) | instskip(SKIP_2) | instid1(VALU_DEP_2)
	v_fmac_f32_e32 v29, v30, v38
	v_and_b32_e32 v38, 0xffff0000, v26
	v_lshlrev_b32_e32 v26, 16, v26
	v_dual_mul_f32 v48, v38, v47 :: v_dual_fmac_f32 v37, v24, v20
	s_delay_alu instid0(VALU_DEP_1) | instskip(SKIP_1) | instid1(VALU_DEP_1)
	v_dual_fmac_f32 v48, v26, v22 :: v_dual_add_f32 v37, v84, v37
	v_dual_add_f32 v35, v36, v35 :: v_dual_and_b32 v36, 0xffff0000, v25
	v_dual_mul_f32 v30, v36, v46 :: v_dual_lshlrev_b32 v25, 16, v25
	v_dual_add_f32 v33, v33, v42 :: v_dual_and_b32 v42, 0xffff0000, v17
	v_lshlrev_b32_e32 v21, 16, v21
	v_lshlrev_b32_e32 v17, 16, v17
	s_delay_alu instid0(VALU_DEP_2) | instskip(NEXT) | instid1(VALU_DEP_1)
	v_fmac_f32_e32 v30, v25, v21
	v_dual_add_f32 v30, v37, v30 :: v_dual_and_b32 v37, 0xffff0000, v23
	s_delay_alu instid0(VALU_DEP_1) | instskip(SKIP_2) | instid1(VALU_DEP_2)
	v_dual_add_f32 v30, v30, v48 :: v_dual_lshlrev_b32 v23, 16, v23
	v_dual_mul_f32 v48, v36, v42 :: v_dual_and_b32 v31, 0xffff0000, v16
	v_dual_add_f32 v29, v35, v29 :: v_dual_lshlrev_b32 v16, 16, v16
	v_dual_fmac_f32 v48, v25, v17 :: v_dual_and_b32 v35, 0xffff0000, v27
	v_lshlrev_b32_e32 v27, 16, v27
	s_delay_alu instid0(VALU_DEP_4) | instskip(NEXT) | instid1(VALU_DEP_3)
	v_mul_f32_e32 v39, v44, v31
	v_mul_f32_e32 v49, v35, v37
	s_delay_alu instid0(VALU_DEP_1) | instskip(NEXT) | instid1(VALU_DEP_1)
	v_fmac_f32_e32 v49, v27, v23
	v_add_f32_e32 v84, v30, v49
	v_and_b32_e32 v30, 0xffff0000, v8
	v_lshlrev_b32_e32 v8, 16, v8
	v_fmac_f32_e32 v39, v24, v16
	v_add_f32_e32 v29, v29, v34
	s_delay_alu instid0(VALU_DEP_4) | instskip(NEXT) | instid1(VALU_DEP_3)
	v_mul_f32_e32 v44, v44, v30
	v_add_f32_e32 v34, v82, v39
	s_delay_alu instid0(VALU_DEP_2) | instskip(NEXT) | instid1(VALU_DEP_2)
	v_dual_fmac_f32 v44, v24, v8 :: v_dual_and_b32 v39, 0xffff0000, v18
	v_add_f32_e32 v34, v34, v48
	v_and_b32_e32 v48, 0xffff0000, v19
	v_mul_f32_e32 v24, v36, v50
	s_delay_alu instid0(VALU_DEP_4)
	v_add_f32_e32 v44, v52, v44
	v_and_b32_e32 v36, 0xffff0000, v10
	v_lshlrev_b32_e32 v18, 16, v18
	v_lshlrev_b32_e32 v19, 16, v19
	v_dual_mul_f32 v51, v35, v48 :: v_dual_lshlrev_b32 v10, 16, v10
	v_lshlrev_b32_e32 v9, 16, v9
	v_mul_f32_e32 v49, v38, v39
	s_delay_alu instid0(VALU_DEP_3) | instskip(NEXT) | instid1(VALU_DEP_1)
	v_dual_mul_f32 v38, v38, v36 :: v_dual_fmac_f32 v51, v27, v19
	v_fmac_f32_e32 v38, v26, v10
	s_delay_alu instid0(VALU_DEP_3) | instskip(NEXT) | instid1(VALU_DEP_1)
	v_dual_fmac_f32 v24, v25, v9 :: v_dual_fmac_f32 v49, v26, v18
	v_add_f32_e32 v24, v44, v24
	s_delay_alu instid0(VALU_DEP_2) | instskip(SKIP_3) | instid1(VALU_DEP_4)
	v_dual_add_f32 v34, v34, v49 :: v_dual_and_b32 v25, 0xffff0000, v12
	v_lshlrev_b32_e32 v12, 16, v12
	v_and_b32_e32 v44, 0xffff0000, v11
	v_and_b32_e32 v26, 0xffff0000, v13
	v_dual_add_f32 v24, v24, v38 :: v_dual_add_f32 v87, v34, v51
	v_dual_mul_f32 v34, v25, v45 :: v_dual_lshlrev_b32 v11, 16, v11
	s_delay_alu instid0(VALU_DEP_4) | instskip(NEXT) | instid1(VALU_DEP_4)
	v_mul_f32_e32 v35, v35, v44
	v_mul_f32_e32 v49, v26, v46
	;; [unrolled: 1-line block ×3, first 2 shown]
	s_delay_alu instid0(VALU_DEP_4) | instskip(NEXT) | instid1(VALU_DEP_1)
	v_dual_fmac_f32 v34, v12, v20 :: v_dual_lshlrev_b32 v13, 16, v13
	v_dual_fmac_f32 v35, v27, v11 :: v_dual_add_f32 v34, v53, v34
	s_delay_alu instid0(VALU_DEP_2) | instskip(SKIP_1) | instid1(VALU_DEP_2)
	v_dual_fmac_f32 v49, v13, v21 :: v_dual_and_b32 v38, 0xffff0000, v14
	v_dual_mul_f32 v27, v25, v31 :: v_dual_lshlrev_b32 v14, 16, v14
	v_dual_fmac_f32 v52, v13, v17 :: v_dual_mul_f32 v51, v38, v47
	s_delay_alu instid0(VALU_DEP_3) | instskip(SKIP_1) | instid1(VALU_DEP_3)
	v_dual_add_f32 v34, v34, v49 :: v_dual_and_b32 v49, 0xffff0000, v15
	v_dual_mul_f32 v25, v25, v30 :: v_dual_add_f32 v86, v24, v35
	v_fmac_f32_e32 v51, v14, v22
	v_fmac_f32_e32 v27, v12, v16
	s_delay_alu instid0(VALU_DEP_2) | instskip(SKIP_2) | instid1(VALU_DEP_4)
	v_dual_mul_f32 v53, v49, v37 :: v_dual_add_f32 v34, v34, v51
	v_lshlrev_b32_e32 v15, 16, v15
	v_dual_fmac_f32 v25, v12, v8 :: v_dual_mul_f32 v12, v26, v50
	v_dual_add_f32 v27, v43, v27 :: v_dual_mul_f32 v26, v49, v48
	v_mul_f32_e32 v43, v38, v39
	s_delay_alu instid0(VALU_DEP_3) | instskip(NEXT) | instid1(VALU_DEP_4)
	v_add_f32_e32 v25, v40, v25
	v_fmac_f32_e32 v12, v13, v9
	v_and_b32_e32 v35, 0xffff0000, v5
	v_lshlrev_b32_e32 v5, 16, v5
	v_mul_f32_e32 v13, v38, v36
	s_delay_alu instid0(VALU_DEP_4) | instskip(SKIP_2) | instid1(VALU_DEP_4)
	v_dual_fmac_f32 v43, v14, v18 :: v_dual_add_f32 v12, v25, v12
	v_fmac_f32_e32 v53, v15, v23
	v_mul_f32_e32 v25, v49, v44
	v_fmac_f32_e32 v13, v14, v10
	v_add_f32_e32 v27, v27, v52
	v_mul_f32_e32 v14, v35, v46
	v_mul_f32_e32 v38, v35, v42
	s_delay_alu instid0(VALU_DEP_4) | instskip(NEXT) | instid1(VALU_DEP_4)
	v_add_f32_e32 v12, v12, v13
	v_dual_add_f32 v24, v27, v43 :: v_dual_and_b32 v27, 0xffff0000, v4
	v_lshlrev_b32_e32 v4, 16, v4
	v_add_f32_e32 v82, v34, v53
	v_fmac_f32_e32 v26, v15, v19
	s_delay_alu instid0(VALU_DEP_1) | instskip(SKIP_1) | instid1(VALU_DEP_2)
	v_dual_mul_f32 v34, v27, v45 :: v_dual_add_f32 v81, v24, v26
	v_and_b32_e32 v24, 0xffff0000, v6
	v_fmac_f32_e32 v34, v4, v20
	v_mul_f32_e32 v26, v27, v31
	v_fmac_f32_e32 v14, v5, v21
	v_dual_fmac_f32 v25, v15, v11 :: v_dual_lshlrev_b32 v6, 16, v6
	s_delay_alu instid0(VALU_DEP_4) | instskip(NEXT) | instid1(VALU_DEP_4)
	v_dual_add_f32 v13, v41, v34 :: v_dual_mul_f32 v34, v24, v47
	v_fmac_f32_e32 v26, v4, v16
	v_mul_f32_e32 v41, v24, v39
	s_delay_alu instid0(VALU_DEP_4) | instskip(NEXT) | instid1(VALU_DEP_4)
	v_add_f32_e32 v85, v12, v25
	v_dual_add_f32 v13, v13, v14 :: v_dual_and_b32 v14, 0xffff0000, v7
	v_dual_fmac_f32 v34, v6, v22 :: v_dual_lshlrev_b32 v7, 16, v7
	v_add_f32_e32 v26, v61, v26
	v_dual_fmac_f32 v38, v5, v17 :: v_dual_fmac_f32 v41, v6, v18
	s_delay_alu instid0(VALU_DEP_3) | instskip(NEXT) | instid1(VALU_DEP_2)
	v_dual_mul_f32 v40, v14, v37 :: v_dual_add_f32 v13, v13, v34
	v_dual_add_f32 v15, v26, v38 :: v_dual_and_b32 v12, 0xffff0000, v0
	v_lshlrev_b32_e32 v0, 16, v0
	s_delay_alu instid0(VALU_DEP_3) | instskip(SKIP_2) | instid1(VALU_DEP_3)
	v_fmac_f32_e32 v40, v7, v23
	v_mul_f32_e32 v26, v27, v30
	v_dual_mul_f32 v27, v35, v50 :: v_dual_mul_f32 v24, v24, v36
	v_add_f32_e32 v83, v13, v40
	s_delay_alu instid0(VALU_DEP_3) | instskip(SKIP_2) | instid1(VALU_DEP_3)
	v_dual_add_f32 v13, v15, v41 :: v_dual_fmac_f32 v26, v4, v8
	v_dual_mul_f32 v4, v12, v45 :: v_dual_mul_f32 v15, v14, v48
	v_and_b32_e32 v25, 0xffff0000, v1
	v_dual_add_f32 v26, v32, v26 :: v_dual_lshlrev_b32 v1, 16, v1
	s_delay_alu instid0(VALU_DEP_3) | instskip(NEXT) | instid1(VALU_DEP_3)
	v_dual_fmac_f32 v4, v0, v20 :: v_dual_fmac_f32 v27, v5, v9
	v_dual_mul_f32 v20, v25, v46 :: v_dual_fmac_f32 v15, v7, v19
	s_delay_alu instid0(VALU_DEP_2) | instskip(SKIP_1) | instid1(VALU_DEP_3)
	v_dual_add_f32 v4, v28, v4 :: v_dual_and_b32 v5, 0xffff0000, v2
	v_lshlrev_b32_e32 v2, 16, v2
	v_fmac_f32_e32 v20, v1, v21
	s_delay_alu instid0(VALU_DEP_3) | instskip(SKIP_1) | instid1(VALU_DEP_2)
	v_dual_fmac_f32 v24, v6, v10 :: v_dual_mul_f32 v21, v5, v47
	v_mul_f32_e32 v6, v14, v44
	v_dual_add_f32 v80, v13, v15 :: v_dual_fmac_f32 v21, v2, v22
	s_delay_alu instid0(VALU_DEP_4)
	v_add_f32_e32 v4, v4, v20
	v_and_b32_e32 v20, 0xffff0000, v3
	v_lshlrev_b32_e32 v3, 16, v3
	v_fmac_f32_e32 v6, v7, v11
	v_mul_f32_e32 v7, v12, v31
	v_mul_f32_e32 v12, v12, v30
	s_delay_alu instid0(VALU_DEP_2) | instskip(SKIP_1) | instid1(VALU_DEP_3)
	v_dual_add_f32 v26, v26, v27 :: v_dual_fmac_f32 v7, v0, v16
	v_mul_f32_e32 v16, v25, v42
	v_fmac_f32_e32 v12, v0, v8
	v_mul_f32_e32 v0, v25, v50
	v_mul_f32_e32 v8, v5, v39
	v_add_f32_e32 v7, v33, v7
	v_fmac_f32_e32 v16, v1, v17
	v_add_f32_e32 v4, v4, v21
	v_fmac_f32_e32 v0, v1, v9
	v_mul_f32_e32 v1, v5, v36
	s_delay_alu instid0(VALU_DEP_1) | instskip(SKIP_1) | instid1(VALU_DEP_1)
	v_fmac_f32_e32 v1, v2, v10
	v_dual_add_f32 v14, v26, v24 :: v_dual_mul_f32 v21, v20, v37
	v_add_f32_e32 v79, v14, v6
	v_add_f32_e32 v5, v7, v16
	v_mul_f32_e32 v7, v20, v48
	s_delay_alu instid0(VALU_DEP_4) | instskip(NEXT) | instid1(VALU_DEP_2)
	v_fmac_f32_e32 v21, v3, v23
	v_dual_fmac_f32 v7, v3, v19 :: v_dual_add_f32 v12, v29, v12
	v_fmac_f32_e32 v8, v2, v18
	v_mul_f32_e32 v2, v20, v44
	s_delay_alu instid0(VALU_DEP_4) | instskip(NEXT) | instid1(VALU_DEP_4)
	v_add_f32_e32 v78, v4, v21
	v_add_f32_e32 v0, v12, v0
	s_delay_alu instid0(VALU_DEP_3) | instskip(NEXT) | instid1(VALU_DEP_1)
	v_dual_add_f32 v5, v5, v8 :: v_dual_fmac_f32 v2, v3, v11
	v_dual_add_f32 v0, v0, v1 :: v_dual_add_f32 v77, v5, v7
	s_delay_alu instid0(VALU_DEP_1)
	v_add_f32_e32 v60, v0, v2
.LBB256_16:                             ;   in Loop: Header=BB256_17 Depth=2
	s_or_b32 exec_lo, exec_lo, s2
	s_addk_i32 s14, 0x200
	s_delay_alu instid0(SALU_CYCLE_1)
	s_cmp_ge_u32 s14, s16
	s_cbranch_scc1 .LBB256_29
.LBB256_17:                             ;   Parent Loop BB256_12 Depth=1
                                        ; =>  This Loop Header: Depth=2
                                        ;       Child Loop BB256_22 Depth 3
	s_cmp_eq_u32 s14, 0
	s_cselect_b32 s15, -1, 0
	s_add_i32 s2, s3, s24
	s_delay_alu instid0(SALU_CYCLE_1) | instskip(SKIP_1) | instid1(SALU_CYCLE_1)
	s_cmp_eq_u32 s14, s2
	s_cselect_b32 s40, -1, 0
	s_or_b32 s40, s15, s40
	s_delay_alu instid0(SALU_CYCLE_1)
	s_and_not1_b32 vcc_lo, exec_lo, s40
	s_cbranch_vccz .LBB256_19
; %bb.18:                               ;   in Loop: Header=BB256_17 Depth=2
	s_and_saveexec_b32 s2, s1
	s_cbranch_execz .LBB256_16
	s_branch .LBB256_26
.LBB256_19:                             ;   in Loop: Header=BB256_17 Depth=2
	s_and_b32 s15, s15, exec_lo
	s_cselect_b32 s3, s3, s2
	s_and_not1_b32 vcc_lo, exec_lo, s26
	s_waitcnt vmcnt(0)
	s_waitcnt_vscnt null, 0x0
	s_barrier
	buffer_gl0_inv
	s_cbranch_vccnz .LBB256_25
; %bb.20:                               ;   in Loop: Header=BB256_17 Depth=2
	v_add_nc_u32_e32 v0, s3, v74
	v_dual_mov_b32 v4, v73 :: v_dual_add_nc_u32 v1, s3, v64
	v_add_nc_u32_e32 v2, s3, v75
	v_add_nc_u32_e32 v3, s3, v63
	s_mov_b32 s15, 0
	s_mov_b32 s40, 0
                                        ; implicit-def: $sgpr41
	s_branch .LBB256_22
.LBB256_21:                             ;   in Loop: Header=BB256_22 Depth=3
	s_or_b32 exec_lo, exec_lo, s2
	s_delay_alu instid0(SALU_CYCLE_1) | instskip(NEXT) | instid1(SALU_CYCLE_1)
	s_and_b32 s2, exec_lo, s41
	s_or_b32 s15, s2, s15
	s_delay_alu instid0(SALU_CYCLE_1)
	s_and_not1_b32 exec_lo, exec_lo, s15
	s_cbranch_execz .LBB256_24
.LBB256_22:                             ;   Parent Loop BB256_12 Depth=1
                                        ;     Parent Loop BB256_17 Depth=2
                                        ; =>    This Inner Loop Header: Depth=3
	s_delay_alu instid0(VALU_DEP_1) | instskip(SKIP_2) | instid1(VALU_DEP_2)
	v_add_nc_u32_e32 v61, s40, v3
	v_add_nc_u32_e32 v5, s40, v63
	s_or_b32 s41, s41, exec_lo
	v_cmp_gt_u32_e32 vcc_lo, s18, v61
	s_delay_alu instid0(VALU_DEP_2) | instskip(NEXT) | instid1(VALU_DEP_1)
	v_cmp_gt_u32_e64 s2, s24, v5
	s_and_b32 s42, s2, vcc_lo
	s_delay_alu instid0(SALU_CYCLE_1)
	s_and_saveexec_b32 s2, s42
	s_cbranch_execz .LBB256_21
; %bb.23:                               ;   in Loop: Header=BB256_22 Depth=3
	v_lshlrev_b64 v[5:6], 1, v[61:62]
	v_add_nc_u32_e32 v61, s40, v2
	v_add_nc_u32_e32 v21, s39, v4
	;; [unrolled: 1-line block ×3, first 2 shown]
	s_delay_alu instid0(VALU_DEP_3) | instskip(SKIP_3) | instid1(VALU_DEP_3)
	v_lshlrev_b64 v[7:8], 1, v[61:62]
	v_add_nc_u32_e32 v61, s40, v0
	v_add_co_u32 v5, vcc_lo, s8, v5
	v_add_co_ci_u32_e32 v6, vcc_lo, s9, v6, vcc_lo
	v_lshlrev_b64 v[13:14], 1, v[61:62]
	v_add_nc_u32_e32 v61, s40, v1
	v_add_co_u32 v9, vcc_lo, s8, v7
	v_add_co_ci_u32_e32 v10, vcc_lo, s9, v8, vcc_lo
	s_delay_alu instid0(VALU_DEP_3)
	v_lshlrev_b64 v[15:16], 1, v[61:62]
	v_add_co_u32 v13, vcc_lo, s8, v13
	v_add_co_ci_u32_e32 v14, vcc_lo, s9, v14, vcc_lo
	s_clause 0x1
	global_load_b128 v[5:8], v[5:6], off
	global_load_b128 v[9:12], v[9:10], off
	v_add_co_u32 v17, vcc_lo, s8, v15
	v_add_co_ci_u32_e32 v18, vcc_lo, s9, v16, vcc_lo
	s_clause 0x1
	global_load_b128 v[13:16], v[13:14], off
	global_load_b128 v[17:20], v[17:18], off
	s_add_i32 s40, s40, s27
	s_waitcnt vmcnt(3)
	ds_store_b128 v4, v[5:8]
	s_waitcnt vmcnt(2)
	ds_store_2addr_b64 v21, v[9:10], v[11:12] offset1:1
	s_cmp_ge_u32 s40, s24
	v_add_nc_u32_e32 v5, s21, v4
	s_cselect_b32 s42, -1, 0
	v_add_nc_u32_e32 v4, s20, v4
	s_and_not1_b32 s41, s41, exec_lo
	s_and_b32 s42, s42, exec_lo
	s_waitcnt vmcnt(1)
	ds_store_2addr_b32 v22, v13, v14 offset1:1
	ds_store_2addr_b32 v22, v15, v16 offset0:2 offset1:3
	s_or_b32 s41, s41, s42
	s_waitcnt vmcnt(0)
	ds_store_2addr_b64 v5, v[17:18], v[19:20] offset1:1
	s_branch .LBB256_21
.LBB256_24:                             ;   in Loop: Header=BB256_17 Depth=2
	s_or_b32 exec_lo, exec_lo, s15
.LBB256_25:                             ;   in Loop: Header=BB256_17 Depth=2
	s_waitcnt lgkmcnt(0)
	s_barrier
	buffer_gl0_inv
	s_and_saveexec_b32 s2, s1
	s_cbranch_execz .LBB256_16
.LBB256_26:                             ;   in Loop: Header=BB256_17 Depth=2
	s_waitcnt vmcnt(1)
	v_dual_mov_b32 v15, 0 :: v_dual_add_nc_u32 v88, s14, v72
	v_dual_mov_b32 v14, 0 :: v_dual_mov_b32 v13, 0
	v_mov_b32_e32 v12, 0
	s_delay_alu instid0(VALU_DEP_3) | instskip(SKIP_3) | instid1(VALU_DEP_4)
	v_min_u32_e32 v61, s28, v88
	v_add_nc_u32_e32 v89, 0x100, v88
	v_dual_mov_b32 v27, 0 :: v_dual_mov_b32 v26, 0
	v_dual_mov_b32 v25, 0 :: v_dual_mov_b32 v24, 0
	v_lshlrev_b64 v[0:1], 1, v[61:62]
	s_delay_alu instid0(VALU_DEP_4) | instskip(SKIP_2) | instid1(VALU_DEP_4)
	v_min_u32_e32 v61, s28, v89
	v_dual_mov_b32 v31, 0 :: v_dual_mov_b32 v30, 0
	v_dual_mov_b32 v29, 0 :: v_dual_mov_b32 v28, 0
	v_add_co_u32 v6, vcc_lo, s6, v0
	v_add_co_ci_u32_e32 v7, vcc_lo, s7, v1, vcc_lo
	v_lshlrev_b64 v[0:1], 1, v[61:62]
	s_delay_alu instid0(VALU_DEP_3) | instskip(NEXT) | instid1(VALU_DEP_3)
	v_add_co_u32 v2, vcc_lo, v6, v65
	v_add_co_ci_u32_e32 v3, vcc_lo, v7, v66, vcc_lo
	v_add_co_u32 v4, vcc_lo, v6, v67
	v_add_co_ci_u32_e32 v5, vcc_lo, v7, v68, vcc_lo
	s_waitcnt vmcnt(0)
	v_add_co_u32 v10, vcc_lo, s6, v0
	v_add_co_ci_u32_e32 v11, vcc_lo, s7, v1, vcc_lo
	v_add_co_u32 v0, vcc_lo, v6, v69
	v_add_co_ci_u32_e32 v1, vcc_lo, v7, v70, vcc_lo
	s_delay_alu instid0(VALU_DEP_4) | instskip(NEXT) | instid1(VALU_DEP_4)
	v_add_co_u32 v6, vcc_lo, v10, v65
	v_add_co_ci_u32_e32 v7, vcc_lo, v11, v66, vcc_lo
	v_add_co_u32 v8, vcc_lo, v10, v67
	v_add_co_ci_u32_e32 v9, vcc_lo, v11, v68, vcc_lo
	;; [unrolled: 2-line block ×3, first 2 shown]
	s_clause 0x5
	global_load_b128 v[48:51], v[2:3], off slc dlc
	global_load_b128 v[44:47], v[4:5], off slc dlc
	;; [unrolled: 1-line block ×6, first 2 shown]
	v_mov_b32_e32 v3, 0
	v_cmp_gt_u32_e32 vcc_lo, s16, v88
	v_dual_mov_b32 v2, 0 :: v_dual_mov_b32 v1, 0
	v_dual_mov_b32 v0, 0 :: v_dual_mov_b32 v7, 0
	;; [unrolled: 1-line block ×9, first 2 shown]
	v_mov_b32_e32 v52, 0
	s_and_saveexec_b32 s15, vcc_lo
	s_cbranch_execz .LBB256_15
; %bb.27:                               ;   in Loop: Header=BB256_17 Depth=2
	v_subrev_nc_u32_e32 v0, s3, v88
	v_cmp_gt_u32_e32 vcc_lo, s16, v89
	v_dual_mov_b32 v12, 0 :: v_dual_mov_b32 v13, 0
	v_dual_mov_b32 v14, 0 :: v_dual_mov_b32 v15, 0
	s_delay_alu instid0(VALU_DEP_4) | instskip(SKIP_1) | instid1(VALU_DEP_2)
	v_dual_mov_b32 v24, 0 :: v_dual_lshlrev_b32 v91, 1, v0
	v_dual_mov_b32 v4, 0 :: v_dual_mov_b32 v5, 0
	v_dual_mov_b32 v25, 0 :: v_dual_add_nc_u32 v90, s39, v91
	v_dual_mov_b32 v6, 0 :: v_dual_mov_b32 v7, 0
	v_dual_mov_b32 v0, 0 :: v_dual_mov_b32 v1, 0
	s_delay_alu instid0(VALU_DEP_3) | instskip(SKIP_1) | instid1(VALU_DEP_2)
	v_dual_mov_b32 v27, 0 :: v_dual_add_nc_u32 v88, s39, v90
	v_dual_mov_b32 v2, 0 :: v_dual_mov_b32 v3, 0
	v_dual_mov_b32 v26, 0 :: v_dual_add_nc_u32 v61, s39, v88
	ds_load_b128 v[52:55], v91
	ds_load_b128 v[40:43], v90
	;; [unrolled: 1-line block ×4, first 2 shown]
	s_and_saveexec_b32 s40, vcc_lo
	s_cbranch_execz .LBB256_14
; %bb.28:                               ;   in Loop: Header=BB256_17 Depth=2
	ds_load_b128 v[24:27], v91 offset:512
	ds_load_b128 v[12:15], v90 offset:512
	ds_load_b128 v[4:7], v88 offset:512
	ds_load_b128 v[0:3], v61 offset:512
	s_branch .LBB256_14
.LBB256_29:                             ;   in Loop: Header=BB256_12 Depth=1
	s_mov_b32 s1, exec_lo
	v_cmpx_le_u32_e64 s19, v59
	s_xor_b32 s1, exec_lo, s1
; %bb.30:                               ;   in Loop: Header=BB256_12 Depth=1
	v_add_nc_u32_e32 v59, s5, v59
                                        ; implicit-def: $vgpr60
                                        ; implicit-def: $vgpr77
                                        ; implicit-def: $vgpr78
                                        ; implicit-def: $vgpr79
                                        ; implicit-def: $vgpr80
                                        ; implicit-def: $vgpr83
                                        ; implicit-def: $vgpr85
                                        ; implicit-def: $vgpr81
                                        ; implicit-def: $vgpr82
                                        ; implicit-def: $vgpr86
                                        ; implicit-def: $vgpr87
                                        ; implicit-def: $vgpr84
; %bb.31:                               ;   in Loop: Header=BB256_12 Depth=1
	s_and_not1_saveexec_b32 s40, s1
	s_cbranch_execz .LBB256_11
; %bb.32:                               ;   in Loop: Header=BB256_12 Depth=1
	v_cvt_i32_f32_e32 v0, v84
	s_waitcnt lgkmcnt(3)
	v_cvt_i32_f32_e32 v1, v87
	v_xor_b32_e32 v2, 16, v71
	s_waitcnt lgkmcnt(0)
	v_cvt_i32_f32_e32 v3, v86
	v_cvt_i32_f32_e32 v4, v82
	v_cvt_f32_i32_dpp v0, v0 row_shr:8 row_mask:0xf bank_mask:0xf bound_ctrl:1
	v_cvt_f32_i32_dpp v1, v1 row_shr:8 row_mask:0xf bank_mask:0xf bound_ctrl:1
	v_cmp_gt_i32_e32 vcc_lo, 32, v2
	v_cvt_i32_f32_e32 v7, v83
	v_cvt_i32_f32_e32 v5, v81
	s_delay_alu instid0(VALU_DEP_4) | instskip(SKIP_3) | instid1(VALU_DEP_4)
	v_dual_add_f32 v0, v84, v0 :: v_dual_add_f32 v1, v87, v1
	v_cvt_f32_i32_dpp v3, v3 row_shr:8 row_mask:0xf bank_mask:0xf bound_ctrl:1
	v_cvt_f32_i32_dpp v4, v4 row_shr:8 row_mask:0xf bank_mask:0xf bound_ctrl:1
	;; [unrolled: 1-line block ×3, first 2 shown]
	v_cvt_i32_f32_e32 v8, v0
	v_cvt_i32_f32_e32 v9, v1
	v_cvt_f32_i32_dpp v5, v5 row_shr:8 row_mask:0xf bank_mask:0xf bound_ctrl:1
	v_cvt_i32_f32_e32 v6, v85
	v_add_f32_e32 v7, v83, v7
	v_cvt_f32_i32_dpp v8, v8 row_shr:4 row_mask:0xf bank_mask:0xf bound_ctrl:1
	v_cvt_f32_i32_dpp v9, v9 row_shr:4 row_mask:0xf bank_mask:0xf bound_ctrl:1
	v_cndmask_b32_e32 v2, v71, v2, vcc_lo
	v_cvt_f32_i32_dpp v6, v6 row_shr:8 row_mask:0xf bank_mask:0xf bound_ctrl:1
	s_delay_alu instid0(VALU_DEP_3) | instskip(SKIP_1) | instid1(VALU_DEP_3)
	v_dual_add_f32 v0, v0, v8 :: v_dual_add_f32 v1, v1, v9
	s_waitcnt vmcnt(0)
	v_lshlrev_b32_e32 v10, 2, v2
	s_delay_alu instid0(VALU_DEP_2) | instskip(NEXT) | instid1(VALU_DEP_1)
	v_cvt_i32_f32_e32 v8, v1
	v_cvt_f32_i32_dpp v8, v8 row_shr:2 row_mask:0xf bank_mask:0xf bound_ctrl:1
	v_add_f32_e32 v2, v86, v3
	v_dual_add_f32 v3, v82, v4 :: v_dual_add_f32 v4, v81, v5
	v_cvt_i32_f32_e32 v5, v0
	s_delay_alu instid0(VALU_DEP_4) | instskip(NEXT) | instid1(VALU_DEP_4)
	v_add_f32_e32 v1, v1, v8
	v_cvt_i32_f32_e32 v9, v2
	s_delay_alu instid0(VALU_DEP_4) | instskip(NEXT) | instid1(VALU_DEP_4)
	v_cvt_i32_f32_e32 v11, v3
	v_cvt_f32_i32_dpp v5, v5 row_shr:2 row_mask:0xf bank_mask:0xf bound_ctrl:1
	s_delay_alu instid0(VALU_DEP_4) | instskip(NEXT) | instid1(VALU_DEP_4)
	v_cvt_i32_f32_e32 v14, v1
	v_cvt_f32_i32_dpp v8, v9 row_shr:4 row_mask:0xf bank_mask:0xf bound_ctrl:1
	s_delay_alu instid0(VALU_DEP_4) | instskip(SKIP_1) | instid1(VALU_DEP_4)
	v_cvt_f32_i32_dpp v9, v11 row_shr:4 row_mask:0xf bank_mask:0xf bound_ctrl:1
	v_add_f32_e32 v6, v85, v6
	v_cvt_f32_i32_dpp v14, v14 row_shr:1 row_mask:0xf bank_mask:0xf bound_ctrl:1
	s_delay_alu instid0(VALU_DEP_3) | instskip(SKIP_1) | instid1(VALU_DEP_4)
	v_add_f32_e32 v3, v3, v9
	v_add_f32_e32 v0, v0, v5
	v_cvt_i32_f32_e32 v13, v6
	v_cvt_i32_f32_e32 v5, v7
	s_delay_alu instid0(VALU_DEP_3) | instskip(NEXT) | instid1(VALU_DEP_3)
	v_cvt_i32_f32_e32 v11, v0
	v_cvt_f32_i32_dpp v13, v13 row_shr:4 row_mask:0xf bank_mask:0xf bound_ctrl:1
	s_delay_alu instid0(VALU_DEP_3) | instskip(SKIP_1) | instid1(VALU_DEP_4)
	v_cvt_f32_i32_dpp v5, v5 row_shr:4 row_mask:0xf bank_mask:0xf bound_ctrl:1
	v_add_f32_e32 v2, v2, v8
	v_cvt_f32_i32_dpp v11, v11 row_shr:1 row_mask:0xf bank_mask:0xf bound_ctrl:1
	s_delay_alu instid0(VALU_DEP_1)
	v_dual_add_f32 v27, v0, v11 :: v_dual_add_f32 v0, v6, v13
	v_cvt_i32_f32_e32 v6, v3
	v_cvt_i32_f32_e32 v12, v4
	ds_bpermute_b32 v28, v10, v27
	v_cvt_f32_i32_dpp v6, v6 row_shr:2 row_mask:0xf bank_mask:0xf bound_ctrl:1
	v_cvt_f32_i32_dpp v12, v12 row_shr:4 row_mask:0xf bank_mask:0xf bound_ctrl:1
	s_delay_alu instid0(VALU_DEP_2) | instskip(NEXT) | instid1(VALU_DEP_1)
	v_add_f32_e32 v3, v3, v6
	v_cvt_i32_f32_e32 v6, v3
	s_delay_alu instid0(VALU_DEP_1) | instskip(NEXT) | instid1(VALU_DEP_1)
	v_cvt_f32_i32_dpp v6, v6 row_shr:1 row_mask:0xf bank_mask:0xf bound_ctrl:1
	v_add_f32_e32 v19, v3, v6
	v_cvt_i32_f32_e32 v8, v0
	v_cvt_i32_f32_e32 v3, v77
	ds_bpermute_b32 v20, v10, v19
	v_cvt_f32_i32_dpp v8, v8 row_shr:2 row_mask:0xf bank_mask:0xf bound_ctrl:1
	v_cvt_f32_i32_dpp v3, v3 row_shr:8 row_mask:0xf bank_mask:0xf bound_ctrl:1
	s_delay_alu instid0(VALU_DEP_1) | instskip(NEXT) | instid1(VALU_DEP_1)
	v_dual_add_f32 v0, v0, v8 :: v_dual_add_f32 v3, v77, v3
	v_cvt_i32_f32_e32 v8, v0
	s_delay_alu instid0(VALU_DEP_2) | instskip(NEXT) | instid1(VALU_DEP_2)
	v_cvt_i32_f32_e32 v11, v3
	v_cvt_f32_i32_dpp v8, v8 row_shr:1 row_mask:0xf bank_mask:0xf bound_ctrl:1
	v_dual_add_f32 v24, v1, v14 :: v_dual_add_f32 v1, v7, v5
	v_cvt_i32_f32_e32 v5, v2
	s_delay_alu instid0(VALU_DEP_4) | instskip(NEXT) | instid1(VALU_DEP_4)
	v_cvt_f32_i32_dpp v11, v11 row_shr:4 row_mask:0xf bank_mask:0xf bound_ctrl:1
	v_add_f32_e32 v13, v0, v8
	v_cvt_i32_f32_e32 v0, v80
	v_cvt_i32_f32_e32 v9, v1
	v_cvt_f32_i32_dpp v5, v5 row_shr:2 row_mask:0xf bank_mask:0xf bound_ctrl:1
	ds_bpermute_b32 v25, v10, v24
	ds_bpermute_b32 v14, v10, v13
	v_cvt_f32_i32_dpp v0, v0 row_shr:8 row_mask:0xf bank_mask:0xf bound_ctrl:1
	v_cvt_f32_i32_dpp v9, v9 row_shr:2 row_mask:0xf bank_mask:0xf bound_ctrl:1
	v_add_f32_e32 v2, v2, v5
	v_dual_add_f32 v4, v4, v12 :: v_dual_add_f32 v3, v3, v11
	s_delay_alu instid0(VALU_DEP_3) | instskip(NEXT) | instid1(VALU_DEP_3)
	v_dual_add_f32 v0, v80, v0 :: v_dual_add_f32 v1, v1, v9
	v_cvt_i32_f32_e32 v5, v2
	s_delay_alu instid0(VALU_DEP_3) | instskip(NEXT) | instid1(VALU_DEP_4)
	v_cvt_i32_f32_e32 v7, v4
	v_cvt_i32_f32_e32 v11, v3
	s_delay_alu instid0(VALU_DEP_4) | instskip(NEXT) | instid1(VALU_DEP_4)
	v_cvt_i32_f32_e32 v9, v1
	v_cvt_f32_i32_dpp v5, v5 row_shr:1 row_mask:0xf bank_mask:0xf bound_ctrl:1
	s_delay_alu instid0(VALU_DEP_4) | instskip(NEXT) | instid1(VALU_DEP_4)
	v_cvt_f32_i32_dpp v7, v7 row_shr:2 row_mask:0xf bank_mask:0xf bound_ctrl:1
	v_cvt_f32_i32_dpp v11, v11 row_shr:2 row_mask:0xf bank_mask:0xf bound_ctrl:1
	s_delay_alu instid0(VALU_DEP_4) | instskip(NEXT) | instid1(VALU_DEP_4)
	v_cvt_f32_i32_dpp v9, v9 row_shr:1 row_mask:0xf bank_mask:0xf bound_ctrl:1
	v_add_f32_e32 v22, v2, v5
	v_cvt_i32_f32_e32 v5, v0
	v_cvt_i32_f32_e32 v2, v78
	s_delay_alu instid0(VALU_DEP_4) | instskip(SKIP_1) | instid1(VALU_DEP_4)
	v_dual_add_f32 v3, v3, v11 :: v_dual_add_f32 v8, v1, v9
	v_cvt_i32_f32_e32 v1, v79
	v_cvt_f32_i32_dpp v5, v5 row_shr:4 row_mask:0xf bank_mask:0xf bound_ctrl:1
	s_delay_alu instid0(VALU_DEP_4)
	v_cvt_f32_i32_dpp v2, v2 row_shr:8 row_mask:0xf bank_mask:0xf bound_ctrl:1
	ds_bpermute_b32 v23, v10, v22
	ds_bpermute_b32 v9, v10, v8
	v_cvt_f32_i32_dpp v1, v1 row_shr:8 row_mask:0xf bank_mask:0xf bound_ctrl:1
	v_add_f32_e32 v4, v4, v7
	v_add_f32_e32 v0, v0, v5
	v_cvt_i32_f32_e32 v11, v3
	s_delay_alu instid0(VALU_DEP_4) | instskip(NEXT) | instid1(VALU_DEP_4)
	v_add_f32_e32 v1, v79, v1
	v_cvt_i32_f32_e32 v7, v4
	s_delay_alu instid0(VALU_DEP_4) | instskip(NEXT) | instid1(VALU_DEP_4)
	v_cvt_i32_f32_e32 v5, v0
	v_cvt_f32_i32_dpp v15, v11 row_shr:1 row_mask:0xf bank_mask:0xf bound_ctrl:1
	s_delay_alu instid0(VALU_DEP_4) | instskip(NEXT) | instid1(VALU_DEP_4)
	v_cvt_i32_f32_e32 v6, v1
	v_cvt_f32_i32_dpp v7, v7 row_shr:1 row_mask:0xf bank_mask:0xf bound_ctrl:1
	s_delay_alu instid0(VALU_DEP_4) | instskip(NEXT) | instid1(VALU_DEP_3)
	v_cvt_f32_i32_dpp v5, v5 row_shr:2 row_mask:0xf bank_mask:0xf bound_ctrl:1
	v_cvt_f32_i32_dpp v6, v6 row_shr:4 row_mask:0xf bank_mask:0xf bound_ctrl:1
	s_delay_alu instid0(VALU_DEP_1) | instskip(NEXT) | instid1(VALU_DEP_1)
	v_dual_add_f32 v0, v0, v5 :: v_dual_add_f32 v1, v1, v6
	v_cvt_i32_f32_e32 v6, v1
	s_delay_alu instid0(VALU_DEP_1) | instskip(SKIP_2) | instid1(VALU_DEP_3)
	v_cvt_f32_i32_dpp v6, v6 row_shr:2 row_mask:0xf bank_mask:0xf bound_ctrl:1
	v_add_f32_e32 v16, v4, v7
	v_cvt_i32_f32_e32 v4, v60
	v_add_f32_e32 v1, v1, v6
	ds_bpermute_b32 v17, v10, v16
	v_cvt_f32_i32_dpp v4, v4 row_shr:8 row_mask:0xf bank_mask:0xf bound_ctrl:1
	v_cvt_i32_f32_e32 v6, v1
	s_delay_alu instid0(VALU_DEP_2) | instskip(NEXT) | instid1(VALU_DEP_2)
	v_add_f32_e32 v4, v60, v4
	v_cvt_f32_i32_dpp v6, v6 row_shr:1 row_mask:0xf bank_mask:0xf bound_ctrl:1
	s_delay_alu instid0(VALU_DEP_2) | instskip(NEXT) | instid1(VALU_DEP_2)
	v_cvt_i32_f32_e32 v12, v4
	v_add_f32_e32 v6, v1, v6
	s_delay_alu instid0(VALU_DEP_2) | instskip(NEXT) | instid1(VALU_DEP_1)
	v_cvt_f32_i32_dpp v12, v12 row_shr:4 row_mask:0xf bank_mask:0xf bound_ctrl:1
	v_add_f32_e32 v4, v4, v12
	s_delay_alu instid0(VALU_DEP_1) | instskip(NEXT) | instid1(VALU_DEP_1)
	v_cvt_i32_f32_e32 v12, v4
	v_cvt_f32_i32_dpp v12, v12 row_shr:2 row_mask:0xf bank_mask:0xf bound_ctrl:1
	s_delay_alu instid0(VALU_DEP_1) | instskip(NEXT) | instid1(VALU_DEP_1)
	v_dual_add_f32 v2, v78, v2 :: v_dual_add_f32 v5, v4, v12
	v_cvt_i32_f32_e32 v7, v2
	v_cvt_i32_f32_e32 v4, v0
	s_delay_alu instid0(VALU_DEP_3) | instskip(NEXT) | instid1(VALU_DEP_3)
	v_cvt_i32_f32_e32 v12, v5
	v_cvt_f32_i32_dpp v7, v7 row_shr:4 row_mask:0xf bank_mask:0xf bound_ctrl:1
	s_delay_alu instid0(VALU_DEP_3) | instskip(NEXT) | instid1(VALU_DEP_3)
	v_cvt_f32_i32_dpp v4, v4 row_shr:1 row_mask:0xf bank_mask:0xf bound_ctrl:1
	v_cvt_f32_i32_dpp v12, v12 row_shr:1 row_mask:0xf bank_mask:0xf bound_ctrl:1
	s_delay_alu instid0(VALU_DEP_2) | instskip(NEXT) | instid1(VALU_DEP_2)
	v_dual_add_f32 v2, v2, v7 :: v_dual_add_f32 v11, v0, v4
	v_add_f32_e32 v0, v5, v12
	s_delay_alu instid0(VALU_DEP_2) | instskip(SKIP_3) | instid1(VALU_DEP_1)
	v_cvt_i32_f32_e32 v7, v2
	ds_bpermute_b32 v12, v10, v11
	ds_bpermute_b32 v1, v10, v0
	v_cvt_f32_i32_dpp v7, v7 row_shr:2 row_mask:0xf bank_mask:0xf bound_ctrl:1
	v_add_f32_e32 v2, v2, v7
	s_delay_alu instid0(VALU_DEP_1) | instskip(NEXT) | instid1(VALU_DEP_1)
	v_cvt_i32_f32_e32 v7, v2
	v_cvt_f32_i32_dpp v7, v7 row_shr:1 row_mask:0xf bank_mask:0xf bound_ctrl:1
	s_delay_alu instid0(VALU_DEP_1)
	v_add_f32_e32 v4, v2, v7
	v_add_f32_e32 v2, v3, v15
	ds_bpermute_b32 v7, v10, v6
	ds_bpermute_b32 v5, v10, v4
	;; [unrolled: 1-line block ×3, first 2 shown]
	s_and_saveexec_b32 s14, s0
	s_cbranch_execz .LBB256_107
; %bb.33:                               ;   in Loop: Header=BB256_12 Depth=1
	v_dual_mov_b32 v35, 0 :: v_dual_mov_b32 v34, 0
	v_dual_mov_b32 v32, 0 :: v_dual_add_nc_u32 v61, 2, v59
	v_dual_mov_b32 v33, 0 :: v_dual_mov_b32 v30, 0
	v_dual_mov_b32 v31, 0 :: v_dual_mov_b32 v26, 0
	;; [unrolled: 1-line block ×4, first 2 shown]
	v_mov_b32_e32 v15, 0
	s_and_not1_b32 vcc_lo, exec_lo, s30
	s_cbranch_vccnz .LBB256_35
; %bb.34:                               ;   in Loop: Header=BB256_12 Depth=1
	v_mul_hi_u32 v15, v59, v76
	v_mul_hi_u32 v18, v61, v76
	v_mov_b32_e32 v49, v62
	s_delay_alu instid0(VALU_DEP_3) | instskip(NEXT) | instid1(VALU_DEP_3)
	v_mul_lo_u32 v15, v15, s4
	v_mul_lo_u32 v18, v18, s4
	s_delay_alu instid0(VALU_DEP_2) | instskip(NEXT) | instid1(VALU_DEP_2)
	v_sub_nc_u32_e32 v15, v59, v15
	v_sub_nc_u32_e32 v18, v61, v18
	s_delay_alu instid0(VALU_DEP_2) | instskip(SKIP_1) | instid1(VALU_DEP_3)
	v_cmp_le_u32_e32 vcc_lo, s4, v15
	v_add_nc_u32_e32 v10, 1, v59
	v_subrev_nc_u32_e32 v26, s4, v18
	s_delay_alu instid0(VALU_DEP_2) | instskip(NEXT) | instid1(VALU_DEP_1)
	v_mul_hi_u32 v21, v10, v76
	v_mul_lo_u32 v21, v21, s4
	s_delay_alu instid0(VALU_DEP_1) | instskip(SKIP_1) | instid1(VALU_DEP_2)
	v_sub_nc_u32_e32 v10, v10, v21
	v_subrev_nc_u32_e32 v21, s4, v15
	v_subrev_nc_u32_e32 v29, s4, v10
	s_delay_alu instid0(VALU_DEP_2) | instskip(SKIP_1) | instid1(VALU_DEP_2)
	v_cndmask_b32_e32 v15, v15, v21, vcc_lo
	v_cmp_le_u32_e32 vcc_lo, s4, v18
	v_subrev_nc_u32_e32 v21, s4, v15
	v_cndmask_b32_e32 v18, v18, v26, vcc_lo
	v_cmp_le_u32_e32 vcc_lo, s4, v10
	s_delay_alu instid0(VALU_DEP_2) | instskip(SKIP_3) | instid1(VALU_DEP_3)
	v_subrev_nc_u32_e32 v26, s4, v18
	v_cndmask_b32_e32 v10, v10, v29, vcc_lo
	v_cmp_le_u32_e32 vcc_lo, s4, v15
	v_mov_b32_e32 v30, v62
	v_subrev_nc_u32_e32 v31, s4, v10
	v_cndmask_b32_e32 v29, v15, v21, vcc_lo
	v_cmp_le_u32_e32 vcc_lo, s4, v18
	v_mov_b32_e32 v32, v62
	s_delay_alu instid0(VALU_DEP_3)
	v_dual_mov_b32 v34, v62 :: v_dual_add_nc_u32 v35, s33, v29
	v_cndmask_b32_e32 v33, v18, v26, vcc_lo
	v_cmp_le_u32_e32 vcc_lo, s4, v10
	v_mov_b32_e32 v36, v62
	v_lshlrev_b64 v[38:39], 1, v[29:30]
	v_add_nc_u32_e32 v46, s34, v29
	v_add_nc_u32_e32 v29, s38, v29
	v_cndmask_b32_e32 v31, v10, v31, vcc_lo
	v_lshlrev_b64 v[44:45], 1, v[35:36]
	v_mov_b32_e32 v35, v62
	v_add_co_u32 v38, vcc_lo, s10, v38
	s_delay_alu instid0(VALU_DEP_4)
	v_add_nc_u32_e32 v48, s34, v31
	v_add_nc_u32_e32 v36, s33, v31
	v_lshlrev_b64 v[40:41], 1, v[33:34]
	v_lshlrev_b64 v[42:43], 1, v[31:32]
	v_dual_mov_b32 v37, v62 :: v_dual_add_nc_u32 v34, s33, v33
	v_add_co_ci_u32_e32 v39, vcc_lo, s11, v39, vcc_lo
	s_delay_alu instid0(VALU_DEP_4) | instskip(SKIP_1) | instid1(VALU_DEP_4)
	v_add_co_u32 v40, vcc_lo, s10, v40
	v_add_co_ci_u32_e32 v41, vcc_lo, s11, v41, vcc_lo
	v_lshlrev_b64 v[36:37], 1, v[36:37]
	v_add_co_u32 v42, vcc_lo, s10, v42
	v_add_co_ci_u32_e32 v43, vcc_lo, s11, v43, vcc_lo
	v_add_co_u32 v44, vcc_lo, s10, v44
	v_lshlrev_b64 v[34:35], 1, v[34:35]
	v_add_co_ci_u32_e32 v45, vcc_lo, s11, v45, vcc_lo
	v_mov_b32_e32 v47, v62
	v_add_co_u32 v36, vcc_lo, s10, v36
	v_add_co_ci_u32_e32 v37, vcc_lo, s11, v37, vcc_lo
	v_add_co_u32 v50, vcc_lo, s10, v34
	v_add_co_ci_u32_e32 v51, vcc_lo, s11, v35, vcc_lo
	v_lshlrev_b64 v[34:35], 1, v[48:49]
	v_add_nc_u32_e32 v48, s34, v33
	v_lshlrev_b64 v[46:47], 1, v[46:47]
	v_lshlrev_b64 v[29:30], 1, v[29:30]
	v_add_nc_u32_e32 v31, s38, v31
	v_add_nc_u32_e32 v33, s38, v33
	v_lshlrev_b64 v[48:49], 1, v[48:49]
	v_add_co_u32 v46, vcc_lo, s10, v46
	v_add_co_ci_u32_e32 v47, vcc_lo, s11, v47, vcc_lo
	v_add_co_u32 v52, vcc_lo, s10, v34
	v_add_co_ci_u32_e32 v53, vcc_lo, s11, v35, vcc_lo
	v_add_co_u32 v48, vcc_lo, s10, v48
	v_mov_b32_e32 v34, v62
	v_add_co_ci_u32_e32 v49, vcc_lo, s11, v49, vcc_lo
	v_lshlrev_b64 v[31:32], 1, v[31:32]
	v_add_co_u32 v54, vcc_lo, s10, v29
	v_add_co_ci_u32_e32 v55, vcc_lo, s11, v30, vcc_lo
	v_lshlrev_b64 v[29:30], 1, v[33:34]
	s_delay_alu instid0(VALU_DEP_4) | instskip(SKIP_1) | instid1(VALU_DEP_3)
	v_add_co_u32 v65, vcc_lo, s10, v31
	v_add_co_ci_u32_e32 v66, vcc_lo, s11, v32, vcc_lo
	v_add_co_u32 v67, vcc_lo, s10, v29
	s_delay_alu instid0(VALU_DEP_4)
	v_add_co_ci_u32_e32 v68, vcc_lo, s11, v30, vcc_lo
	s_clause 0xb
	global_load_u16 v35, v[38:39], off
	global_load_u16 v34, v[42:43], off
	;; [unrolled: 1-line block ×12, first 2 shown]
.LBB256_35:                             ;   in Loop: Header=BB256_12 Depth=1
	v_cmp_ne_u32_e32 vcc_lo, 0, v56
	s_and_saveexec_b32 s2, vcc_lo
	s_cbranch_execnz .LBB256_47
; %bb.36:                               ;   in Loop: Header=BB256_12 Depth=1
	s_or_b32 exec_lo, exec_lo, s2
	v_cmp_ne_u32_e64 s1, 0, v57
	s_delay_alu instid0(VALU_DEP_1)
	s_and_saveexec_b32 s3, s1
	s_cbranch_execnz .LBB256_52
.LBB256_37:                             ;   in Loop: Header=BB256_12 Depth=1
	s_or_b32 exec_lo, exec_lo, s3
	v_cmp_ne_u32_e64 s2, 0, v58
	s_delay_alu instid0(VALU_DEP_1)
	s_and_saveexec_b32 s15, s2
	s_cbranch_execnz .LBB256_57
.LBB256_38:                             ;   in Loop: Header=BB256_12 Depth=1
	s_or_b32 exec_lo, exec_lo, s15
	v_add_nc_u32_e32 v61, s19, v59
	s_and_saveexec_b32 s15, vcc_lo
	s_cbranch_execnz .LBB256_62
.LBB256_39:                             ;   in Loop: Header=BB256_12 Depth=1
	s_or_b32 exec_lo, exec_lo, s15
	s_and_saveexec_b32 s15, s1
	s_cbranch_execnz .LBB256_67
.LBB256_40:                             ;   in Loop: Header=BB256_12 Depth=1
	s_or_b32 exec_lo, exec_lo, s15
	s_and_saveexec_b32 s15, s2
	s_cbranch_execnz .LBB256_72
.LBB256_41:                             ;   in Loop: Header=BB256_12 Depth=1
	s_or_b32 exec_lo, exec_lo, s15
	v_add_nc_u32_e32 v61, s19, v61
	s_and_saveexec_b32 s15, vcc_lo
	s_cbranch_execnz .LBB256_77
.LBB256_42:                             ;   in Loop: Header=BB256_12 Depth=1
	s_or_b32 exec_lo, exec_lo, s15
	s_and_saveexec_b32 s15, s1
	s_cbranch_execnz .LBB256_82
.LBB256_43:                             ;   in Loop: Header=BB256_12 Depth=1
	s_or_b32 exec_lo, exec_lo, s15
	s_and_saveexec_b32 s15, s2
	s_cbranch_execnz .LBB256_87
.LBB256_44:                             ;   in Loop: Header=BB256_12 Depth=1
	s_or_b32 exec_lo, exec_lo, s15
	v_add_nc_u32_e32 v61, s19, v61
	s_and_saveexec_b32 s3, vcc_lo
	s_cbranch_execnz .LBB256_92
.LBB256_45:                             ;   in Loop: Header=BB256_12 Depth=1
	s_or_b32 exec_lo, exec_lo, s3
	s_and_saveexec_b32 s3, s1
	s_cbranch_execnz .LBB256_97
.LBB256_46:                             ;   in Loop: Header=BB256_12 Depth=1
	s_or_b32 exec_lo, exec_lo, s3
	s_delay_alu instid0(SALU_CYCLE_1)
	s_and_b32 exec_lo, exec_lo, s2
	s_cbranch_execnz .LBB256_102
	s_branch .LBB256_107
.LBB256_47:                             ;   in Loop: Header=BB256_12 Depth=1
	s_waitcnt vmcnt(11) lgkmcnt(11)
	v_dual_add_f32 v27, v27, v28 :: v_dual_lshlrev_b32 v28, 16, v35
	s_delay_alu instid0(VALU_DEP_1) | instskip(NEXT) | instid1(VALU_DEP_1)
	v_add_f32_e32 v28, v27, v28
	v_and_b32_e32 v27, 0x7f800000, v28
	s_delay_alu instid0(VALU_DEP_1) | instskip(NEXT) | instid1(VALU_DEP_1)
	v_cmp_ne_u32_e64 s1, 0x7f800000, v27
                                        ; implicit-def: $vgpr27
	s_and_saveexec_b32 s3, s1
	s_delay_alu instid0(SALU_CYCLE_1)
	s_xor_b32 s1, exec_lo, s3
; %bb.48:                               ;   in Loop: Header=BB256_12 Depth=1
	v_bfe_u32 v27, v28, 16, 1
	s_delay_alu instid0(VALU_DEP_1)
	v_add3_u32 v27, v28, v27, 0x7fff
                                        ; implicit-def: $vgpr28
; %bb.49:                               ;   in Loop: Header=BB256_12 Depth=1
	s_and_not1_saveexec_b32 s3, s1
; %bb.50:                               ;   in Loop: Header=BB256_12 Depth=1
	v_and_b32_e32 v27, 0xffff, v28
	v_or_b32_e32 v35, 0x10000, v28
	s_delay_alu instid0(VALU_DEP_2) | instskip(NEXT) | instid1(VALU_DEP_1)
	v_cmp_eq_u32_e64 s1, 0, v27
	v_cndmask_b32_e64 v27, v35, v28, s1
; %bb.51:                               ;   in Loop: Header=BB256_12 Depth=1
	s_or_b32 exec_lo, exec_lo, s3
	v_mov_b32_e32 v60, v62
	s_delay_alu instid0(VALU_DEP_1) | instskip(NEXT) | instid1(VALU_DEP_1)
	v_lshlrev_b64 v[35:36], 1, v[59:60]
	v_add_co_u32 v35, s1, s12, v35
	s_delay_alu instid0(VALU_DEP_1) | instskip(SKIP_3) | instid1(VALU_DEP_1)
	v_add_co_ci_u32_e64 v36, s1, s13, v36, s1
	global_store_d16_hi_b16 v[35:36], v27, off
	s_or_b32 exec_lo, exec_lo, s2
	v_cmp_ne_u32_e64 s1, 0, v57
	s_and_saveexec_b32 s3, s1
	s_cbranch_execz .LBB256_37
.LBB256_52:                             ;   in Loop: Header=BB256_12 Depth=1
	s_waitcnt vmcnt(10) lgkmcnt(9)
	v_dual_add_f32 v24, v24, v25 :: v_dual_lshlrev_b32 v25, 16, v34
	s_delay_alu instid0(VALU_DEP_1) | instskip(NEXT) | instid1(VALU_DEP_1)
	v_add_f32_e32 v25, v24, v25
	v_and_b32_e32 v24, 0x7f800000, v25
	s_delay_alu instid0(VALU_DEP_1) | instskip(NEXT) | instid1(VALU_DEP_1)
	v_cmp_ne_u32_e64 s2, 0x7f800000, v24
                                        ; implicit-def: $vgpr24
	s_and_saveexec_b32 s15, s2
	s_delay_alu instid0(SALU_CYCLE_1)
	s_xor_b32 s2, exec_lo, s15
; %bb.53:                               ;   in Loop: Header=BB256_12 Depth=1
	v_bfe_u32 v24, v25, 16, 1
	s_delay_alu instid0(VALU_DEP_1)
	v_add3_u32 v24, v25, v24, 0x7fff
                                        ; implicit-def: $vgpr25
; %bb.54:                               ;   in Loop: Header=BB256_12 Depth=1
	s_and_not1_saveexec_b32 s15, s2
; %bb.55:                               ;   in Loop: Header=BB256_12 Depth=1
	v_and_b32_e32 v24, 0xffff, v25
	v_or_b32_e32 v27, 0x10000, v25
	s_delay_alu instid0(VALU_DEP_2) | instskip(NEXT) | instid1(VALU_DEP_1)
	v_cmp_eq_u32_e64 s2, 0, v24
	v_cndmask_b32_e64 v24, v27, v25, s2
; %bb.56:                               ;   in Loop: Header=BB256_12 Depth=1
	s_or_b32 exec_lo, exec_lo, s15
	v_mov_b32_e32 v60, v62
	s_delay_alu instid0(VALU_DEP_1) | instskip(NEXT) | instid1(VALU_DEP_1)
	v_lshlrev_b64 v[27:28], 1, v[59:60]
	v_add_co_u32 v27, s2, s35, v27
	s_delay_alu instid0(VALU_DEP_1) | instskip(SKIP_3) | instid1(VALU_DEP_1)
	v_add_co_ci_u32_e64 v28, s2, s36, v28, s2
	global_store_d16_hi_b16 v[27:28], v24, off
	s_or_b32 exec_lo, exec_lo, s3
	v_cmp_ne_u32_e64 s2, 0, v58
	s_and_saveexec_b32 s15, s2
	s_cbranch_execz .LBB256_38
.LBB256_57:                             ;   in Loop: Header=BB256_12 Depth=1
	s_waitcnt vmcnt(9) lgkmcnt(7)
	v_dual_add_f32 v22, v22, v23 :: v_dual_lshlrev_b32 v23, 16, v33
	s_delay_alu instid0(VALU_DEP_1) | instskip(NEXT) | instid1(VALU_DEP_1)
	v_add_f32_e32 v23, v22, v23
	v_and_b32_e32 v22, 0x7f800000, v23
	s_delay_alu instid0(VALU_DEP_1) | instskip(NEXT) | instid1(VALU_DEP_1)
	v_cmp_ne_u32_e64 s3, 0x7f800000, v22
                                        ; implicit-def: $vgpr22
	s_and_saveexec_b32 s41, s3
	s_delay_alu instid0(SALU_CYCLE_1)
	s_xor_b32 s3, exec_lo, s41
; %bb.58:                               ;   in Loop: Header=BB256_12 Depth=1
	v_bfe_u32 v22, v23, 16, 1
	s_delay_alu instid0(VALU_DEP_1)
	v_add3_u32 v22, v23, v22, 0x7fff
                                        ; implicit-def: $vgpr23
; %bb.59:                               ;   in Loop: Header=BB256_12 Depth=1
	s_and_not1_saveexec_b32 s41, s3
; %bb.60:                               ;   in Loop: Header=BB256_12 Depth=1
	v_and_b32_e32 v22, 0xffff, v23
	v_or_b32_e32 v24, 0x10000, v23
	s_delay_alu instid0(VALU_DEP_2) | instskip(NEXT) | instid1(VALU_DEP_1)
	v_cmp_eq_u32_e64 s3, 0, v22
	v_cndmask_b32_e64 v22, v24, v23, s3
; %bb.61:                               ;   in Loop: Header=BB256_12 Depth=1
	s_or_b32 exec_lo, exec_lo, s41
	v_lshlrev_b64 v[23:24], 1, v[61:62]
	s_delay_alu instid0(VALU_DEP_1) | instskip(NEXT) | instid1(VALU_DEP_1)
	v_add_co_u32 v23, s3, s12, v23
	v_add_co_ci_u32_e64 v24, s3, s13, v24, s3
	global_store_d16_hi_b16 v[23:24], v22, off
	s_or_b32 exec_lo, exec_lo, s15
	v_add_nc_u32_e32 v61, s19, v59
	s_and_saveexec_b32 s15, vcc_lo
	s_cbranch_execz .LBB256_39
.LBB256_62:                             ;   in Loop: Header=BB256_12 Depth=1
	s_waitcnt lgkmcnt(10)
	v_add_f32_e32 v19, v19, v20
	s_waitcnt vmcnt(8)
	v_lshlrev_b32_e32 v20, 16, v32
	s_delay_alu instid0(VALU_DEP_1) | instskip(NEXT) | instid1(VALU_DEP_1)
	v_add_f32_e32 v20, v19, v20
	v_and_b32_e32 v19, 0x7f800000, v20
	s_delay_alu instid0(VALU_DEP_1) | instskip(NEXT) | instid1(VALU_DEP_1)
	v_cmp_ne_u32_e64 s3, 0x7f800000, v19
                                        ; implicit-def: $vgpr19
	s_and_saveexec_b32 s41, s3
	s_delay_alu instid0(SALU_CYCLE_1)
	s_xor_b32 s3, exec_lo, s41
; %bb.63:                               ;   in Loop: Header=BB256_12 Depth=1
	v_bfe_u32 v19, v20, 16, 1
	s_delay_alu instid0(VALU_DEP_1)
	v_add3_u32 v19, v20, v19, 0x7fff
                                        ; implicit-def: $vgpr20
; %bb.64:                               ;   in Loop: Header=BB256_12 Depth=1
	s_and_not1_saveexec_b32 s41, s3
; %bb.65:                               ;   in Loop: Header=BB256_12 Depth=1
	v_and_b32_e32 v19, 0xffff, v20
	v_or_b32_e32 v22, 0x10000, v20
	s_delay_alu instid0(VALU_DEP_2) | instskip(NEXT) | instid1(VALU_DEP_1)
	v_cmp_eq_u32_e64 s3, 0, v19
	v_cndmask_b32_e64 v19, v22, v20, s3
; %bb.66:                               ;   in Loop: Header=BB256_12 Depth=1
	s_or_b32 exec_lo, exec_lo, s41
	s_waitcnt lgkmcnt(7)
	v_lshlrev_b64 v[22:23], 1, v[61:62]
	s_delay_alu instid0(VALU_DEP_1) | instskip(NEXT) | instid1(VALU_DEP_1)
	v_add_co_u32 v22, s3, s12, v22
	v_add_co_ci_u32_e64 v23, s3, s13, v23, s3
	global_store_d16_hi_b16 v[22:23], v19, off
	s_or_b32 exec_lo, exec_lo, s15
	s_and_saveexec_b32 s15, s1
	s_cbranch_execz .LBB256_40
.LBB256_67:                             ;   in Loop: Header=BB256_12 Depth=1
	s_waitcnt vmcnt(7) lgkmcnt(5)
	v_dual_add_f32 v16, v16, v17 :: v_dual_lshlrev_b32 v17, 16, v31
	s_delay_alu instid0(VALU_DEP_1) | instskip(NEXT) | instid1(VALU_DEP_1)
	v_add_f32_e32 v17, v16, v17
	v_and_b32_e32 v16, 0x7f800000, v17
	s_delay_alu instid0(VALU_DEP_1) | instskip(NEXT) | instid1(VALU_DEP_1)
	v_cmp_ne_u32_e64 s3, 0x7f800000, v16
                                        ; implicit-def: $vgpr16
	s_and_saveexec_b32 s41, s3
	s_delay_alu instid0(SALU_CYCLE_1)
	s_xor_b32 s3, exec_lo, s41
; %bb.68:                               ;   in Loop: Header=BB256_12 Depth=1
	v_bfe_u32 v16, v17, 16, 1
	s_delay_alu instid0(VALU_DEP_1)
	v_add3_u32 v16, v17, v16, 0x7fff
                                        ; implicit-def: $vgpr17
; %bb.69:                               ;   in Loop: Header=BB256_12 Depth=1
	s_and_not1_saveexec_b32 s41, s3
; %bb.70:                               ;   in Loop: Header=BB256_12 Depth=1
	v_and_b32_e32 v16, 0xffff, v17
	v_or_b32_e32 v19, 0x10000, v17
	s_delay_alu instid0(VALU_DEP_2) | instskip(NEXT) | instid1(VALU_DEP_1)
	v_cmp_eq_u32_e64 s3, 0, v16
	v_cndmask_b32_e64 v16, v19, v17, s3
; %bb.71:                               ;   in Loop: Header=BB256_12 Depth=1
	s_or_b32 exec_lo, exec_lo, s41
	v_dual_mov_b32 v20, v62 :: v_dual_add_nc_u32 v19, 1, v61
	s_delay_alu instid0(VALU_DEP_1) | instskip(NEXT) | instid1(VALU_DEP_1)
	v_lshlrev_b64 v[19:20], 1, v[19:20]
	v_add_co_u32 v19, s3, s12, v19
	s_delay_alu instid0(VALU_DEP_1)
	v_add_co_ci_u32_e64 v20, s3, s13, v20, s3
	global_store_d16_hi_b16 v[19:20], v16, off
	s_or_b32 exec_lo, exec_lo, s15
	s_and_saveexec_b32 s15, s2
	s_cbranch_execz .LBB256_41
.LBB256_72:                             ;   in Loop: Header=BB256_12 Depth=1
	s_waitcnt lgkmcnt(8)
	v_add_f32_e32 v13, v13, v14
	s_waitcnt vmcnt(6)
	v_lshlrev_b32_e32 v14, 16, v30
	s_delay_alu instid0(VALU_DEP_1) | instskip(NEXT) | instid1(VALU_DEP_1)
	v_add_f32_e32 v14, v13, v14
	v_and_b32_e32 v13, 0x7f800000, v14
	s_delay_alu instid0(VALU_DEP_1) | instskip(NEXT) | instid1(VALU_DEP_1)
	v_cmp_ne_u32_e64 s3, 0x7f800000, v13
                                        ; implicit-def: $vgpr13
	s_and_saveexec_b32 s41, s3
	s_delay_alu instid0(SALU_CYCLE_1)
	s_xor_b32 s3, exec_lo, s41
; %bb.73:                               ;   in Loop: Header=BB256_12 Depth=1
	v_bfe_u32 v13, v14, 16, 1
	s_delay_alu instid0(VALU_DEP_1)
	v_add3_u32 v13, v14, v13, 0x7fff
                                        ; implicit-def: $vgpr14
; %bb.74:                               ;   in Loop: Header=BB256_12 Depth=1
	s_and_not1_saveexec_b32 s41, s3
; %bb.75:                               ;   in Loop: Header=BB256_12 Depth=1
	v_and_b32_e32 v13, 0xffff, v14
	v_or_b32_e32 v16, 0x10000, v14
	s_delay_alu instid0(VALU_DEP_2) | instskip(NEXT) | instid1(VALU_DEP_1)
	v_cmp_eq_u32_e64 s3, 0, v13
	v_cndmask_b32_e64 v13, v16, v14, s3
; %bb.76:                               ;   in Loop: Header=BB256_12 Depth=1
	s_or_b32 exec_lo, exec_lo, s41
	s_waitcnt lgkmcnt(5)
	v_dual_mov_b32 v17, v62 :: v_dual_add_nc_u32 v16, 2, v61
	s_delay_alu instid0(VALU_DEP_1) | instskip(NEXT) | instid1(VALU_DEP_1)
	v_lshlrev_b64 v[16:17], 1, v[16:17]
	v_add_co_u32 v16, s3, s12, v16
	s_delay_alu instid0(VALU_DEP_1)
	v_add_co_ci_u32_e64 v17, s3, s13, v17, s3
	global_store_d16_hi_b16 v[16:17], v13, off
	s_or_b32 exec_lo, exec_lo, s15
	v_add_nc_u32_e32 v61, s19, v61
	s_and_saveexec_b32 s15, vcc_lo
	s_cbranch_execz .LBB256_42
.LBB256_77:                             ;   in Loop: Header=BB256_12 Depth=1
	s_waitcnt lgkmcnt(6)
	v_add_f32_e32 v8, v8, v9
	s_waitcnt vmcnt(5)
	v_lshlrev_b32_e32 v9, 16, v29
	s_delay_alu instid0(VALU_DEP_1) | instskip(NEXT) | instid1(VALU_DEP_1)
	v_add_f32_e32 v9, v8, v9
	v_and_b32_e32 v8, 0x7f800000, v9
	s_delay_alu instid0(VALU_DEP_1) | instskip(NEXT) | instid1(VALU_DEP_1)
	v_cmp_ne_u32_e64 s3, 0x7f800000, v8
                                        ; implicit-def: $vgpr8
	s_and_saveexec_b32 s41, s3
	s_delay_alu instid0(SALU_CYCLE_1)
	s_xor_b32 s3, exec_lo, s41
; %bb.78:                               ;   in Loop: Header=BB256_12 Depth=1
	v_bfe_u32 v8, v9, 16, 1
	s_delay_alu instid0(VALU_DEP_1)
	v_add3_u32 v8, v9, v8, 0x7fff
                                        ; implicit-def: $vgpr9
; %bb.79:                               ;   in Loop: Header=BB256_12 Depth=1
	s_and_not1_saveexec_b32 s41, s3
; %bb.80:                               ;   in Loop: Header=BB256_12 Depth=1
	v_and_b32_e32 v8, 0xffff, v9
	v_or_b32_e32 v13, 0x10000, v9
	s_delay_alu instid0(VALU_DEP_2) | instskip(NEXT) | instid1(VALU_DEP_1)
	v_cmp_eq_u32_e64 s3, 0, v8
	v_cndmask_b32_e64 v8, v13, v9, s3
; %bb.81:                               ;   in Loop: Header=BB256_12 Depth=1
	s_or_b32 exec_lo, exec_lo, s41
	v_lshlrev_b64 v[13:14], 1, v[61:62]
	s_delay_alu instid0(VALU_DEP_1) | instskip(NEXT) | instid1(VALU_DEP_1)
	v_add_co_u32 v13, s3, s12, v13
	v_add_co_ci_u32_e64 v14, s3, s13, v14, s3
	global_store_d16_hi_b16 v[13:14], v8, off
	s_or_b32 exec_lo, exec_lo, s15
	s_and_saveexec_b32 s15, s1
	s_cbranch_execz .LBB256_43
.LBB256_82:                             ;   in Loop: Header=BB256_12 Depth=1
	s_waitcnt vmcnt(4) lgkmcnt(4)
	v_dual_add_f32 v8, v11, v12 :: v_dual_lshlrev_b32 v9, 16, v26
	s_delay_alu instid0(VALU_DEP_1) | instskip(NEXT) | instid1(VALU_DEP_1)
	v_add_f32_e32 v9, v8, v9
	v_and_b32_e32 v8, 0x7f800000, v9
	s_delay_alu instid0(VALU_DEP_1) | instskip(NEXT) | instid1(VALU_DEP_1)
	v_cmp_ne_u32_e64 s3, 0x7f800000, v8
                                        ; implicit-def: $vgpr8
	s_and_saveexec_b32 s41, s3
	s_delay_alu instid0(SALU_CYCLE_1)
	s_xor_b32 s3, exec_lo, s41
; %bb.83:                               ;   in Loop: Header=BB256_12 Depth=1
	v_bfe_u32 v8, v9, 16, 1
	s_delay_alu instid0(VALU_DEP_1)
	v_add3_u32 v8, v9, v8, 0x7fff
                                        ; implicit-def: $vgpr9
; %bb.84:                               ;   in Loop: Header=BB256_12 Depth=1
	s_and_not1_saveexec_b32 s41, s3
; %bb.85:                               ;   in Loop: Header=BB256_12 Depth=1
	v_and_b32_e32 v8, 0xffff, v9
	v_or_b32_e32 v11, 0x10000, v9
	s_delay_alu instid0(VALU_DEP_2) | instskip(NEXT) | instid1(VALU_DEP_1)
	v_cmp_eq_u32_e64 s3, 0, v8
	v_cndmask_b32_e64 v8, v11, v9, s3
; %bb.86:                               ;   in Loop: Header=BB256_12 Depth=1
	s_or_b32 exec_lo, exec_lo, s41
	v_dual_mov_b32 v12, v62 :: v_dual_add_nc_u32 v11, 1, v61
	s_delay_alu instid0(VALU_DEP_1) | instskip(NEXT) | instid1(VALU_DEP_1)
	v_lshlrev_b64 v[11:12], 1, v[11:12]
	v_add_co_u32 v11, s3, s12, v11
	s_delay_alu instid0(VALU_DEP_1)
	v_add_co_ci_u32_e64 v12, s3, s13, v12, s3
	global_store_d16_hi_b16 v[11:12], v8, off
	s_or_b32 exec_lo, exec_lo, s15
	s_and_saveexec_b32 s15, s2
	s_cbranch_execz .LBB256_44
.LBB256_87:                             ;   in Loop: Header=BB256_12 Depth=1
	s_waitcnt vmcnt(3) lgkmcnt(2)
	v_dual_add_f32 v6, v6, v7 :: v_dual_lshlrev_b32 v7, 16, v21
	s_delay_alu instid0(VALU_DEP_1) | instskip(NEXT) | instid1(VALU_DEP_1)
	v_add_f32_e32 v7, v6, v7
	v_and_b32_e32 v6, 0x7f800000, v7
	s_delay_alu instid0(VALU_DEP_1) | instskip(NEXT) | instid1(VALU_DEP_1)
	v_cmp_ne_u32_e64 s3, 0x7f800000, v6
                                        ; implicit-def: $vgpr6
	s_and_saveexec_b32 s41, s3
	s_delay_alu instid0(SALU_CYCLE_1)
	s_xor_b32 s3, exec_lo, s41
; %bb.88:                               ;   in Loop: Header=BB256_12 Depth=1
	v_bfe_u32 v6, v7, 16, 1
	s_delay_alu instid0(VALU_DEP_1)
	v_add3_u32 v6, v7, v6, 0x7fff
                                        ; implicit-def: $vgpr7
; %bb.89:                               ;   in Loop: Header=BB256_12 Depth=1
	s_and_not1_saveexec_b32 s41, s3
; %bb.90:                               ;   in Loop: Header=BB256_12 Depth=1
	v_and_b32_e32 v6, 0xffff, v7
	v_or_b32_e32 v8, 0x10000, v7
	s_delay_alu instid0(VALU_DEP_2) | instskip(NEXT) | instid1(VALU_DEP_1)
	v_cmp_eq_u32_e64 s3, 0, v6
	v_cndmask_b32_e64 v6, v8, v7, s3
; %bb.91:                               ;   in Loop: Header=BB256_12 Depth=1
	s_or_b32 exec_lo, exec_lo, s41
	v_dual_mov_b32 v8, v62 :: v_dual_add_nc_u32 v7, 2, v61
	s_delay_alu instid0(VALU_DEP_1) | instskip(NEXT) | instid1(VALU_DEP_1)
	v_lshlrev_b64 v[7:8], 1, v[7:8]
	v_add_co_u32 v7, s3, s12, v7
	s_delay_alu instid0(VALU_DEP_1)
	v_add_co_ci_u32_e64 v8, s3, s13, v8, s3
	global_store_d16_hi_b16 v[7:8], v6, off
	s_or_b32 exec_lo, exec_lo, s15
	v_add_nc_u32_e32 v61, s19, v61
	s_and_saveexec_b32 s3, vcc_lo
	s_cbranch_execz .LBB256_45
.LBB256_92:                             ;   in Loop: Header=BB256_12 Depth=1
	s_waitcnt vmcnt(2) lgkmcnt(1)
	v_dual_add_f32 v4, v4, v5 :: v_dual_lshlrev_b32 v5, 16, v18
	s_delay_alu instid0(VALU_DEP_1) | instskip(NEXT) | instid1(VALU_DEP_1)
	v_add_f32_e32 v5, v4, v5
	v_and_b32_e32 v4, 0x7f800000, v5
	s_delay_alu instid0(VALU_DEP_1) | instskip(SKIP_1) | instid1(SALU_CYCLE_1)
	v_cmp_ne_u32_e32 vcc_lo, 0x7f800000, v4
                                        ; implicit-def: $vgpr4
	s_and_saveexec_b32 s15, vcc_lo
	s_xor_b32 s15, exec_lo, s15
; %bb.93:                               ;   in Loop: Header=BB256_12 Depth=1
	v_bfe_u32 v4, v5, 16, 1
	s_delay_alu instid0(VALU_DEP_1)
	v_add3_u32 v4, v5, v4, 0x7fff
                                        ; implicit-def: $vgpr5
; %bb.94:                               ;   in Loop: Header=BB256_12 Depth=1
	s_and_not1_saveexec_b32 s15, s15
; %bb.95:                               ;   in Loop: Header=BB256_12 Depth=1
	v_and_b32_e32 v4, 0xffff, v5
	v_or_b32_e32 v6, 0x10000, v5
	s_delay_alu instid0(VALU_DEP_2) | instskip(NEXT) | instid1(VALU_DEP_2)
	v_cmp_eq_u32_e32 vcc_lo, 0, v4
	v_cndmask_b32_e32 v4, v6, v5, vcc_lo
; %bb.96:                               ;   in Loop: Header=BB256_12 Depth=1
	s_or_b32 exec_lo, exec_lo, s15
	v_lshlrev_b64 v[5:6], 1, v[61:62]
	s_delay_alu instid0(VALU_DEP_1) | instskip(NEXT) | instid1(VALU_DEP_2)
	v_add_co_u32 v5, vcc_lo, s12, v5
	v_add_co_ci_u32_e32 v6, vcc_lo, s13, v6, vcc_lo
	global_store_d16_hi_b16 v[5:6], v4, off
	s_or_b32 exec_lo, exec_lo, s3
	s_and_saveexec_b32 s3, s1
	s_cbranch_execz .LBB256_46
.LBB256_97:                             ;   in Loop: Header=BB256_12 Depth=1
	s_waitcnt lgkmcnt(0)
	v_add_f32_e32 v2, v2, v3
	s_waitcnt vmcnt(1)
	v_lshlrev_b32_e32 v3, 16, v15
	s_delay_alu instid0(VALU_DEP_1) | instskip(NEXT) | instid1(VALU_DEP_1)
	v_add_f32_e32 v3, v2, v3
	v_and_b32_e32 v2, 0x7f800000, v3
	s_delay_alu instid0(VALU_DEP_1) | instskip(SKIP_1) | instid1(SALU_CYCLE_1)
	v_cmp_ne_u32_e32 vcc_lo, 0x7f800000, v2
                                        ; implicit-def: $vgpr2
	s_and_saveexec_b32 s1, vcc_lo
	s_xor_b32 s1, exec_lo, s1
; %bb.98:                               ;   in Loop: Header=BB256_12 Depth=1
	v_bfe_u32 v2, v3, 16, 1
	s_delay_alu instid0(VALU_DEP_1)
	v_add3_u32 v2, v3, v2, 0x7fff
                                        ; implicit-def: $vgpr3
; %bb.99:                               ;   in Loop: Header=BB256_12 Depth=1
	s_and_not1_saveexec_b32 s1, s1
; %bb.100:                              ;   in Loop: Header=BB256_12 Depth=1
	v_and_b32_e32 v2, 0xffff, v3
	v_or_b32_e32 v4, 0x10000, v3
	s_delay_alu instid0(VALU_DEP_2) | instskip(NEXT) | instid1(VALU_DEP_2)
	v_cmp_eq_u32_e32 vcc_lo, 0, v2
	v_cndmask_b32_e32 v2, v4, v3, vcc_lo
; %bb.101:                              ;   in Loop: Header=BB256_12 Depth=1
	s_or_b32 exec_lo, exec_lo, s1
	v_dual_mov_b32 v4, v62 :: v_dual_add_nc_u32 v3, 1, v61
	s_delay_alu instid0(VALU_DEP_1) | instskip(NEXT) | instid1(VALU_DEP_1)
	v_lshlrev_b64 v[3:4], 1, v[3:4]
	v_add_co_u32 v3, vcc_lo, s12, v3
	s_delay_alu instid0(VALU_DEP_2) | instskip(SKIP_2) | instid1(SALU_CYCLE_1)
	v_add_co_ci_u32_e32 v4, vcc_lo, s13, v4, vcc_lo
	global_store_d16_hi_b16 v[3:4], v2, off
	s_or_b32 exec_lo, exec_lo, s3
	s_and_b32 exec_lo, exec_lo, s2
	s_cbranch_execz .LBB256_107
.LBB256_102:                            ;   in Loop: Header=BB256_12 Depth=1
	s_waitcnt vmcnt(0) lgkmcnt(3)
	v_dual_add_f32 v0, v0, v1 :: v_dual_lshlrev_b32 v1, 16, v10
	s_delay_alu instid0(VALU_DEP_1) | instskip(NEXT) | instid1(VALU_DEP_1)
	v_add_f32_e32 v1, v0, v1
	v_and_b32_e32 v0, 0x7f800000, v1
	s_delay_alu instid0(VALU_DEP_1) | instskip(SKIP_1) | instid1(SALU_CYCLE_1)
	v_cmp_ne_u32_e32 vcc_lo, 0x7f800000, v0
                                        ; implicit-def: $vgpr0
	s_and_saveexec_b32 s1, vcc_lo
	s_xor_b32 s1, exec_lo, s1
; %bb.103:                              ;   in Loop: Header=BB256_12 Depth=1
	v_bfe_u32 v0, v1, 16, 1
	s_delay_alu instid0(VALU_DEP_1)
	v_add3_u32 v0, v1, v0, 0x7fff
                                        ; implicit-def: $vgpr1
; %bb.104:                              ;   in Loop: Header=BB256_12 Depth=1
	s_and_not1_saveexec_b32 s1, s1
; %bb.105:                              ;   in Loop: Header=BB256_12 Depth=1
	v_and_b32_e32 v0, 0xffff, v1
	v_or_b32_e32 v2, 0x10000, v1
	s_delay_alu instid0(VALU_DEP_2) | instskip(NEXT) | instid1(VALU_DEP_2)
	v_cmp_eq_u32_e32 vcc_lo, 0, v0
	v_cndmask_b32_e32 v0, v2, v1, vcc_lo
; %bb.106:                              ;   in Loop: Header=BB256_12 Depth=1
	s_or_b32 exec_lo, exec_lo, s1
	v_add_nc_u32_e32 v61, 2, v61
	s_delay_alu instid0(VALU_DEP_1) | instskip(NEXT) | instid1(VALU_DEP_1)
	v_lshlrev_b64 v[1:2], 1, v[61:62]
	v_add_co_u32 v1, vcc_lo, s12, v1
	s_delay_alu instid0(VALU_DEP_2)
	v_add_co_ci_u32_e32 v2, vcc_lo, s13, v2, vcc_lo
	global_store_d16_hi_b16 v[1:2], v0, off
.LBB256_107:                            ;   in Loop: Header=BB256_12 Depth=1
	s_or_b32 exec_lo, exec_lo, s14
	v_add_nc_u32_e32 v59, s5, v59
	s_delay_alu instid0(VALU_DEP_1) | instskip(SKIP_1) | instid1(VALU_DEP_2)
	v_add_nc_u32_e32 v0, 3, v59
	v_cmp_gt_u32_e32 vcc_lo, s19, v59
	v_cmp_le_u32_e64 s1, s19, v0
	s_delay_alu instid0(VALU_DEP_1) | instskip(NEXT) | instid1(SALU_CYCLE_1)
	s_and_b32 s1, vcc_lo, s1
	s_and_saveexec_b32 s41, s1
	s_cbranch_execz .LBB256_10
; %bb.108:                              ;   in Loop: Header=BB256_12 Depth=1
	s_mov_b32 s42, exec_lo
	v_cmpx_ne_u32_e64 s31, v59
	s_cbranch_execz .LBB256_9
; %bb.109:                              ;   in Loop: Header=BB256_12 Depth=1
	v_subrev_nc_u32_e32 v0, s31, v59
	s_mov_b32 s43, 0
	s_mov_b64 s[14:15], 0
	s_delay_alu instid0(VALU_DEP_1)
	v_cmp_lt_u32_e32 vcc_lo, 1, v0
	v_cndmask_b32_e32 v0, 1, v0, vcc_lo
	.p2align	6
.LBB256_110:                            ;   Parent Loop BB256_12 Depth=1
                                        ; =>  This Inner Loop Header: Depth=2
	s_cmp_lg_u32 s14, 2
	s_cselect_b32 vcc_lo, -1, 0
	s_cmp_lg_u32 s14, 1
	v_cndmask_b32_e32 v58, 0, v58, vcc_lo
	s_cselect_b32 s1, -1, 0
	s_cmp_lg_u32 s14, 0
	v_cndmask_b32_e64 v57, 0, v57, s1
	s_cselect_b32 s2, -1, 0
	s_add_u32 s14, s14, 1
	v_cndmask_b32_e64 v56, 0, v56, s2
	v_cmp_eq_u32_e64 s3, s14, v0
	s_addc_u32 s15, s15, 0
	s_delay_alu instid0(VALU_DEP_1) | instskip(NEXT) | instid1(SALU_CYCLE_1)
	s_or_b32 s43, s3, s43
	s_and_not1_b32 exec_lo, exec_lo, s43
	s_cbranch_execnz .LBB256_110
; %bb.111:                              ;   in Loop: Header=BB256_12 Depth=1
	s_or_b32 exec_lo, exec_lo, s43
	s_branch .LBB256_9
.LBB256_112:
	s_nop 0
	s_sendmsg sendmsg(MSG_DEALLOC_VGPRS)
	s_endpgm
	.section	.rodata,"a",@progbits
	.p2align	6, 0x0
	.amdhsa_kernel _Z16wvSplitK_hf_big_I14__hip_bfloat16Li32ELi3ELi16ELi8ELi2ELi4EEviiiiiiPKT_S3_S3_PS1_ii
		.amdhsa_group_segment_fixed_size 65536
		.amdhsa_private_segment_fixed_size 0
		.amdhsa_kernarg_size 64
		.amdhsa_user_sgpr_count 15
		.amdhsa_user_sgpr_dispatch_ptr 0
		.amdhsa_user_sgpr_queue_ptr 0
		.amdhsa_user_sgpr_kernarg_segment_ptr 1
		.amdhsa_user_sgpr_dispatch_id 0
		.amdhsa_user_sgpr_private_segment_size 0
		.amdhsa_wavefront_size32 1
		.amdhsa_uses_dynamic_stack 0
		.amdhsa_enable_private_segment 0
		.amdhsa_system_sgpr_workgroup_id_x 1
		.amdhsa_system_sgpr_workgroup_id_y 0
		.amdhsa_system_sgpr_workgroup_id_z 0
		.amdhsa_system_sgpr_workgroup_info 0
		.amdhsa_system_vgpr_workitem_id 1
		.amdhsa_next_free_vgpr 104
		.amdhsa_next_free_sgpr 44
		.amdhsa_reserve_vcc 1
		.amdhsa_float_round_mode_32 0
		.amdhsa_float_round_mode_16_64 0
		.amdhsa_float_denorm_mode_32 3
		.amdhsa_float_denorm_mode_16_64 3
		.amdhsa_dx10_clamp 1
		.amdhsa_ieee_mode 1
		.amdhsa_fp16_overflow 0
		.amdhsa_workgroup_processor_mode 1
		.amdhsa_memory_ordered 1
		.amdhsa_forward_progress 0
		.amdhsa_shared_vgpr_count 0
		.amdhsa_exception_fp_ieee_invalid_op 0
		.amdhsa_exception_fp_denorm_src 0
		.amdhsa_exception_fp_ieee_div_zero 0
		.amdhsa_exception_fp_ieee_overflow 0
		.amdhsa_exception_fp_ieee_underflow 0
		.amdhsa_exception_fp_ieee_inexact 0
		.amdhsa_exception_int_div_zero 0
	.end_amdhsa_kernel
	.section	.text._Z16wvSplitK_hf_big_I14__hip_bfloat16Li32ELi3ELi16ELi8ELi2ELi4EEviiiiiiPKT_S3_S3_PS1_ii,"axG",@progbits,_Z16wvSplitK_hf_big_I14__hip_bfloat16Li32ELi3ELi16ELi8ELi2ELi4EEviiiiiiPKT_S3_S3_PS1_ii,comdat
.Lfunc_end256:
	.size	_Z16wvSplitK_hf_big_I14__hip_bfloat16Li32ELi3ELi16ELi8ELi2ELi4EEviiiiiiPKT_S3_S3_PS1_ii, .Lfunc_end256-_Z16wvSplitK_hf_big_I14__hip_bfloat16Li32ELi3ELi16ELi8ELi2ELi4EEviiiiiiPKT_S3_S3_PS1_ii
                                        ; -- End function
	.section	.AMDGPU.csdata,"",@progbits
; Kernel info:
; codeLenInByte = 8516
; NumSgprs: 46
; NumVgprs: 104
; ScratchSize: 0
; MemoryBound: 0
; FloatMode: 240
; IeeeMode: 1
; LDSByteSize: 65536 bytes/workgroup (compile time only)
; SGPRBlocks: 5
; VGPRBlocks: 12
; NumSGPRsForWavesPerEU: 46
; NumVGPRsForWavesPerEU: 104
; Occupancy: 8
; WaveLimiterHint : 0
; COMPUTE_PGM_RSRC2:SCRATCH_EN: 0
; COMPUTE_PGM_RSRC2:USER_SGPR: 15
; COMPUTE_PGM_RSRC2:TRAP_HANDLER: 0
; COMPUTE_PGM_RSRC2:TGID_X_EN: 1
; COMPUTE_PGM_RSRC2:TGID_Y_EN: 0
; COMPUTE_PGM_RSRC2:TGID_Z_EN: 0
; COMPUTE_PGM_RSRC2:TIDIG_COMP_CNT: 1
	.section	.text._Z16wvSplitK_hf_sml_I14__hip_bfloat16Li32ELi4ELi16ELi8ELi1ELi4EEviiiiiiPKT_S3_S3_PS1_ii,"axG",@progbits,_Z16wvSplitK_hf_sml_I14__hip_bfloat16Li32ELi4ELi16ELi8ELi1ELi4EEviiiiiiPKT_S3_S3_PS1_ii,comdat
	.protected	_Z16wvSplitK_hf_sml_I14__hip_bfloat16Li32ELi4ELi16ELi8ELi1ELi4EEviiiiiiPKT_S3_S3_PS1_ii ; -- Begin function _Z16wvSplitK_hf_sml_I14__hip_bfloat16Li32ELi4ELi16ELi8ELi1ELi4EEviiiiiiPKT_S3_S3_PS1_ii
	.globl	_Z16wvSplitK_hf_sml_I14__hip_bfloat16Li32ELi4ELi16ELi8ELi1ELi4EEviiiiiiPKT_S3_S3_PS1_ii
	.p2align	8
	.type	_Z16wvSplitK_hf_sml_I14__hip_bfloat16Li32ELi4ELi16ELi8ELi1ELi4EEviiiiiiPKT_S3_S3_PS1_ii,@function
_Z16wvSplitK_hf_sml_I14__hip_bfloat16Li32ELi4ELi16ELi8ELi1ELi4EEviiiiiiPKT_S3_S3_PS1_ii: ; @_Z16wvSplitK_hf_sml_I14__hip_bfloat16Li32ELi4ELi16ELi8ELi1ELi4EEviiiiiiPKT_S3_S3_PS1_ii
; %bb.0:
	s_load_b128 s[4:7], s[0:1], 0x0
	v_and_b32_e32 v1, 0x3ff, v0
	v_bfe_u32 v0, v0, 10, 10
	s_mov_b32 s8, exec_lo
	s_delay_alu instid0(VALU_DEP_2) | instskip(NEXT) | instid1(VALU_DEP_1)
	v_lshlrev_b32_e32 v43, 3, v1
	v_lshl_add_u32 v3, v0, 8, v43
	s_waitcnt lgkmcnt(0)
	s_lshl_b32 s14, s6, 2
	s_delay_alu instid0(SALU_CYCLE_1)
	s_min_u32 s9, s14, 0x8000
	s_delay_alu instid0(VALU_DEP_1) | instid1(SALU_CYCLE_1)
	v_cmpx_gt_u32_e64 s9, v3
	s_cbranch_execz .LBB257_9
; %bb.1:
	s_load_b64 s[2:3], s[0:1], 0x20
	v_lshlrev_b32_e32 v2, 1, v3
	v_add_nc_u32_e32 v8, 0x1000, v3
	s_mov_b32 s10, exec_lo
	s_waitcnt lgkmcnt(0)
	global_load_b128 v[4:7], v2, s[2:3]
	s_waitcnt vmcnt(0)
	ds_store_b128 v2, v[4:7]
	v_cmpx_gt_u32_e64 s9, v8
	s_xor_b32 s10, exec_lo, s10
	s_cbranch_execz .LBB257_9
; %bb.2:
	v_add_co_u32 v4, s2, s2, v2
	s_delay_alu instid0(VALU_DEP_1) | instskip(SKIP_1) | instid1(VALU_DEP_3)
	v_add_co_ci_u32_e64 v5, null, s3, 0, s2
	v_add_nc_u32_e32 v10, 0x2000, v3
	v_add_co_u32 v6, vcc_lo, 0x2000, v4
	s_delay_alu instid0(VALU_DEP_3)
	v_add_co_ci_u32_e32 v7, vcc_lo, 0, v5, vcc_lo
	s_mov_b32 s2, exec_lo
	global_load_b128 v[6:9], v[6:7], off
	s_waitcnt vmcnt(0)
	ds_store_b128 v2, v[6:9] offset:8192
	v_cmpx_gt_u32_e64 s9, v10
	s_xor_b32 s2, exec_lo, s2
	s_cbranch_execz .LBB257_9
; %bb.3:
	v_add_co_u32 v6, vcc_lo, 0x4000, v4
	v_add_co_ci_u32_e32 v7, vcc_lo, 0, v5, vcc_lo
	v_add_nc_u32_e32 v10, 0x3000, v3
	s_mov_b32 s2, exec_lo
	global_load_b128 v[6:9], v[6:7], off
	s_waitcnt vmcnt(0)
	ds_store_b128 v2, v[6:9] offset:16384
	v_cmpx_gt_u32_e64 s9, v10
	s_xor_b32 s2, exec_lo, s2
	s_cbranch_execz .LBB257_9
; %bb.4:
	v_add_co_u32 v6, vcc_lo, 0x6000, v4
	v_add_co_ci_u32_e32 v7, vcc_lo, 0, v5, vcc_lo
	v_add_nc_u32_e32 v10, 0x4000, v3
	;; [unrolled: 11-line block ×5, first 2 shown]
	s_mov_b32 s2, exec_lo
	global_load_b128 v[6:9], v[6:7], off
	s_waitcnt vmcnt(0)
	ds_store_b128 v2, v[6:9] offset:49152
	v_cmpx_gt_u32_e64 s9, v3
	s_xor_b32 s2, exec_lo, s2
	s_cbranch_execz .LBB257_9
; %bb.8:
	v_add_co_u32 v3, vcc_lo, 0xe000, v4
	v_add_co_ci_u32_e32 v4, vcc_lo, 0, v5, vcc_lo
	global_load_b128 v[3:6], v[3:4], off
	s_waitcnt vmcnt(0)
	ds_store_b128 v2, v[3:6] offset:57344
.LBB257_9:
	s_or_b32 exec_lo, exec_lo, s8
	s_load_b64 s[16:17], s[0:1], 0x38
	s_waitcnt lgkmcnt(0)
	s_barrier
	buffer_gl0_inv
	s_mov_b32 s2, exec_lo
	v_cmpx_gt_u32_e64 s16, v0
	s_cbranch_execz .LBB257_86
; %bb.10:
	s_load_b64 s[2:3], s[0:1], 0x10
	s_mul_i32 s15, s15, s16
	s_delay_alu instid0(SALU_CYCLE_1) | instskip(NEXT) | instid1(VALU_DEP_1)
	v_add_lshl_u32 v28, s15, v0, 2
	v_cmp_gt_u32_e32 vcc_lo, s7, v28
	s_and_b32 exec_lo, exec_lo, vcc_lo
	s_cbranch_execz .LBB257_86
; %bb.11:
	s_clause 0x1
	s_load_b128 s[8:11], s[0:1], 0x28
	s_load_b64 s[12:13], s[0:1], 0x18
	s_cmp_lg_u32 s4, 0
	v_mbcnt_lo_u32_b32 v3, -1, 0
	s_cselect_b32 s1, -1, 0
	s_add_i32 s15, s4, -8
	s_add_i32 s18, s7, -1
	s_waitcnt lgkmcnt(0)
	v_cvt_f32_u32_e32 v2, s2
	s_mul_i32 s16, s16, s17
	v_cmp_eq_u32_e64 s0, 31, v1
	v_lshlrev_b32_e32 v44, 4, v1
	s_delay_alu instid0(VALU_DEP_3)
	v_rcp_iflag_f32_e32 v2, v2
	s_cmp_lg_u64 s[8:9], 0
	s_cselect_b32 s19, -1, 0
	s_abs_i32 s20, s3
	s_lshl_b32 s16, s16, 2
	v_cvt_f32_u32_e32 v0, s20
	s_sub_i32 s21, 0, s20
	s_sub_i32 s22, 0, s2
	s_sub_i32 s23, 1, s20
	s_mov_b32 s3, 0
	v_rcp_iflag_f32_e32 v0, v0
	s_waitcnt_depctr 0xfff
	v_mul_f32_e32 v0, 0x4f7ffffe, v0
	s_delay_alu instid0(VALU_DEP_1) | instskip(NEXT) | instid1(VALU_DEP_1)
	v_cvt_u32_f32_e32 v0, v0
	v_readfirstlane_b32 s17, v0
	v_mul_f32_e32 v0, 0x4f7ffffe, v2
	v_xor_b32_e32 v2, 16, v3
	s_delay_alu instid0(VALU_DEP_3) | instskip(NEXT) | instid1(VALU_DEP_2)
	s_mul_i32 s21, s21, s17
	v_cvt_u32_f32_e32 v0, v0
	s_mul_hi_u32 s21, s17, s21
	s_delay_alu instid0(VALU_DEP_2)
	v_cmp_gt_i32_e32 vcc_lo, 32, v2
	s_add_i32 s21, s17, s21
	s_cmp_lt_u32 s20, 2
	v_mul_lo_u32 v4, s22, v0
	s_cselect_b32 s23, s23, 1
	v_cndmask_b32_e32 v1, v3, v2, vcc_lo
	s_sub_i32 s24, s23, s20
	s_cmp_ge_u32 s23, s20
	v_mov_b32_e32 v30, 0
	s_cselect_b32 s23, s24, s23
	v_lshlrev_b32_e32 v45, 2, v1
	s_lshr_b32 s24, s21, 31
	s_mul_hi_u32 s21, s21, 3
	s_mul_i32 s24, s24, s20
	s_mul_i32 s21, s21, s20
	s_sub_i32 s22, 2, s24
	v_mul_hi_u32 v2, v0, v4
	s_sub_i32 s24, s22, s20
	s_cmp_ge_u32 s22, s20
	s_mul_i32 s17, s6, 6
	s_cselect_b32 s22, s24, s22
	s_delay_alu instid0(SALU_CYCLE_1) | instskip(SKIP_1) | instid1(VALU_DEP_1)
	s_sub_i32 s24, s22, s20
	s_cmp_ge_u32 s22, s20
	v_add_nc_u32_e32 v46, v0, v2
	s_cselect_b32 s22, s24, s22
	s_sub_i32 s21, 3, s21
	s_delay_alu instid0(SALU_CYCLE_1) | instskip(SKIP_2) | instid1(SALU_CYCLE_1)
	s_sub_i32 s24, s21, s20
	s_cmp_ge_u32 s21, s20
	s_cselect_b32 s21, s24, s21
	s_sub_i32 s24, s21, s20
	s_cmp_ge_u32 s21, s20
	s_mul_i32 s20, s23, s2
	s_cselect_b32 s23, s24, s21
	s_mul_i32 s21, s22, s2
	s_mul_i32 s22, s23, s2
	s_lshl_b32 s6, s6, 1
	s_branch .LBB257_14
.LBB257_12:                             ;   in Loop: Header=BB257_14 Depth=1
	s_or_b32 exec_lo, exec_lo, s24
	v_add_nc_u32_e32 v29, 3, v29
	s_delay_alu instid0(VALU_DEP_1) | instskip(NEXT) | instid1(VALU_DEP_1)
	v_lshlrev_b64 v[1:2], 1, v[29:30]
	v_add_co_u32 v1, vcc_lo, s10, v1
	s_delay_alu instid0(VALU_DEP_2)
	v_add_co_ci_u32_e32 v2, vcc_lo, s11, v2, vcc_lo
	global_store_d16_hi_b16 v[1:2], v0, off
.LBB257_13:                             ;   in Loop: Header=BB257_14 Depth=1
	s_or_b32 exec_lo, exec_lo, s23
	v_add_nc_u32_e32 v28, s16, v28
	s_delay_alu instid0(VALU_DEP_1) | instskip(SKIP_1) | instid1(SALU_CYCLE_1)
	v_cmp_le_u32_e32 vcc_lo, s7, v28
	s_or_b32 s3, vcc_lo, s3
	s_and_not1_b32 exec_lo, exec_lo, s3
	s_cbranch_execz .LBB257_86
.LBB257_14:                             ; =>This Loop Header: Depth=1
                                        ;     Child Loop BB257_17 Depth 2
	v_mov_b32_e32 v47, v30
	v_mov_b32_e32 v48, v30
	;; [unrolled: 1-line block ×16, first 2 shown]
	s_and_not1_b32 vcc_lo, exec_lo, s1
	s_cbranch_vccnz .LBB257_19
; %bb.15:                               ;   in Loop: Header=BB257_14 Depth=1
	v_or_b32_e32 v0, 1, v28
	s_waitcnt lgkmcnt(14)
	v_or_b32_e32 v1, 2, v28
	v_or_b32_e32 v2, 3, v28
	s_waitcnt lgkmcnt(0)
	v_min_u32_e32 v3, s18, v28
	v_dual_mov_b32 v5, v30 :: v_dual_mov_b32 v62, 0
	v_min_u32_e32 v0, s18, v0
	v_min_u32_e32 v1, s18, v1
	;; [unrolled: 1-line block ×3, first 2 shown]
	v_mul_lo_u32 v29, v3, s5
	v_dual_mov_b32 v3, v30 :: v_dual_mov_b32 v60, 0
	v_mul_lo_u32 v0, v0, s5
	v_mul_lo_u32 v2, v1, s5
	v_mul_lo_u32 v4, v4, s5
	v_dual_mov_b32 v1, v30 :: v_dual_mov_b32 v58, 0
	v_lshlrev_b64 v[31:32], 1, v[29:30]
	v_dual_mov_b32 v57, 0 :: v_dual_mov_b32 v56, 0
	s_delay_alu instid0(VALU_DEP_3)
	v_lshlrev_b64 v[33:34], 1, v[0:1]
	v_lshlrev_b64 v[35:36], 1, v[2:3]
	;; [unrolled: 1-line block ×3, first 2 shown]
	v_dual_mov_b32 v63, v44 :: v_dual_mov_b32 v52, 0
	v_dual_mov_b32 v61, 0 :: v_dual_mov_b32 v54, 0
	;; [unrolled: 1-line block ×4, first 2 shown]
	v_mov_b32_e32 v53, 0
	v_mov_b32_e32 v51, 0
	;; [unrolled: 1-line block ×4, first 2 shown]
	s_mov_b32 s23, 0
	s_branch .LBB257_17
.LBB257_16:                             ;   in Loop: Header=BB257_17 Depth=2
	s_or_b32 exec_lo, exec_lo, s24
	s_waitcnt vmcnt(3)
	v_and_b32_e32 v64, 0xffff0000, v20
	s_waitcnt lgkmcnt(4)
	v_and_b32_e32 v65, 0xffff0000, v25
	v_and_b32_e32 v66, 0xffff0000, v21
	;; [unrolled: 1-line block ×6, first 2 shown]
	v_mul_f32_e32 v68, v65, v66
	v_dual_mul_f32 v67, v29, v64 :: v_dual_and_b32 v70, 0xffff0000, v22
	v_lshlrev_b32_e32 v24, 16, v24
	s_delay_alu instid0(VALU_DEP_4)
	v_dual_mul_f32 v73, v71, v72 :: v_dual_lshlrev_b32 v26, 16, v26
	v_lshlrev_b32_e32 v22, 16, v22
	v_lshlrev_b32_e32 v20, 16, v20
	;; [unrolled: 1-line block ×4, first 2 shown]
	v_add_nc_u32_e32 v63, 0x200, v63
	s_addk_i32 s23, 0x100
	v_fmac_f32_e32 v67, v24, v20
	s_cmp_ge_u32 s23, s4
	s_waitcnt vmcnt(1)
	v_and_b32_e32 v80, 0xffff0000, v14
	s_delay_alu instid0(VALU_DEP_2)
	v_dual_add_f32 v57, v57, v67 :: v_dual_lshlrev_b32 v14, 16, v14
	v_mul_f32_e32 v67, v69, v70
	v_lshlrev_b32_e32 v25, 16, v25
	s_waitcnt vmcnt(0)
	v_and_b32_e32 v82, 0xffff0000, v5
	v_lshlrev_b32_e32 v23, 16, v23
	v_lshlrev_b32_e32 v5, 16, v5
	v_dual_fmac_f32 v67, v26, v22 :: v_dual_fmac_f32 v68, v25, v21
	s_delay_alu instid0(VALU_DEP_3) | instskip(NEXT) | instid1(VALU_DEP_2)
	v_fmac_f32_e32 v73, v27, v23
	v_add_f32_e32 v57, v57, v68
	s_delay_alu instid0(VALU_DEP_1) | instskip(NEXT) | instid1(VALU_DEP_1)
	v_dual_add_f32 v57, v57, v67 :: v_dual_and_b32 v68, 0xffff0000, v16
	v_dual_mul_f32 v74, v29, v68 :: v_dual_and_b32 v67, 0xffff0000, v17
	v_lshlrev_b32_e32 v16, 16, v16
	v_lshlrev_b32_e32 v17, 16, v17
	s_delay_alu instid0(VALU_DEP_4) | instskip(NEXT) | instid1(VALU_DEP_3)
	v_add_f32_e32 v57, v57, v73
	v_dual_mul_f32 v75, v65, v67 :: v_dual_fmac_f32 v74, v24, v16
	v_and_b32_e32 v73, 0xffff0000, v18
	s_delay_alu instid0(VALU_DEP_2) | instskip(NEXT) | instid1(VALU_DEP_3)
	v_dual_fmac_f32 v75, v25, v17 :: v_dual_lshlrev_b32 v18, 16, v18
	v_dual_add_f32 v61, v61, v74 :: v_dual_and_b32 v74, 0xffff0000, v12
	s_delay_alu instid0(VALU_DEP_1) | instskip(NEXT) | instid1(VALU_DEP_2)
	v_dual_add_f32 v61, v61, v75 :: v_dual_lshlrev_b32 v12, 16, v12
	v_dual_mul_f32 v77, v29, v74 :: v_dual_and_b32 v78, 0xffff0000, v19
	s_delay_alu instid0(VALU_DEP_1) | instskip(NEXT) | instid1(VALU_DEP_1)
	v_fmac_f32_e32 v77, v24, v12
	v_add_f32_e32 v58, v58, v77
	s_delay_alu instid0(VALU_DEP_3) | instskip(NEXT) | instid1(VALU_DEP_1)
	v_dual_mul_f32 v76, v69, v73 :: v_dual_mul_f32 v81, v71, v78
	v_dual_mul_f32 v77, v69, v80 :: v_dual_fmac_f32 v76, v26, v18
	s_delay_alu instid0(VALU_DEP_1) | instskip(SKIP_2) | instid1(VALU_DEP_2)
	v_add_f32_e32 v61, v61, v76
	v_and_b32_e32 v76, 0xffff0000, v4
	v_lshlrev_b32_e32 v4, 16, v4
	v_mul_f32_e32 v29, v29, v76
	s_delay_alu instid0(VALU_DEP_1) | instskip(NEXT) | instid1(VALU_DEP_1)
	v_dual_fmac_f32 v29, v24, v4 :: v_dual_mul_f32 v24, v65, v82
	v_add_f32_e32 v29, v60, v29
	s_delay_alu instid0(VALU_DEP_2) | instskip(NEXT) | instid1(VALU_DEP_1)
	v_fmac_f32_e32 v24, v25, v5
	v_dual_add_f32 v24, v29, v24 :: v_dual_and_b32 v75, 0xffff0000, v13
	s_delay_alu instid0(VALU_DEP_1) | instskip(SKIP_3) | instid1(VALU_DEP_3)
	v_mul_f32_e32 v79, v65, v75
	v_and_b32_e32 v65, 0xffff0000, v6
	v_lshlrev_b32_e32 v19, 16, v19
	v_lshlrev_b32_e32 v6, 16, v6
	v_dual_fmac_f32 v77, v26, v14 :: v_dual_mul_f32 v60, v69, v65
	s_delay_alu instid0(VALU_DEP_1) | instskip(NEXT) | instid1(VALU_DEP_1)
	v_dual_fmac_f32 v60, v26, v6 :: v_dual_lshlrev_b32 v13, 16, v13
	v_fmac_f32_e32 v79, v25, v13
	s_waitcnt lgkmcnt(3)
	v_and_b32_e32 v26, 0xffff0000, v9
	v_and_b32_e32 v25, 0xffff0000, v8
	v_lshlrev_b32_e32 v8, 16, v8
	v_dual_add_f32 v58, v58, v79 :: v_dual_lshlrev_b32 v9, 16, v9
	v_and_b32_e32 v79, 0xffff0000, v15
	s_delay_alu instid0(VALU_DEP_4) | instskip(SKIP_4) | instid1(VALU_DEP_3)
	v_mul_f32_e32 v69, v25, v64
	v_add_f32_e32 v24, v24, v60
	v_mul_f32_e32 v84, v26, v75
	v_dual_add_f32 v58, v58, v77 :: v_dual_fmac_f32 v81, v27, v19
	v_lshlrev_b32_e32 v15, 16, v15
	v_dual_mul_f32 v83, v71, v79 :: v_dual_fmac_f32 v84, v9, v13
	v_fmac_f32_e32 v69, v8, v20
	s_delay_alu instid0(VALU_DEP_4)
	v_add_f32_e32 v61, v61, v81
	v_and_b32_e32 v81, 0xffff0000, v10
	v_and_b32_e32 v29, 0xffff0000, v7
	v_fmac_f32_e32 v83, v27, v15
	v_lshlrev_b32_e32 v7, 16, v7
	v_lshlrev_b32_e32 v10, 16, v10
	v_mul_f32_e32 v77, v26, v66
	s_delay_alu instid0(VALU_DEP_4) | instskip(SKIP_1) | instid1(VALU_DEP_2)
	v_dual_mul_f32 v71, v71, v29 :: v_dual_add_f32 v58, v58, v83
	v_mul_f32_e32 v83, v25, v74
	v_fmac_f32_e32 v71, v27, v7
	v_add_f32_e32 v27, v59, v69
	v_mul_f32_e32 v69, v25, v68
	v_mul_f32_e32 v25, v25, v76
	v_fmac_f32_e32 v83, v8, v12
	v_dual_mul_f32 v59, v81, v70 :: v_dual_add_f32 v60, v24, v71
	s_delay_alu instid0(VALU_DEP_4) | instskip(NEXT) | instid1(VALU_DEP_4)
	v_fmac_f32_e32 v69, v8, v16
	v_dual_fmac_f32 v25, v8, v4 :: v_dual_mul_f32 v8, v26, v82
	v_and_b32_e32 v24, 0xffff0000, v11
	v_lshlrev_b32_e32 v11, 16, v11
	v_fmac_f32_e32 v59, v10, v22
	s_delay_alu instid0(VALU_DEP_4) | instskip(NEXT) | instid1(VALU_DEP_4)
	v_add_f32_e32 v25, v53, v25
	v_dual_fmac_f32 v8, v9, v5 :: v_dual_mul_f32 v71, v24, v72
	v_add_f32_e32 v62, v62, v69
	v_mul_f32_e32 v69, v81, v73
	s_delay_alu instid0(VALU_DEP_3)
	v_dual_mul_f32 v53, v24, v79 :: v_dual_add_f32 v8, v25, v8
	v_fmac_f32_e32 v77, v9, v21
	s_waitcnt lgkmcnt(2)
	v_lshlrev_b32_e32 v25, 16, v42
	v_fmac_f32_e32 v71, v11, v23
	v_fmac_f32_e32 v69, v10, v18
	;; [unrolled: 1-line block ×3, first 2 shown]
	v_add_f32_e32 v27, v27, v77
	v_dual_mul_f32 v77, v26, v67 :: v_dual_and_b32 v26, 0xffff0000, v41
	v_add_f32_e32 v55, v55, v83
	s_delay_alu instid0(VALU_DEP_3) | instskip(NEXT) | instid1(VALU_DEP_3)
	v_add_f32_e32 v27, v27, v59
	v_fmac_f32_e32 v77, v9, v17
	v_lshlrev_b32_e32 v9, 16, v41
	s_delay_alu instid0(VALU_DEP_4) | instskip(NEXT) | instid1(VALU_DEP_4)
	v_add_f32_e32 v55, v55, v84
	v_add_f32_e32 v59, v27, v71
	s_delay_alu instid0(VALU_DEP_4) | instskip(NEXT) | instid1(VALU_DEP_1)
	v_dual_add_f32 v27, v62, v77 :: v_dual_mul_f32 v62, v81, v80
	v_dual_add_f32 v27, v27, v69 :: v_dual_fmac_f32 v62, v10, v14
	v_mul_f32_e32 v69, v24, v78
	s_delay_alu instid0(VALU_DEP_2) | instskip(SKIP_1) | instid1(VALU_DEP_2)
	v_dual_add_f32 v55, v55, v62 :: v_dual_mul_f32 v62, v81, v65
	v_mul_f32_e32 v24, v24, v29
	v_dual_add_f32 v55, v55, v53 :: v_dual_fmac_f32 v62, v10, v6
	s_delay_alu instid0(VALU_DEP_2) | instskip(SKIP_4) | instid1(VALU_DEP_1)
	v_fmac_f32_e32 v24, v11, v7
	s_waitcnt lgkmcnt(1)
	v_and_b32_e32 v10, 0xffff0000, v39
	v_lshlrev_b32_e32 v39, 16, v39
	v_dual_mul_f32 v41, v26, v64 :: v_dual_add_f32 v8, v8, v62
	v_add_f32_e32 v53, v8, v24
	v_and_b32_e32 v24, 0xffff0000, v40
	v_and_b32_e32 v71, 0xffff0000, v42
	v_lshlrev_b32_e32 v40, 16, v40
	v_fmac_f32_e32 v41, v9, v20
	v_mul_f32_e32 v8, v26, v68
	s_delay_alu instid0(VALU_DEP_2) | instskip(NEXT) | instid1(VALU_DEP_2)
	v_dual_mul_f32 v42, v71, v66 :: v_dual_add_f32 v41, v56, v41
	v_dual_fmac_f32 v8, v9, v16 :: v_dual_fmac_f32 v69, v11, v19
	s_delay_alu instid0(VALU_DEP_2) | instskip(SKIP_1) | instid1(VALU_DEP_3)
	v_fmac_f32_e32 v42, v25, v21
	v_mul_f32_e32 v56, v10, v70
	v_add_f32_e32 v8, v52, v8
	s_delay_alu instid0(VALU_DEP_3) | instskip(SKIP_1) | instid1(VALU_DEP_4)
	v_dual_mul_f32 v52, v10, v73 :: v_dual_add_f32 v11, v41, v42
	v_mul_f32_e32 v41, v71, v67
	v_fmac_f32_e32 v56, v39, v22
	v_mul_f32_e32 v42, v24, v72
	s_delay_alu instid0(VALU_DEP_3) | instskip(NEXT) | instid1(VALU_DEP_2)
	v_dual_fmac_f32 v52, v39, v18 :: v_dual_fmac_f32 v41, v25, v17
	v_fmac_f32_e32 v42, v40, v23
	s_delay_alu instid0(VALU_DEP_2) | instskip(SKIP_1) | instid1(VALU_DEP_2)
	v_add_f32_e32 v8, v8, v41
	v_mul_f32_e32 v41, v24, v78
	v_add_f32_e32 v8, v8, v52
	s_delay_alu instid0(VALU_DEP_2) | instskip(NEXT) | instid1(VALU_DEP_1)
	v_fmac_f32_e32 v41, v40, v19
	v_add_f32_e32 v52, v8, v41
	s_waitcnt lgkmcnt(0)
	v_and_b32_e32 v8, 0xffff0000, v0
	v_lshlrev_b32_e32 v0, 16, v0
	v_dual_add_f32 v62, v27, v69 :: v_dual_mul_f32 v27, v26, v74
	v_add_f32_e32 v11, v11, v56
	v_mul_f32_e32 v69, v24, v79
	v_mul_f32_e32 v24, v24, v29
	s_delay_alu instid0(VALU_DEP_4) | instskip(NEXT) | instid1(VALU_DEP_3)
	v_dual_mul_f32 v56, v71, v75 :: v_dual_fmac_f32 v27, v9, v12
	v_dual_mul_f32 v26, v26, v76 :: v_dual_fmac_f32 v69, v40, v15
	s_delay_alu instid0(VALU_DEP_3) | instskip(NEXT) | instid1(VALU_DEP_3)
	v_fmac_f32_e32 v24, v40, v7
	v_dual_fmac_f32 v56, v25, v13 :: v_dual_add_f32 v27, v54, v27
	v_mul_f32_e32 v54, v10, v80
	s_delay_alu instid0(VALU_DEP_2) | instskip(NEXT) | instid1(VALU_DEP_2)
	v_dual_mul_f32 v10, v10, v65 :: v_dual_add_f32 v27, v27, v56
	v_fmac_f32_e32 v54, v39, v14
	v_dual_add_f32 v56, v11, v42 :: v_dual_mul_f32 v11, v8, v64
	s_delay_alu instid0(VALU_DEP_3) | instskip(NEXT) | instid1(VALU_DEP_3)
	v_fmac_f32_e32 v10, v39, v6
	v_add_f32_e32 v27, v27, v54
	s_delay_alu instid0(VALU_DEP_1) | instskip(SKIP_2) | instid1(VALU_DEP_2)
	v_dual_fmac_f32 v11, v0, v20 :: v_dual_add_f32 v54, v27, v69
	v_and_b32_e32 v27, 0xffff0000, v1
	v_lshlrev_b32_e32 v1, 16, v1
	v_dual_add_f32 v11, v50, v11 :: v_dual_mul_f32 v20, v27, v66
	v_dual_fmac_f32 v26, v9, v4 :: v_dual_mul_f32 v9, v71, v82
	s_delay_alu instid0(VALU_DEP_2) | instskip(NEXT) | instid1(VALU_DEP_2)
	v_dual_fmac_f32 v20, v1, v21 :: v_dual_mul_f32 v21, v8, v68
	v_add_f32_e32 v26, v51, v26
	s_delay_alu instid0(VALU_DEP_2) | instskip(NEXT) | instid1(VALU_DEP_3)
	v_add_f32_e32 v11, v11, v20
	v_dual_fmac_f32 v21, v0, v16 :: v_dual_mul_f32 v16, v27, v67
	v_fmac_f32_e32 v9, v25, v5
	v_and_b32_e32 v25, 0xffff0000, v3
	v_lshlrev_b32_e32 v3, 16, v3
	s_delay_alu instid0(VALU_DEP_4) | instskip(NEXT) | instid1(VALU_DEP_4)
	v_add_f32_e32 v21, v49, v21
	v_add_f32_e32 v9, v26, v9
	s_delay_alu instid0(VALU_DEP_1) | instskip(SKIP_2) | instid1(VALU_DEP_2)
	v_add_f32_e32 v9, v9, v10
	v_and_b32_e32 v10, 0xffff0000, v2
	v_lshlrev_b32_e32 v2, 16, v2
	v_mul_f32_e32 v20, v10, v70
	s_delay_alu instid0(VALU_DEP_1) | instskip(SKIP_1) | instid1(VALU_DEP_2)
	v_fmac_f32_e32 v20, v2, v22
	v_mul_f32_e32 v22, v25, v72
	v_add_f32_e32 v11, v11, v20
	s_delay_alu instid0(VALU_DEP_2) | instskip(NEXT) | instid1(VALU_DEP_1)
	v_fmac_f32_e32 v22, v3, v23
	v_add_f32_e32 v50, v11, v22
	v_fmac_f32_e32 v16, v1, v17
	s_delay_alu instid0(VALU_DEP_1) | instskip(NEXT) | instid1(VALU_DEP_1)
	v_dual_mul_f32 v17, v10, v73 :: v_dual_add_f32 v16, v21, v16
	v_fmac_f32_e32 v17, v2, v18
	v_mul_f32_e32 v18, v8, v74
	v_mul_f32_e32 v8, v8, v76
	s_delay_alu instid0(VALU_DEP_3) | instskip(NEXT) | instid1(VALU_DEP_3)
	v_add_f32_e32 v16, v16, v17
	v_fmac_f32_e32 v18, v0, v12
	v_mul_f32_e32 v12, v27, v75
	s_delay_alu instid0(VALU_DEP_4) | instskip(NEXT) | instid1(VALU_DEP_3)
	v_dual_fmac_f32 v8, v0, v4 :: v_dual_mul_f32 v17, v25, v78
	v_add_f32_e32 v4, v48, v18
	s_delay_alu instid0(VALU_DEP_3) | instskip(NEXT) | instid1(VALU_DEP_3)
	v_dual_fmac_f32 v12, v1, v13 :: v_dual_mul_f32 v13, v10, v80
	v_add_f32_e32 v8, v47, v8
	s_delay_alu instid0(VALU_DEP_2) | instskip(SKIP_1) | instid1(VALU_DEP_4)
	v_dual_fmac_f32 v17, v3, v19 :: v_dual_add_f32 v4, v4, v12
	v_mul_f32_e32 v0, v27, v82
	v_fmac_f32_e32 v13, v2, v14
	s_delay_alu instid0(VALU_DEP_3) | instskip(NEXT) | instid1(VALU_DEP_3)
	v_add_f32_e32 v49, v16, v17
	v_fmac_f32_e32 v0, v1, v5
	v_mul_f32_e32 v1, v10, v65
	s_delay_alu instid0(VALU_DEP_4) | instskip(NEXT) | instid1(VALU_DEP_2)
	v_dual_mul_f32 v5, v25, v79 :: v_dual_add_f32 v4, v4, v13
	v_dual_add_f32 v0, v8, v0 :: v_dual_fmac_f32 v1, v2, v6
	s_delay_alu instid0(VALU_DEP_2) | instskip(NEXT) | instid1(VALU_DEP_2)
	v_dual_mul_f32 v2, v25, v29 :: v_dual_fmac_f32 v5, v3, v15
	v_add_f32_e32 v0, v0, v1
	s_delay_alu instid0(VALU_DEP_2) | instskip(NEXT) | instid1(VALU_DEP_3)
	v_dual_fmac_f32 v2, v3, v7 :: v_dual_add_f32 v51, v9, v24
	v_add_f32_e32 v48, v4, v5
	s_delay_alu instid0(VALU_DEP_2)
	v_add_f32_e32 v47, v0, v2
	s_cbranch_scc1 .LBB257_19
.LBB257_17:                             ;   Parent Loop BB257_14 Depth=1
                                        ; =>  This Inner Loop Header: Depth=2
	v_add_nc_u32_e32 v8, s23, v43
	v_dual_mov_b32 v40, 0 :: v_dual_mov_b32 v41, 0
	v_dual_mov_b32 v42, 0 :: v_dual_mov_b32 v11, 0
	s_delay_alu instid0(VALU_DEP_3) | instskip(SKIP_2) | instid1(VALU_DEP_3)
	v_min_u32_e32 v29, s15, v8
	v_dual_mov_b32 v10, 0 :: v_dual_mov_b32 v9, 0
	v_dual_mov_b32 v26, 0 :: v_dual_mov_b32 v25, 0
	v_lshlrev_b64 v[0:1], 1, v[29:30]
	v_dual_mov_b32 v24, 0 :: v_dual_mov_b32 v39, 0
	v_mov_b32_e32 v27, 0
	s_delay_alu instid0(VALU_DEP_3) | instskip(NEXT) | instid1(VALU_DEP_4)
	v_add_co_u32 v6, vcc_lo, s12, v0
	v_add_co_ci_u32_e32 v7, vcc_lo, s13, v1, vcc_lo
	s_delay_alu instid0(VALU_DEP_2) | instskip(NEXT) | instid1(VALU_DEP_2)
	v_add_co_u32 v0, vcc_lo, v6, v31
	v_add_co_ci_u32_e32 v1, vcc_lo, v7, v32, vcc_lo
	v_add_co_u32 v2, vcc_lo, v6, v33
	v_add_co_ci_u32_e32 v3, vcc_lo, v7, v34, vcc_lo
	;; [unrolled: 2-line block ×4, first 2 shown]
	s_clause 0x3
	global_load_b128 v[20:23], v[0:1], off slc dlc
	global_load_b128 v[16:19], v[2:3], off slc dlc
	;; [unrolled: 1-line block ×4, first 2 shown]
	v_mov_b32_e32 v3, 0
	v_cmp_gt_u32_e32 vcc_lo, s4, v8
	v_dual_mov_b32 v2, 0 :: v_dual_mov_b32 v1, 0
	v_mov_b32_e32 v0, 0
	v_mov_b32_e32 v8, 0
	s_and_saveexec_b32 s24, vcc_lo
	s_cbranch_execz .LBB257_16
; %bb.18:                               ;   in Loop: Header=BB257_17 Depth=2
	v_add_nc_u32_e32 v0, s6, v63
	v_add_nc_u32_e32 v1, s14, v63
	;; [unrolled: 1-line block ×3, first 2 shown]
	ds_load_b128 v[24:27], v63
	ds_load_b128 v[8:11], v0
	ds_load_2addr_b32 v[41:42], v1 offset1:1
	ds_load_2addr_b32 v[39:40], v1 offset0:2 offset1:3
	ds_load_b128 v[0:3], v2
	s_branch .LBB257_16
.LBB257_19:                             ;   in Loop: Header=BB257_14 Depth=1
	; sched_barrier mask(0x00000000)
	s_delay_alu instid0(VALU_DEP_1)
	v_cvt_i32_f32_e32 v0, v57
	s_waitcnt lgkmcnt(14)
	v_cvt_i32_f32_e32 v1, v61
	v_cvt_i32_f32_e32 v2, v58
	s_waitcnt lgkmcnt(0)
	v_cvt_i32_f32_e32 v3, v60
	v_cvt_i32_f32_e32 v4, v59
	v_cvt_f32_i32_dpp v0, v0 row_shr:8 row_mask:0xf bank_mask:0xf bound_ctrl:1
	v_cvt_f32_i32_dpp v1, v1 row_shr:8 row_mask:0xf bank_mask:0xf bound_ctrl:1
	;; [unrolled: 1-line block ×4, first 2 shown]
	v_cvt_i32_f32_e32 v5, v62
	v_add_f32_e32 v0, v57, v0
	v_cvt_f32_i32_dpp v4, v4 row_shr:8 row_mask:0xf bank_mask:0xf bound_ctrl:1
	v_dual_add_f32 v1, v61, v1 :: v_dual_add_f32 v2, v58, v2
	v_add_f32_e32 v3, v60, v3
	s_delay_alu instid0(VALU_DEP_4)
	v_cvt_i32_f32_e32 v6, v0
	v_cvt_f32_i32_dpp v5, v5 row_shr:8 row_mask:0xf bank_mask:0xf bound_ctrl:1
	v_add_f32_e32 v4, v59, v4
	v_cvt_i32_f32_e32 v7, v1
	v_cvt_i32_f32_e32 v8, v2
	v_cvt_f32_i32_dpp v6, v6 row_shr:4 row_mask:0xf bank_mask:0xf bound_ctrl:1
	v_add_f32_e32 v5, v62, v5
	v_cvt_i32_f32_e32 v9, v3
	v_cvt_i32_f32_e32 v10, v4
	s_delay_alu instid0(VALU_DEP_4)
	v_add_f32_e32 v0, v0, v6
	v_cvt_f32_i32_dpp v6, v7 row_shr:4 row_mask:0xf bank_mask:0xf bound_ctrl:1
	v_cvt_f32_i32_dpp v7, v8 row_shr:4 row_mask:0xf bank_mask:0xf bound_ctrl:1
	;; [unrolled: 1-line block ×3, first 2 shown]
	v_cvt_i32_f32_e32 v11, v5
	v_cvt_f32_i32_dpp v9, v10 row_shr:4 row_mask:0xf bank_mask:0xf bound_ctrl:1
	s_delay_alu instid0(VALU_DEP_4) | instskip(NEXT) | instid1(VALU_DEP_4)
	v_dual_add_f32 v1, v1, v6 :: v_dual_add_f32 v2, v2, v7
	v_add_f32_e32 v3, v3, v8
	v_cvt_i32_f32_e32 v10, v0
	v_cvt_f32_i32_dpp v11, v11 row_shr:4 row_mask:0xf bank_mask:0xf bound_ctrl:1
	s_delay_alu instid0(VALU_DEP_4)
	v_cvt_i32_f32_e32 v7, v1
	v_add_f32_e32 v4, v4, v9
	v_cvt_i32_f32_e32 v8, v2
	v_cvt_f32_i32_dpp v6, v10 row_shr:2 row_mask:0xf bank_mask:0xf bound_ctrl:1
	v_add_f32_e32 v5, v5, v11
	v_cvt_f32_i32_dpp v7, v7 row_shr:2 row_mask:0xf bank_mask:0xf bound_ctrl:1
	v_cvt_i32_f32_e32 v9, v4
	v_cvt_f32_i32_dpp v8, v8 row_shr:2 row_mask:0xf bank_mask:0xf bound_ctrl:1
	v_add_f32_e32 v0, v0, v6
	v_cvt_i32_f32_e32 v6, v3
	v_add_f32_e32 v1, v1, v7
	v_cvt_i32_f32_e32 v10, v5
	v_cvt_f32_i32_dpp v9, v9 row_shr:2 row_mask:0xf bank_mask:0xf bound_ctrl:1
	v_cvt_i32_f32_e32 v11, v0
	v_cvt_f32_i32_dpp v6, v6 row_shr:2 row_mask:0xf bank_mask:0xf bound_ctrl:1
	v_add_f32_e32 v2, v2, v8
	v_cvt_f32_i32_dpp v10, v10 row_shr:2 row_mask:0xf bank_mask:0xf bound_ctrl:1
	v_add_f32_e32 v4, v4, v9
	;; [unrolled: 2-line block ×3, first 2 shown]
	v_cvt_i32_f32_e32 v6, v2
	v_add_f32_e32 v5, v5, v10
	v_cvt_i32_f32_e32 v8, v4
	v_add_f32_e32 v37, v0, v11
	v_cvt_i32_f32_e32 v7, v3
	v_cvt_f32_i32_dpp v6, v6 row_shr:1 row_mask:0xf bank_mask:0xf bound_ctrl:1
	v_cvt_i32_f32_e32 v9, v5
	v_cvt_f32_i32_dpp v8, v8 row_shr:1 row_mask:0xf bank_mask:0xf bound_ctrl:1
	;; [unrolled: 2-line block ×3, first 2 shown]
	v_add_f32_e32 v34, v2, v6
	v_cvt_f32_i32_dpp v9, v9 row_shr:1 row_mask:0xf bank_mask:0xf bound_ctrl:1
	v_cvt_i32_f32_e32 v2, v55
	v_add_f32_e32 v23, v4, v8
	v_add_f32_e32 v31, v3, v7
	v_cvt_i32_f32_e32 v3, v53
	v_add_f32_e32 v18, v5, v9
	v_cvt_i32_f32_e32 v5, v52
	v_cvt_f32_i32_dpp v2, v2 row_shr:8 row_mask:0xf bank_mask:0xf bound_ctrl:1
	v_cvt_i32_f32_e32 v6, v54
	v_cvt_f32_i32_dpp v3, v3 row_shr:8 row_mask:0xf bank_mask:0xf bound_ctrl:1
	v_cvt_i32_f32_e32 v4, v56
	v_cvt_f32_i32_dpp v5, v5 row_shr:8 row_mask:0xf bank_mask:0xf bound_ctrl:1
	v_add_f32_e32 v2, v55, v2
	v_cvt_f32_i32_dpp v6, v6 row_shr:8 row_mask:0xf bank_mask:0xf bound_ctrl:1
	v_add_f32_e32 v3, v53, v3
	v_cvt_f32_i32_dpp v4, v4 row_shr:8 row_mask:0xf bank_mask:0xf bound_ctrl:1
	v_add_f32_e32 v5, v52, v5
	v_cvt_i32_f32_e32 v7, v2
	v_add_f32_e32 v6, v54, v6
	v_cvt_i32_f32_e32 v8, v3
	v_cvt_f32_i32_dpp v0, v0 row_shr:1 row_mask:0xf bank_mask:0xf bound_ctrl:1
	v_cvt_i32_f32_e32 v10, v5
	v_cvt_f32_i32_dpp v7, v7 row_shr:4 row_mask:0xf bank_mask:0xf bound_ctrl:1
	;; [unrolled: 2-line block ×3, first 2 shown]
	v_add_f32_e32 v0, v1, v0
	v_cvt_f32_i32_dpp v10, v10 row_shr:4 row_mask:0xf bank_mask:0xf bound_ctrl:1
	v_add_f32_e32 v4, v56, v4
	s_delay_alu instid0(VALU_DEP_4) | instskip(SKIP_1) | instid1(VALU_DEP_4)
	v_dual_add_f32 v2, v2, v7 :: v_dual_add_f32 v3, v3, v8
	v_cvt_f32_i32_dpp v11, v11 row_shr:4 row_mask:0xf bank_mask:0xf bound_ctrl:1
	v_add_f32_e32 v5, v5, v10
	s_delay_alu instid0(VALU_DEP_4) | instskip(NEXT) | instid1(VALU_DEP_4)
	v_cvt_i32_f32_e32 v9, v4
	v_cvt_i32_f32_e32 v7, v2
	;; [unrolled: 1-line block ×3, first 2 shown]
	ds_bpermute_b32 v38, v45, v37
	v_cvt_i32_f32_e32 v10, v5
	v_cvt_f32_i32_dpp v9, v9 row_shr:4 row_mask:0xf bank_mask:0xf bound_ctrl:1
	v_cvt_f32_i32_dpp v7, v7 row_shr:2 row_mask:0xf bank_mask:0xf bound_ctrl:1
	;; [unrolled: 1-line block ×3, first 2 shown]
	ds_bpermute_b32 v1, v45, v0
	v_cvt_f32_i32_dpp v10, v10 row_shr:2 row_mask:0xf bank_mask:0xf bound_ctrl:1
	v_add_f32_e32 v4, v4, v9
	v_dual_add_f32 v6, v6, v11 :: v_dual_add_f32 v3, v3, v8
	ds_bpermute_b32 v35, v45, v34
	v_add_f32_e32 v5, v5, v10
	v_cvt_i32_f32_e32 v9, v4
	v_cvt_i32_f32_e32 v11, v6
	;; [unrolled: 1-line block ×3, first 2 shown]
	ds_bpermute_b32 v32, v45, v31
	v_cvt_i32_f32_e32 v10, v5
	v_cvt_f32_i32_dpp v9, v9 row_shr:2 row_mask:0xf bank_mask:0xf bound_ctrl:1
	v_cvt_f32_i32_dpp v11, v11 row_shr:2 row_mask:0xf bank_mask:0xf bound_ctrl:1
	;; [unrolled: 1-line block ×3, first 2 shown]
	ds_bpermute_b32 v24, v45, v23
	v_cvt_f32_i32_dpp v10, v10 row_shr:1 row_mask:0xf bank_mask:0xf bound_ctrl:1
	ds_bpermute_b32 v19, v45, v18
	v_add_f32_e32 v20, v3, v8
	v_cvt_i32_f32_e32 v3, v50
	v_add_f32_e32 v12, v5, v10
	v_cvt_i32_f32_e32 v5, v48
	s_delay_alu instid0(VALU_DEP_3) | instskip(NEXT) | instid1(VALU_DEP_2)
	v_cvt_f32_i32_dpp v3, v3 row_shr:8 row_mask:0xf bank_mask:0xf bound_ctrl:1
	v_cvt_f32_i32_dpp v5, v5 row_shr:8 row_mask:0xf bank_mask:0xf bound_ctrl:1
	v_add_f32_e32 v2, v2, v7
	s_delay_alu instid0(VALU_DEP_3) | instskip(SKIP_4) | instid1(VALU_DEP_3)
	v_add_f32_e32 v3, v50, v3
	ds_bpermute_b32 v22, v45, v20
	v_add_f32_e32 v5, v48, v5
	v_cvt_i32_f32_e32 v7, v2
	v_cvt_i32_f32_e32 v10, v3
	;; [unrolled: 1-line block ×3, first 2 shown]
	s_delay_alu instid0(VALU_DEP_3) | instskip(SKIP_1) | instid1(VALU_DEP_4)
	v_cvt_f32_i32_dpp v7, v7 row_shr:1 row_mask:0xf bank_mask:0xf bound_ctrl:1
	v_add_f32_e32 v4, v4, v9
	v_cvt_f32_i32_dpp v10, v10 row_shr:4 row_mask:0xf bank_mask:0xf bound_ctrl:1
	v_add_f32_e32 v6, v6, v11
	;; [unrolled: 2-line block ×3, first 2 shown]
	v_cvt_i32_f32_e32 v9, v4
	v_add_f32_e32 v3, v3, v10
	v_cvt_i32_f32_e32 v11, v6
	v_cvt_i32_f32_e32 v2, v51
	v_add_f32_e32 v5, v5, v14
	v_cvt_f32_i32_dpp v9, v9 row_shr:1 row_mask:0xf bank_mask:0xf bound_ctrl:1
	v_cvt_i32_f32_e32 v10, v3
	v_cvt_f32_i32_dpp v11, v11 row_shr:1 row_mask:0xf bank_mask:0xf bound_ctrl:1
	v_cvt_f32_i32_dpp v2, v2 row_shr:8 row_mask:0xf bank_mask:0xf bound_ctrl:1
	v_cvt_i32_f32_e32 v14, v5
	v_add_f32_e32 v16, v4, v9
	v_cvt_i32_f32_e32 v4, v49
	v_cvt_f32_i32_dpp v10, v10 row_shr:2 row_mask:0xf bank_mask:0xf bound_ctrl:1
	v_add_f32_e32 v8, v6, v11
	v_cvt_i32_f32_e32 v6, v47
	v_add_f32_e32 v2, v51, v2
	v_cvt_f32_i32_dpp v4, v4 row_shr:8 row_mask:0xf bank_mask:0xf bound_ctrl:1
	v_add_f32_e32 v3, v3, v10
	v_cvt_f32_i32_dpp v14, v14 row_shr:2 row_mask:0xf bank_mask:0xf bound_ctrl:1
	v_cvt_f32_i32_dpp v6, v6 row_shr:8 row_mask:0xf bank_mask:0xf bound_ctrl:1
	v_cvt_i32_f32_e32 v7, v2
	v_add_f32_e32 v4, v49, v4
	v_cvt_i32_f32_e32 v10, v3
	v_add_f32_e32 v5, v5, v14
	v_add_f32_e32 v6, v47, v6
	v_cvt_f32_i32_dpp v7, v7 row_shr:4 row_mask:0xf bank_mask:0xf bound_ctrl:1
	v_cvt_i32_f32_e32 v11, v4
	v_cvt_f32_i32_dpp v10, v10 row_shr:1 row_mask:0xf bank_mask:0xf bound_ctrl:1
	v_cvt_i32_f32_e32 v14, v5
	v_cvt_i32_f32_e32 v15, v6
	v_add_f32_e32 v2, v2, v7
	v_cvt_f32_i32_dpp v11, v11 row_shr:4 row_mask:0xf bank_mask:0xf bound_ctrl:1
	v_add_f32_e32 v10, v3, v10
	v_cvt_f32_i32_dpp v21, v14 row_shr:1 row_mask:0xf bank_mask:0xf bound_ctrl:1
	v_cvt_f32_i32_dpp v15, v15 row_shr:4 row_mask:0xf bank_mask:0xf bound_ctrl:1
	v_cvt_i32_f32_e32 v7, v2
	v_add_f32_e32 v4, v4, v11
	ds_bpermute_b32 v27, v45, v25
	ds_bpermute_b32 v17, v45, v16
	v_add_f32_e32 v6, v6, v15
	v_cvt_f32_i32_dpp v7, v7 row_shr:2 row_mask:0xf bank_mask:0xf bound_ctrl:1
	v_cvt_i32_f32_e32 v11, v4
	ds_bpermute_b32 v9, v45, v8
	v_cvt_i32_f32_e32 v15, v6
	v_add_f32_e32 v2, v2, v7
	v_cvt_f32_i32_dpp v11, v11 row_shr:2 row_mask:0xf bank_mask:0xf bound_ctrl:1
	s_delay_alu instid0(VALU_DEP_3) | instskip(NEXT) | instid1(VALU_DEP_2)
	v_cvt_f32_i32_dpp v15, v15 row_shr:2 row_mask:0xf bank_mask:0xf bound_ctrl:1
	v_add_f32_e32 v4, v4, v11
	s_delay_alu instid0(VALU_DEP_2) | instskip(SKIP_1) | instid1(VALU_DEP_3)
	v_add_f32_e32 v7, v6, v15
	v_cvt_i32_f32_e32 v6, v2
	v_cvt_i32_f32_e32 v11, v4
	ds_bpermute_b32 v13, v45, v12
	v_cvt_i32_f32_e32 v15, v7
	v_cvt_f32_i32_dpp v6, v6 row_shr:1 row_mask:0xf bank_mask:0xf bound_ctrl:1
	v_cvt_f32_i32_dpp v11, v11 row_shr:1 row_mask:0xf bank_mask:0xf bound_ctrl:1
	s_delay_alu instid0(VALU_DEP_3) | instskip(NEXT) | instid1(VALU_DEP_3)
	v_cvt_f32_i32_dpp v15, v15 row_shr:1 row_mask:0xf bank_mask:0xf bound_ctrl:1
	v_add_f32_e32 v14, v2, v6
	s_delay_alu instid0(VALU_DEP_3)
	v_add_f32_e32 v6, v4, v11
	v_add_f32_e32 v4, v5, v21
	ds_bpermute_b32 v11, v45, v10
	v_add_f32_e32 v2, v7, v15
	ds_bpermute_b32 v15, v45, v14
	ds_bpermute_b32 v7, v45, v6
	;; [unrolled: 1-line block ×4, first 2 shown]
	s_and_saveexec_b32 s23, s0
	s_cbranch_execz .LBB257_13
; %bb.20:                               ;   in Loop: Header=BB257_14 Depth=1
	v_dual_mov_b32 v54, 0 :: v_dual_mov_b32 v53, 0
	v_dual_mov_b32 v52, 0 :: v_dual_mov_b32 v51, 0
	;; [unrolled: 1-line block ×8, first 2 shown]
	s_and_not1_b32 vcc_lo, exec_lo, s19
	s_cbranch_vccnz .LBB257_22
; %bb.21:                               ;   in Loop: Header=BB257_14 Depth=1
	v_mul_hi_u32 v21, v28, v46
	v_or_b32_e32 v26, 1, v28
	v_or_b32_e32 v29, 2, v28
	v_or_b32_e32 v33, 3, v28
	v_mov_b32_e32 v58, v30
	v_mov_b32_e32 v62, v30
	v_mul_hi_u32 v36, v26, v46
	v_mul_hi_u32 v39, v29, v46
	v_mul_lo_u32 v21, v21, s2
	v_mul_hi_u32 v40, v33, v46
	v_mov_b32_e32 v70, v30
	v_mul_lo_u32 v36, v36, s2
	v_mul_lo_u32 v39, v39, s2
	v_sub_nc_u32_e32 v21, v28, v21
	v_mul_lo_u32 v41, v40, s2
	s_delay_alu instid0(VALU_DEP_2)
	v_subrev_nc_u32_e32 v47, s2, v21
	v_sub_nc_u32_e32 v26, v26, v36
	v_cmp_le_u32_e32 vcc_lo, s2, v21
	v_mov_b32_e32 v40, v30
	v_sub_nc_u32_e32 v29, v29, v39
	v_sub_nc_u32_e32 v33, v33, v41
	v_subrev_nc_u32_e32 v36, s2, v26
	v_cndmask_b32_e32 v21, v21, v47, vcc_lo
	v_cmp_le_u32_e32 vcc_lo, s2, v26
	v_subrev_nc_u32_e32 v39, s2, v29
	v_subrev_nc_u32_e32 v41, s2, v33
	s_delay_alu instid0(VALU_DEP_4)
	v_subrev_nc_u32_e32 v47, s2, v21
	v_cndmask_b32_e32 v26, v26, v36, vcc_lo
	v_cmp_le_u32_e32 vcc_lo, s2, v29
	v_cndmask_b32_e32 v36, v29, v39, vcc_lo
	v_cmp_le_u32_e32 vcc_lo, s2, v33
	v_mov_b32_e32 v42, v30
	v_subrev_nc_u32_e32 v39, s2, v26
	v_cndmask_b32_e32 v33, v33, v41, vcc_lo
	v_cmp_le_u32_e32 vcc_lo, s2, v21
	v_dual_mov_b32 v48, v30 :: v_dual_cndmask_b32 v29, v21, v47
	v_cmp_le_u32_e32 vcc_lo, s2, v26
	s_delay_alu instid0(VALU_DEP_4) | instskip(NEXT) | instid1(VALU_DEP_3)
	v_subrev_nc_u32_e32 v47, s2, v33
	v_add_nc_u32_e32 v57, s20, v29
	v_subrev_nc_u32_e32 v21, s2, v36
	v_cndmask_b32_e32 v39, v26, v39, vcc_lo
	v_cmp_le_u32_e32 vcc_lo, s2, v36
	v_lshlrev_b64 v[49:50], 1, v[29:30]
	s_delay_alu instid0(VALU_DEP_3) | instskip(SKIP_3) | instid1(VALU_DEP_3)
	v_lshlrev_b64 v[51:52], 1, v[39:40]
	v_cndmask_b32_e32 v41, v36, v21, vcc_lo
	v_cmp_le_u32_e32 vcc_lo, s2, v33
	v_add_nc_u32_e32 v69, s21, v39
	v_lshlrev_b64 v[53:54], 1, v[41:42]
	v_cndmask_b32_e32 v47, v33, v47, vcc_lo
	v_add_co_u32 v49, vcc_lo, s8, v49
	v_add_co_ci_u32_e32 v50, vcc_lo, s9, v50, vcc_lo
	v_add_co_u32 v51, vcc_lo, s8, v51
	v_add_co_ci_u32_e32 v52, vcc_lo, s9, v52, vcc_lo
	v_lshlrev_b64 v[55:56], 1, v[47:48]
	v_add_co_u32 v59, vcc_lo, s8, v53
	v_add_co_ci_u32_e32 v60, vcc_lo, s9, v54, vcc_lo
	v_lshlrev_b64 v[53:54], 1, v[57:58]
	v_add_nc_u32_e32 v57, s20, v39
	v_add_co_u32 v55, vcc_lo, s8, v55
	v_add_nc_u32_e32 v61, s20, v41
	v_add_co_ci_u32_e32 v56, vcc_lo, s9, v56, vcc_lo
	s_delay_alu instid0(VALU_DEP_4)
	v_lshlrev_b64 v[57:58], 1, v[57:58]
	v_add_co_u32 v63, vcc_lo, s8, v53
	v_add_co_ci_u32_e32 v64, vcc_lo, s9, v54, vcc_lo
	v_lshlrev_b64 v[53:54], 1, v[61:62]
	v_add_nc_u32_e32 v61, s20, v47
	v_add_co_u32 v57, vcc_lo, s8, v57
	v_add_co_ci_u32_e32 v58, vcc_lo, s9, v58, vcc_lo
	s_delay_alu instid0(VALU_DEP_3) | instskip(SKIP_3) | instid1(VALU_DEP_4)
	v_lshlrev_b64 v[61:62], 1, v[61:62]
	v_add_co_u32 v65, vcc_lo, s8, v53
	v_add_co_ci_u32_e32 v66, vcc_lo, s9, v54, vcc_lo
	v_dual_mov_b32 v54, v30 :: v_dual_add_nc_u32 v53, s21, v29
	v_add_co_u32 v61, vcc_lo, s8, v61
	v_add_co_ci_u32_e32 v62, vcc_lo, s9, v62, vcc_lo
	s_delay_alu instid0(VALU_DEP_3)
	v_lshlrev_b64 v[67:68], 1, v[53:54]
	s_clause 0x7
	global_load_u16 v54, v[49:50], off
	global_load_u16 v53, v[51:52], off
	;; [unrolled: 1-line block ×8, first 2 shown]
	v_dual_mov_b32 v58, v30 :: v_dual_add_nc_u32 v57, s21, v41
	v_mov_b32_e32 v62, v30
	v_lshlrev_b64 v[55:56], 1, v[69:70]
	v_add_nc_u32_e32 v29, s22, v29
	v_add_nc_u32_e32 v61, s21, v47
	v_add_co_u32 v59, vcc_lo, s8, v67
	v_lshlrev_b64 v[57:58], 1, v[57:58]
	v_add_co_ci_u32_e32 v60, vcc_lo, s9, v68, vcc_lo
	v_lshlrev_b64 v[63:64], 1, v[29:30]
	v_add_nc_u32_e32 v29, s22, v39
	v_add_co_u32 v55, vcc_lo, s8, v55
	v_lshlrev_b64 v[61:62], 1, v[61:62]
	v_add_co_ci_u32_e32 v56, vcc_lo, s9, v56, vcc_lo
	v_add_co_u32 v57, vcc_lo, s8, v57
	v_lshlrev_b64 v[39:40], 1, v[29:30]
	v_add_nc_u32_e32 v29, s22, v41
	v_add_co_ci_u32_e32 v58, vcc_lo, s9, v58, vcc_lo
	v_add_co_u32 v61, vcc_lo, s8, v61
	v_add_co_ci_u32_e32 v62, vcc_lo, s9, v62, vcc_lo
	v_add_co_u32 v63, vcc_lo, s8, v63
	v_lshlrev_b64 v[65:66], 1, v[29:30]
	v_add_nc_u32_e32 v29, s22, v47
	v_add_co_ci_u32_e32 v64, vcc_lo, s9, v64, vcc_lo
	v_add_co_u32 v67, vcc_lo, s8, v39
	v_add_co_ci_u32_e32 v68, vcc_lo, s9, v40, vcc_lo
	s_delay_alu instid0(VALU_DEP_4) | instskip(SKIP_2) | instid1(VALU_DEP_3)
	v_lshlrev_b64 v[39:40], 1, v[29:30]
	v_add_co_u32 v65, vcc_lo, s8, v65
	v_add_co_ci_u32_e32 v66, vcc_lo, s9, v66, vcc_lo
	v_add_co_u32 v69, vcc_lo, s8, v39
	s_delay_alu instid0(VALU_DEP_4)
	v_add_co_ci_u32_e32 v70, vcc_lo, s9, v40, vcc_lo
	s_clause 0x7
	global_load_u16 v47, v[59:60], off
	global_load_u16 v41, v[55:56], off
	;; [unrolled: 1-line block ×8, first 2 shown]
.LBB257_22:                             ;   in Loop: Header=BB257_14 Depth=1
	s_waitcnt lgkmcnt(15)
	v_add_f32_e32 v29, v37, v38
	s_waitcnt vmcnt(15)
	v_lshlrev_b32_e32 v37, 16, v54
	s_delay_alu instid0(VALU_DEP_1) | instskip(NEXT) | instid1(VALU_DEP_1)
	v_add_f32_e32 v29, v29, v37
	v_and_b32_e32 v37, 0x7f800000, v29
	s_delay_alu instid0(VALU_DEP_1) | instskip(SKIP_1) | instid1(SALU_CYCLE_1)
	v_cmp_ne_u32_e32 vcc_lo, 0x7f800000, v37
                                        ; implicit-def: $vgpr37
	s_and_saveexec_b32 s24, vcc_lo
	s_xor_b32 s24, exec_lo, s24
; %bb.23:                               ;   in Loop: Header=BB257_14 Depth=1
	v_bfe_u32 v37, v29, 16, 1
	s_delay_alu instid0(VALU_DEP_1)
	v_add3_u32 v37, v29, v37, 0x7fff
                                        ; implicit-def: $vgpr29
; %bb.24:                               ;   in Loop: Header=BB257_14 Depth=1
	s_and_not1_saveexec_b32 s24, s24
; %bb.25:                               ;   in Loop: Header=BB257_14 Depth=1
	v_and_b32_e32 v37, 0xffff, v29
	v_or_b32_e32 v38, 0x10000, v29
	s_delay_alu instid0(VALU_DEP_2) | instskip(NEXT) | instid1(VALU_DEP_2)
	v_cmp_eq_u32_e32 vcc_lo, 0, v37
	v_cndmask_b32_e32 v37, v38, v29, vcc_lo
; %bb.26:                               ;   in Loop: Header=BB257_14 Depth=1
	s_or_b32 exec_lo, exec_lo, s24
	s_waitcnt lgkmcnt(14)
	v_dual_add_f32 v0, v0, v1 :: v_dual_mov_b32 v29, v30
	s_waitcnt vmcnt(14)
	v_lshlrev_b32_e32 v1, 16, v53
	s_delay_alu instid0(VALU_DEP_1) | instskip(NEXT) | instid1(VALU_DEP_3)
	v_add_f32_e32 v38, v0, v1
	v_lshlrev_b64 v[0:1], 1, v[28:29]
	s_delay_alu instid0(VALU_DEP_2) | instskip(NEXT) | instid1(VALU_DEP_2)
	v_and_b32_e32 v29, 0x7f800000, v38
	v_add_co_u32 v0, vcc_lo, s10, v0
	s_delay_alu instid0(VALU_DEP_3) | instskip(NEXT) | instid1(VALU_DEP_3)
	v_add_co_ci_u32_e32 v1, vcc_lo, s11, v1, vcc_lo
	v_cmp_ne_u32_e32 vcc_lo, 0x7f800000, v29
                                        ; implicit-def: $vgpr29
	global_store_d16_hi_b16 v[0:1], v37, off
	s_and_saveexec_b32 s24, vcc_lo
	s_delay_alu instid0(SALU_CYCLE_1)
	s_xor_b32 s24, exec_lo, s24
; %bb.27:                               ;   in Loop: Header=BB257_14 Depth=1
	v_bfe_u32 v29, v38, 16, 1
	s_delay_alu instid0(VALU_DEP_1)
	v_add3_u32 v29, v38, v29, 0x7fff
                                        ; implicit-def: $vgpr38
; %bb.28:                               ;   in Loop: Header=BB257_14 Depth=1
	s_and_not1_saveexec_b32 s24, s24
; %bb.29:                               ;   in Loop: Header=BB257_14 Depth=1
	v_and_b32_e32 v29, 0xffff, v38
	v_or_b32_e32 v37, 0x10000, v38
	s_delay_alu instid0(VALU_DEP_2) | instskip(NEXT) | instid1(VALU_DEP_2)
	v_cmp_eq_u32_e32 vcc_lo, 0, v29
	v_cndmask_b32_e32 v29, v37, v38, vcc_lo
; %bb.30:                               ;   in Loop: Header=BB257_14 Depth=1
	s_or_b32 exec_lo, exec_lo, s24
	s_waitcnt vmcnt(13) lgkmcnt(13)
	v_dual_add_f32 v34, v34, v35 :: v_dual_lshlrev_b32 v35, 16, v52
	s_mov_b32 s24, exec_lo
	global_store_d16_hi_b16 v[0:1], v29, off offset:2
                                        ; implicit-def: $vgpr29
	v_add_f32_e32 v34, v34, v35
	s_delay_alu instid0(VALU_DEP_1) | instskip(NEXT) | instid1(VALU_DEP_1)
	v_and_b32_e32 v35, 0x7f800000, v34
	v_cmpx_ne_u32_e32 0x7f800000, v35
	s_xor_b32 s24, exec_lo, s24
; %bb.31:                               ;   in Loop: Header=BB257_14 Depth=1
	v_bfe_u32 v29, v34, 16, 1
	s_delay_alu instid0(VALU_DEP_1)
	v_add3_u32 v29, v34, v29, 0x7fff
                                        ; implicit-def: $vgpr34
; %bb.32:                               ;   in Loop: Header=BB257_14 Depth=1
	s_and_not1_saveexec_b32 s24, s24
; %bb.33:                               ;   in Loop: Header=BB257_14 Depth=1
	v_and_b32_e32 v29, 0xffff, v34
	v_or_b32_e32 v35, 0x10000, v34
	s_delay_alu instid0(VALU_DEP_2) | instskip(NEXT) | instid1(VALU_DEP_2)
	v_cmp_eq_u32_e32 vcc_lo, 0, v29
	v_cndmask_b32_e32 v29, v35, v34, vcc_lo
; %bb.34:                               ;   in Loop: Header=BB257_14 Depth=1
	s_or_b32 exec_lo, exec_lo, s24
	s_waitcnt vmcnt(12) lgkmcnt(12)
	v_dual_add_f32 v31, v31, v32 :: v_dual_lshlrev_b32 v32, 16, v51
	s_mov_b32 s24, exec_lo
	global_store_d16_hi_b16 v[0:1], v29, off offset:4
                                        ; implicit-def: $vgpr29
	v_add_f32_e32 v31, v31, v32
	s_delay_alu instid0(VALU_DEP_1) | instskip(NEXT) | instid1(VALU_DEP_1)
	v_and_b32_e32 v32, 0x7f800000, v31
	v_cmpx_ne_u32_e32 0x7f800000, v32
	s_xor_b32 s24, exec_lo, s24
; %bb.35:                               ;   in Loop: Header=BB257_14 Depth=1
	v_bfe_u32 v29, v31, 16, 1
	s_delay_alu instid0(VALU_DEP_1)
	v_add3_u32 v29, v31, v29, 0x7fff
                                        ; implicit-def: $vgpr31
; %bb.36:                               ;   in Loop: Header=BB257_14 Depth=1
	s_and_not1_saveexec_b32 s24, s24
; %bb.37:                               ;   in Loop: Header=BB257_14 Depth=1
	v_and_b32_e32 v29, 0xffff, v31
	v_or_b32_e32 v32, 0x10000, v31
	s_delay_alu instid0(VALU_DEP_2) | instskip(NEXT) | instid1(VALU_DEP_2)
	v_cmp_eq_u32_e32 vcc_lo, 0, v29
	v_cndmask_b32_e32 v29, v32, v31, vcc_lo
; %bb.38:                               ;   in Loop: Header=BB257_14 Depth=1
	s_or_b32 exec_lo, exec_lo, s24
	s_waitcnt vmcnt(11) lgkmcnt(11)
	v_dual_add_f32 v23, v23, v24 :: v_dual_lshlrev_b32 v24, 16, v50
	s_mov_b32 s24, exec_lo
	global_store_d16_hi_b16 v[0:1], v29, off offset:6
                                        ; implicit-def: $vgpr0
	v_add_f32_e32 v23, v23, v24
	s_delay_alu instid0(VALU_DEP_1) | instskip(NEXT) | instid1(VALU_DEP_1)
	v_and_b32_e32 v24, 0x7f800000, v23
	v_cmpx_ne_u32_e32 0x7f800000, v24
	s_xor_b32 s24, exec_lo, s24
; %bb.39:                               ;   in Loop: Header=BB257_14 Depth=1
	v_bfe_u32 v0, v23, 16, 1
	s_delay_alu instid0(VALU_DEP_1)
	v_add3_u32 v0, v23, v0, 0x7fff
                                        ; implicit-def: $vgpr23
; %bb.40:                               ;   in Loop: Header=BB257_14 Depth=1
	s_and_not1_saveexec_b32 s24, s24
; %bb.41:                               ;   in Loop: Header=BB257_14 Depth=1
	v_and_b32_e32 v0, 0xffff, v23
	v_or_b32_e32 v1, 0x10000, v23
	s_delay_alu instid0(VALU_DEP_2) | instskip(NEXT) | instid1(VALU_DEP_2)
	v_cmp_eq_u32_e32 vcc_lo, 0, v0
	v_cndmask_b32_e32 v0, v1, v23, vcc_lo
; %bb.42:                               ;   in Loop: Header=BB257_14 Depth=1
	s_or_b32 exec_lo, exec_lo, s24
	s_waitcnt vmcnt(10) lgkmcnt(10)
	v_dual_add_f32 v1, v18, v19 :: v_dual_lshlrev_b32 v18, 16, v49
	v_add_nc_u32_e32 v29, s7, v28
	s_mov_b32 s24, exec_lo
	s_delay_alu instid0(VALU_DEP_2) | instskip(NEXT) | instid1(VALU_DEP_2)
	v_add_f32_e32 v1, v1, v18
	v_lshlrev_b64 v[18:19], 1, v[29:30]
	s_delay_alu instid0(VALU_DEP_2) | instskip(NEXT) | instid1(VALU_DEP_2)
	v_and_b32_e32 v23, 0x7f800000, v1
	v_add_co_u32 v18, vcc_lo, s10, v18
	s_delay_alu instid0(VALU_DEP_3)
	v_add_co_ci_u32_e32 v19, vcc_lo, s11, v19, vcc_lo
	global_store_d16_hi_b16 v[18:19], v0, off
                                        ; implicit-def: $vgpr0
	v_cmpx_ne_u32_e32 0x7f800000, v23
	s_xor_b32 s24, exec_lo, s24
; %bb.43:                               ;   in Loop: Header=BB257_14 Depth=1
	v_bfe_u32 v0, v1, 16, 1
	s_delay_alu instid0(VALU_DEP_1)
	v_add3_u32 v0, v1, v0, 0x7fff
                                        ; implicit-def: $vgpr1
; %bb.44:                               ;   in Loop: Header=BB257_14 Depth=1
	s_and_not1_saveexec_b32 s24, s24
; %bb.45:                               ;   in Loop: Header=BB257_14 Depth=1
	v_and_b32_e32 v0, 0xffff, v1
	v_or_b32_e32 v18, 0x10000, v1
	s_delay_alu instid0(VALU_DEP_2) | instskip(NEXT) | instid1(VALU_DEP_2)
	v_cmp_eq_u32_e32 vcc_lo, 0, v0
	v_cndmask_b32_e32 v0, v18, v1, vcc_lo
; %bb.46:                               ;   in Loop: Header=BB257_14 Depth=1
	s_or_b32 exec_lo, exec_lo, s24
	s_waitcnt lgkmcnt(8)
	v_dual_add_f32 v1, v25, v27 :: v_dual_add_nc_u32 v18, 1, v29
	v_mov_b32_e32 v19, v30
	s_waitcnt vmcnt(9)
	v_lshlrev_b32_e32 v23, 16, v48
	s_mov_b32 s24, exec_lo
	s_delay_alu instid0(VALU_DEP_2) | instskip(NEXT) | instid1(VALU_DEP_2)
	v_lshlrev_b64 v[18:19], 1, v[18:19]
	v_add_f32_e32 v1, v1, v23
	s_delay_alu instid0(VALU_DEP_1) | instskip(NEXT) | instid1(VALU_DEP_3)
	v_and_b32_e32 v23, 0x7f800000, v1
	v_add_co_u32 v18, vcc_lo, s10, v18
	s_delay_alu instid0(VALU_DEP_4)
	v_add_co_ci_u32_e32 v19, vcc_lo, s11, v19, vcc_lo
	global_store_d16_hi_b16 v[18:19], v0, off
                                        ; implicit-def: $vgpr0
	v_cmpx_ne_u32_e32 0x7f800000, v23
	s_xor_b32 s24, exec_lo, s24
; %bb.47:                               ;   in Loop: Header=BB257_14 Depth=1
	v_bfe_u32 v0, v1, 16, 1
	s_delay_alu instid0(VALU_DEP_1)
	v_add3_u32 v0, v1, v0, 0x7fff
                                        ; implicit-def: $vgpr1
; %bb.48:                               ;   in Loop: Header=BB257_14 Depth=1
	s_and_not1_saveexec_b32 s24, s24
; %bb.49:                               ;   in Loop: Header=BB257_14 Depth=1
	v_and_b32_e32 v0, 0xffff, v1
	v_or_b32_e32 v18, 0x10000, v1
	s_delay_alu instid0(VALU_DEP_2) | instskip(NEXT) | instid1(VALU_DEP_2)
	v_cmp_eq_u32_e32 vcc_lo, 0, v0
	v_cndmask_b32_e32 v0, v18, v1, vcc_lo
; %bb.50:                               ;   in Loop: Header=BB257_14 Depth=1
	s_or_b32 exec_lo, exec_lo, s24
	v_dual_add_f32 v1, v20, v22 :: v_dual_add_nc_u32 v18, 2, v29
	s_waitcnt vmcnt(8)
	v_dual_mov_b32 v19, v30 :: v_dual_lshlrev_b32 v20, 16, v42
	s_mov_b32 s24, exec_lo
	s_delay_alu instid0(VALU_DEP_1) | instskip(NEXT) | instid1(VALU_DEP_2)
	v_add_f32_e32 v1, v1, v20
	v_lshlrev_b64 v[18:19], 1, v[18:19]
	s_delay_alu instid0(VALU_DEP_2) | instskip(NEXT) | instid1(VALU_DEP_2)
	v_and_b32_e32 v20, 0x7f800000, v1
	v_add_co_u32 v18, vcc_lo, s10, v18
	s_delay_alu instid0(VALU_DEP_3)
	v_add_co_ci_u32_e32 v19, vcc_lo, s11, v19, vcc_lo
	global_store_d16_hi_b16 v[18:19], v0, off
                                        ; implicit-def: $vgpr0
	v_cmpx_ne_u32_e32 0x7f800000, v20
	s_xor_b32 s24, exec_lo, s24
; %bb.51:                               ;   in Loop: Header=BB257_14 Depth=1
	v_bfe_u32 v0, v1, 16, 1
	s_delay_alu instid0(VALU_DEP_1)
	v_add3_u32 v0, v1, v0, 0x7fff
                                        ; implicit-def: $vgpr1
; %bb.52:                               ;   in Loop: Header=BB257_14 Depth=1
	s_and_not1_saveexec_b32 s24, s24
; %bb.53:                               ;   in Loop: Header=BB257_14 Depth=1
	v_and_b32_e32 v0, 0xffff, v1
	v_or_b32_e32 v18, 0x10000, v1
	s_delay_alu instid0(VALU_DEP_2) | instskip(NEXT) | instid1(VALU_DEP_2)
	v_cmp_eq_u32_e32 vcc_lo, 0, v0
	v_cndmask_b32_e32 v0, v18, v1, vcc_lo
; %bb.54:                               ;   in Loop: Header=BB257_14 Depth=1
	s_or_b32 exec_lo, exec_lo, s24
	s_waitcnt vmcnt(7) lgkmcnt(7)
	v_dual_add_f32 v1, v16, v17 :: v_dual_lshlrev_b32 v18, 16, v47
	v_dual_mov_b32 v17, v30 :: v_dual_add_nc_u32 v16, 3, v29
	s_mov_b32 s24, exec_lo
	s_delay_alu instid0(VALU_DEP_2) | instskip(NEXT) | instid1(VALU_DEP_2)
	v_add_f32_e32 v1, v1, v18
	v_lshlrev_b64 v[16:17], 1, v[16:17]
	s_delay_alu instid0(VALU_DEP_2) | instskip(NEXT) | instid1(VALU_DEP_2)
	v_and_b32_e32 v18, 0x7f800000, v1
	v_add_co_u32 v16, vcc_lo, s10, v16
	s_delay_alu instid0(VALU_DEP_3)
	v_add_co_ci_u32_e32 v17, vcc_lo, s11, v17, vcc_lo
	global_store_d16_hi_b16 v[16:17], v0, off
                                        ; implicit-def: $vgpr16
	v_cmpx_ne_u32_e32 0x7f800000, v18
	s_xor_b32 s24, exec_lo, s24
; %bb.55:                               ;   in Loop: Header=BB257_14 Depth=1
	v_bfe_u32 v0, v1, 16, 1
	s_delay_alu instid0(VALU_DEP_1)
	v_add3_u32 v16, v1, v0, 0x7fff
                                        ; implicit-def: $vgpr1
; %bb.56:                               ;   in Loop: Header=BB257_14 Depth=1
	s_and_not1_saveexec_b32 s24, s24
; %bb.57:                               ;   in Loop: Header=BB257_14 Depth=1
	v_and_b32_e32 v0, 0xffff, v1
	v_or_b32_e32 v16, 0x10000, v1
	s_delay_alu instid0(VALU_DEP_2) | instskip(NEXT) | instid1(VALU_DEP_2)
	v_cmp_eq_u32_e32 vcc_lo, 0, v0
	v_cndmask_b32_e32 v16, v16, v1, vcc_lo
; %bb.58:                               ;   in Loop: Header=BB257_14 Depth=1
	s_or_b32 exec_lo, exec_lo, s24
	s_waitcnt lgkmcnt(5)
	v_add_f32_e32 v0, v12, v13
	s_waitcnt vmcnt(6)
	v_lshlrev_b32_e32 v1, 16, v41
	v_add_nc_u32_e32 v29, s7, v29
	s_delay_alu instid0(VALU_DEP_2) | instskip(NEXT) | instid1(VALU_DEP_2)
	v_add_f32_e32 v12, v0, v1
	v_lshlrev_b64 v[0:1], 1, v[29:30]
	s_delay_alu instid0(VALU_DEP_2) | instskip(NEXT) | instid1(VALU_DEP_2)
	v_and_b32_e32 v13, 0x7f800000, v12
	v_add_co_u32 v0, vcc_lo, s10, v0
	s_delay_alu instid0(VALU_DEP_3) | instskip(NEXT) | instid1(VALU_DEP_3)
	v_add_co_ci_u32_e32 v1, vcc_lo, s11, v1, vcc_lo
	v_cmp_ne_u32_e32 vcc_lo, 0x7f800000, v13
                                        ; implicit-def: $vgpr13
	global_store_d16_hi_b16 v[0:1], v16, off
	s_and_saveexec_b32 s24, vcc_lo
	s_delay_alu instid0(SALU_CYCLE_1)
	s_xor_b32 s24, exec_lo, s24
; %bb.59:                               ;   in Loop: Header=BB257_14 Depth=1
	v_bfe_u32 v13, v12, 16, 1
	s_delay_alu instid0(VALU_DEP_1)
	v_add3_u32 v13, v12, v13, 0x7fff
                                        ; implicit-def: $vgpr12
; %bb.60:                               ;   in Loop: Header=BB257_14 Depth=1
	s_and_not1_saveexec_b32 s24, s24
; %bb.61:                               ;   in Loop: Header=BB257_14 Depth=1
	v_and_b32_e32 v13, 0xffff, v12
	v_or_b32_e32 v16, 0x10000, v12
	s_delay_alu instid0(VALU_DEP_2) | instskip(NEXT) | instid1(VALU_DEP_2)
	v_cmp_eq_u32_e32 vcc_lo, 0, v13
	v_cndmask_b32_e32 v13, v16, v12, vcc_lo
; %bb.62:                               ;   in Loop: Header=BB257_14 Depth=1
	s_or_b32 exec_lo, exec_lo, s24
	s_waitcnt vmcnt(5)
	v_dual_add_f32 v8, v8, v9 :: v_dual_lshlrev_b32 v9, 16, v40
	s_mov_b32 s24, exec_lo
	global_store_d16_hi_b16 v[0:1], v13, off offset:2
                                        ; implicit-def: $vgpr0
	v_add_f32_e32 v8, v8, v9
	s_delay_alu instid0(VALU_DEP_1) | instskip(NEXT) | instid1(VALU_DEP_1)
	v_and_b32_e32 v9, 0x7f800000, v8
	v_cmpx_ne_u32_e32 0x7f800000, v9
	s_xor_b32 s24, exec_lo, s24
; %bb.63:                               ;   in Loop: Header=BB257_14 Depth=1
	v_bfe_u32 v0, v8, 16, 1
	s_delay_alu instid0(VALU_DEP_1)
	v_add3_u32 v0, v8, v0, 0x7fff
                                        ; implicit-def: $vgpr8
; %bb.64:                               ;   in Loop: Header=BB257_14 Depth=1
	s_and_not1_saveexec_b32 s24, s24
; %bb.65:                               ;   in Loop: Header=BB257_14 Depth=1
	v_and_b32_e32 v0, 0xffff, v8
	v_or_b32_e32 v1, 0x10000, v8
	s_delay_alu instid0(VALU_DEP_2) | instskip(NEXT) | instid1(VALU_DEP_2)
	v_cmp_eq_u32_e32 vcc_lo, 0, v0
	v_cndmask_b32_e32 v0, v1, v8, vcc_lo
; %bb.66:                               ;   in Loop: Header=BB257_14 Depth=1
	s_or_b32 exec_lo, exec_lo, s24
	s_waitcnt lgkmcnt(3)
	v_dual_add_f32 v1, v14, v15 :: v_dual_add_nc_u32 v8, 2, v29
	s_waitcnt vmcnt(4)
	v_dual_mov_b32 v9, v30 :: v_dual_lshlrev_b32 v12, 16, v39
	s_mov_b32 s24, exec_lo
	s_delay_alu instid0(VALU_DEP_1) | instskip(NEXT) | instid1(VALU_DEP_2)
	v_add_f32_e32 v1, v1, v12
	v_lshlrev_b64 v[8:9], 1, v[8:9]
	s_delay_alu instid0(VALU_DEP_2) | instskip(NEXT) | instid1(VALU_DEP_2)
	v_and_b32_e32 v12, 0x7f800000, v1
	v_add_co_u32 v8, vcc_lo, s10, v8
	s_delay_alu instid0(VALU_DEP_3)
	v_add_co_ci_u32_e32 v9, vcc_lo, s11, v9, vcc_lo
	global_store_d16_hi_b16 v[8:9], v0, off
                                        ; implicit-def: $vgpr0
	v_cmpx_ne_u32_e32 0x7f800000, v12
	s_xor_b32 s24, exec_lo, s24
; %bb.67:                               ;   in Loop: Header=BB257_14 Depth=1
	v_bfe_u32 v0, v1, 16, 1
	s_delay_alu instid0(VALU_DEP_1)
	v_add3_u32 v0, v1, v0, 0x7fff
                                        ; implicit-def: $vgpr1
; %bb.68:                               ;   in Loop: Header=BB257_14 Depth=1
	s_and_not1_saveexec_b32 s24, s24
; %bb.69:                               ;   in Loop: Header=BB257_14 Depth=1
	v_and_b32_e32 v0, 0xffff, v1
	v_or_b32_e32 v8, 0x10000, v1
	s_delay_alu instid0(VALU_DEP_2) | instskip(NEXT) | instid1(VALU_DEP_2)
	v_cmp_eq_u32_e32 vcc_lo, 0, v0
	v_cndmask_b32_e32 v0, v8, v1, vcc_lo
; %bb.70:                               ;   in Loop: Header=BB257_14 Depth=1
	s_or_b32 exec_lo, exec_lo, s24
	v_dual_add_f32 v1, v10, v11 :: v_dual_add_nc_u32 v8, 3, v29
	s_waitcnt vmcnt(3)
	v_dual_mov_b32 v9, v30 :: v_dual_lshlrev_b32 v10, 16, v36
	s_mov_b32 s24, exec_lo
	s_delay_alu instid0(VALU_DEP_1) | instskip(NEXT) | instid1(VALU_DEP_2)
	v_add_f32_e32 v1, v1, v10
	v_lshlrev_b64 v[8:9], 1, v[8:9]
	s_delay_alu instid0(VALU_DEP_2) | instskip(NEXT) | instid1(VALU_DEP_2)
	v_and_b32_e32 v10, 0x7f800000, v1
	v_add_co_u32 v8, vcc_lo, s10, v8
	s_delay_alu instid0(VALU_DEP_3)
	v_add_co_ci_u32_e32 v9, vcc_lo, s11, v9, vcc_lo
	global_store_d16_hi_b16 v[8:9], v0, off
                                        ; implicit-def: $vgpr0
	v_cmpx_ne_u32_e32 0x7f800000, v10
	s_xor_b32 s24, exec_lo, s24
; %bb.71:                               ;   in Loop: Header=BB257_14 Depth=1
	v_bfe_u32 v0, v1, 16, 1
	s_delay_alu instid0(VALU_DEP_1)
	v_add3_u32 v0, v1, v0, 0x7fff
                                        ; implicit-def: $vgpr1
; %bb.72:                               ;   in Loop: Header=BB257_14 Depth=1
	s_and_not1_saveexec_b32 s24, s24
; %bb.73:                               ;   in Loop: Header=BB257_14 Depth=1
	v_and_b32_e32 v0, 0xffff, v1
	v_or_b32_e32 v8, 0x10000, v1
	s_delay_alu instid0(VALU_DEP_2) | instskip(NEXT) | instid1(VALU_DEP_2)
	v_cmp_eq_u32_e32 vcc_lo, 0, v0
	v_cndmask_b32_e32 v0, v8, v1, vcc_lo
; %bb.74:                               ;   in Loop: Header=BB257_14 Depth=1
	s_or_b32 exec_lo, exec_lo, s24
	s_waitcnt vmcnt(2) lgkmcnt(2)
	v_dual_add_f32 v1, v6, v7 :: v_dual_lshlrev_b32 v6, 16, v33
	v_add_nc_u32_e32 v29, s7, v29
	s_mov_b32 s24, exec_lo
	s_delay_alu instid0(VALU_DEP_2) | instskip(NEXT) | instid1(VALU_DEP_2)
	v_add_f32_e32 v1, v1, v6
	v_lshlrev_b64 v[6:7], 1, v[29:30]
	s_delay_alu instid0(VALU_DEP_2) | instskip(NEXT) | instid1(VALU_DEP_2)
	v_and_b32_e32 v8, 0x7f800000, v1
	v_add_co_u32 v6, vcc_lo, s10, v6
	s_delay_alu instid0(VALU_DEP_3)
	v_add_co_ci_u32_e32 v7, vcc_lo, s11, v7, vcc_lo
	global_store_d16_hi_b16 v[6:7], v0, off
                                        ; implicit-def: $vgpr0
	v_cmpx_ne_u32_e32 0x7f800000, v8
	s_xor_b32 s24, exec_lo, s24
; %bb.75:                               ;   in Loop: Header=BB257_14 Depth=1
	v_bfe_u32 v0, v1, 16, 1
	s_delay_alu instid0(VALU_DEP_1)
	v_add3_u32 v0, v1, v0, 0x7fff
                                        ; implicit-def: $vgpr1
; %bb.76:                               ;   in Loop: Header=BB257_14 Depth=1
	s_and_not1_saveexec_b32 s24, s24
; %bb.77:                               ;   in Loop: Header=BB257_14 Depth=1
	v_and_b32_e32 v0, 0xffff, v1
	v_or_b32_e32 v6, 0x10000, v1
	s_delay_alu instid0(VALU_DEP_2) | instskip(NEXT) | instid1(VALU_DEP_2)
	v_cmp_eq_u32_e32 vcc_lo, 0, v0
	v_cndmask_b32_e32 v0, v6, v1, vcc_lo
; %bb.78:                               ;   in Loop: Header=BB257_14 Depth=1
	s_or_b32 exec_lo, exec_lo, s24
	s_waitcnt vmcnt(1) lgkmcnt(1)
	v_dual_add_f32 v1, v4, v5 :: v_dual_lshlrev_b32 v6, 16, v26
	v_dual_mov_b32 v5, v30 :: v_dual_add_nc_u32 v4, 1, v29
	s_mov_b32 s24, exec_lo
	s_delay_alu instid0(VALU_DEP_2) | instskip(NEXT) | instid1(VALU_DEP_2)
	v_add_f32_e32 v1, v1, v6
	v_lshlrev_b64 v[4:5], 1, v[4:5]
	s_delay_alu instid0(VALU_DEP_2) | instskip(NEXT) | instid1(VALU_DEP_2)
	v_and_b32_e32 v6, 0x7f800000, v1
	v_add_co_u32 v4, vcc_lo, s10, v4
	s_delay_alu instid0(VALU_DEP_3)
	v_add_co_ci_u32_e32 v5, vcc_lo, s11, v5, vcc_lo
	global_store_d16_hi_b16 v[4:5], v0, off
                                        ; implicit-def: $vgpr0
	v_cmpx_ne_u32_e32 0x7f800000, v6
	s_xor_b32 s24, exec_lo, s24
; %bb.79:                               ;   in Loop: Header=BB257_14 Depth=1
	v_bfe_u32 v0, v1, 16, 1
	s_delay_alu instid0(VALU_DEP_1)
	v_add3_u32 v0, v1, v0, 0x7fff
                                        ; implicit-def: $vgpr1
; %bb.80:                               ;   in Loop: Header=BB257_14 Depth=1
	s_and_not1_saveexec_b32 s24, s24
; %bb.81:                               ;   in Loop: Header=BB257_14 Depth=1
	v_and_b32_e32 v0, 0xffff, v1
	v_or_b32_e32 v4, 0x10000, v1
	s_delay_alu instid0(VALU_DEP_2) | instskip(NEXT) | instid1(VALU_DEP_2)
	v_cmp_eq_u32_e32 vcc_lo, 0, v0
	v_cndmask_b32_e32 v0, v4, v1, vcc_lo
; %bb.82:                               ;   in Loop: Header=BB257_14 Depth=1
	s_or_b32 exec_lo, exec_lo, s24
	s_waitcnt lgkmcnt(0)
	v_dual_add_f32 v1, v2, v3 :: v_dual_add_nc_u32 v2, 2, v29
	s_waitcnt vmcnt(0)
	v_dual_mov_b32 v3, v30 :: v_dual_lshlrev_b32 v4, 16, v21
	s_mov_b32 s24, exec_lo
	s_delay_alu instid0(VALU_DEP_1) | instskip(NEXT) | instid1(VALU_DEP_2)
	v_add_f32_e32 v1, v1, v4
	v_lshlrev_b64 v[2:3], 1, v[2:3]
	s_delay_alu instid0(VALU_DEP_2) | instskip(NEXT) | instid1(VALU_DEP_2)
	v_and_b32_e32 v4, 0x7f800000, v1
	v_add_co_u32 v2, vcc_lo, s10, v2
	s_delay_alu instid0(VALU_DEP_3)
	v_add_co_ci_u32_e32 v3, vcc_lo, s11, v3, vcc_lo
	global_store_d16_hi_b16 v[2:3], v0, off
                                        ; implicit-def: $vgpr0
	v_cmpx_ne_u32_e32 0x7f800000, v4
	s_xor_b32 s24, exec_lo, s24
; %bb.83:                               ;   in Loop: Header=BB257_14 Depth=1
	v_bfe_u32 v0, v1, 16, 1
	s_delay_alu instid0(VALU_DEP_1)
	v_add3_u32 v0, v1, v0, 0x7fff
                                        ; implicit-def: $vgpr1
; %bb.84:                               ;   in Loop: Header=BB257_14 Depth=1
	s_and_not1_saveexec_b32 s24, s24
	s_cbranch_execz .LBB257_12
; %bb.85:                               ;   in Loop: Header=BB257_14 Depth=1
	v_and_b32_e32 v0, 0xffff, v1
	v_or_b32_e32 v2, 0x10000, v1
	s_delay_alu instid0(VALU_DEP_2) | instskip(NEXT) | instid1(VALU_DEP_2)
	v_cmp_eq_u32_e32 vcc_lo, 0, v0
	v_cndmask_b32_e32 v0, v2, v1, vcc_lo
	s_branch .LBB257_12
.LBB257_86:
	s_nop 0
	s_sendmsg sendmsg(MSG_DEALLOC_VGPRS)
	s_endpgm
	.section	.rodata,"a",@progbits
	.p2align	6, 0x0
	.amdhsa_kernel _Z16wvSplitK_hf_sml_I14__hip_bfloat16Li32ELi4ELi16ELi8ELi1ELi4EEviiiiiiPKT_S3_S3_PS1_ii
		.amdhsa_group_segment_fixed_size 65536
		.amdhsa_private_segment_fixed_size 0
		.amdhsa_kernarg_size 64
		.amdhsa_user_sgpr_count 15
		.amdhsa_user_sgpr_dispatch_ptr 0
		.amdhsa_user_sgpr_queue_ptr 0
		.amdhsa_user_sgpr_kernarg_segment_ptr 1
		.amdhsa_user_sgpr_dispatch_id 0
		.amdhsa_user_sgpr_private_segment_size 0
		.amdhsa_wavefront_size32 1
		.amdhsa_uses_dynamic_stack 0
		.amdhsa_enable_private_segment 0
		.amdhsa_system_sgpr_workgroup_id_x 1
		.amdhsa_system_sgpr_workgroup_id_y 0
		.amdhsa_system_sgpr_workgroup_id_z 0
		.amdhsa_system_sgpr_workgroup_info 0
		.amdhsa_system_vgpr_workitem_id 1
		.amdhsa_next_free_vgpr 85
		.amdhsa_next_free_sgpr 25
		.amdhsa_reserve_vcc 1
		.amdhsa_float_round_mode_32 0
		.amdhsa_float_round_mode_16_64 0
		.amdhsa_float_denorm_mode_32 3
		.amdhsa_float_denorm_mode_16_64 3
		.amdhsa_dx10_clamp 1
		.amdhsa_ieee_mode 1
		.amdhsa_fp16_overflow 0
		.amdhsa_workgroup_processor_mode 1
		.amdhsa_memory_ordered 1
		.amdhsa_forward_progress 0
		.amdhsa_shared_vgpr_count 0
		.amdhsa_exception_fp_ieee_invalid_op 0
		.amdhsa_exception_fp_denorm_src 0
		.amdhsa_exception_fp_ieee_div_zero 0
		.amdhsa_exception_fp_ieee_overflow 0
		.amdhsa_exception_fp_ieee_underflow 0
		.amdhsa_exception_fp_ieee_inexact 0
		.amdhsa_exception_int_div_zero 0
	.end_amdhsa_kernel
	.section	.text._Z16wvSplitK_hf_sml_I14__hip_bfloat16Li32ELi4ELi16ELi8ELi1ELi4EEviiiiiiPKT_S3_S3_PS1_ii,"axG",@progbits,_Z16wvSplitK_hf_sml_I14__hip_bfloat16Li32ELi4ELi16ELi8ELi1ELi4EEviiiiiiPKT_S3_S3_PS1_ii,comdat
.Lfunc_end257:
	.size	_Z16wvSplitK_hf_sml_I14__hip_bfloat16Li32ELi4ELi16ELi8ELi1ELi4EEviiiiiiPKT_S3_S3_PS1_ii, .Lfunc_end257-_Z16wvSplitK_hf_sml_I14__hip_bfloat16Li32ELi4ELi16ELi8ELi1ELi4EEviiiiiiPKT_S3_S3_PS1_ii
                                        ; -- End function
	.section	.AMDGPU.csdata,"",@progbits
; Kernel info:
; codeLenInByte = 7288
; NumSgprs: 27
; NumVgprs: 85
; ScratchSize: 0
; MemoryBound: 0
; FloatMode: 240
; IeeeMode: 1
; LDSByteSize: 65536 bytes/workgroup (compile time only)
; SGPRBlocks: 3
; VGPRBlocks: 10
; NumSGPRsForWavesPerEU: 27
; NumVGPRsForWavesPerEU: 85
; Occupancy: 8
; WaveLimiterHint : 0
; COMPUTE_PGM_RSRC2:SCRATCH_EN: 0
; COMPUTE_PGM_RSRC2:USER_SGPR: 15
; COMPUTE_PGM_RSRC2:TRAP_HANDLER: 0
; COMPUTE_PGM_RSRC2:TGID_X_EN: 1
; COMPUTE_PGM_RSRC2:TGID_Y_EN: 0
; COMPUTE_PGM_RSRC2:TGID_Z_EN: 0
; COMPUTE_PGM_RSRC2:TIDIG_COMP_CNT: 1
	.section	.text._Z12wvSplitK_hf_I14__hip_bfloat16Li32ELi4ELi16ELi8ELi1ELi4EEviiiiiiPKT_S3_S3_PS1_ii,"axG",@progbits,_Z12wvSplitK_hf_I14__hip_bfloat16Li32ELi4ELi16ELi8ELi1ELi4EEviiiiiiPKT_S3_S3_PS1_ii,comdat
	.protected	_Z12wvSplitK_hf_I14__hip_bfloat16Li32ELi4ELi16ELi8ELi1ELi4EEviiiiiiPKT_S3_S3_PS1_ii ; -- Begin function _Z12wvSplitK_hf_I14__hip_bfloat16Li32ELi4ELi16ELi8ELi1ELi4EEviiiiiiPKT_S3_S3_PS1_ii
	.globl	_Z12wvSplitK_hf_I14__hip_bfloat16Li32ELi4ELi16ELi8ELi1ELi4EEviiiiiiPKT_S3_S3_PS1_ii
	.p2align	8
	.type	_Z12wvSplitK_hf_I14__hip_bfloat16Li32ELi4ELi16ELi8ELi1ELi4EEviiiiiiPKT_S3_S3_PS1_ii,@function
_Z12wvSplitK_hf_I14__hip_bfloat16Li32ELi4ELi16ELi8ELi1ELi4EEviiiiiiPKT_S3_S3_PS1_ii: ; @_Z12wvSplitK_hf_I14__hip_bfloat16Li32ELi4ELi16ELi8ELi1ELi4EEviiiiiiPKT_S3_S3_PS1_ii
; %bb.0:
	s_clause 0x1
	s_load_b64 s[20:21], s[0:1], 0x38
	s_load_b128 s[8:11], s[0:1], 0x0
	v_bfe_u32 v5, v0, 10, 10
	s_clause 0x1
	s_load_b64 s[16:17], s[0:1], 0x20
	s_load_b64 s[18:19], s[0:1], 0x10
	s_mov_b32 s4, 1
	s_delay_alu instid0(SALU_CYCLE_1) | instskip(SKIP_4) | instid1(SALU_CYCLE_1)
	s_mov_b32 s5, s4
	s_mov_b32 s6, s4
	;; [unrolled: 1-line block ×3, first 2 shown]
	s_waitcnt lgkmcnt(0)
	s_mul_i32 s15, s15, s20
	v_add_lshl_u32 v37, s15, v5, 2
	s_delay_alu instid0(VALU_DEP_1) | instskip(SKIP_1) | instid1(VALU_DEP_2)
	v_add_nc_u32_e32 v1, 4, v37
	v_cmp_gt_u32_e32 vcc_lo, s11, v37
	v_cmp_le_u32_e64 s2, s11, v1
	v_dual_mov_b32 v1, s4 :: v_dual_mov_b32 v4, s7
	v_dual_mov_b32 v2, s5 :: v_dual_mov_b32 v3, s6
	s_delay_alu instid0(VALU_DEP_3) | instskip(NEXT) | instid1(SALU_CYCLE_1)
	s_and_b32 s2, vcc_lo, s2
	s_and_saveexec_b32 s12, s2
	s_cbranch_execz .LBB258_6
; %bb.1:
	v_dual_mov_b32 v1, s4 :: v_dual_mov_b32 v2, s5
	v_dual_mov_b32 v3, s6 :: v_dual_mov_b32 v4, s7
	s_add_i32 s13, s11, -4
	s_mov_b32 s14, exec_lo
	v_cmpx_ne_u32_e64 s13, v37
	s_cbranch_execz .LBB258_5
; %bb.2:
	v_subrev_nc_u32_e32 v1, s13, v37
	s_mov_b32 s15, 0
	s_mov_b64 s[2:3], 0
	s_mov_b32 s5, s4
	s_mov_b32 s6, s4
	v_cmp_lt_u32_e32 vcc_lo, 1, v1
	s_mov_b32 s7, s4
	v_cndmask_b32_e32 v6, 1, v1, vcc_lo
	.p2align	6
.LBB258_3:                              ; =>This Inner Loop Header: Depth=1
	s_cmp_lg_u32 s2, 3
	s_cselect_b32 s7, s7, 0
	s_cmp_lg_u32 s2, 2
	s_cselect_b32 s6, s6, 0
	;; [unrolled: 2-line block ×4, first 2 shown]
	s_add_u32 s2, s2, 1
	v_dual_mov_b32 v1, s4 :: v_dual_mov_b32 v2, s5
	v_cmp_eq_u32_e32 vcc_lo, s2, v6
	v_dual_mov_b32 v3, s6 :: v_dual_mov_b32 v4, s7
	s_addc_u32 s3, s3, 0
	s_or_b32 s15, vcc_lo, s15
	s_delay_alu instid0(SALU_CYCLE_1)
	s_and_not1_b32 exec_lo, exec_lo, s15
	s_cbranch_execnz .LBB258_3
; %bb.4:
	s_or_b32 exec_lo, exec_lo, s15
	v_mov_b32_e32 v37, s13
.LBB258_5:
	s_or_b32 exec_lo, exec_lo, s14
.LBB258_6:
	s_delay_alu instid0(SALU_CYCLE_1) | instskip(SKIP_4) | instid1(VALU_DEP_1)
	s_or_b32 exec_lo, exec_lo, s12
	v_and_b32_e32 v6, 0x3ff, v0
	s_lshl_b32 s22, s10, 2
	s_mov_b32 s2, exec_lo
	s_min_u32 s3, s22, 0x8000
	v_lshlrev_b32_e32 v0, 3, v6
	s_delay_alu instid0(VALU_DEP_1) | instskip(NEXT) | instid1(VALU_DEP_1)
	v_lshl_add_u32 v8, v5, 8, v0
	v_cmpx_gt_u32_e64 s3, v8
	s_cbranch_execz .LBB258_15
; %bb.7:
	v_lshlrev_b32_e32 v7, 1, v8
	v_add_nc_u32_e32 v13, 0x1000, v8
	s_mov_b32 s4, exec_lo
	global_load_b128 v[9:12], v7, s[16:17]
	s_waitcnt vmcnt(0)
	ds_store_b128 v7, v[9:12]
	v_cmpx_gt_u32_e64 s3, v13
	s_xor_b32 s4, exec_lo, s4
	s_cbranch_execz .LBB258_15
; %bb.8:
	v_add_co_u32 v9, s4, s16, v7
	s_delay_alu instid0(VALU_DEP_1) | instskip(SKIP_1) | instid1(VALU_DEP_3)
	v_add_co_ci_u32_e64 v10, null, s17, 0, s4
	v_add_nc_u32_e32 v15, 0x2000, v8
	v_add_co_u32 v11, vcc_lo, 0x2000, v9
	s_delay_alu instid0(VALU_DEP_3)
	v_add_co_ci_u32_e32 v12, vcc_lo, 0, v10, vcc_lo
	s_mov_b32 s4, exec_lo
	global_load_b128 v[11:14], v[11:12], off
	s_waitcnt vmcnt(0)
	ds_store_b128 v7, v[11:14] offset:8192
	v_cmpx_gt_u32_e64 s3, v15
	s_xor_b32 s4, exec_lo, s4
	s_cbranch_execz .LBB258_15
; %bb.9:
	v_add_co_u32 v11, vcc_lo, 0x4000, v9
	v_add_co_ci_u32_e32 v12, vcc_lo, 0, v10, vcc_lo
	v_add_nc_u32_e32 v15, 0x3000, v8
	s_mov_b32 s4, exec_lo
	global_load_b128 v[11:14], v[11:12], off
	s_waitcnt vmcnt(0)
	ds_store_b128 v7, v[11:14] offset:16384
	v_cmpx_gt_u32_e64 s3, v15
	s_xor_b32 s4, exec_lo, s4
	s_cbranch_execz .LBB258_15
; %bb.10:
	v_add_co_u32 v11, vcc_lo, 0x6000, v9
	v_add_co_ci_u32_e32 v12, vcc_lo, 0, v10, vcc_lo
	v_add_nc_u32_e32 v15, 0x4000, v8
	;; [unrolled: 11-line block ×5, first 2 shown]
	global_load_b128 v[11:14], v[11:12], off
	v_cmp_gt_u32_e32 vcc_lo, s3, v8
	s_waitcnt vmcnt(0)
	ds_store_b128 v7, v[11:14] offset:49152
	s_and_saveexec_b32 s3, vcc_lo
	s_delay_alu instid0(SALU_CYCLE_1)
	s_xor_b32 s3, exec_lo, s3
	s_cbranch_execz .LBB258_15
; %bb.14:
	v_add_co_u32 v8, vcc_lo, 0xe000, v9
	v_add_co_ci_u32_e32 v9, vcc_lo, 0, v10, vcc_lo
	global_load_b128 v[8:11], v[8:9], off
	s_waitcnt vmcnt(0)
	ds_store_b128 v7, v[8:11] offset:57344
.LBB258_15:
	s_or_b32 exec_lo, exec_lo, s2
	v_cmp_gt_u32_e32 vcc_lo, s20, v5
	v_cmp_gt_u32_e64 s2, s11, v37
	s_waitcnt lgkmcnt(0)
	s_barrier
	buffer_gl0_inv
	s_and_b32 s2, vcc_lo, s2
	s_delay_alu instid0(SALU_CYCLE_1)
	s_and_saveexec_b32 s3, s2
	s_cbranch_execz .LBB258_144
; %bb.16:
	s_clause 0x1
	s_load_b128 s[12:15], s[0:1], 0x28
	s_load_b64 s[6:7], s[0:1], 0x18
	s_cmp_lg_u32 s8, 0
	s_mul_i32 s2, s20, s21
	s_cselect_b32 s23, -1, 0
	s_add_i32 s24, s8, -8
	s_add_i32 s25, s11, -1
	v_cvt_f32_u32_e32 v7, s18
	v_mbcnt_lo_u32_b32 v8, -1, 0
	v_cmp_eq_u32_e64 s0, 31, v6
	v_mad_u64_u32 v[40:41], null, s10, 3, v[0:1]
	v_add_nc_u32_e32 v55, s10, v0
	v_lshlrev_b32_e32 v54, 4, v6
	v_xor_b32_e32 v6, 16, v8
	s_delay_alu instid0(VALU_DEP_1)
	v_cmp_gt_i32_e32 vcc_lo, 32, v6
	s_waitcnt lgkmcnt(0)
	s_cmp_lg_u64 s[12:13], 0
	v_mov_b32_e32 v39, 0
	s_cselect_b32 s26, -1, 0
	s_abs_i32 s1, s19
	v_cndmask_b32_e32 v6, v8, v6, vcc_lo
	v_cvt_f32_u32_e32 v5, s1
	s_lshl_b32 s20, s2, 2
	s_sub_i32 s2, 0, s1
	s_add_i32 s21, s11, -4
	s_sub_i32 s4, 0, s18
	v_rcp_iflag_f32_e32 v5, v5
	s_sub_i32 s5, 1, s1
	s_mov_b32 s19, 0
	s_waitcnt_depctr 0xfff
	v_dual_mul_f32 v5, 0x4f7ffffe, v5 :: v_dual_lshlrev_b32 v56, 2, v6
	s_delay_alu instid0(VALU_DEP_1) | instskip(NEXT) | instid1(VALU_DEP_1)
	v_cvt_u32_f32_e32 v5, v5
	v_readfirstlane_b32 s3, v5
	v_rcp_iflag_f32_e32 v5, v7
	s_delay_alu instid0(VALU_DEP_1) | instskip(NEXT) | instid1(SALU_CYCLE_1)
	s_mul_i32 s2, s2, s3
	s_mul_hi_u32 s2, s3, s2
	s_delay_alu instid0(SALU_CYCLE_1) | instskip(SKIP_4) | instid1(SALU_CYCLE_1)
	s_add_i32 s3, s3, s2
	s_cmp_lt_u32 s1, 2
	s_waitcnt_depctr 0xfff
	v_mul_f32_e32 v5, 0x4f7ffffe, v5
	s_cselect_b32 s2, s5, 1
	s_sub_i32 s5, s2, s1
	s_cmp_ge_u32 s2, s1
	s_delay_alu instid0(VALU_DEP_1)
	v_cvt_u32_f32_e32 v5, v5
	s_cselect_b32 s28, s5, s2
	s_lshr_b32 s2, s3, 31
	s_mul_hi_u32 s3, s3, 3
	s_mul_i32 s2, s2, s1
	v_mul_lo_u32 v7, s4, v5
	s_sub_i32 s2, 2, s2
	s_mul_i32 s3, s3, s1
	s_sub_i32 s5, s2, s1
	s_cmp_ge_u32 s2, s1
	s_mul_i32 s28, s28, s18
	s_cselect_b32 s2, s5, s2
	s_delay_alu instid0(SALU_CYCLE_1)
	s_sub_i32 s4, s2, s1
	s_cmp_ge_u32 s2, s1
	v_mul_hi_u32 v7, v5, v7
	s_cselect_b32 s29, s4, s2
	s_sub_i32 s2, 3, s3
	s_mul_i32 s29, s29, s18
	s_sub_i32 s3, s2, s1
	s_cmp_ge_u32 s2, s1
	s_cselect_b32 s2, s3, s2
	s_delay_alu instid0(VALU_DEP_1)
	v_add_nc_u32_e32 v57, v5, v7
	s_sub_i32 s3, s2, s1
	s_cmp_ge_u32 s2, s1
	s_cselect_b32 s30, s3, s2
	s_lshl_b32 s27, s10, 1
	s_mul_i32 s30, s30, s18
	v_add_nc_u32_e32 v58, s27, v0
	s_mul_i32 s10, s10, 6
	s_branch .LBB258_19
.LBB258_17:                             ;   in Loop: Header=BB258_19 Depth=1
	s_or_b32 exec_lo, exec_lo, s33
	v_mov_b32_e32 v37, s21
.LBB258_18:                             ;   in Loop: Header=BB258_19 Depth=1
	s_or_b32 exec_lo, exec_lo, s31
	s_delay_alu instid0(VALU_DEP_1) | instskip(SKIP_1) | instid1(SALU_CYCLE_1)
	v_cmp_le_u32_e32 vcc_lo, s11, v37
	s_or_b32 s19, vcc_lo, s19
	s_and_not1_b32 exec_lo, exec_lo, s19
	s_cbranch_execz .LBB258_144
.LBB258_19:                             ; =>This Loop Header: Depth=1
                                        ;     Child Loop BB258_23 Depth 2
                                        ;     Child Loop BB258_142 Depth 2
	s_waitcnt vmcnt(11)
	v_dual_mov_b32 v60, v39 :: v_dual_add_nc_u32 v43, 1, v37
	s_waitcnt vmcnt(10)
	v_dual_mov_b32 v59, v39 :: v_dual_add_nc_u32 v42, 2, v37
	v_dual_mov_b32 v62, v39 :: v_dual_add_nc_u32 v41, 3, v37
	v_mov_b32_e32 v61, v39
	v_mov_b32_e32 v63, v39
	;; [unrolled: 1-line block ×13, first 2 shown]
	s_and_not1_b32 vcc_lo, exec_lo, s23
	s_cbranch_vccnz .LBB258_40
; %bb.20:                               ;   in Loop: Header=BB258_19 Depth=1
	v_min_u32_e32 v5, s25, v37
	s_waitcnt lgkmcnt(0)
	v_min_u32_e32 v6, s25, v43
	v_min_u32_e32 v7, s25, v42
	;; [unrolled: 1-line block ×3, first 2 shown]
	v_dual_mov_b32 v10, v39 :: v_dual_mov_b32 v73, 0
	v_mul_lo_u32 v38, v5, s9
	v_mul_lo_u32 v5, v6, s9
	v_mul_lo_u32 v7, v7, s9
	v_mul_lo_u32 v9, v8, s9
	v_dual_mov_b32 v6, v39 :: v_dual_mov_b32 v69, 0
	v_dual_mov_b32 v8, v39 :: v_dual_mov_b32 v75, v54
	v_lshlrev_b64 v[44:45], 1, v[38:39]
	s_waitcnt vmcnt(5)
	s_delay_alu instid0(VALU_DEP_3)
	v_lshlrev_b64 v[46:47], 1, v[5:6]
	v_dual_mov_b32 v70, 0 :: v_dual_mov_b32 v71, 0
	v_lshlrev_b64 v[48:49], 1, v[7:8]
	v_lshlrev_b64 v[50:51], 1, v[9:10]
	v_dual_mov_b32 v72, 0 :: v_dual_mov_b32 v67, 0
	v_dual_mov_b32 v74, 0 :: v_dual_mov_b32 v65, 0
	;; [unrolled: 1-line block ×5, first 2 shown]
	v_mov_b32_e32 v62, 0
	v_mov_b32_e32 v60, 0
	s_mov_b32 s1, 0
	s_branch .LBB258_23
.LBB258_21:                             ;   in Loop: Header=BB258_23 Depth=2
	s_or_b32 exec_lo, exec_lo, s3
.LBB258_22:                             ;   in Loop: Header=BB258_23 Depth=2
	s_delay_alu instid0(SALU_CYCLE_1)
	s_or_b32 exec_lo, exec_lo, s2
	s_waitcnt vmcnt(0) lgkmcnt(0)
	v_and_b32_e32 v79, 0xffff0000, v35
	v_and_b32_e32 v81, 0xffff0000, v36
	;; [unrolled: 1-line block ×5, first 2 shown]
	v_lshlrev_b32_e32 v32, 16, v32
	v_add_nc_u32_e32 v75, 0x200, v75
	v_dual_mul_f32 v83, v81, v82 :: v_dual_and_b32 v38, 0xffff0000, v33
	v_and_b32_e32 v76, 0xffff0000, v30
	v_lshlrev_b32_e32 v33, 16, v33
	v_lshlrev_b32_e32 v30, 16, v30
	s_addk_i32 s1, 0x100
	v_and_b32_e32 v90, 0xffff0000, v19
	v_mul_f32_e32 v78, v53, v76
	v_lshlrev_b32_e32 v34, 16, v34
	s_cmp_ge_u32 s1, s8
	v_and_b32_e32 v88, 0xffff0000, v28
	v_lshlrev_b32_e32 v28, 16, v28
	v_and_b32_e32 v92, 0xffff0000, v14
	v_fmac_f32_e32 v78, v34, v30
	v_and_b32_e32 v52, 0xffff0000, v29
	v_lshlrev_b32_e32 v29, 16, v29
	s_delay_alu instid0(VALU_DEP_2) | instskip(NEXT) | instid1(VALU_DEP_1)
	v_dual_mul_f32 v77, v38, v52 :: v_dual_lshlrev_b32 v14, 16, v14
	v_fmac_f32_e32 v77, v33, v29
	s_delay_alu instid0(VALU_DEP_1) | instskip(SKIP_2) | instid1(VALU_DEP_3)
	v_add_f32_e32 v69, v69, v77
	v_mul_f32_e32 v77, v79, v80
	v_lshlrev_b32_e32 v31, 16, v31
	v_dual_add_f32 v69, v69, v78 :: v_dual_lshlrev_b32 v36, 16, v36
	v_and_b32_e32 v78, 0xffff0000, v25
	v_lshlrev_b32_e32 v25, 16, v25
	s_delay_alu instid0(VALU_DEP_2) | instskip(NEXT) | instid1(VALU_DEP_1)
	v_dual_fmac_f32 v83, v36, v32 :: v_dual_mul_f32 v84, v38, v78
	v_fmac_f32_e32 v84, v33, v25
	s_delay_alu instid0(VALU_DEP_1) | instskip(SKIP_1) | instid1(VALU_DEP_2)
	v_dual_add_f32 v73, v73, v84 :: v_dual_and_b32 v84, 0xffff0000, v17
	v_lshlrev_b32_e32 v17, 16, v17
	v_mul_f32_e32 v87, v38, v84
	s_delay_alu instid0(VALU_DEP_1) | instskip(NEXT) | instid1(VALU_DEP_1)
	v_fmac_f32_e32 v87, v33, v17
	v_add_f32_e32 v70, v70, v87
	v_lshlrev_b32_e32 v35, 16, v35
	v_mul_f32_e32 v87, v79, v90
	s_delay_alu instid0(VALU_DEP_2) | instskip(NEXT) | instid1(VALU_DEP_1)
	v_fmac_f32_e32 v77, v35, v31
	v_add_f32_e32 v69, v69, v77
	v_and_b32_e32 v77, 0xffff0000, v26
	s_delay_alu instid0(VALU_DEP_2) | instskip(NEXT) | instid1(VALU_DEP_2)
	v_dual_add_f32 v69, v69, v83 :: v_dual_lshlrev_b32 v26, 16, v26
	v_mul_f32_e32 v85, v53, v77
	v_and_b32_e32 v83, 0xffff0000, v27
	v_lshlrev_b32_e32 v27, 16, v27
	s_delay_alu instid0(VALU_DEP_2) | instskip(SKIP_1) | instid1(VALU_DEP_2)
	v_dual_fmac_f32 v85, v34, v26 :: v_dual_mul_f32 v86, v79, v83
	v_mul_f32_e32 v91, v81, v88
	v_add_f32_e32 v73, v73, v85
	v_and_b32_e32 v85, 0xffff0000, v18
	s_delay_alu instid0(VALU_DEP_1) | instskip(NEXT) | instid1(VALU_DEP_1)
	v_dual_mul_f32 v89, v53, v85 :: v_dual_lshlrev_b32 v18, 16, v18
	v_fmac_f32_e32 v89, v34, v18
	s_delay_alu instid0(VALU_DEP_1) | instskip(SKIP_1) | instid1(VALU_DEP_1)
	v_add_f32_e32 v70, v70, v89
	v_fmac_f32_e32 v86, v35, v27
	v_dual_add_f32 v73, v73, v86 :: v_dual_and_b32 v86, 0xffff0000, v13
	v_fmac_f32_e32 v91, v36, v28
	s_delay_alu instid0(VALU_DEP_2) | instskip(NEXT) | instid1(VALU_DEP_1)
	v_dual_mul_f32 v38, v38, v86 :: v_dual_lshlrev_b32 v13, 16, v13
	v_fmac_f32_e32 v38, v33, v13
	v_mul_f32_e32 v33, v53, v92
	v_and_b32_e32 v53, 0xffff0000, v15
	v_lshlrev_b32_e32 v19, 16, v19
	s_delay_alu instid0(VALU_DEP_4) | instskip(NEXT) | instid1(VALU_DEP_4)
	v_dual_add_f32 v38, v72, v38 :: v_dual_lshlrev_b32 v15, 16, v15
	v_dual_fmac_f32 v33, v34, v14 :: v_dual_and_b32 v34, 0xffff0000, v21
	s_delay_alu instid0(VALU_DEP_4) | instskip(NEXT) | instid1(VALU_DEP_1)
	v_mul_f32_e32 v72, v79, v53
	v_dual_fmac_f32 v72, v35, v15 :: v_dual_lshlrev_b32 v21, 16, v21
	v_add_f32_e32 v73, v73, v91
	v_and_b32_e32 v91, 0xffff0000, v23
	v_lshlrev_b32_e32 v23, 16, v23
	v_mul_f32_e32 v79, v34, v52
	v_dual_add_f32 v33, v38, v33 :: v_dual_and_b32 v38, 0xffff0000, v16
	v_dual_fmac_f32 v87, v35, v19 :: v_dual_lshlrev_b32 v16, 16, v16
	s_delay_alu instid0(VALU_DEP_3) | instskip(SKIP_4) | instid1(VALU_DEP_4)
	v_fmac_f32_e32 v79, v21, v29
	v_and_b32_e32 v89, 0xffff0000, v20
	v_lshlrev_b32_e32 v20, 16, v20
	v_and_b32_e32 v35, 0xffff0000, v22
	v_dual_add_f32 v33, v33, v72 :: v_dual_lshlrev_b32 v22, 16, v22
	v_mul_f32_e32 v93, v81, v89
	v_dual_mul_f32 v81, v81, v38 :: v_dual_add_f32 v70, v70, v87
	s_delay_alu instid0(VALU_DEP_1) | instskip(NEXT) | instid1(VALU_DEP_3)
	v_fmac_f32_e32 v81, v36, v16
	v_dual_fmac_f32 v93, v36, v20 :: v_dual_add_f32 v36, v71, v79
	s_delay_alu instid0(VALU_DEP_2) | instskip(NEXT) | instid1(VALU_DEP_2)
	v_dual_mul_f32 v79, v34, v78 :: v_dual_add_f32 v72, v33, v81
	v_add_f32_e32 v70, v70, v93
	v_mul_f32_e32 v93, v34, v84
	s_delay_alu instid0(VALU_DEP_3) | instskip(SKIP_2) | instid1(VALU_DEP_3)
	v_dual_fmac_f32 v79, v21, v25 :: v_dual_mul_f32 v34, v34, v86
	v_and_b32_e32 v33, 0xffff0000, v24
	v_lshlrev_b32_e32 v24, 16, v24
	v_dual_add_f32 v74, v74, v79 :: v_dual_mul_f32 v87, v35, v76
	s_delay_alu instid0(VALU_DEP_3) | instskip(SKIP_1) | instid1(VALU_DEP_3)
	v_mul_f32_e32 v81, v33, v82
	v_fmac_f32_e32 v93, v21, v17
	v_fmac_f32_e32 v87, v22, v30
	s_delay_alu instid0(VALU_DEP_3) | instskip(NEXT) | instid1(VALU_DEP_2)
	v_fmac_f32_e32 v81, v24, v32
	v_dual_add_f32 v67, v67, v93 :: v_dual_add_f32 v36, v36, v87
	v_fmac_f32_e32 v34, v21, v13
	s_delay_alu instid0(VALU_DEP_1) | instskip(SKIP_1) | instid1(VALU_DEP_2)
	v_dual_mul_f32 v87, v35, v77 :: v_dual_add_f32 v34, v65, v34
	v_mul_f32_e32 v71, v91, v80
	v_fmac_f32_e32 v87, v22, v26
	s_delay_alu instid0(VALU_DEP_2) | instskip(NEXT) | instid1(VALU_DEP_1)
	v_fmac_f32_e32 v71, v23, v31
	v_add_f32_e32 v36, v36, v71
	s_delay_alu instid0(VALU_DEP_1)
	v_dual_add_f32 v71, v36, v81 :: v_dual_add_f32 v36, v74, v87
	v_mul_f32_e32 v94, v35, v85
	v_mul_f32_e32 v21, v35, v92
	v_and_b32_e32 v35, 0xffff0000, v9
	v_lshlrev_b32_e32 v9, 16, v9
	v_and_b32_e32 v81, 0xffff0000, v10
	v_fmac_f32_e32 v94, v22, v18
	s_delay_alu instid0(VALU_DEP_4) | instskip(SKIP_2) | instid1(VALU_DEP_4)
	v_dual_fmac_f32 v21, v22, v14 :: v_dual_mul_f32 v22, v35, v52
	v_mul_f32_e32 v74, v91, v90
	v_lshlrev_b32_e32 v10, 16, v10
	v_add_f32_e32 v67, v67, v94
	s_delay_alu instid0(VALU_DEP_4) | instskip(SKIP_3) | instid1(VALU_DEP_3)
	v_add_f32_e32 v21, v34, v21
	v_fmac_f32_e32 v22, v9, v29
	v_mul_f32_e32 v34, v81, v76
	v_fmac_f32_e32 v74, v23, v19
	v_add_f32_e32 v22, v68, v22
	s_delay_alu instid0(VALU_DEP_3) | instskip(NEXT) | instid1(VALU_DEP_3)
	v_fmac_f32_e32 v34, v10, v30
	v_add_f32_e32 v67, v67, v74
	v_mul_f32_e32 v74, v91, v53
	s_delay_alu instid0(VALU_DEP_3) | instskip(NEXT) | instid1(VALU_DEP_2)
	v_dual_add_f32 v22, v22, v34 :: v_dual_mul_f32 v79, v91, v83
	v_dual_fmac_f32 v74, v23, v15 :: v_dual_mul_f32 v65, v33, v89
	s_delay_alu instid0(VALU_DEP_2) | instskip(SKIP_2) | instid1(VALU_DEP_4)
	v_dual_mul_f32 v34, v81, v77 :: v_dual_fmac_f32 v79, v23, v27
	v_and_b32_e32 v23, 0xffff0000, v11
	v_lshlrev_b32_e32 v11, 16, v11
	v_fmac_f32_e32 v65, v24, v20
	s_delay_alu instid0(VALU_DEP_4) | instskip(NEXT) | instid1(VALU_DEP_4)
	v_dual_add_f32 v21, v21, v74 :: v_dual_add_f32 v36, v36, v79
	v_mul_f32_e32 v68, v23, v80
	s_delay_alu instid0(VALU_DEP_3) | instskip(NEXT) | instid1(VALU_DEP_2)
	v_dual_fmac_f32 v34, v10, v26 :: v_dual_add_f32 v67, v67, v65
	v_fmac_f32_e32 v68, v11, v31
	s_delay_alu instid0(VALU_DEP_1) | instskip(SKIP_3) | instid1(VALU_DEP_2)
	v_add_f32_e32 v22, v22, v68
	v_mul_f32_e32 v68, v81, v85
	v_mul_f32_e32 v79, v33, v88
	v_mul_f32_e32 v33, v33, v38
	v_dual_fmac_f32 v68, v10, v18 :: v_dual_fmac_f32 v79, v24, v28
	s_delay_alu instid0(VALU_DEP_2) | instskip(SKIP_1) | instid1(VALU_DEP_2)
	v_fmac_f32_e32 v33, v24, v16
	v_and_b32_e32 v24, 0xffff0000, v12
	v_dual_add_f32 v65, v21, v33 :: v_dual_lshlrev_b32 v12, 16, v12
	v_mul_f32_e32 v21, v35, v78
	s_delay_alu instid0(VALU_DEP_1) | instskip(NEXT) | instid1(VALU_DEP_1)
	v_fmac_f32_e32 v21, v9, v25
	v_dual_add_f32 v21, v64, v21 :: v_dual_mul_f32 v64, v23, v83
	s_delay_alu instid0(VALU_DEP_1) | instskip(SKIP_1) | instid1(VALU_DEP_2)
	v_dual_add_f32 v21, v21, v34 :: v_dual_fmac_f32 v64, v11, v27
	v_mul_f32_e32 v34, v24, v88
	v_add_f32_e32 v21, v21, v64
	s_delay_alu instid0(VALU_DEP_2) | instskip(NEXT) | instid1(VALU_DEP_1)
	v_fmac_f32_e32 v34, v12, v28
	v_dual_add_f32 v64, v21, v34 :: v_dual_and_b32 v21, 0xffff0000, v5
	v_mul_f32_e32 v33, v35, v84
	v_lshlrev_b32_e32 v5, 16, v5
	v_mul_f32_e32 v35, v35, v86
	v_and_b32_e32 v34, 0xffff0000, v6
	s_delay_alu instid0(VALU_DEP_4) | instskip(NEXT) | instid1(VALU_DEP_1)
	v_dual_fmac_f32 v33, v9, v17 :: v_dual_lshlrev_b32 v6, 16, v6
	v_dual_add_f32 v33, v66, v33 :: v_dual_mul_f32 v66, v23, v90
	v_add_f32_e32 v74, v36, v79
	v_mul_f32_e32 v36, v24, v82
	v_mul_f32_e32 v79, v24, v89
	s_delay_alu instid0(VALU_DEP_4) | instskip(NEXT) | instid1(VALU_DEP_3)
	v_add_f32_e32 v33, v33, v68
	v_dual_fmac_f32 v36, v12, v32 :: v_dual_fmac_f32 v35, v9, v13
	s_delay_alu instid0(VALU_DEP_3) | instskip(NEXT) | instid1(VALU_DEP_2)
	v_fmac_f32_e32 v79, v12, v20
	v_add_f32_e32 v68, v22, v36
	v_mul_f32_e32 v9, v81, v92
	v_mul_f32_e32 v22, v21, v52
	s_delay_alu instid0(VALU_DEP_2) | instskip(SKIP_1) | instid1(VALU_DEP_3)
	v_dual_fmac_f32 v66, v11, v19 :: v_dual_fmac_f32 v9, v10, v14
	v_mul_f32_e32 v10, v23, v53
	v_fmac_f32_e32 v22, v5, v29
	s_delay_alu instid0(VALU_DEP_2) | instskip(SKIP_1) | instid1(VALU_DEP_2)
	v_dual_fmac_f32 v10, v11, v15 :: v_dual_mul_f32 v11, v24, v38
	v_mul_f32_e32 v24, v21, v78
	v_dual_add_f32 v22, v62, v22 :: v_dual_fmac_f32 v11, v12, v16
	s_delay_alu instid0(VALU_DEP_2) | instskip(SKIP_1) | instid1(VALU_DEP_2)
	v_dual_fmac_f32 v24, v5, v25 :: v_dual_and_b32 v25, 0xffff0000, v8
	v_lshlrev_b32_e32 v8, 16, v8
	v_add_f32_e32 v24, v61, v24
	s_delay_alu instid0(VALU_DEP_3) | instskip(NEXT) | instid1(VALU_DEP_1)
	v_mul_f32_e32 v29, v25, v82
	v_fmac_f32_e32 v29, v8, v32
	v_mul_f32_e32 v23, v34, v76
	s_delay_alu instid0(VALU_DEP_1) | instskip(NEXT) | instid1(VALU_DEP_1)
	v_fmac_f32_e32 v23, v6, v30
	v_add_f32_e32 v12, v22, v23
	v_mul_f32_e32 v22, v34, v77
	s_delay_alu instid0(VALU_DEP_1) | instskip(NEXT) | instid1(VALU_DEP_1)
	v_fmac_f32_e32 v22, v6, v26
	v_add_f32_e32 v22, v24, v22
	v_add_f32_e32 v33, v33, v66
	v_mul_f32_e32 v24, v21, v84
	s_delay_alu instid0(VALU_DEP_2) | instskip(NEXT) | instid1(VALU_DEP_2)
	v_add_f32_e32 v66, v33, v79
	v_dual_add_f32 v33, v63, v35 :: v_dual_fmac_f32 v24, v5, v17
	v_mul_f32_e32 v17, v34, v85
	s_delay_alu instid0(VALU_DEP_2) | instskip(NEXT) | instid1(VALU_DEP_2)
	v_add_f32_e32 v9, v33, v9
	v_fmac_f32_e32 v17, v6, v18
	s_delay_alu instid0(VALU_DEP_2) | instskip(SKIP_1) | instid1(VALU_DEP_2)
	v_dual_add_f32 v9, v9, v10 :: v_dual_and_b32 v10, 0xffff0000, v7
	v_lshlrev_b32_e32 v7, 16, v7
	v_dual_add_f32 v63, v9, v11 :: v_dual_mul_f32 v18, v10, v90
	v_mul_f32_e32 v21, v21, v86
	v_mul_f32_e32 v23, v10, v80
	;; [unrolled: 1-line block ×3, first 2 shown]
	s_delay_alu instid0(VALU_DEP_3) | instskip(SKIP_1) | instid1(VALU_DEP_4)
	v_dual_fmac_f32 v18, v7, v19 :: v_dual_fmac_f32 v21, v5, v13
	v_mul_f32_e32 v5, v34, v92
	v_fmac_f32_e32 v23, v7, v31
	s_delay_alu instid0(VALU_DEP_4) | instskip(NEXT) | instid1(VALU_DEP_4)
	v_dual_add_f32 v13, v60, v24 :: v_dual_fmac_f32 v26, v7, v27
	v_add_f32_e32 v21, v59, v21
	s_delay_alu instid0(VALU_DEP_4) | instskip(SKIP_4) | instid1(VALU_DEP_4)
	v_fmac_f32_e32 v5, v6, v14
	v_mul_f32_e32 v6, v10, v53
	v_dual_add_f32 v12, v12, v23 :: v_dual_mul_f32 v23, v25, v88
	v_add_f32_e32 v10, v13, v17
	v_mul_f32_e32 v13, v25, v89
	v_dual_add_f32 v5, v21, v5 :: v_dual_fmac_f32 v6, v7, v15
	v_mul_f32_e32 v7, v25, v38
	s_delay_alu instid0(VALU_DEP_4) | instskip(SKIP_4) | instid1(VALU_DEP_4)
	v_add_f32_e32 v10, v10, v18
	v_dual_add_f32 v22, v22, v26 :: v_dual_fmac_f32 v23, v8, v28
	v_fmac_f32_e32 v13, v8, v20
	v_add_f32_e32 v5, v5, v6
	v_fmac_f32_e32 v7, v8, v16
	v_dual_add_f32 v62, v12, v29 :: v_dual_add_f32 v61, v22, v23
	s_delay_alu instid0(VALU_DEP_2)
	v_dual_add_f32 v60, v10, v13 :: v_dual_add_f32 v59, v5, v7
	s_cbranch_scc1 .LBB258_40
.LBB258_23:                             ;   Parent Loop BB258_19 Depth=1
                                        ; =>  This Inner Loop Header: Depth=2
	v_add_nc_u32_e32 v52, s1, v0
	v_dual_mov_b32 v24, 0 :: v_dual_mov_b32 v21, 0
	s_waitcnt vmcnt(1)
	v_dual_mov_b32 v22, 0 :: v_dual_mov_b32 v35, 0
	s_delay_alu instid0(VALU_DEP_3) | instskip(SKIP_3) | instid1(VALU_DEP_3)
	v_min_u32_e32 v38, s24, v52
	v_dual_mov_b32 v36, 0 :: v_dual_mov_b32 v33, 0
	v_mov_b32_e32 v34, 0
	s_mov_b32 s2, exec_lo
	v_lshlrev_b64 v[5:6], 1, v[38:39]
	v_mov_b32_e32 v23, 0
	s_delay_alu instid0(VALU_DEP_2) | instskip(NEXT) | instid1(VALU_DEP_3)
	v_add_co_u32 v11, vcc_lo, s6, v5
	v_add_co_ci_u32_e32 v12, vcc_lo, s7, v6, vcc_lo
	s_delay_alu instid0(VALU_DEP_2) | instskip(NEXT) | instid1(VALU_DEP_2)
	v_add_co_u32 v5, vcc_lo, v11, v44
	v_add_co_ci_u32_e32 v6, vcc_lo, v12, v45, vcc_lo
	v_add_co_u32 v7, vcc_lo, v11, v46
	v_add_co_ci_u32_e32 v8, vcc_lo, v12, v47, vcc_lo
	;; [unrolled: 2-line block ×4, first 2 shown]
	s_clause 0x3
	global_load_b128 v[29:32], v[5:6], off slc dlc
	global_load_b128 v[25:28], v[7:8], off slc dlc
	;; [unrolled: 1-line block ×4, first 2 shown]
	v_dual_mov_b32 v8, 0 :: v_dual_mov_b32 v5, 0
	v_dual_mov_b32 v7, 0 :: v_dual_mov_b32 v6, 0
	;; [unrolled: 1-line block ×4, first 2 shown]
	v_cmpx_gt_u32_e64 s8, v52
	s_cbranch_execz .LBB258_22
; %bb.24:                               ;   in Loop: Header=BB258_23 Depth=2
	s_mov_b32 s3, exec_lo
                                        ; implicit-def: $vgpr36
	v_cmpx_lt_u32_e32 0x7fff, v52
	s_xor_b32 s3, exec_lo, s3
	s_cbranch_execz .LBB258_26
; %bb.25:                               ;   in Loop: Header=BB258_23 Depth=2
	v_mov_b32_e32 v53, v39
	s_delay_alu instid0(VALU_DEP_1) | instskip(NEXT) | instid1(VALU_DEP_1)
	v_lshlrev_b64 v[5:6], 1, v[52:53]
	v_add_co_u32 v5, vcc_lo, s16, v5
	s_delay_alu instid0(VALU_DEP_2)
	v_add_co_ci_u32_e32 v6, vcc_lo, s17, v6, vcc_lo
	global_load_b128 v[33:36], v[5:6], off
.LBB258_26:                             ;   in Loop: Header=BB258_23 Depth=2
	s_and_not1_saveexec_b32 s3, s3
	s_cbranch_execz .LBB258_28
; %bb.27:                               ;   in Loop: Header=BB258_23 Depth=2
	s_waitcnt vmcnt(0)
	ds_load_b128 v[33:36], v75
.LBB258_28:                             ;   in Loop: Header=BB258_23 Depth=2
	s_or_b32 exec_lo, exec_lo, s3
	v_add_nc_u32_e32 v38, s1, v55
	s_mov_b32 s3, exec_lo
                                        ; implicit-def: $vgpr24
	s_delay_alu instid0(VALU_DEP_1)
	v_cmpx_lt_u32_e32 0x7fff, v38
	s_xor_b32 s3, exec_lo, s3
	s_cbranch_execz .LBB258_30
; %bb.29:                               ;   in Loop: Header=BB258_23 Depth=2
	v_lshlrev_b64 v[5:6], 1, v[38:39]
	s_delay_alu instid0(VALU_DEP_1) | instskip(NEXT) | instid1(VALU_DEP_2)
	v_add_co_u32 v5, vcc_lo, s16, v5
	v_add_co_ci_u32_e32 v6, vcc_lo, s17, v6, vcc_lo
	global_load_b128 v[21:24], v[5:6], off
.LBB258_30:                             ;   in Loop: Header=BB258_23 Depth=2
	s_and_not1_saveexec_b32 s3, s3
	s_cbranch_execz .LBB258_32
; %bb.31:                               ;   in Loop: Header=BB258_23 Depth=2
	v_add_nc_u32_e32 v5, s27, v75
	s_waitcnt vmcnt(0)
	ds_load_b128 v[21:24], v5
.LBB258_32:                             ;   in Loop: Header=BB258_23 Depth=2
	s_or_b32 exec_lo, exec_lo, s3
	v_add_nc_u32_e32 v38, s1, v58
	s_mov_b32 s3, exec_lo
                                        ; implicit-def: $vgpr12
	s_delay_alu instid0(VALU_DEP_1)
	v_cmpx_lt_u32_e32 0x7fff, v38
	s_xor_b32 s3, exec_lo, s3
	s_cbranch_execz .LBB258_34
; %bb.33:                               ;   in Loop: Header=BB258_23 Depth=2
	v_lshlrev_b64 v[5:6], 1, v[38:39]
	s_delay_alu instid0(VALU_DEP_1) | instskip(NEXT) | instid1(VALU_DEP_2)
	v_add_co_u32 v5, vcc_lo, s16, v5
	v_add_co_ci_u32_e32 v6, vcc_lo, s17, v6, vcc_lo
	global_load_b128 v[9:12], v[5:6], off
.LBB258_34:                             ;   in Loop: Header=BB258_23 Depth=2
	s_and_not1_saveexec_b32 s3, s3
	s_cbranch_execz .LBB258_36
; %bb.35:                               ;   in Loop: Header=BB258_23 Depth=2
	v_add_nc_u32_e32 v5, s22, v75
	s_waitcnt vmcnt(0)
	ds_load_2addr_b32 v[9:10], v5 offset1:1
	ds_load_2addr_b32 v[11:12], v5 offset0:2 offset1:3
.LBB258_36:                             ;   in Loop: Header=BB258_23 Depth=2
	s_or_b32 exec_lo, exec_lo, s3
	v_add_nc_u32_e32 v38, s1, v40
	s_mov_b32 s3, exec_lo
                                        ; implicit-def: $vgpr8
	s_delay_alu instid0(VALU_DEP_1)
	v_cmpx_lt_u32_e32 0x7fff, v38
	s_xor_b32 s3, exec_lo, s3
	s_cbranch_execz .LBB258_38
; %bb.37:                               ;   in Loop: Header=BB258_23 Depth=2
	v_lshlrev_b64 v[5:6], 1, v[38:39]
	s_delay_alu instid0(VALU_DEP_1) | instskip(NEXT) | instid1(VALU_DEP_2)
	v_add_co_u32 v5, vcc_lo, s16, v5
	v_add_co_ci_u32_e32 v6, vcc_lo, s17, v6, vcc_lo
	global_load_b128 v[5:8], v[5:6], off
.LBB258_38:                             ;   in Loop: Header=BB258_23 Depth=2
	s_and_not1_saveexec_b32 s3, s3
	s_cbranch_execz .LBB258_21
; %bb.39:                               ;   in Loop: Header=BB258_23 Depth=2
	s_waitcnt vmcnt(0)
	v_add_nc_u32_e32 v5, s10, v75
	ds_load_b128 v[5:8], v5
	s_branch .LBB258_21
.LBB258_40:                             ;   in Loop: Header=BB258_19 Depth=1
	s_delay_alu instid0(VALU_DEP_1)
	v_cvt_i32_f32_e32 v5, v69
	s_waitcnt lgkmcnt(0)
	v_cvt_i32_f32_e32 v6, v73
	v_cvt_i32_f32_e32 v7, v70
	;; [unrolled: 1-line block ×4, first 2 shown]
	v_cvt_f32_i32_dpp v5, v5 row_shr:8 row_mask:0xf bank_mask:0xf bound_ctrl:1
	v_cvt_f32_i32_dpp v6, v6 row_shr:8 row_mask:0xf bank_mask:0xf bound_ctrl:1
	;; [unrolled: 1-line block ×4, first 2 shown]
	v_cvt_i32_f32_e32 v10, v74
	v_add_f32_e32 v5, v69, v5
	v_cvt_f32_i32_dpp v9, v9 row_shr:8 row_mask:0xf bank_mask:0xf bound_ctrl:1
	v_dual_add_f32 v6, v73, v6 :: v_dual_add_f32 v7, v70, v7
	v_add_f32_e32 v8, v72, v8
	s_delay_alu instid0(VALU_DEP_4)
	v_cvt_i32_f32_e32 v11, v5
	v_cvt_f32_i32_dpp v10, v10 row_shr:8 row_mask:0xf bank_mask:0xf bound_ctrl:1
	v_add_f32_e32 v9, v71, v9
	v_cvt_i32_f32_e32 v12, v6
	v_cvt_i32_f32_e32 v13, v7
	v_cvt_f32_i32_dpp v11, v11 row_shr:4 row_mask:0xf bank_mask:0xf bound_ctrl:1
	v_add_f32_e32 v10, v74, v10
	v_cvt_i32_f32_e32 v14, v8
	v_cvt_i32_f32_e32 v15, v9
	s_delay_alu instid0(VALU_DEP_4)
	v_add_f32_e32 v5, v5, v11
	v_cvt_f32_i32_dpp v11, v12 row_shr:4 row_mask:0xf bank_mask:0xf bound_ctrl:1
	v_cvt_f32_i32_dpp v12, v13 row_shr:4 row_mask:0xf bank_mask:0xf bound_ctrl:1
	;; [unrolled: 1-line block ×4, first 2 shown]
	v_cvt_i32_f32_e32 v16, v10
	s_delay_alu instid0(VALU_DEP_4) | instskip(NEXT) | instid1(VALU_DEP_4)
	v_dual_add_f32 v6, v6, v11 :: v_dual_add_f32 v7, v7, v12
	v_add_f32_e32 v8, v8, v13
	v_cvt_i32_f32_e32 v15, v5
	s_delay_alu instid0(VALU_DEP_4) | instskip(NEXT) | instid1(VALU_DEP_4)
	v_cvt_f32_i32_dpp v16, v16 row_shr:4 row_mask:0xf bank_mask:0xf bound_ctrl:1
	v_cvt_i32_f32_e32 v12, v6
	v_cvt_i32_f32_e32 v13, v7
	v_add_f32_e32 v9, v9, v14
	v_cvt_f32_i32_dpp v11, v15 row_shr:2 row_mask:0xf bank_mask:0xf bound_ctrl:1
	v_add_f32_e32 v10, v10, v16
	v_cvt_f32_i32_dpp v12, v12 row_shr:2 row_mask:0xf bank_mask:0xf bound_ctrl:1
	v_cvt_f32_i32_dpp v13, v13 row_shr:2 row_mask:0xf bank_mask:0xf bound_ctrl:1
	v_cvt_i32_f32_e32 v14, v9
	v_add_f32_e32 v5, v5, v11
	v_cvt_i32_f32_e32 v11, v8
	v_add_f32_e32 v6, v6, v12
	v_cvt_i32_f32_e32 v15, v10
	v_cvt_f32_i32_dpp v14, v14 row_shr:2 row_mask:0xf bank_mask:0xf bound_ctrl:1
	v_cvt_i32_f32_e32 v16, v5
	v_cvt_f32_i32_dpp v11, v11 row_shr:2 row_mask:0xf bank_mask:0xf bound_ctrl:1
	v_add_f32_e32 v7, v7, v13
	v_cvt_f32_i32_dpp v15, v15 row_shr:2 row_mask:0xf bank_mask:0xf bound_ctrl:1
	s_delay_alu instid0(VALU_DEP_4) | instskip(NEXT) | instid1(VALU_DEP_4)
	v_cvt_f32_i32_dpp v16, v16 row_shr:1 row_mask:0xf bank_mask:0xf bound_ctrl:1
	v_add_f32_e32 v8, v8, v11
	s_delay_alu instid0(VALU_DEP_4) | instskip(NEXT) | instid1(VALU_DEP_3)
	v_cvt_i32_f32_e32 v11, v7
	v_add_f32_e32 v49, v5, v16
	s_delay_alu instid0(VALU_DEP_3) | instskip(NEXT) | instid1(VALU_DEP_3)
	v_cvt_i32_f32_e32 v12, v8
	v_cvt_f32_i32_dpp v11, v11 row_shr:1 row_mask:0xf bank_mask:0xf bound_ctrl:1
	v_add_f32_e32 v9, v9, v14
	s_delay_alu instid0(VALU_DEP_3) | instskip(NEXT) | instid1(VALU_DEP_3)
	v_cvt_f32_i32_dpp v12, v12 row_shr:1 row_mask:0xf bank_mask:0xf bound_ctrl:1
	v_add_f32_e32 v36, v7, v11
	s_delay_alu instid0(VALU_DEP_3)
	v_cvt_i32_f32_e32 v13, v9
	v_cvt_i32_f32_e32 v7, v68
	ds_bpermute_b32 v45, v56, v36
	v_cvt_f32_i32_dpp v13, v13 row_shr:1 row_mask:0xf bank_mask:0xf bound_ctrl:1
	v_add_f32_e32 v5, v10, v15
	v_cvt_i32_f32_e32 v10, v6
	v_cvt_f32_i32_dpp v7, v7 row_shr:8 row_mask:0xf bank_mask:0xf bound_ctrl:1
	s_delay_alu instid0(VALU_DEP_4) | instskip(NEXT) | instid1(VALU_DEP_4)
	v_add_f32_e32 v30, v9, v13
	v_cvt_i32_f32_e32 v14, v5
	s_delay_alu instid0(VALU_DEP_4)
	v_cvt_f32_i32_dpp v10, v10 row_shr:1 row_mask:0xf bank_mask:0xf bound_ctrl:1
	v_cvt_i32_f32_e32 v9, v66
	ds_bpermute_b32 v31, v56, v30
	v_cvt_f32_i32_dpp v14, v14 row_shr:1 row_mask:0xf bank_mask:0xf bound_ctrl:1
	v_add_f32_e32 v44, v6, v10
	v_cvt_i32_f32_e32 v6, v65
	v_cvt_f32_i32_dpp v9, v9 row_shr:8 row_mask:0xf bank_mask:0xf bound_ctrl:1
	ds_bpermute_b32 v50, v56, v49
	ds_bpermute_b32 v47, v56, v44
	v_cvt_f32_i32_dpp v6, v6 row_shr:8 row_mask:0xf bank_mask:0xf bound_ctrl:1
	v_add_f32_e32 v33, v8, v12
	v_cvt_i32_f32_e32 v8, v64
	s_delay_alu instid0(VALU_DEP_3)
	v_add_f32_e32 v6, v65, v6
	ds_bpermute_b32 v34, v56, v33
	v_cvt_f32_i32_dpp v8, v8 row_shr:8 row_mask:0xf bank_mask:0xf bound_ctrl:1
	v_add_f32_e32 v25, v5, v14
	v_cvt_i32_f32_e32 v5, v67
	v_cvt_i32_f32_e32 v11, v6
	s_delay_alu instid0(VALU_DEP_4) | instskip(SKIP_4) | instid1(VALU_DEP_2)
	v_add_f32_e32 v8, v64, v8
	ds_bpermute_b32 v26, v56, v25
	v_cvt_f32_i32_dpp v5, v5 row_shr:8 row_mask:0xf bank_mask:0xf bound_ctrl:1
	v_cvt_f32_i32_dpp v11, v11 row_shr:4 row_mask:0xf bank_mask:0xf bound_ctrl:1
	v_cvt_i32_f32_e32 v13, v8
	v_dual_add_f32 v5, v67, v5 :: v_dual_add_f32 v6, v6, v11
	s_delay_alu instid0(VALU_DEP_2) | instskip(NEXT) | instid1(VALU_DEP_2)
	v_cvt_f32_i32_dpp v13, v13 row_shr:4 row_mask:0xf bank_mask:0xf bound_ctrl:1
	v_cvt_i32_f32_e32 v10, v5
	s_delay_alu instid0(VALU_DEP_3) | instskip(NEXT) | instid1(VALU_DEP_3)
	v_cvt_i32_f32_e32 v11, v6
	v_add_f32_e32 v8, v8, v13
	s_delay_alu instid0(VALU_DEP_3) | instskip(NEXT) | instid1(VALU_DEP_3)
	v_cvt_f32_i32_dpp v10, v10 row_shr:4 row_mask:0xf bank_mask:0xf bound_ctrl:1
	v_cvt_f32_i32_dpp v11, v11 row_shr:2 row_mask:0xf bank_mask:0xf bound_ctrl:1
	s_delay_alu instid0(VALU_DEP_3) | instskip(NEXT) | instid1(VALU_DEP_2)
	v_cvt_i32_f32_e32 v13, v8
	v_dual_add_f32 v5, v5, v10 :: v_dual_add_f32 v6, v6, v11
	s_delay_alu instid0(VALU_DEP_2) | instskip(NEXT) | instid1(VALU_DEP_2)
	v_cvt_f32_i32_dpp v13, v13 row_shr:2 row_mask:0xf bank_mask:0xf bound_ctrl:1
	v_cvt_i32_f32_e32 v10, v5
	s_delay_alu instid0(VALU_DEP_3) | instskip(NEXT) | instid1(VALU_DEP_3)
	v_cvt_i32_f32_e32 v11, v6
	v_add_f32_e32 v8, v8, v13
	s_delay_alu instid0(VALU_DEP_3) | instskip(NEXT) | instid1(VALU_DEP_3)
	v_cvt_f32_i32_dpp v10, v10 row_shr:2 row_mask:0xf bank_mask:0xf bound_ctrl:1
	v_cvt_f32_i32_dpp v11, v11 row_shr:1 row_mask:0xf bank_mask:0xf bound_ctrl:1
	s_delay_alu instid0(VALU_DEP_3) | instskip(NEXT) | instid1(VALU_DEP_3)
	v_cvt_i32_f32_e32 v13, v8
	v_add_f32_e32 v5, v5, v10
	s_delay_alu instid0(VALU_DEP_3) | instskip(SKIP_1) | instid1(VALU_DEP_4)
	v_add_f32_e32 v23, v6, v11
	v_cvt_i32_f32_e32 v6, v62
	v_cvt_f32_i32_dpp v13, v13 row_shr:1 row_mask:0xf bank_mask:0xf bound_ctrl:1
	s_delay_alu instid0(VALU_DEP_4) | instskip(NEXT) | instid1(VALU_DEP_3)
	v_cvt_i32_f32_e32 v10, v5
	v_cvt_f32_i32_dpp v6, v6 row_shr:8 row_mask:0xf bank_mask:0xf bound_ctrl:1
	s_delay_alu instid0(VALU_DEP_2) | instskip(NEXT) | instid1(VALU_DEP_2)
	v_cvt_f32_i32_dpp v10, v10 row_shr:1 row_mask:0xf bank_mask:0xf bound_ctrl:1
	v_dual_add_f32 v7, v68, v7 :: v_dual_add_f32 v6, v62, v6
	s_delay_alu instid0(VALU_DEP_2) | instskip(NEXT) | instid1(VALU_DEP_2)
	v_add_f32_e32 v28, v5, v10
	v_cvt_i32_f32_e32 v12, v7
	s_delay_alu instid0(VALU_DEP_3)
	v_cvt_i32_f32_e32 v11, v6
	v_cvt_i32_f32_e32 v5, v63
	ds_bpermute_b32 v29, v56, v28
	v_cvt_f32_i32_dpp v12, v12 row_shr:4 row_mask:0xf bank_mask:0xf bound_ctrl:1
	v_cvt_f32_i32_dpp v11, v11 row_shr:4 row_mask:0xf bank_mask:0xf bound_ctrl:1
	;; [unrolled: 1-line block ×3, first 2 shown]
	s_delay_alu instid0(VALU_DEP_2) | instskip(NEXT) | instid1(VALU_DEP_1)
	v_dual_add_f32 v7, v7, v12 :: v_dual_add_f32 v6, v6, v11
	v_cvt_i32_f32_e32 v12, v7
	s_delay_alu instid0(VALU_DEP_2) | instskip(NEXT) | instid1(VALU_DEP_2)
	v_cvt_i32_f32_e32 v11, v6
	v_cvt_f32_i32_dpp v12, v12 row_shr:2 row_mask:0xf bank_mask:0xf bound_ctrl:1
	s_delay_alu instid0(VALU_DEP_2) | instskip(SKIP_2) | instid1(VALU_DEP_3)
	v_cvt_f32_i32_dpp v11, v11 row_shr:2 row_mask:0xf bank_mask:0xf bound_ctrl:1
	v_add_f32_e32 v17, v8, v13
	v_cvt_i32_f32_e32 v8, v60
	v_dual_add_f32 v7, v7, v12 :: v_dual_add_f32 v6, v6, v11
	ds_bpermute_b32 v18, v56, v17
	v_cvt_f32_i32_dpp v8, v8 row_shr:8 row_mask:0xf bank_mask:0xf bound_ctrl:1
	v_cvt_i32_f32_e32 v12, v7
	v_cvt_i32_f32_e32 v11, v6
	s_delay_alu instid0(VALU_DEP_3) | instskip(NEXT) | instid1(VALU_DEP_3)
	v_add_f32_e32 v8, v60, v8
	v_cvt_f32_i32_dpp v12, v12 row_shr:1 row_mask:0xf bank_mask:0xf bound_ctrl:1
	v_add_f32_e32 v9, v66, v9
	s_delay_alu instid0(VALU_DEP_4) | instskip(NEXT) | instid1(VALU_DEP_4)
	v_cvt_f32_i32_dpp v11, v11 row_shr:1 row_mask:0xf bank_mask:0xf bound_ctrl:1
	v_cvt_i32_f32_e32 v15, v8
	s_delay_alu instid0(VALU_DEP_4) | instskip(NEXT) | instid1(VALU_DEP_4)
	v_add_f32_e32 v20, v7, v12
	v_cvt_i32_f32_e32 v14, v9
	v_cvt_i32_f32_e32 v7, v61
	s_delay_alu instid0(VALU_DEP_4) | instskip(SKIP_4) | instid1(VALU_DEP_2)
	v_cvt_f32_i32_dpp v15, v15 row_shr:4 row_mask:0xf bank_mask:0xf bound_ctrl:1
	v_add_f32_e32 v11, v6, v11
	ds_bpermute_b32 v21, v56, v20
	v_cvt_f32_i32_dpp v14, v14 row_shr:4 row_mask:0xf bank_mask:0xf bound_ctrl:1
	v_cvt_f32_i32_dpp v7, v7 row_shr:8 row_mask:0xf bank_mask:0xf bound_ctrl:1
	v_dual_add_f32 v8, v8, v15 :: v_dual_add_f32 v9, v9, v14
	s_delay_alu instid0(VALU_DEP_2) | instskip(NEXT) | instid1(VALU_DEP_2)
	v_add_f32_e32 v7, v61, v7
	v_cvt_i32_f32_e32 v15, v8
	s_delay_alu instid0(VALU_DEP_3) | instskip(NEXT) | instid1(VALU_DEP_3)
	v_cvt_i32_f32_e32 v14, v9
	v_cvt_i32_f32_e32 v12, v7
	s_delay_alu instid0(VALU_DEP_3) | instskip(SKIP_1) | instid1(VALU_DEP_4)
	v_cvt_f32_i32_dpp v15, v15 row_shr:2 row_mask:0xf bank_mask:0xf bound_ctrl:1
	v_add_f32_e32 v5, v63, v5
	v_cvt_f32_i32_dpp v14, v14 row_shr:2 row_mask:0xf bank_mask:0xf bound_ctrl:1
	s_delay_alu instid0(VALU_DEP_4) | instskip(NEXT) | instid1(VALU_DEP_4)
	v_cvt_f32_i32_dpp v12, v12 row_shr:4 row_mask:0xf bank_mask:0xf bound_ctrl:1
	v_add_f32_e32 v8, v8, v15
	s_delay_alu instid0(VALU_DEP_4) | instskip(NEXT) | instid1(VALU_DEP_4)
	v_cvt_i32_f32_e32 v10, v5
	v_add_f32_e32 v9, v9, v14
	s_delay_alu instid0(VALU_DEP_4) | instskip(NEXT) | instid1(VALU_DEP_4)
	v_add_f32_e32 v7, v7, v12
	v_cvt_i32_f32_e32 v15, v8
	s_delay_alu instid0(VALU_DEP_4) | instskip(NEXT) | instid1(VALU_DEP_4)
	v_cvt_f32_i32_dpp v10, v10 row_shr:4 row_mask:0xf bank_mask:0xf bound_ctrl:1
	v_cvt_i32_f32_e32 v14, v9
	s_delay_alu instid0(VALU_DEP_4)
	v_cvt_i32_f32_e32 v12, v7
	s_waitcnt vmcnt(0)
	v_cvt_f32_i32_dpp v19, v15 row_shr:1 row_mask:0xf bank_mask:0xf bound_ctrl:1
	v_add_f32_e32 v5, v5, v10
	v_cvt_f32_i32_dpp v14, v14 row_shr:1 row_mask:0xf bank_mask:0xf bound_ctrl:1
	v_cvt_f32_i32_dpp v12, v12 row_shr:2 row_mask:0xf bank_mask:0xf bound_ctrl:1
	s_delay_alu instid0(VALU_DEP_3) | instskip(NEXT) | instid1(VALU_DEP_3)
	v_cvt_i32_f32_e32 v10, v5
	v_add_f32_e32 v13, v9, v14
	v_cvt_i32_f32_e32 v9, v59
	s_delay_alu instid0(VALU_DEP_4) | instskip(NEXT) | instid1(VALU_DEP_4)
	v_add_f32_e32 v7, v7, v12
	v_cvt_f32_i32_dpp v10, v10 row_shr:2 row_mask:0xf bank_mask:0xf bound_ctrl:1
	ds_bpermute_b32 v14, v56, v13
	v_cvt_f32_i32_dpp v9, v9 row_shr:8 row_mask:0xf bank_mask:0xf bound_ctrl:1
	v_cvt_i32_f32_e32 v12, v7
	v_add_f32_e32 v5, v5, v10
	s_delay_alu instid0(VALU_DEP_3) | instskip(NEXT) | instid1(VALU_DEP_3)
	v_add_f32_e32 v9, v59, v9
	v_cvt_f32_i32_dpp v12, v12 row_shr:1 row_mask:0xf bank_mask:0xf bound_ctrl:1
	s_delay_alu instid0(VALU_DEP_2) | instskip(NEXT) | instid1(VALU_DEP_1)
	v_cvt_i32_f32_e32 v16, v9
	v_cvt_f32_i32_dpp v16, v16 row_shr:4 row_mask:0xf bank_mask:0xf bound_ctrl:1
	s_delay_alu instid0(VALU_DEP_1) | instskip(NEXT) | instid1(VALU_DEP_1)
	v_add_f32_e32 v9, v9, v16
	v_cvt_i32_f32_e32 v16, v9
	s_delay_alu instid0(VALU_DEP_1) | instskip(NEXT) | instid1(VALU_DEP_1)
	v_cvt_f32_i32_dpp v16, v16 row_shr:2 row_mask:0xf bank_mask:0xf bound_ctrl:1
	v_add_f32_e32 v10, v9, v16
	ds_bpermute_b32 v24, v56, v23
	v_cvt_i32_f32_e32 v9, v5
	v_cvt_i32_f32_e32 v16, v10
	s_delay_alu instid0(VALU_DEP_2) | instskip(NEXT) | instid1(VALU_DEP_2)
	v_cvt_f32_i32_dpp v9, v9 row_shr:1 row_mask:0xf bank_mask:0xf bound_ctrl:1
	v_cvt_f32_i32_dpp v16, v16 row_shr:1 row_mask:0xf bank_mask:0xf bound_ctrl:1
	s_delay_alu instid0(VALU_DEP_2) | instskip(SKIP_2) | instid1(VALU_DEP_4)
	v_add_f32_e32 v15, v5, v9
	v_add_f32_e32 v9, v7, v12
	;; [unrolled: 1-line block ×4, first 2 shown]
	ds_bpermute_b32 v12, v56, v11
	ds_bpermute_b32 v16, v56, v15
	;; [unrolled: 1-line block ×5, first 2 shown]
	s_and_saveexec_b32 s5, s0
	s_cbranch_execz .LBB258_139
; %bb.41:                               ;   in Loop: Header=BB258_19 Depth=1
	v_dual_mov_b32 v64, 0 :: v_dual_mov_b32 v63, 0
	v_dual_mov_b32 v62, 0 :: v_dual_mov_b32 v61, 0
	;; [unrolled: 1-line block ×8, first 2 shown]
	s_and_not1_b32 vcc_lo, exec_lo, s26
	s_cbranch_vccnz .LBB258_43
; %bb.42:                               ;   in Loop: Header=BB258_19 Depth=1
	v_mul_hi_u32 v19, v37, v57
	v_mul_hi_u32 v22, v43, v57
	;; [unrolled: 1-line block ×4, first 2 shown]
	v_mov_b32_e32 v71, v39
	v_mov_b32_e32 v75, v39
	;; [unrolled: 1-line block ×3, first 2 shown]
	v_mul_lo_u32 v19, v19, s18
	v_mul_lo_u32 v22, v22, s18
	;; [unrolled: 1-line block ×4, first 2 shown]
	s_delay_alu instid0(VALU_DEP_4) | instskip(NEXT) | instid1(VALU_DEP_4)
	v_sub_nc_u32_e32 v19, v37, v19
	v_sub_nc_u32_e32 v22, v43, v22
	s_delay_alu instid0(VALU_DEP_4) | instskip(NEXT) | instid1(VALU_DEP_4)
	v_sub_nc_u32_e32 v32, v41, v32
	v_sub_nc_u32_e32 v27, v42, v27
	s_delay_alu instid0(VALU_DEP_4)
	v_subrev_nc_u32_e32 v35, s18, v19
	v_cmp_le_u32_e32 vcc_lo, s18, v19
	v_subrev_nc_u32_e32 v38, s18, v22
	v_subrev_nc_u32_e32 v48, s18, v32
	;; [unrolled: 1-line block ×3, first 2 shown]
	v_cndmask_b32_e32 v19, v19, v35, vcc_lo
	v_cmp_le_u32_e32 vcc_lo, s18, v22
	v_dual_mov_b32 v53, v39 :: v_dual_cndmask_b32 v22, v22, v38
	v_cmp_le_u32_e32 vcc_lo, s18, v27
	v_cndmask_b32_e32 v27, v27, v46, vcc_lo
	v_cmp_le_u32_e32 vcc_lo, s18, v32
	s_delay_alu instid0(VALU_DEP_4) | instskip(SKIP_4) | instid1(VALU_DEP_4)
	v_subrev_nc_u32_e32 v46, s18, v22
	v_cndmask_b32_e32 v32, v32, v48, vcc_lo
	v_subrev_nc_u32_e32 v35, s18, v19
	v_cmp_le_u32_e32 vcc_lo, s18, v19
	v_subrev_nc_u32_e32 v48, s18, v27
	v_subrev_nc_u32_e32 v51, s18, v32
	s_delay_alu instid0(VALU_DEP_4) | instskip(SKIP_2) | instid1(VALU_DEP_3)
	v_cndmask_b32_e32 v38, v19, v35, vcc_lo
	v_cmp_le_u32_e32 vcc_lo, s18, v22
	v_mov_b32_e32 v68, v39
	v_lshlrev_b64 v[59:60], 1, v[38:39]
	v_cndmask_b32_e32 v52, v22, v46, vcc_lo
	v_cmp_le_u32_e32 vcc_lo, s18, v27
	v_dual_cndmask_b32 v65, v27, v48 :: v_dual_add_nc_u32 v70, s28, v38
	v_cmp_le_u32_e32 vcc_lo, s18, v32
	v_mov_b32_e32 v66, v39
	v_lshlrev_b64 v[61:62], 1, v[52:53]
	v_add_nc_u32_e32 v82, s29, v52
	v_dual_cndmask_b32 v67, v32, v51 :: v_dual_add_nc_u32 v74, s28, v65
	s_delay_alu instid0(VALU_DEP_4)
	v_lshlrev_b64 v[63:64], 1, v[65:66]
	v_add_co_u32 v59, vcc_lo, s12, v59
	v_add_co_ci_u32_e32 v60, vcc_lo, s13, v60, vcc_lo
	v_add_co_u32 v61, vcc_lo, s12, v61
	v_add_co_ci_u32_e32 v62, vcc_lo, s13, v62, vcc_lo
	v_lshlrev_b64 v[68:69], 1, v[67:68]
	v_add_co_u32 v72, vcc_lo, s12, v63
	v_add_co_ci_u32_e32 v73, vcc_lo, s13, v64, vcc_lo
	v_lshlrev_b64 v[63:64], 1, v[70:71]
	v_add_nc_u32_e32 v70, s28, v52
	v_add_co_u32 v68, vcc_lo, s12, v68
	v_add_co_ci_u32_e32 v69, vcc_lo, s13, v69, vcc_lo
	s_delay_alu instid0(VALU_DEP_3)
	v_lshlrev_b64 v[70:71], 1, v[70:71]
	v_add_co_u32 v76, vcc_lo, s12, v63
	v_add_co_ci_u32_e32 v77, vcc_lo, s13, v64, vcc_lo
	v_lshlrev_b64 v[63:64], 1, v[74:75]
	v_add_nc_u32_e32 v74, s28, v67
	v_add_co_u32 v70, vcc_lo, s12, v70
	v_add_co_ci_u32_e32 v71, vcc_lo, s13, v71, vcc_lo
	s_delay_alu instid0(VALU_DEP_3) | instskip(SKIP_3) | instid1(VALU_DEP_4)
	v_lshlrev_b64 v[74:75], 1, v[74:75]
	v_add_co_u32 v78, vcc_lo, s12, v63
	v_add_co_ci_u32_e32 v79, vcc_lo, s13, v64, vcc_lo
	v_dual_mov_b32 v64, v39 :: v_dual_add_nc_u32 v63, s29, v38
	v_add_co_u32 v74, vcc_lo, s12, v74
	v_add_co_ci_u32_e32 v75, vcc_lo, s13, v75, vcc_lo
	s_delay_alu instid0(VALU_DEP_3)
	v_lshlrev_b64 v[80:81], 1, v[63:64]
	s_clause 0x7
	global_load_u16 v64, v[59:60], off
	global_load_u16 v63, v[61:62], off
	;; [unrolled: 1-line block ×8, first 2 shown]
	v_dual_mov_b32 v75, v39 :: v_dual_add_nc_u32 v70, s29, v65
	v_mov_b32_e32 v71, v39
	v_lshlrev_b64 v[68:69], 1, v[82:83]
	v_add_nc_u32_e32 v74, s29, v67
	v_add_nc_u32_e32 v38, s30, v38
	v_add_co_u32 v72, vcc_lo, s12, v80
	v_lshlrev_b64 v[70:71], 1, v[70:71]
	v_add_co_ci_u32_e32 v73, vcc_lo, s13, v81, vcc_lo
	v_add_co_u32 v68, vcc_lo, s12, v68
	v_lshlrev_b64 v[74:75], 1, v[74:75]
	v_lshlrev_b64 v[76:77], 1, v[38:39]
	v_add_nc_u32_e32 v38, s30, v52
	v_add_co_ci_u32_e32 v69, vcc_lo, s13, v69, vcc_lo
	v_add_co_u32 v70, vcc_lo, s12, v70
	v_add_co_ci_u32_e32 v71, vcc_lo, s13, v71, vcc_lo
	v_add_co_u32 v74, vcc_lo, s12, v74
	v_lshlrev_b64 v[78:79], 1, v[38:39]
	v_add_nc_u32_e32 v38, s30, v65
	v_add_co_ci_u32_e32 v75, vcc_lo, s13, v75, vcc_lo
	v_add_co_u32 v65, vcc_lo, s12, v76
	v_add_co_ci_u32_e32 v66, vcc_lo, s13, v77, vcc_lo
	s_delay_alu instid0(VALU_DEP_4) | instskip(SKIP_3) | instid1(VALU_DEP_3)
	v_lshlrev_b64 v[76:77], 1, v[38:39]
	v_add_nc_u32_e32 v38, s30, v67
	v_add_co_u32 v78, vcc_lo, s12, v78
	v_add_co_ci_u32_e32 v79, vcc_lo, s13, v79, vcc_lo
	v_lshlrev_b64 v[80:81], 1, v[38:39]
	v_add_co_u32 v76, vcc_lo, s12, v76
	v_add_co_ci_u32_e32 v77, vcc_lo, s13, v77, vcc_lo
	s_delay_alu instid0(VALU_DEP_3) | instskip(NEXT) | instid1(VALU_DEP_4)
	v_add_co_u32 v80, vcc_lo, s12, v80
	v_add_co_ci_u32_e32 v81, vcc_lo, s13, v81, vcc_lo
	s_clause 0x7
	global_load_u16 v52, v[72:73], off
	global_load_u16 v48, v[68:69], off
	;; [unrolled: 1-line block ×8, first 2 shown]
.LBB258_43:                             ;   in Loop: Header=BB258_19 Depth=1
	v_cmp_ne_u32_e32 vcc_lo, 0, v1
	s_and_saveexec_b32 s2, vcc_lo
	s_cbranch_execnz .LBB258_59
; %bb.44:                               ;   in Loop: Header=BB258_19 Depth=1
	s_or_b32 exec_lo, exec_lo, s2
	v_cmp_ne_u32_e64 s1, 0, v2
	s_delay_alu instid0(VALU_DEP_1)
	s_and_saveexec_b32 s3, s1
	s_cbranch_execnz .LBB258_64
.LBB258_45:                             ;   in Loop: Header=BB258_19 Depth=1
	s_or_b32 exec_lo, exec_lo, s3
	v_cmp_ne_u32_e64 s2, 0, v3
	s_delay_alu instid0(VALU_DEP_1)
	s_and_saveexec_b32 s4, s2
	s_cbranch_execnz .LBB258_69
.LBB258_46:                             ;   in Loop: Header=BB258_19 Depth=1
	s_or_b32 exec_lo, exec_lo, s4
	v_cmp_ne_u32_e64 s3, 0, v4
	s_delay_alu instid0(VALU_DEP_1)
	s_and_saveexec_b32 s31, s3
	s_cbranch_execnz .LBB258_74
.LBB258_47:                             ;   in Loop: Header=BB258_19 Depth=1
	s_or_b32 exec_lo, exec_lo, s31
	v_add_nc_u32_e32 v38, s11, v37
	s_and_saveexec_b32 s31, vcc_lo
	s_cbranch_execnz .LBB258_79
.LBB258_48:                             ;   in Loop: Header=BB258_19 Depth=1
	s_or_b32 exec_lo, exec_lo, s31
	s_and_saveexec_b32 s31, s1
	s_cbranch_execnz .LBB258_84
.LBB258_49:                             ;   in Loop: Header=BB258_19 Depth=1
	s_or_b32 exec_lo, exec_lo, s31
	s_and_saveexec_b32 s31, s2
	s_cbranch_execnz .LBB258_89
.LBB258_50:                             ;   in Loop: Header=BB258_19 Depth=1
	s_or_b32 exec_lo, exec_lo, s31
	s_and_saveexec_b32 s31, s3
	s_cbranch_execnz .LBB258_94
.LBB258_51:                             ;   in Loop: Header=BB258_19 Depth=1
	s_or_b32 exec_lo, exec_lo, s31
	v_add_nc_u32_e32 v38, s11, v38
	s_and_saveexec_b32 s31, vcc_lo
	s_cbranch_execnz .LBB258_99
.LBB258_52:                             ;   in Loop: Header=BB258_19 Depth=1
	s_or_b32 exec_lo, exec_lo, s31
	s_and_saveexec_b32 s31, s1
	s_cbranch_execnz .LBB258_104
.LBB258_53:                             ;   in Loop: Header=BB258_19 Depth=1
	s_or_b32 exec_lo, exec_lo, s31
	s_and_saveexec_b32 s31, s2
	s_cbranch_execnz .LBB258_109
.LBB258_54:                             ;   in Loop: Header=BB258_19 Depth=1
	s_or_b32 exec_lo, exec_lo, s31
	s_and_saveexec_b32 s31, s3
	s_cbranch_execnz .LBB258_114
.LBB258_55:                             ;   in Loop: Header=BB258_19 Depth=1
	s_or_b32 exec_lo, exec_lo, s31
	v_add_nc_u32_e32 v38, s11, v38
	s_and_saveexec_b32 s4, vcc_lo
	s_cbranch_execnz .LBB258_119
.LBB258_56:                             ;   in Loop: Header=BB258_19 Depth=1
	s_or_b32 exec_lo, exec_lo, s4
	s_and_saveexec_b32 s4, s1
	s_cbranch_execnz .LBB258_124
.LBB258_57:                             ;   in Loop: Header=BB258_19 Depth=1
	s_or_b32 exec_lo, exec_lo, s4
	s_and_saveexec_b32 s1, s2
	s_cbranch_execnz .LBB258_129
.LBB258_58:                             ;   in Loop: Header=BB258_19 Depth=1
	s_or_b32 exec_lo, exec_lo, s1
	s_delay_alu instid0(SALU_CYCLE_1)
	s_and_b32 exec_lo, exec_lo, s3
	s_cbranch_execnz .LBB258_134
	s_branch .LBB258_139
.LBB258_59:                             ;   in Loop: Header=BB258_19 Depth=1
	s_waitcnt vmcnt(15) lgkmcnt(13)
	v_dual_add_f32 v38, v49, v50 :: v_dual_lshlrev_b32 v49, 16, v64
	s_delay_alu instid0(VALU_DEP_1) | instskip(NEXT) | instid1(VALU_DEP_1)
	v_add_f32_e32 v38, v38, v49
	v_and_b32_e32 v49, 0x7f800000, v38
	s_delay_alu instid0(VALU_DEP_1) | instskip(NEXT) | instid1(VALU_DEP_1)
	v_cmp_ne_u32_e64 s1, 0x7f800000, v49
                                        ; implicit-def: $vgpr49
	s_and_saveexec_b32 s3, s1
	s_delay_alu instid0(SALU_CYCLE_1)
	s_xor_b32 s1, exec_lo, s3
; %bb.60:                               ;   in Loop: Header=BB258_19 Depth=1
	v_bfe_u32 v49, v38, 16, 1
	s_delay_alu instid0(VALU_DEP_1)
	v_add3_u32 v49, v38, v49, 0x7fff
                                        ; implicit-def: $vgpr38
; %bb.61:                               ;   in Loop: Header=BB258_19 Depth=1
	s_and_not1_saveexec_b32 s3, s1
; %bb.62:                               ;   in Loop: Header=BB258_19 Depth=1
	v_and_b32_e32 v49, 0xffff, v38
	v_or_b32_e32 v50, 0x10000, v38
	s_delay_alu instid0(VALU_DEP_2) | instskip(NEXT) | instid1(VALU_DEP_1)
	v_cmp_eq_u32_e64 s1, 0, v49
	v_cndmask_b32_e64 v49, v50, v38, s1
; %bb.63:                               ;   in Loop: Header=BB258_19 Depth=1
	s_or_b32 exec_lo, exec_lo, s3
	v_mov_b32_e32 v38, v39
	s_delay_alu instid0(VALU_DEP_1) | instskip(NEXT) | instid1(VALU_DEP_1)
	v_lshlrev_b64 v[64:65], 1, v[37:38]
	v_add_co_u32 v64, s1, s14, v64
	s_delay_alu instid0(VALU_DEP_1) | instskip(SKIP_3) | instid1(VALU_DEP_1)
	v_add_co_ci_u32_e64 v65, s1, s15, v65, s1
	global_store_d16_hi_b16 v[64:65], v49, off
	s_or_b32 exec_lo, exec_lo, s2
	v_cmp_ne_u32_e64 s1, 0, v2
	s_and_saveexec_b32 s3, s1
	s_cbranch_execz .LBB258_45
.LBB258_64:                             ;   in Loop: Header=BB258_19 Depth=1
	s_waitcnt lgkmcnt(12)
	v_add_f32_e32 v38, v44, v47
	s_waitcnt vmcnt(14)
	v_lshlrev_b32_e32 v44, 16, v63
	s_delay_alu instid0(VALU_DEP_1) | instskip(NEXT) | instid1(VALU_DEP_1)
	v_add_f32_e32 v44, v38, v44
	v_and_b32_e32 v38, 0x7f800000, v44
	s_delay_alu instid0(VALU_DEP_1) | instskip(NEXT) | instid1(VALU_DEP_1)
	v_cmp_ne_u32_e64 s2, 0x7f800000, v38
                                        ; implicit-def: $vgpr38
	s_and_saveexec_b32 s4, s2
	s_delay_alu instid0(SALU_CYCLE_1)
	s_xor_b32 s2, exec_lo, s4
; %bb.65:                               ;   in Loop: Header=BB258_19 Depth=1
	v_bfe_u32 v38, v44, 16, 1
	s_delay_alu instid0(VALU_DEP_1)
	v_add3_u32 v38, v44, v38, 0x7fff
                                        ; implicit-def: $vgpr44
; %bb.66:                               ;   in Loop: Header=BB258_19 Depth=1
	s_and_not1_saveexec_b32 s4, s2
; %bb.67:                               ;   in Loop: Header=BB258_19 Depth=1
	v_and_b32_e32 v38, 0xffff, v44
	v_or_b32_e32 v47, 0x10000, v44
	s_delay_alu instid0(VALU_DEP_2) | instskip(NEXT) | instid1(VALU_DEP_1)
	v_cmp_eq_u32_e64 s2, 0, v38
	v_cndmask_b32_e64 v38, v47, v44, s2
; %bb.68:                               ;   in Loop: Header=BB258_19 Depth=1
	s_or_b32 exec_lo, exec_lo, s4
	v_mov_b32_e32 v44, v39
	s_delay_alu instid0(VALU_DEP_1) | instskip(NEXT) | instid1(VALU_DEP_1)
	v_lshlrev_b64 v[43:44], 1, v[43:44]
	v_add_co_u32 v43, s2, s14, v43
	s_delay_alu instid0(VALU_DEP_1) | instskip(SKIP_3) | instid1(VALU_DEP_1)
	v_add_co_ci_u32_e64 v44, s2, s15, v44, s2
	global_store_d16_hi_b16 v[43:44], v38, off
	s_or_b32 exec_lo, exec_lo, s3
	v_cmp_ne_u32_e64 s2, 0, v3
	s_and_saveexec_b32 s4, s2
	s_cbranch_execz .LBB258_46
.LBB258_69:                             ;   in Loop: Header=BB258_19 Depth=1
	s_waitcnt lgkmcnt(15)
	v_add_f32_e32 v36, v36, v45
	s_waitcnt vmcnt(13)
	v_lshlrev_b32_e32 v38, 16, v62
	s_delay_alu instid0(VALU_DEP_1) | instskip(NEXT) | instid1(VALU_DEP_1)
	v_add_f32_e32 v38, v36, v38
	v_and_b32_e32 v36, 0x7f800000, v38
	s_delay_alu instid0(VALU_DEP_1) | instskip(NEXT) | instid1(VALU_DEP_1)
	v_cmp_ne_u32_e64 s3, 0x7f800000, v36
                                        ; implicit-def: $vgpr36
	s_and_saveexec_b32 s31, s3
	s_delay_alu instid0(SALU_CYCLE_1)
	s_xor_b32 s3, exec_lo, s31
; %bb.70:                               ;   in Loop: Header=BB258_19 Depth=1
	v_bfe_u32 v36, v38, 16, 1
	s_delay_alu instid0(VALU_DEP_1)
	v_add3_u32 v36, v38, v36, 0x7fff
                                        ; implicit-def: $vgpr38
; %bb.71:                               ;   in Loop: Header=BB258_19 Depth=1
	s_and_not1_saveexec_b32 s31, s3
; %bb.72:                               ;   in Loop: Header=BB258_19 Depth=1
	v_and_b32_e32 v36, 0xffff, v38
	v_or_b32_e32 v43, 0x10000, v38
	s_delay_alu instid0(VALU_DEP_2) | instskip(NEXT) | instid1(VALU_DEP_1)
	v_cmp_eq_u32_e64 s3, 0, v36
	v_cndmask_b32_e64 v36, v43, v38, s3
; %bb.73:                               ;   in Loop: Header=BB258_19 Depth=1
	s_or_b32 exec_lo, exec_lo, s31
	v_mov_b32_e32 v43, v39
	s_delay_alu instid0(VALU_DEP_1) | instskip(NEXT) | instid1(VALU_DEP_1)
	v_lshlrev_b64 v[42:43], 1, v[42:43]
	v_add_co_u32 v42, s3, s14, v42
	s_delay_alu instid0(VALU_DEP_1) | instskip(SKIP_3) | instid1(VALU_DEP_1)
	v_add_co_ci_u32_e64 v43, s3, s15, v43, s3
	global_store_d16_hi_b16 v[42:43], v36, off
	s_or_b32 exec_lo, exec_lo, s4
	v_cmp_ne_u32_e64 s3, 0, v4
	s_and_saveexec_b32 s31, s3
	s_cbranch_execz .LBB258_47
.LBB258_74:                             ;   in Loop: Header=BB258_19 Depth=1
	s_waitcnt vmcnt(12) lgkmcnt(11)
	v_dual_add_f32 v33, v33, v34 :: v_dual_lshlrev_b32 v34, 16, v61
	s_delay_alu instid0(VALU_DEP_1) | instskip(NEXT) | instid1(VALU_DEP_1)
	v_add_f32_e32 v34, v33, v34
	v_and_b32_e32 v33, 0x7f800000, v34
	s_delay_alu instid0(VALU_DEP_1) | instskip(NEXT) | instid1(VALU_DEP_1)
	v_cmp_ne_u32_e64 s4, 0x7f800000, v33
                                        ; implicit-def: $vgpr33
	s_and_saveexec_b32 s33, s4
	s_delay_alu instid0(SALU_CYCLE_1)
	s_xor_b32 s4, exec_lo, s33
; %bb.75:                               ;   in Loop: Header=BB258_19 Depth=1
	v_bfe_u32 v33, v34, 16, 1
	s_delay_alu instid0(VALU_DEP_1)
	v_add3_u32 v33, v34, v33, 0x7fff
                                        ; implicit-def: $vgpr34
; %bb.76:                               ;   in Loop: Header=BB258_19 Depth=1
	s_and_not1_saveexec_b32 s33, s4
; %bb.77:                               ;   in Loop: Header=BB258_19 Depth=1
	v_and_b32_e32 v33, 0xffff, v34
	v_or_b32_e32 v36, 0x10000, v34
	s_delay_alu instid0(VALU_DEP_2) | instskip(NEXT) | instid1(VALU_DEP_1)
	v_cmp_eq_u32_e64 s4, 0, v33
	v_cndmask_b32_e64 v33, v36, v34, s4
; %bb.78:                               ;   in Loop: Header=BB258_19 Depth=1
	s_or_b32 exec_lo, exec_lo, s33
	v_mov_b32_e32 v42, v39
	s_delay_alu instid0(VALU_DEP_1) | instskip(NEXT) | instid1(VALU_DEP_1)
	v_lshlrev_b64 v[41:42], 1, v[41:42]
	v_add_co_u32 v41, s4, s14, v41
	s_delay_alu instid0(VALU_DEP_1)
	v_add_co_ci_u32_e64 v42, s4, s15, v42, s4
	global_store_d16_hi_b16 v[41:42], v33, off
	s_or_b32 exec_lo, exec_lo, s31
	v_add_nc_u32_e32 v38, s11, v37
	s_and_saveexec_b32 s31, vcc_lo
	s_cbranch_execz .LBB258_48
.LBB258_79:                             ;   in Loop: Header=BB258_19 Depth=1
	s_waitcnt vmcnt(11) lgkmcnt(14)
	v_dual_add_f32 v30, v30, v31 :: v_dual_lshlrev_b32 v31, 16, v60
	s_delay_alu instid0(VALU_DEP_1) | instskip(NEXT) | instid1(VALU_DEP_1)
	v_add_f32_e32 v31, v30, v31
	v_and_b32_e32 v30, 0x7f800000, v31
	s_delay_alu instid0(VALU_DEP_1) | instskip(NEXT) | instid1(VALU_DEP_1)
	v_cmp_ne_u32_e64 s4, 0x7f800000, v30
                                        ; implicit-def: $vgpr30
	s_and_saveexec_b32 s33, s4
	s_delay_alu instid0(SALU_CYCLE_1)
	s_xor_b32 s4, exec_lo, s33
; %bb.80:                               ;   in Loop: Header=BB258_19 Depth=1
	v_bfe_u32 v30, v31, 16, 1
	s_delay_alu instid0(VALU_DEP_1)
	v_add3_u32 v30, v31, v30, 0x7fff
                                        ; implicit-def: $vgpr31
; %bb.81:                               ;   in Loop: Header=BB258_19 Depth=1
	s_and_not1_saveexec_b32 s33, s4
; %bb.82:                               ;   in Loop: Header=BB258_19 Depth=1
	v_and_b32_e32 v30, 0xffff, v31
	v_or_b32_e32 v33, 0x10000, v31
	s_delay_alu instid0(VALU_DEP_2) | instskip(NEXT) | instid1(VALU_DEP_1)
	v_cmp_eq_u32_e64 s4, 0, v30
	v_cndmask_b32_e64 v30, v33, v31, s4
; %bb.83:                               ;   in Loop: Header=BB258_19 Depth=1
	s_or_b32 exec_lo, exec_lo, s33
	s_waitcnt lgkmcnt(11)
	v_lshlrev_b64 v[33:34], 1, v[38:39]
	s_delay_alu instid0(VALU_DEP_1) | instskip(NEXT) | instid1(VALU_DEP_1)
	v_add_co_u32 v33, s4, s14, v33
	v_add_co_ci_u32_e64 v34, s4, s15, v34, s4
	global_store_d16_hi_b16 v[33:34], v30, off
	s_or_b32 exec_lo, exec_lo, s31
	s_and_saveexec_b32 s31, s1
	s_cbranch_execz .LBB258_49
.LBB258_84:                             ;   in Loop: Header=BB258_19 Depth=1
	s_waitcnt vmcnt(10) lgkmcnt(10)
	v_dual_add_f32 v25, v25, v26 :: v_dual_lshlrev_b32 v26, 16, v59
	s_delay_alu instid0(VALU_DEP_1) | instskip(NEXT) | instid1(VALU_DEP_1)
	v_add_f32_e32 v26, v25, v26
	v_and_b32_e32 v25, 0x7f800000, v26
	s_delay_alu instid0(VALU_DEP_1) | instskip(NEXT) | instid1(VALU_DEP_1)
	v_cmp_ne_u32_e64 s4, 0x7f800000, v25
                                        ; implicit-def: $vgpr25
	s_and_saveexec_b32 s33, s4
	s_delay_alu instid0(SALU_CYCLE_1)
	s_xor_b32 s4, exec_lo, s33
; %bb.85:                               ;   in Loop: Header=BB258_19 Depth=1
	v_bfe_u32 v25, v26, 16, 1
	s_delay_alu instid0(VALU_DEP_1)
	v_add3_u32 v25, v26, v25, 0x7fff
                                        ; implicit-def: $vgpr26
; %bb.86:                               ;   in Loop: Header=BB258_19 Depth=1
	s_and_not1_saveexec_b32 s33, s4
; %bb.87:                               ;   in Loop: Header=BB258_19 Depth=1
	v_and_b32_e32 v25, 0xffff, v26
	v_or_b32_e32 v30, 0x10000, v26
	s_delay_alu instid0(VALU_DEP_2) | instskip(NEXT) | instid1(VALU_DEP_1)
	v_cmp_eq_u32_e64 s4, 0, v25
	v_cndmask_b32_e64 v25, v30, v26, s4
; %bb.88:                               ;   in Loop: Header=BB258_19 Depth=1
	s_or_b32 exec_lo, exec_lo, s33
	v_dual_mov_b32 v31, v39 :: v_dual_add_nc_u32 v30, 1, v38
	s_delay_alu instid0(VALU_DEP_1) | instskip(NEXT) | instid1(VALU_DEP_1)
	v_lshlrev_b64 v[30:31], 1, v[30:31]
	v_add_co_u32 v30, s4, s14, v30
	s_delay_alu instid0(VALU_DEP_1)
	v_add_co_ci_u32_e64 v31, s4, s15, v31, s4
	global_store_d16_hi_b16 v[30:31], v25, off
	s_or_b32 exec_lo, exec_lo, s31
	s_and_saveexec_b32 s31, s2
	s_cbranch_execz .LBB258_50
.LBB258_89:                             ;   in Loop: Header=BB258_19 Depth=1
	s_waitcnt lgkmcnt(9)
	v_add_f32_e32 v25, v28, v29
	s_waitcnt vmcnt(9)
	v_lshlrev_b32_e32 v26, 16, v53
	s_delay_alu instid0(VALU_DEP_1) | instskip(NEXT) | instid1(VALU_DEP_1)
	v_add_f32_e32 v26, v25, v26
	v_and_b32_e32 v25, 0x7f800000, v26
	s_delay_alu instid0(VALU_DEP_1) | instskip(NEXT) | instid1(VALU_DEP_1)
	v_cmp_ne_u32_e64 s4, 0x7f800000, v25
                                        ; implicit-def: $vgpr25
	s_and_saveexec_b32 s33, s4
	s_delay_alu instid0(SALU_CYCLE_1)
	s_xor_b32 s4, exec_lo, s33
; %bb.90:                               ;   in Loop: Header=BB258_19 Depth=1
	v_bfe_u32 v25, v26, 16, 1
	s_delay_alu instid0(VALU_DEP_1)
	v_add3_u32 v25, v26, v25, 0x7fff
                                        ; implicit-def: $vgpr26
; %bb.91:                               ;   in Loop: Header=BB258_19 Depth=1
	s_and_not1_saveexec_b32 s33, s4
; %bb.92:                               ;   in Loop: Header=BB258_19 Depth=1
	v_and_b32_e32 v25, 0xffff, v26
	v_or_b32_e32 v28, 0x10000, v26
	s_delay_alu instid0(VALU_DEP_2) | instskip(NEXT) | instid1(VALU_DEP_1)
	v_cmp_eq_u32_e64 s4, 0, v25
	v_cndmask_b32_e64 v25, v28, v26, s4
; %bb.93:                               ;   in Loop: Header=BB258_19 Depth=1
	s_or_b32 exec_lo, exec_lo, s33
	v_dual_mov_b32 v29, v39 :: v_dual_add_nc_u32 v28, 2, v38
	s_delay_alu instid0(VALU_DEP_1) | instskip(NEXT) | instid1(VALU_DEP_1)
	v_lshlrev_b64 v[28:29], 1, v[28:29]
	v_add_co_u32 v28, s4, s14, v28
	s_delay_alu instid0(VALU_DEP_1)
	v_add_co_ci_u32_e64 v29, s4, s15, v29, s4
	global_store_d16_hi_b16 v[28:29], v25, off
	s_or_b32 exec_lo, exec_lo, s31
	s_and_saveexec_b32 s31, s3
	s_cbranch_execz .LBB258_51
.LBB258_94:                             ;   in Loop: Header=BB258_19 Depth=1
	s_waitcnt vmcnt(8) lgkmcnt(5)
	v_dual_add_f32 v23, v23, v24 :: v_dual_lshlrev_b32 v24, 16, v51
	s_delay_alu instid0(VALU_DEP_1) | instskip(NEXT) | instid1(VALU_DEP_1)
	v_add_f32_e32 v24, v23, v24
	v_and_b32_e32 v23, 0x7f800000, v24
	s_delay_alu instid0(VALU_DEP_1) | instskip(NEXT) | instid1(VALU_DEP_1)
	v_cmp_ne_u32_e64 s4, 0x7f800000, v23
                                        ; implicit-def: $vgpr23
	s_and_saveexec_b32 s33, s4
	s_delay_alu instid0(SALU_CYCLE_1)
	s_xor_b32 s4, exec_lo, s33
; %bb.95:                               ;   in Loop: Header=BB258_19 Depth=1
	v_bfe_u32 v23, v24, 16, 1
	s_delay_alu instid0(VALU_DEP_1)
	v_add3_u32 v23, v24, v23, 0x7fff
                                        ; implicit-def: $vgpr24
; %bb.96:                               ;   in Loop: Header=BB258_19 Depth=1
	s_and_not1_saveexec_b32 s33, s4
; %bb.97:                               ;   in Loop: Header=BB258_19 Depth=1
	v_and_b32_e32 v23, 0xffff, v24
	v_or_b32_e32 v25, 0x10000, v24
	s_delay_alu instid0(VALU_DEP_2) | instskip(NEXT) | instid1(VALU_DEP_1)
	v_cmp_eq_u32_e64 s4, 0, v23
	v_cndmask_b32_e64 v23, v25, v24, s4
; %bb.98:                               ;   in Loop: Header=BB258_19 Depth=1
	s_or_b32 exec_lo, exec_lo, s33
	v_dual_mov_b32 v25, v39 :: v_dual_add_nc_u32 v24, 3, v38
	s_delay_alu instid0(VALU_DEP_1) | instskip(NEXT) | instid1(VALU_DEP_1)
	v_lshlrev_b64 v[24:25], 1, v[24:25]
	v_add_co_u32 v24, s4, s14, v24
	s_delay_alu instid0(VALU_DEP_1)
	v_add_co_ci_u32_e64 v25, s4, s15, v25, s4
	global_store_d16_hi_b16 v[24:25], v23, off
	s_or_b32 exec_lo, exec_lo, s31
	v_add_nc_u32_e32 v38, s11, v38
	s_and_saveexec_b32 s31, vcc_lo
	s_cbranch_execz .LBB258_52
.LBB258_99:                             ;   in Loop: Header=BB258_19 Depth=1
	s_waitcnt vmcnt(7) lgkmcnt(7)
	v_dual_add_f32 v20, v20, v21 :: v_dual_lshlrev_b32 v21, 16, v52
	s_delay_alu instid0(VALU_DEP_1) | instskip(NEXT) | instid1(VALU_DEP_1)
	v_add_f32_e32 v21, v20, v21
	v_and_b32_e32 v20, 0x7f800000, v21
	s_delay_alu instid0(VALU_DEP_1) | instskip(NEXT) | instid1(VALU_DEP_1)
	v_cmp_ne_u32_e64 s4, 0x7f800000, v20
                                        ; implicit-def: $vgpr20
	s_and_saveexec_b32 s33, s4
	s_delay_alu instid0(SALU_CYCLE_1)
	s_xor_b32 s4, exec_lo, s33
; %bb.100:                              ;   in Loop: Header=BB258_19 Depth=1
	v_bfe_u32 v20, v21, 16, 1
	s_delay_alu instid0(VALU_DEP_1)
	v_add3_u32 v20, v21, v20, 0x7fff
                                        ; implicit-def: $vgpr21
; %bb.101:                              ;   in Loop: Header=BB258_19 Depth=1
	s_and_not1_saveexec_b32 s33, s4
; %bb.102:                              ;   in Loop: Header=BB258_19 Depth=1
	v_and_b32_e32 v20, 0xffff, v21
	v_or_b32_e32 v23, 0x10000, v21
	s_delay_alu instid0(VALU_DEP_2) | instskip(NEXT) | instid1(VALU_DEP_1)
	v_cmp_eq_u32_e64 s4, 0, v20
	v_cndmask_b32_e64 v20, v23, v21, s4
; %bb.103:                              ;   in Loop: Header=BB258_19 Depth=1
	s_or_b32 exec_lo, exec_lo, s33
	s_waitcnt lgkmcnt(5)
	v_lshlrev_b64 v[23:24], 1, v[38:39]
	s_delay_alu instid0(VALU_DEP_1) | instskip(NEXT) | instid1(VALU_DEP_1)
	v_add_co_u32 v23, s4, s14, v23
	v_add_co_ci_u32_e64 v24, s4, s15, v24, s4
	global_store_d16_hi_b16 v[23:24], v20, off
	s_or_b32 exec_lo, exec_lo, s31
	s_and_saveexec_b32 s31, s1
	s_cbranch_execz .LBB258_53
.LBB258_104:                            ;   in Loop: Header=BB258_19 Depth=1
	s_waitcnt vmcnt(6) lgkmcnt(8)
	v_dual_add_f32 v17, v17, v18 :: v_dual_lshlrev_b32 v18, 16, v48
	s_delay_alu instid0(VALU_DEP_1) | instskip(NEXT) | instid1(VALU_DEP_1)
	v_add_f32_e32 v18, v17, v18
	v_and_b32_e32 v17, 0x7f800000, v18
	s_delay_alu instid0(VALU_DEP_1) | instskip(NEXT) | instid1(VALU_DEP_1)
	v_cmp_ne_u32_e64 s4, 0x7f800000, v17
                                        ; implicit-def: $vgpr17
	s_and_saveexec_b32 s33, s4
	s_delay_alu instid0(SALU_CYCLE_1)
	s_xor_b32 s4, exec_lo, s33
; %bb.105:                              ;   in Loop: Header=BB258_19 Depth=1
	v_bfe_u32 v17, v18, 16, 1
	s_delay_alu instid0(VALU_DEP_1)
	v_add3_u32 v17, v18, v17, 0x7fff
                                        ; implicit-def: $vgpr18
; %bb.106:                              ;   in Loop: Header=BB258_19 Depth=1
	s_and_not1_saveexec_b32 s33, s4
; %bb.107:                              ;   in Loop: Header=BB258_19 Depth=1
	v_and_b32_e32 v17, 0xffff, v18
	v_or_b32_e32 v20, 0x10000, v18
	s_delay_alu instid0(VALU_DEP_2) | instskip(NEXT) | instid1(VALU_DEP_1)
	v_cmp_eq_u32_e64 s4, 0, v17
	v_cndmask_b32_e64 v17, v20, v18, s4
; %bb.108:                              ;   in Loop: Header=BB258_19 Depth=1
	s_or_b32 exec_lo, exec_lo, s33
	s_waitcnt lgkmcnt(7)
	v_dual_mov_b32 v21, v39 :: v_dual_add_nc_u32 v20, 1, v38
	s_delay_alu instid0(VALU_DEP_1) | instskip(NEXT) | instid1(VALU_DEP_1)
	v_lshlrev_b64 v[20:21], 1, v[20:21]
	v_add_co_u32 v20, s4, s14, v20
	s_delay_alu instid0(VALU_DEP_1)
	v_add_co_ci_u32_e64 v21, s4, s15, v21, s4
	global_store_d16_hi_b16 v[20:21], v17, off
	s_or_b32 exec_lo, exec_lo, s31
	s_and_saveexec_b32 s31, s2
	s_cbranch_execz .LBB258_54
.LBB258_109:                            ;   in Loop: Header=BB258_19 Depth=1
	s_waitcnt lgkmcnt(6)
	v_add_f32_e32 v13, v13, v14
	s_waitcnt vmcnt(5)
	v_lshlrev_b32_e32 v14, 16, v46
	s_delay_alu instid0(VALU_DEP_1) | instskip(NEXT) | instid1(VALU_DEP_1)
	v_add_f32_e32 v14, v13, v14
	v_and_b32_e32 v13, 0x7f800000, v14
	s_delay_alu instid0(VALU_DEP_1) | instskip(NEXT) | instid1(VALU_DEP_1)
	v_cmp_ne_u32_e64 s4, 0x7f800000, v13
                                        ; implicit-def: $vgpr13
	s_and_saveexec_b32 s33, s4
	s_delay_alu instid0(SALU_CYCLE_1)
	s_xor_b32 s4, exec_lo, s33
; %bb.110:                              ;   in Loop: Header=BB258_19 Depth=1
	v_bfe_u32 v13, v14, 16, 1
	s_delay_alu instid0(VALU_DEP_1)
	v_add3_u32 v13, v14, v13, 0x7fff
                                        ; implicit-def: $vgpr14
; %bb.111:                              ;   in Loop: Header=BB258_19 Depth=1
	s_and_not1_saveexec_b32 s33, s4
; %bb.112:                              ;   in Loop: Header=BB258_19 Depth=1
	v_and_b32_e32 v13, 0xffff, v14
	v_or_b32_e32 v17, 0x10000, v14
	s_delay_alu instid0(VALU_DEP_2) | instskip(NEXT) | instid1(VALU_DEP_1)
	v_cmp_eq_u32_e64 s4, 0, v13
	v_cndmask_b32_e64 v13, v17, v14, s4
; %bb.113:                              ;   in Loop: Header=BB258_19 Depth=1
	s_or_b32 exec_lo, exec_lo, s33
	v_dual_mov_b32 v18, v39 :: v_dual_add_nc_u32 v17, 2, v38
	s_delay_alu instid0(VALU_DEP_1) | instskip(NEXT) | instid1(VALU_DEP_1)
	v_lshlrev_b64 v[17:18], 1, v[17:18]
	v_add_co_u32 v17, s4, s14, v17
	s_delay_alu instid0(VALU_DEP_1)
	v_add_co_ci_u32_e64 v18, s4, s15, v18, s4
	global_store_d16_hi_b16 v[17:18], v13, off
	s_or_b32 exec_lo, exec_lo, s31
	s_and_saveexec_b32 s31, s3
	s_cbranch_execz .LBB258_55
.LBB258_114:                            ;   in Loop: Header=BB258_19 Depth=1
	s_waitcnt vmcnt(4) lgkmcnt(3)
	v_dual_add_f32 v13, v15, v16 :: v_dual_lshlrev_b32 v14, 16, v35
	s_delay_alu instid0(VALU_DEP_1) | instskip(NEXT) | instid1(VALU_DEP_1)
	v_add_f32_e32 v14, v13, v14
	v_and_b32_e32 v13, 0x7f800000, v14
	s_delay_alu instid0(VALU_DEP_1) | instskip(NEXT) | instid1(VALU_DEP_1)
	v_cmp_ne_u32_e64 s4, 0x7f800000, v13
                                        ; implicit-def: $vgpr13
	s_and_saveexec_b32 s33, s4
	s_delay_alu instid0(SALU_CYCLE_1)
	s_xor_b32 s4, exec_lo, s33
; %bb.115:                              ;   in Loop: Header=BB258_19 Depth=1
	v_bfe_u32 v13, v14, 16, 1
	s_delay_alu instid0(VALU_DEP_1)
	v_add3_u32 v13, v14, v13, 0x7fff
                                        ; implicit-def: $vgpr14
; %bb.116:                              ;   in Loop: Header=BB258_19 Depth=1
	s_and_not1_saveexec_b32 s33, s4
; %bb.117:                              ;   in Loop: Header=BB258_19 Depth=1
	v_and_b32_e32 v13, 0xffff, v14
	v_or_b32_e32 v15, 0x10000, v14
	s_delay_alu instid0(VALU_DEP_2) | instskip(NEXT) | instid1(VALU_DEP_1)
	v_cmp_eq_u32_e64 s4, 0, v13
	v_cndmask_b32_e64 v13, v15, v14, s4
; %bb.118:                              ;   in Loop: Header=BB258_19 Depth=1
	s_or_b32 exec_lo, exec_lo, s33
	v_dual_mov_b32 v15, v39 :: v_dual_add_nc_u32 v14, 3, v38
	s_delay_alu instid0(VALU_DEP_1) | instskip(NEXT) | instid1(VALU_DEP_1)
	v_lshlrev_b64 v[14:15], 1, v[14:15]
	v_add_co_u32 v14, s4, s14, v14
	s_delay_alu instid0(VALU_DEP_1)
	v_add_co_ci_u32_e64 v15, s4, s15, v15, s4
	global_store_d16_hi_b16 v[14:15], v13, off
	s_or_b32 exec_lo, exec_lo, s31
	v_add_nc_u32_e32 v38, s11, v38
	s_and_saveexec_b32 s4, vcc_lo
	s_cbranch_execz .LBB258_56
.LBB258_119:                            ;   in Loop: Header=BB258_19 Depth=1
	s_waitcnt lgkmcnt(4)
	v_add_f32_e32 v11, v11, v12
	s_waitcnt vmcnt(3)
	v_lshlrev_b32_e32 v12, 16, v32
	s_delay_alu instid0(VALU_DEP_1) | instskip(NEXT) | instid1(VALU_DEP_1)
	v_add_f32_e32 v12, v11, v12
	v_and_b32_e32 v11, 0x7f800000, v12
	s_delay_alu instid0(VALU_DEP_1) | instskip(SKIP_1) | instid1(SALU_CYCLE_1)
	v_cmp_ne_u32_e32 vcc_lo, 0x7f800000, v11
                                        ; implicit-def: $vgpr11
	s_and_saveexec_b32 s31, vcc_lo
	s_xor_b32 s31, exec_lo, s31
; %bb.120:                              ;   in Loop: Header=BB258_19 Depth=1
	v_bfe_u32 v11, v12, 16, 1
	s_delay_alu instid0(VALU_DEP_1)
	v_add3_u32 v11, v12, v11, 0x7fff
                                        ; implicit-def: $vgpr12
; %bb.121:                              ;   in Loop: Header=BB258_19 Depth=1
	s_and_not1_saveexec_b32 s31, s31
; %bb.122:                              ;   in Loop: Header=BB258_19 Depth=1
	v_and_b32_e32 v11, 0xffff, v12
	v_or_b32_e32 v13, 0x10000, v12
	s_delay_alu instid0(VALU_DEP_2) | instskip(NEXT) | instid1(VALU_DEP_2)
	v_cmp_eq_u32_e32 vcc_lo, 0, v11
	v_cndmask_b32_e32 v11, v13, v12, vcc_lo
; %bb.123:                              ;   in Loop: Header=BB258_19 Depth=1
	s_or_b32 exec_lo, exec_lo, s31
	v_lshlrev_b64 v[12:13], 1, v[38:39]
	s_delay_alu instid0(VALU_DEP_1) | instskip(NEXT) | instid1(VALU_DEP_2)
	v_add_co_u32 v12, vcc_lo, s14, v12
	v_add_co_ci_u32_e32 v13, vcc_lo, s15, v13, vcc_lo
	global_store_d16_hi_b16 v[12:13], v11, off
	s_or_b32 exec_lo, exec_lo, s4
	s_and_saveexec_b32 s4, s1
	s_cbranch_execz .LBB258_57
.LBB258_124:                            ;   in Loop: Header=BB258_19 Depth=1
	s_waitcnt vmcnt(2) lgkmcnt(2)
	v_dual_add_f32 v9, v9, v10 :: v_dual_lshlrev_b32 v10, 16, v27
	s_delay_alu instid0(VALU_DEP_1) | instskip(NEXT) | instid1(VALU_DEP_1)
	v_add_f32_e32 v10, v9, v10
	v_and_b32_e32 v9, 0x7f800000, v10
	s_delay_alu instid0(VALU_DEP_1) | instskip(SKIP_1) | instid1(SALU_CYCLE_1)
	v_cmp_ne_u32_e32 vcc_lo, 0x7f800000, v9
                                        ; implicit-def: $vgpr9
	s_and_saveexec_b32 s1, vcc_lo
	s_xor_b32 s1, exec_lo, s1
; %bb.125:                              ;   in Loop: Header=BB258_19 Depth=1
	v_bfe_u32 v9, v10, 16, 1
	s_delay_alu instid0(VALU_DEP_1)
	v_add3_u32 v9, v10, v9, 0x7fff
                                        ; implicit-def: $vgpr10
; %bb.126:                              ;   in Loop: Header=BB258_19 Depth=1
	s_and_not1_saveexec_b32 s1, s1
; %bb.127:                              ;   in Loop: Header=BB258_19 Depth=1
	v_and_b32_e32 v9, 0xffff, v10
	v_or_b32_e32 v11, 0x10000, v10
	s_delay_alu instid0(VALU_DEP_2) | instskip(NEXT) | instid1(VALU_DEP_2)
	v_cmp_eq_u32_e32 vcc_lo, 0, v9
	v_cndmask_b32_e32 v9, v11, v10, vcc_lo
; %bb.128:                              ;   in Loop: Header=BB258_19 Depth=1
	s_or_b32 exec_lo, exec_lo, s1
	v_dual_mov_b32 v11, v39 :: v_dual_add_nc_u32 v10, 1, v38
	s_delay_alu instid0(VALU_DEP_1) | instskip(NEXT) | instid1(VALU_DEP_1)
	v_lshlrev_b64 v[10:11], 1, v[10:11]
	v_add_co_u32 v10, vcc_lo, s14, v10
	s_delay_alu instid0(VALU_DEP_2)
	v_add_co_ci_u32_e32 v11, vcc_lo, s15, v11, vcc_lo
	global_store_d16_hi_b16 v[10:11], v9, off
	s_or_b32 exec_lo, exec_lo, s4
	s_and_saveexec_b32 s1, s2
	s_cbranch_execz .LBB258_58
.LBB258_129:                            ;   in Loop: Header=BB258_19 Depth=1
	s_waitcnt vmcnt(1) lgkmcnt(1)
	v_dual_add_f32 v7, v7, v8 :: v_dual_lshlrev_b32 v8, 16, v22
	s_delay_alu instid0(VALU_DEP_1) | instskip(NEXT) | instid1(VALU_DEP_1)
	v_add_f32_e32 v8, v7, v8
	v_and_b32_e32 v7, 0x7f800000, v8
	s_delay_alu instid0(VALU_DEP_1) | instskip(SKIP_1) | instid1(SALU_CYCLE_1)
	v_cmp_ne_u32_e32 vcc_lo, 0x7f800000, v7
                                        ; implicit-def: $vgpr7
	s_and_saveexec_b32 s2, vcc_lo
	s_xor_b32 s2, exec_lo, s2
; %bb.130:                              ;   in Loop: Header=BB258_19 Depth=1
	v_bfe_u32 v7, v8, 16, 1
	s_delay_alu instid0(VALU_DEP_1)
	v_add3_u32 v7, v8, v7, 0x7fff
                                        ; implicit-def: $vgpr8
; %bb.131:                              ;   in Loop: Header=BB258_19 Depth=1
	s_and_not1_saveexec_b32 s2, s2
; %bb.132:                              ;   in Loop: Header=BB258_19 Depth=1
	v_and_b32_e32 v7, 0xffff, v8
	v_or_b32_e32 v9, 0x10000, v8
	s_delay_alu instid0(VALU_DEP_2) | instskip(NEXT) | instid1(VALU_DEP_2)
	v_cmp_eq_u32_e32 vcc_lo, 0, v7
	v_cndmask_b32_e32 v7, v9, v8, vcc_lo
; %bb.133:                              ;   in Loop: Header=BB258_19 Depth=1
	s_or_b32 exec_lo, exec_lo, s2
	v_dual_mov_b32 v9, v39 :: v_dual_add_nc_u32 v8, 2, v38
	s_delay_alu instid0(VALU_DEP_1) | instskip(NEXT) | instid1(VALU_DEP_1)
	v_lshlrev_b64 v[8:9], 1, v[8:9]
	v_add_co_u32 v8, vcc_lo, s14, v8
	s_delay_alu instid0(VALU_DEP_2) | instskip(SKIP_2) | instid1(SALU_CYCLE_1)
	v_add_co_ci_u32_e32 v9, vcc_lo, s15, v9, vcc_lo
	global_store_d16_hi_b16 v[8:9], v7, off
	s_or_b32 exec_lo, exec_lo, s1
	s_and_b32 exec_lo, exec_lo, s3
	s_cbranch_execz .LBB258_139
.LBB258_134:                            ;   in Loop: Header=BB258_19 Depth=1
	s_waitcnt vmcnt(0) lgkmcnt(0)
	v_dual_add_f32 v5, v5, v6 :: v_dual_lshlrev_b32 v6, 16, v19
	s_delay_alu instid0(VALU_DEP_1) | instskip(NEXT) | instid1(VALU_DEP_1)
	v_add_f32_e32 v6, v5, v6
	v_and_b32_e32 v5, 0x7f800000, v6
	s_delay_alu instid0(VALU_DEP_1) | instskip(SKIP_1) | instid1(SALU_CYCLE_1)
	v_cmp_ne_u32_e32 vcc_lo, 0x7f800000, v5
                                        ; implicit-def: $vgpr5
	s_and_saveexec_b32 s1, vcc_lo
	s_xor_b32 s1, exec_lo, s1
; %bb.135:                              ;   in Loop: Header=BB258_19 Depth=1
	v_bfe_u32 v5, v6, 16, 1
	s_delay_alu instid0(VALU_DEP_1)
	v_add3_u32 v5, v6, v5, 0x7fff
                                        ; implicit-def: $vgpr6
; %bb.136:                              ;   in Loop: Header=BB258_19 Depth=1
	s_and_not1_saveexec_b32 s1, s1
; %bb.137:                              ;   in Loop: Header=BB258_19 Depth=1
	v_and_b32_e32 v5, 0xffff, v6
	v_or_b32_e32 v7, 0x10000, v6
	s_delay_alu instid0(VALU_DEP_2) | instskip(NEXT) | instid1(VALU_DEP_2)
	v_cmp_eq_u32_e32 vcc_lo, 0, v5
	v_cndmask_b32_e32 v5, v7, v6, vcc_lo
; %bb.138:                              ;   in Loop: Header=BB258_19 Depth=1
	s_or_b32 exec_lo, exec_lo, s1
	v_add_nc_u32_e32 v38, 3, v38
	s_delay_alu instid0(VALU_DEP_1) | instskip(NEXT) | instid1(VALU_DEP_1)
	v_lshlrev_b64 v[6:7], 1, v[38:39]
	v_add_co_u32 v6, vcc_lo, s14, v6
	s_delay_alu instid0(VALU_DEP_2)
	v_add_co_ci_u32_e32 v7, vcc_lo, s15, v7, vcc_lo
	global_store_d16_hi_b16 v[6:7], v5, off
.LBB258_139:                            ;   in Loop: Header=BB258_19 Depth=1
	s_or_b32 exec_lo, exec_lo, s5
	v_add_nc_u32_e32 v37, s20, v37
	s_delay_alu instid0(VALU_DEP_1) | instskip(SKIP_1) | instid1(VALU_DEP_2)
	v_add_nc_u32_e32 v5, 4, v37
	v_cmp_gt_u32_e32 vcc_lo, s11, v37
	v_cmp_le_u32_e64 s1, s11, v5
	s_delay_alu instid0(VALU_DEP_1) | instskip(NEXT) | instid1(SALU_CYCLE_1)
	s_and_b32 s1, vcc_lo, s1
	s_and_saveexec_b32 s31, s1
	s_cbranch_execz .LBB258_18
; %bb.140:                              ;   in Loop: Header=BB258_19 Depth=1
	s_mov_b32 s33, exec_lo
	v_cmpx_ne_u32_e64 s21, v37
	s_cbranch_execz .LBB258_17
; %bb.141:                              ;   in Loop: Header=BB258_19 Depth=1
	v_subrev_nc_u32_e32 v5, s21, v37
	s_mov_b32 s34, 0
	s_mov_b64 s[4:5], 0
	s_delay_alu instid0(VALU_DEP_1)
	v_cmp_lt_u32_e32 vcc_lo, 1, v5
	v_cndmask_b32_e32 v5, 1, v5, vcc_lo
	.p2align	6
.LBB258_142:                            ;   Parent Loop BB258_19 Depth=1
                                        ; =>  This Inner Loop Header: Depth=2
	s_cmp_lg_u32 s4, 3
	s_cselect_b32 vcc_lo, -1, 0
	s_cmp_lg_u32 s4, 2
	v_cndmask_b32_e32 v4, 0, v4, vcc_lo
	s_cselect_b32 s1, -1, 0
	s_cmp_lg_u32 s4, 1
	v_cndmask_b32_e64 v3, 0, v3, s1
	s_cselect_b32 s2, -1, 0
	s_cmp_lg_u32 s4, 0
	v_cndmask_b32_e64 v2, 0, v2, s2
	s_cselect_b32 s3, -1, 0
	s_add_u32 s4, s4, 1
	v_cndmask_b32_e64 v1, 0, v1, s3
	v_cmp_eq_u32_e32 vcc_lo, s4, v5
	s_addc_u32 s5, s5, 0
	s_or_b32 s34, vcc_lo, s34
	s_delay_alu instid0(SALU_CYCLE_1)
	s_and_not1_b32 exec_lo, exec_lo, s34
	s_cbranch_execnz .LBB258_142
; %bb.143:                              ;   in Loop: Header=BB258_19 Depth=1
	s_or_b32 exec_lo, exec_lo, s34
	s_branch .LBB258_17
.LBB258_144:
	s_nop 0
	s_sendmsg sendmsg(MSG_DEALLOC_VGPRS)
	s_endpgm
	.section	.rodata,"a",@progbits
	.p2align	6, 0x0
	.amdhsa_kernel _Z12wvSplitK_hf_I14__hip_bfloat16Li32ELi4ELi16ELi8ELi1ELi4EEviiiiiiPKT_S3_S3_PS1_ii
		.amdhsa_group_segment_fixed_size 65536
		.amdhsa_private_segment_fixed_size 0
		.amdhsa_kernarg_size 64
		.amdhsa_user_sgpr_count 15
		.amdhsa_user_sgpr_dispatch_ptr 0
		.amdhsa_user_sgpr_queue_ptr 0
		.amdhsa_user_sgpr_kernarg_segment_ptr 1
		.amdhsa_user_sgpr_dispatch_id 0
		.amdhsa_user_sgpr_private_segment_size 0
		.amdhsa_wavefront_size32 1
		.amdhsa_uses_dynamic_stack 0
		.amdhsa_enable_private_segment 0
		.amdhsa_system_sgpr_workgroup_id_x 1
		.amdhsa_system_sgpr_workgroup_id_y 0
		.amdhsa_system_sgpr_workgroup_id_z 0
		.amdhsa_system_sgpr_workgroup_info 0
		.amdhsa_system_vgpr_workitem_id 1
		.amdhsa_next_free_vgpr 95
		.amdhsa_next_free_sgpr 35
		.amdhsa_reserve_vcc 1
		.amdhsa_float_round_mode_32 0
		.amdhsa_float_round_mode_16_64 0
		.amdhsa_float_denorm_mode_32 3
		.amdhsa_float_denorm_mode_16_64 3
		.amdhsa_dx10_clamp 1
		.amdhsa_ieee_mode 1
		.amdhsa_fp16_overflow 0
		.amdhsa_workgroup_processor_mode 1
		.amdhsa_memory_ordered 1
		.amdhsa_forward_progress 0
		.amdhsa_shared_vgpr_count 0
		.amdhsa_exception_fp_ieee_invalid_op 0
		.amdhsa_exception_fp_denorm_src 0
		.amdhsa_exception_fp_ieee_div_zero 0
		.amdhsa_exception_fp_ieee_overflow 0
		.amdhsa_exception_fp_ieee_underflow 0
		.amdhsa_exception_fp_ieee_inexact 0
		.amdhsa_exception_int_div_zero 0
	.end_amdhsa_kernel
	.section	.text._Z12wvSplitK_hf_I14__hip_bfloat16Li32ELi4ELi16ELi8ELi1ELi4EEviiiiiiPKT_S3_S3_PS1_ii,"axG",@progbits,_Z12wvSplitK_hf_I14__hip_bfloat16Li32ELi4ELi16ELi8ELi1ELi4EEviiiiiiPKT_S3_S3_PS1_ii,comdat
.Lfunc_end258:
	.size	_Z12wvSplitK_hf_I14__hip_bfloat16Li32ELi4ELi16ELi8ELi1ELi4EEviiiiiiPKT_S3_S3_PS1_ii, .Lfunc_end258-_Z12wvSplitK_hf_I14__hip_bfloat16Li32ELi4ELi16ELi8ELi1ELi4EEviiiiiiPKT_S3_S3_PS1_ii
                                        ; -- End function
	.section	.AMDGPU.csdata,"",@progbits
; Kernel info:
; codeLenInByte = 9024
; NumSgprs: 37
; NumVgprs: 95
; ScratchSize: 0
; MemoryBound: 0
; FloatMode: 240
; IeeeMode: 1
; LDSByteSize: 65536 bytes/workgroup (compile time only)
; SGPRBlocks: 4
; VGPRBlocks: 11
; NumSGPRsForWavesPerEU: 37
; NumVGPRsForWavesPerEU: 95
; Occupancy: 8
; WaveLimiterHint : 0
; COMPUTE_PGM_RSRC2:SCRATCH_EN: 0
; COMPUTE_PGM_RSRC2:USER_SGPR: 15
; COMPUTE_PGM_RSRC2:TRAP_HANDLER: 0
; COMPUTE_PGM_RSRC2:TGID_X_EN: 1
; COMPUTE_PGM_RSRC2:TGID_Y_EN: 0
; COMPUTE_PGM_RSRC2:TGID_Z_EN: 0
; COMPUTE_PGM_RSRC2:TIDIG_COMP_CNT: 1
	.section	.text._Z16wvSplitK_hf_big_I14__hip_bfloat16Li32ELi4ELi16ELi8ELi1ELi4EEviiiiiiPKT_S3_S3_PS1_ii,"axG",@progbits,_Z16wvSplitK_hf_big_I14__hip_bfloat16Li32ELi4ELi16ELi8ELi1ELi4EEviiiiiiPKT_S3_S3_PS1_ii,comdat
	.protected	_Z16wvSplitK_hf_big_I14__hip_bfloat16Li32ELi4ELi16ELi8ELi1ELi4EEviiiiiiPKT_S3_S3_PS1_ii ; -- Begin function _Z16wvSplitK_hf_big_I14__hip_bfloat16Li32ELi4ELi16ELi8ELi1ELi4EEviiiiiiPKT_S3_S3_PS1_ii
	.globl	_Z16wvSplitK_hf_big_I14__hip_bfloat16Li32ELi4ELi16ELi8ELi1ELi4EEviiiiiiPKT_S3_S3_PS1_ii
	.p2align	8
	.type	_Z16wvSplitK_hf_big_I14__hip_bfloat16Li32ELi4ELi16ELi8ELi1ELi4EEviiiiiiPKT_S3_S3_PS1_ii,@function
_Z16wvSplitK_hf_big_I14__hip_bfloat16Li32ELi4ELi16ELi8ELi1ELi4EEviiiiiiPKT_S3_S3_PS1_ii: ; @_Z16wvSplitK_hf_big_I14__hip_bfloat16Li32ELi4ELi16ELi8ELi1ELi4EEviiiiiiPKT_S3_S3_PS1_ii
; %bb.0:
	s_load_b64 s[20:21], s[0:1], 0x38
	v_bfe_u32 v5, v0, 10, 10
	s_mov_b32 s2, exec_lo
	s_waitcnt lgkmcnt(0)
	s_delay_alu instid0(VALU_DEP_1)
	v_cmpx_gt_u32_e64 s20, v5
	s_cbranch_execz .LBB259_134
; %bb.1:
	s_load_b128 s[16:19], s[0:1], 0x0
	s_mul_i32 s15, s15, s20
	s_mov_b32 s4, 1
	v_add_lshl_u32 v37, s15, v5, 2
	s_mov_b32 s5, s4
	s_mov_b32 s6, s4
	;; [unrolled: 1-line block ×3, first 2 shown]
	s_delay_alu instid0(VALU_DEP_1) | instskip(SKIP_2) | instid1(VALU_DEP_2)
	v_add_nc_u32_e32 v1, 4, v37
	s_waitcnt lgkmcnt(0)
	v_cmp_gt_u32_e32 vcc_lo, s19, v37
	v_cmp_le_u32_e64 s2, s19, v1
	v_dual_mov_b32 v1, s4 :: v_dual_mov_b32 v4, s7
	v_dual_mov_b32 v2, s5 :: v_dual_mov_b32 v3, s6
	s_delay_alu instid0(VALU_DEP_3) | instskip(NEXT) | instid1(SALU_CYCLE_1)
	s_and_b32 s2, vcc_lo, s2
	s_and_saveexec_b32 s8, s2
	s_cbranch_execz .LBB259_7
; %bb.2:
	v_dual_mov_b32 v1, s4 :: v_dual_mov_b32 v2, s5
	v_dual_mov_b32 v3, s6 :: v_dual_mov_b32 v4, s7
	s_add_i32 s9, s19, -4
	s_mov_b32 s10, exec_lo
	v_cmpx_ne_u32_e64 s9, v37
	s_cbranch_execz .LBB259_6
; %bb.3:
	v_subrev_nc_u32_e32 v1, s9, v37
	s_mov_b32 s11, 0
	s_mov_b64 s[2:3], 0
	s_mov_b32 s5, s4
	s_mov_b32 s6, s4
	v_cmp_lt_u32_e32 vcc_lo, 1, v1
	s_mov_b32 s7, s4
	v_cndmask_b32_e32 v6, 1, v1, vcc_lo
	.p2align	6
.LBB259_4:                              ; =>This Inner Loop Header: Depth=1
	s_cmp_lg_u32 s2, 3
	s_cselect_b32 s7, s7, 0
	s_cmp_lg_u32 s2, 2
	s_cselect_b32 s6, s6, 0
	;; [unrolled: 2-line block ×4, first 2 shown]
	s_add_u32 s2, s2, 1
	v_dual_mov_b32 v1, s4 :: v_dual_mov_b32 v2, s5
	v_cmp_eq_u32_e32 vcc_lo, s2, v6
	v_dual_mov_b32 v3, s6 :: v_dual_mov_b32 v4, s7
	s_addc_u32 s3, s3, 0
	s_or_b32 s11, vcc_lo, s11
	s_delay_alu instid0(SALU_CYCLE_1)
	s_and_not1_b32 exec_lo, exec_lo, s11
	s_cbranch_execnz .LBB259_4
; %bb.5:
	s_or_b32 exec_lo, exec_lo, s11
	v_mov_b32_e32 v37, s9
.LBB259_6:
	s_or_b32 exec_lo, exec_lo, s10
.LBB259_7:
	s_delay_alu instid0(SALU_CYCLE_1)
	s_or_b32 exec_lo, exec_lo, s8
	s_lshl_b32 s2, s20, 2
	s_abs_i32 s6, s19
	s_abs_i32 s3, s2
	s_mov_b32 s23, 0
	v_cvt_f32_u32_e32 v6, s3
	s_sub_i32 s5, 0, s3
	s_delay_alu instid0(VALU_DEP_1) | instskip(SKIP_2) | instid1(VALU_DEP_1)
	v_rcp_iflag_f32_e32 v6, v6
	s_waitcnt_depctr 0xfff
	v_mul_f32_e32 v6, 0x4f7ffffe, v6
	v_cvt_u32_f32_e32 v6, v6
	s_delay_alu instid0(VALU_DEP_1) | instskip(NEXT) | instid1(VALU_DEP_1)
	v_readfirstlane_b32 s4, v6
	s_mul_i32 s5, s5, s4
	s_delay_alu instid0(SALU_CYCLE_1) | instskip(NEXT) | instid1(SALU_CYCLE_1)
	s_mul_hi_u32 s5, s4, s5
	s_add_i32 s4, s4, s5
	s_ashr_i32 s5, s19, 31
	s_mul_hi_u32 s4, s6, s4
	s_delay_alu instid0(SALU_CYCLE_1) | instskip(NEXT) | instid1(SALU_CYCLE_1)
	s_mul_i32 s4, s4, s3
	s_sub_i32 s4, s6, s4
	s_delay_alu instid0(SALU_CYCLE_1) | instskip(SKIP_2) | instid1(SALU_CYCLE_1)
	s_sub_i32 s6, s4, s3
	s_cmp_ge_u32 s4, s3
	s_cselect_b32 s4, s6, s4
	s_sub_i32 s6, s4, s3
	s_cmp_ge_u32 s4, s3
	s_cselect_b32 s3, s6, s4
	s_add_i32 s2, s2, s19
	s_xor_b32 s3, s3, s5
	s_delay_alu instid0(SALU_CYCLE_1) | instskip(NEXT) | instid1(SALU_CYCLE_1)
	s_sub_i32 s3, s3, s5
	s_sub_i32 s2, s2, s3
	s_cmp_eq_u32 s3, 0
	s_cselect_b32 s22, s19, s2
	s_delay_alu instid0(SALU_CYCLE_1)
	v_cmp_gt_u32_e32 vcc_lo, s22, v37
	s_and_b32 exec_lo, exec_lo, vcc_lo
	s_cbranch_execz .LBB259_134
; %bb.8:
	s_load_b256 s[8:15], s[0:1], 0x10
	s_min_u32 s24, s18, 0x2000
	s_cmp_lg_u32 s16, 0
	s_mul_i32 s2, s21, s20
	s_cselect_b32 s25, -1, 0
	s_cmp_lg_u32 s18, 0
	s_load_b64 s[6:7], s[0:1], 0x30
	s_cselect_b32 s21, -1, 0
	s_lshl_b32 s26, s20, 8
	s_add_i32 s27, s16, -8
	s_add_i32 s28, s19, -1
	s_lshl_b32 s29, s2, 2
	v_and_b32_e32 v0, 0x3ff, v0
	v_mov_b32_e32 v40, 0
	v_mbcnt_lo_u32_b32 v50, -1, 0
	s_delay_alu instid0(VALU_DEP_3)
	v_lshlrev_b32_e32 v51, 3, v0
	v_cmp_eq_u32_e64 s0, 31, v0
	v_lshlrev_b32_e32 v0, 4, v0
	s_waitcnt lgkmcnt(0)
	s_cmp_lg_u64 s[14:15], 0
	v_cvt_f32_u32_e32 v7, s8
	s_cselect_b32 s30, -1, 0
	s_abs_i32 s2, s9
	s_add_i32 s31, s19, -4
	v_cvt_f32_u32_e32 v6, s2
	v_rcp_iflag_f32_e32 v7, v7
	s_sub_i32 s3, 0, s2
	s_sub_i32 s4, 0, s8
	;; [unrolled: 1-line block ×3, first 2 shown]
	v_rcp_iflag_f32_e32 v6, v6
	v_lshl_add_u32 v52, v5, 9, v0
	v_lshl_add_u32 v0, v5, 8, v51
	s_mul_i32 s9, s24, 6
	s_delay_alu instid0(VALU_DEP_1) | instskip(SKIP_4) | instid1(VALU_DEP_2)
	v_mad_u64_u32 v[41:42], null, s18, 3, v[0:1]
	v_lshl_add_u32 v53, s18, 1, v0
	s_waitcnt_depctr 0xfff
	v_mul_f32_e32 v6, 0x4f7ffffe, v6
	v_add_nc_u32_e32 v54, s18, v0
	v_cvt_u32_f32_e32 v6, v6
	s_delay_alu instid0(VALU_DEP_1) | instskip(SKIP_1) | instid1(VALU_DEP_2)
	v_readfirstlane_b32 s1, v6
	v_mul_f32_e32 v6, 0x4f7ffffe, v7
	s_mul_i32 s3, s3, s1
	s_delay_alu instid0(VALU_DEP_1) | instskip(SKIP_1) | instid1(SALU_CYCLE_1)
	v_cvt_u32_f32_e32 v6, v6
	s_mul_hi_u32 s3, s1, s3
	s_add_i32 s1, s1, s3
	s_cmp_lt_u32 s2, 2
	s_delay_alu instid0(VALU_DEP_1) | instskip(SKIP_1) | instid1(SALU_CYCLE_1)
	v_mul_lo_u32 v5, s4, v6
	s_cselect_b32 s3, s5, 1
	s_sub_i32 s5, s3, s2
	s_cmp_ge_u32 s3, s2
	s_cselect_b32 s33, s5, s3
	s_lshr_b32 s3, s1, 31
	s_mul_hi_u32 s1, s1, 3
	s_mul_i32 s3, s3, s2
	s_mul_i32 s1, s1, s2
	s_sub_i32 s3, 2, s3
	v_mul_hi_u32 v5, v6, v5
	s_sub_i32 s4, s3, s2
	s_cmp_ge_u32 s3, s2
	s_mul_i32 s33, s33, s8
	s_cselect_b32 s3, s4, s3
	s_delay_alu instid0(SALU_CYCLE_1) | instskip(SKIP_1) | instid1(VALU_DEP_1)
	s_sub_i32 s4, s3, s2
	s_cmp_ge_u32 s3, s2
	v_add_nc_u32_e32 v55, v6, v5
	s_cselect_b32 s34, s4, s3
	s_sub_i32 s1, 3, s1
	s_mul_i32 s34, s34, s8
	s_sub_i32 s3, s1, s2
	s_cmp_ge_u32 s1, s2
	s_cselect_b32 s1, s3, s1
	s_delay_alu instid0(SALU_CYCLE_1)
	s_sub_i32 s3, s1, s2
	s_cmp_ge_u32 s1, s2
	s_cselect_b32 s38, s3, s1
	s_add_u32 s35, s6, 2
	s_addc_u32 s36, s7, 0
	s_lshl_b32 s20, s20, 9
	s_lshl_b32 s37, s24, 2
	s_mul_i32 s38, s38, s8
	s_lshl_b32 s39, s24, 1
	s_branch .LBB259_12
.LBB259_9:                              ;   in Loop: Header=BB259_12 Depth=1
	s_or_b32 exec_lo, exec_lo, s42
	v_mov_b32_e32 v37, s31
.LBB259_10:                             ;   in Loop: Header=BB259_12 Depth=1
	s_or_b32 exec_lo, exec_lo, s41
.LBB259_11:                             ;   in Loop: Header=BB259_12 Depth=1
	s_delay_alu instid0(SALU_CYCLE_1) | instskip(NEXT) | instid1(VALU_DEP_1)
	s_or_b32 exec_lo, exec_lo, s40
	v_cmp_le_u32_e32 vcc_lo, s22, v37
	s_or_b32 s23, vcc_lo, s23
	s_delay_alu instid0(SALU_CYCLE_1)
	s_and_not1_b32 exec_lo, exec_lo, s23
	s_cbranch_execz .LBB259_134
.LBB259_12:                             ; =>This Loop Header: Depth=1
                                        ;     Child Loop BB259_16 Depth 2
                                        ;       Child Loop BB259_21 Depth 3
                                        ;     Child Loop BB259_132 Depth 2
	s_waitcnt vmcnt(15)
	v_mov_b32_e32 v38, v40
	s_waitcnt vmcnt(8)
	v_mov_b32_e32 v56, v40
	;; [unrolled: 2-line block ×3, first 2 shown]
	v_mov_b32_e32 v58, v40
	v_mov_b32_e32 v59, v40
	v_mov_b32_e32 v62, v40
	v_mov_b32_e32 v60, v40
	v_mov_b32_e32 v64, v40
	v_mov_b32_e32 v61, v40
	v_mov_b32_e32 v63, v40
	v_mov_b32_e32 v70, v40
	v_mov_b32_e32 v67, v40
	v_mov_b32_e32 v68, v40
	v_mov_b32_e32 v66, v40
	v_mov_b32_e32 v69, v40
	v_mov_b32_e32 v65, v40
	s_and_not1_b32 vcc_lo, exec_lo, s25
	s_mov_b32 s3, 0
	s_cbranch_vccnz .LBB259_27
; %bb.13:                               ;   in Loop: Header=BB259_12 Depth=1
	v_dual_mov_b32 v65, 0 :: v_dual_add_nc_u32 v6, 2, v37
	v_add_nc_u32_e32 v5, 1, v37
	v_add_nc_u32_e32 v7, 3, v37
	s_waitcnt lgkmcnt(0)
	v_min_u32_e32 v8, s28, v37
	v_min_u32_e32 v6, s28, v6
	v_dual_mov_b32 v10, v40 :: v_dual_mov_b32 v69, 0
	v_cmp_gt_u32_e64 s1, s19, v37
	s_delay_alu instid0(VALU_DEP_4)
	v_mul_lo_u32 v39, v8, s17
	v_mov_b32_e32 v8, v40
	v_min_u32_e32 v9, s28, v7
	v_mul_lo_u32 v7, v6, s17
	v_mov_b32_e32 v6, v40
	v_min_u32_e32 v5, s28, v5
	v_dual_mov_b32 v66, 0 :: v_dual_mov_b32 v67, 0
	v_mul_lo_u32 v9, v9, s17
	v_lshlrev_b64 v[42:43], 1, v[39:40]
	s_delay_alu instid0(VALU_DEP_4)
	v_mul_lo_u32 v5, v5, s17
	v_lshlrev_b64 v[46:47], 1, v[7:8]
	v_dual_mov_b32 v68, 0 :: v_dual_mov_b32 v63, 0
	v_dual_mov_b32 v70, 0 :: v_dual_mov_b32 v61, 0
	s_waitcnt vmcnt(6)
	v_lshlrev_b64 v[48:49], 1, v[9:10]
	v_dual_mov_b32 v64, 0 :: v_dual_mov_b32 v59, 0
	s_waitcnt vmcnt(5)
	v_lshlrev_b64 v[44:45], 1, v[5:6]
	v_dual_mov_b32 v60, 0 :: v_dual_mov_b32 v57, 0
	v_mov_b32_e32 v62, 0
	v_mov_b32_e32 v58, 0
	;; [unrolled: 1-line block ×4, first 2 shown]
	s_mov_b32 s4, 0
	s_branch .LBB259_16
.LBB259_14:                             ;   in Loop: Header=BB259_16 Depth=2
	s_or_b32 exec_lo, exec_lo, s5
	s_waitcnt lgkmcnt(3)
	v_and_b32_e32 v76, 0xffff0000, v35
	s_waitcnt vmcnt(3)
	v_and_b32_e32 v77, 0xffff0000, v31
	v_lshlrev_b32_e32 v35, 16, v35
	v_lshlrev_b32_e32 v31, 16, v31
	v_and_b32_e32 v39, 0xffff0000, v33
	v_and_b32_e32 v78, 0xffff0000, v36
	v_and_b32_e32 v79, 0xffff0000, v32
	v_and_b32_e32 v71, 0xffff0000, v29
	v_lshlrev_b32_e32 v32, 16, v32
	s_delay_alu instid0(VALU_DEP_3) | instskip(NEXT) | instid1(VALU_DEP_3)
	v_dual_mul_f32 v80, v78, v79 :: v_dual_lshlrev_b32 v33, 16, v33
	v_mul_f32_e32 v74, v39, v71
	v_lshlrev_b32_e32 v36, 16, v36
	s_delay_alu instid0(VALU_DEP_1) | instskip(NEXT) | instid1(VALU_DEP_1)
	v_dual_fmac_f32 v80, v36, v32 :: v_dual_lshlrev_b32 v29, 16, v29
	v_dual_fmac_f32 v74, v33, v29 :: v_dual_and_b32 v73, 0xffff0000, v30
	s_delay_alu instid0(VALU_DEP_1) | instskip(SKIP_2) | instid1(VALU_DEP_2)
	v_add_f32_e32 v65, v65, v74
	v_and_b32_e32 v72, 0xffff0000, v34
	v_mul_f32_e32 v74, v76, v77
	v_dual_mul_f32 v75, v72, v73 :: v_dual_lshlrev_b32 v34, 16, v34
	s_delay_alu instid0(VALU_DEP_2) | instskip(SKIP_1) | instid1(VALU_DEP_1)
	v_fmac_f32_e32 v74, v35, v31
	v_lshlrev_b32_e32 v30, 16, v30
	v_fmac_f32_e32 v75, v34, v30
	s_delay_alu instid0(VALU_DEP_1) | instskip(SKIP_3) | instid1(VALU_DEP_3)
	v_add_f32_e32 v65, v65, v75
	s_waitcnt vmcnt(2)
	v_and_b32_e32 v75, 0xffff0000, v25
	v_lshlrev_b32_e32 v25, 16, v25
	v_add_f32_e32 v65, v65, v74
	s_delay_alu instid0(VALU_DEP_3) | instskip(SKIP_2) | instid1(VALU_DEP_3)
	v_dual_mul_f32 v81, v39, v75 :: v_dual_and_b32 v74, 0xffff0000, v26
	s_waitcnt vmcnt(1)
	v_and_b32_e32 v87, 0xffff0000, v23
	v_add_f32_e32 v65, v65, v80
	s_delay_alu instid0(VALU_DEP_3) | instskip(SKIP_1) | instid1(VALU_DEP_2)
	v_dual_fmac_f32 v81, v33, v25 :: v_dual_mul_f32 v82, v72, v74
	v_and_b32_e32 v80, 0xffff0000, v27
	v_dual_add_f32 v69, v69, v81 :: v_dual_lshlrev_b32 v26, 16, v26
	s_delay_alu instid0(VALU_DEP_1) | instskip(NEXT) | instid1(VALU_DEP_1)
	v_dual_mul_f32 v83, v76, v80 :: v_dual_fmac_f32 v82, v34, v26
	v_add_f32_e32 v69, v69, v82
	v_and_b32_e32 v82, 0xffff0000, v22
	v_lshlrev_b32_e32 v22, 16, v22
	s_delay_alu instid0(VALU_DEP_2) | instskip(NEXT) | instid1(VALU_DEP_1)
	v_dual_mul_f32 v86, v72, v82 :: v_dual_and_b32 v81, 0xffff0000, v21
	v_dual_fmac_f32 v86, v34, v22 :: v_dual_lshlrev_b32 v21, 16, v21
	s_delay_alu instid0(VALU_DEP_2) | instskip(NEXT) | instid1(VALU_DEP_1)
	v_dual_mul_f32 v84, v39, v81 :: v_dual_lshlrev_b32 v27, 16, v27
	v_dual_fmac_f32 v84, v33, v21 :: v_dual_fmac_f32 v83, v35, v27
	s_delay_alu instid0(VALU_DEP_1) | instskip(SKIP_1) | instid1(VALU_DEP_3)
	v_add_f32_e32 v66, v66, v84
	v_and_b32_e32 v85, 0xffff0000, v28
	v_dual_add_f32 v69, v69, v83 :: v_dual_lshlrev_b32 v28, 16, v28
	s_delay_alu instid0(VALU_DEP_3) | instskip(NEXT) | instid1(VALU_DEP_3)
	v_add_f32_e32 v66, v66, v86
	v_dual_mul_f32 v88, v78, v85 :: v_dual_lshlrev_b32 v23, 16, v23
	v_mul_f32_e32 v84, v76, v87
	s_waitcnt vmcnt(0)
	s_delay_alu instid0(VALU_DEP_2) | instskip(NEXT) | instid1(VALU_DEP_2)
	v_dual_fmac_f32 v88, v36, v28 :: v_dual_and_b32 v83, 0xffff0000, v13
	v_fmac_f32_e32 v84, v35, v23
	v_and_b32_e32 v86, 0xffff0000, v24
	v_and_b32_e32 v89, 0xffff0000, v14
	s_delay_alu instid0(VALU_DEP_4) | instskip(SKIP_1) | instid1(VALU_DEP_4)
	v_add_f32_e32 v69, v69, v88
	v_mul_f32_e32 v39, v39, v83
	v_dual_mul_f32 v90, v78, v86 :: v_dual_lshlrev_b32 v13, 16, v13
	v_lshlrev_b32_e32 v24, 16, v24
	v_add_f32_e32 v66, v66, v84
	s_delay_alu instid0(VALU_DEP_3) | instskip(SKIP_1) | instid1(VALU_DEP_4)
	v_dual_fmac_f32 v39, v33, v13 :: v_dual_lshlrev_b32 v14, 16, v14
	v_dual_mul_f32 v33, v72, v89 :: v_dual_and_b32 v72, 0xffff0000, v15
	v_dual_fmac_f32 v90, v36, v24 :: v_dual_lshlrev_b32 v15, 16, v15
	s_delay_alu instid0(VALU_DEP_2) | instskip(NEXT) | instid1(VALU_DEP_2)
	v_fmac_f32_e32 v33, v34, v14
	v_dual_add_f32 v39, v68, v39 :: v_dual_add_f32 v66, v66, v90
	s_delay_alu instid0(VALU_DEP_1) | instskip(NEXT) | instid1(VALU_DEP_1)
	v_dual_mul_f32 v68, v76, v72 :: v_dual_add_f32 v33, v39, v33
	v_dual_fmac_f32 v68, v35, v15 :: v_dual_and_b32 v39, 0xffff0000, v16
	s_waitcnt lgkmcnt(2)
	v_and_b32_e32 v34, 0xffff0000, v17
	s_delay_alu instid0(VALU_DEP_2) | instskip(NEXT) | instid1(VALU_DEP_2)
	v_dual_mul_f32 v78, v78, v39 :: v_dual_lshlrev_b32 v17, 16, v17
	v_dual_add_f32 v33, v33, v68 :: v_dual_mul_f32 v76, v34, v71
	v_dual_mul_f32 v90, v34, v81 :: v_dual_and_b32 v35, 0xffff0000, v18
	s_delay_alu instid0(VALU_DEP_2) | instskip(NEXT) | instid1(VALU_DEP_2)
	v_fmac_f32_e32 v76, v17, v29
	v_dual_mul_f32 v91, v35, v82 :: v_dual_and_b32 v88, 0xffff0000, v19
	v_lshlrev_b32_e32 v16, 16, v16
	v_dual_mul_f32 v84, v35, v73 :: v_dual_lshlrev_b32 v19, 16, v19
	v_fmac_f32_e32 v90, v17, v21
	s_delay_alu instid0(VALU_DEP_3) | instskip(SKIP_2) | instid1(VALU_DEP_4)
	v_fmac_f32_e32 v78, v36, v16
	v_dual_add_f32 v36, v67, v76 :: v_dual_mul_f32 v67, v88, v77
	v_lshlrev_b32_e32 v18, 16, v18
	v_add_f32_e32 v63, v63, v90
	s_delay_alu instid0(VALU_DEP_2) | instskip(SKIP_2) | instid1(VALU_DEP_2)
	v_dual_fmac_f32 v67, v19, v31 :: v_dual_fmac_f32 v84, v18, v30
	v_fmac_f32_e32 v91, v18, v22
	v_dual_add_f32 v68, v33, v78 :: v_dual_and_b32 v33, 0xffff0000, v20
	v_dual_add_f32 v36, v36, v84 :: v_dual_add_f32 v63, v63, v91
	v_lshlrev_b32_e32 v20, 16, v20
	s_delay_alu instid0(VALU_DEP_3) | instskip(SKIP_1) | instid1(VALU_DEP_4)
	v_mul_f32_e32 v78, v33, v79
	v_mul_f32_e32 v84, v35, v74
	v_add_f32_e32 v36, v36, v67
	s_delay_alu instid0(VALU_DEP_3) | instskip(SKIP_2) | instid1(VALU_DEP_1)
	v_fmac_f32_e32 v78, v20, v32
	v_mul_f32_e32 v76, v34, v75
	v_mul_f32_e32 v34, v34, v83
	v_fmac_f32_e32 v34, v17, v13
	s_delay_alu instid0(VALU_DEP_1)
	v_add_f32_e32 v34, v61, v34
	v_mul_f32_e32 v61, v33, v86
	v_dual_add_f32 v67, v36, v78 :: v_dual_fmac_f32 v76, v17, v25
	v_mul_f32_e32 v17, v35, v89
	s_waitcnt lgkmcnt(1)
	v_and_b32_e32 v35, 0xffff0000, v9
	v_dual_fmac_f32 v84, v18, v26 :: v_dual_lshlrev_b32 v9, 16, v9
	s_delay_alu instid0(VALU_DEP_3) | instskip(SKIP_1) | instid1(VALU_DEP_2)
	v_fmac_f32_e32 v17, v18, v14
	v_add_f32_e32 v70, v70, v76
	v_dual_mul_f32 v18, v35, v71 :: v_dual_add_f32 v17, v34, v17
	s_delay_alu instid0(VALU_DEP_2) | instskip(SKIP_1) | instid1(VALU_DEP_1)
	v_add_f32_e32 v36, v70, v84
	v_mul_f32_e32 v70, v88, v87
	v_fmac_f32_e32 v70, v19, v23
	s_delay_alu instid0(VALU_DEP_1) | instskip(NEXT) | instid1(VALU_DEP_1)
	v_dual_add_f32 v63, v63, v70 :: v_dual_mul_f32 v70, v88, v72
	v_dual_fmac_f32 v61, v20, v24 :: v_dual_fmac_f32 v70, v19, v15
	s_delay_alu instid0(VALU_DEP_1) | instskip(NEXT) | instid1(VALU_DEP_1)
	v_dual_mul_f32 v76, v88, v80 :: v_dual_add_f32 v63, v63, v61
	v_dual_add_f32 v17, v17, v70 :: v_dual_fmac_f32 v76, v19, v27
	v_and_b32_e32 v19, 0xffff0000, v11
	s_delay_alu instid0(VALU_DEP_2) | instskip(SKIP_2) | instid1(VALU_DEP_1)
	v_dual_add_f32 v36, v36, v76 :: v_dual_lshlrev_b32 v11, 16, v11
	v_mul_f32_e32 v76, v33, v85
	v_mul_f32_e32 v33, v33, v39
	v_fmac_f32_e32 v33, v20, v16
	s_delay_alu instid0(VALU_DEP_1) | instskip(SKIP_3) | instid1(VALU_DEP_3)
	v_add_f32_e32 v61, v17, v33
	v_mul_f32_e32 v17, v35, v75
	v_mul_f32_e32 v33, v35, v81
	v_dual_mul_f32 v35, v35, v83 :: v_dual_fmac_f32 v76, v20, v28
	v_dual_fmac_f32 v17, v9, v25 :: v_dual_and_b32 v20, 0xffff0000, v12
	s_delay_alu instid0(VALU_DEP_3) | instskip(NEXT) | instid1(VALU_DEP_3)
	v_fmac_f32_e32 v33, v9, v21
	v_dual_fmac_f32 v35, v9, v13 :: v_dual_lshlrev_b32 v12, 16, v12
	s_delay_alu instid0(VALU_DEP_3) | instskip(NEXT) | instid1(VALU_DEP_3)
	v_dual_add_f32 v17, v60, v17 :: v_dual_mul_f32 v60, v19, v80
	v_dual_add_f32 v33, v62, v33 :: v_dual_and_b32 v78, 0xffff0000, v10
	v_mul_f32_e32 v62, v19, v87
	s_delay_alu instid0(VALU_DEP_3) | instskip(SKIP_2) | instid1(VALU_DEP_4)
	v_fmac_f32_e32 v60, v11, v27
	v_lshlrev_b32_e32 v10, 16, v10
	v_fmac_f32_e32 v18, v9, v29
	v_fmac_f32_e32 v62, v11, v23
	v_mul_f32_e32 v34, v78, v73
	s_delay_alu instid0(VALU_DEP_3) | instskip(SKIP_1) | instid1(VALU_DEP_3)
	v_add_f32_e32 v18, v64, v18
	v_mul_f32_e32 v64, v19, v77
	v_fmac_f32_e32 v34, v10, v30
	s_delay_alu instid0(VALU_DEP_2) | instskip(NEXT) | instid1(VALU_DEP_2)
	v_fmac_f32_e32 v64, v11, v31
	v_add_f32_e32 v18, v18, v34
	s_delay_alu instid0(VALU_DEP_1) | instskip(SKIP_1) | instid1(VALU_DEP_1)
	v_add_f32_e32 v18, v18, v64
	v_mul_f32_e32 v64, v78, v82
	v_fmac_f32_e32 v64, v10, v22
	s_delay_alu instid0(VALU_DEP_1) | instskip(SKIP_1) | instid1(VALU_DEP_2)
	v_dual_add_f32 v33, v33, v64 :: v_dual_mul_f32 v34, v78, v74
	v_mul_f32_e32 v9, v78, v89
	v_add_f32_e32 v33, v33, v62
	s_delay_alu instid0(VALU_DEP_3) | instskip(NEXT) | instid1(VALU_DEP_1)
	v_fmac_f32_e32 v34, v10, v26
	v_dual_add_f32 v17, v17, v34 :: v_dual_mul_f32 v34, v20, v85
	s_delay_alu instid0(VALU_DEP_1) | instskip(NEXT) | instid1(VALU_DEP_2)
	v_add_f32_e32 v17, v17, v60
	v_dual_fmac_f32 v34, v12, v28 :: v_dual_fmac_f32 v9, v10, v14
	v_mul_f32_e32 v10, v19, v72
	s_delay_alu instid0(VALU_DEP_2)
	v_add_f32_e32 v60, v17, v34
	s_waitcnt lgkmcnt(0)
	v_and_b32_e32 v34, 0xffff0000, v6
	v_add_f32_e32 v70, v36, v76
	v_lshlrev_b32_e32 v6, 16, v6
	v_and_b32_e32 v17, 0xffff0000, v5
	v_lshlrev_b32_e32 v5, 16, v5
	v_dual_mul_f32 v19, v34, v73 :: v_dual_fmac_f32 v10, v11, v15
	s_delay_alu instid0(VALU_DEP_1) | instskip(SKIP_4) | instid1(VALU_DEP_4)
	v_fmac_f32_e32 v19, v6, v30
	v_mul_f32_e32 v76, v20, v86
	v_mul_f32_e32 v36, v20, v79
	;; [unrolled: 1-line block ×4, first 2 shown]
	v_fmac_f32_e32 v76, v12, v24
	s_delay_alu instid0(VALU_DEP_2) | instskip(SKIP_1) | instid1(VALU_DEP_3)
	v_dual_fmac_f32 v11, v12, v16 :: v_dual_fmac_f32 v20, v5, v25
	v_and_b32_e32 v25, 0xffff0000, v8
	v_dual_add_f32 v62, v33, v76 :: v_dual_add_f32 v33, v59, v35
	v_fmac_f32_e32 v36, v12, v32
	v_lshlrev_b32_e32 v8, 16, v8
	v_add_f32_e32 v20, v57, v20
	s_delay_alu instid0(VALU_DEP_4) | instskip(NEXT) | instid1(VALU_DEP_1)
	v_add_f32_e32 v9, v33, v9
	v_dual_add_f32 v9, v9, v10 :: v_dual_add_f32 v64, v18, v36
	v_mul_f32_e32 v18, v17, v71
	v_and_b32_e32 v10, 0xffff0000, v7
	v_lshlrev_b32_e32 v7, 16, v7
	s_delay_alu instid0(VALU_DEP_4) | instskip(NEXT) | instid1(VALU_DEP_4)
	v_add_f32_e32 v59, v9, v11
	v_fmac_f32_e32 v18, v5, v29
	s_delay_alu instid0(VALU_DEP_1) | instskip(NEXT) | instid1(VALU_DEP_1)
	v_dual_mul_f32 v29, v25, v79 :: v_dual_add_f32 v18, v58, v18
	v_dual_fmac_f32 v29, v8, v32 :: v_dual_add_f32 v12, v18, v19
	v_mul_f32_e32 v18, v34, v74
	v_mul_f32_e32 v19, v10, v77
	s_delay_alu instid0(VALU_DEP_1) | instskip(SKIP_1) | instid1(VALU_DEP_2)
	v_dual_fmac_f32 v18, v6, v26 :: v_dual_fmac_f32 v19, v7, v31
	v_mul_f32_e32 v26, v10, v80
	v_add_f32_e32 v18, v20, v18
	v_mul_f32_e32 v20, v17, v81
	v_mul_f32_e32 v17, v17, v83
	v_add_f32_e32 v12, v12, v19
	v_fmac_f32_e32 v26, v7, v27
	s_delay_alu instid0(VALU_DEP_4) | instskip(NEXT) | instid1(VALU_DEP_4)
	v_fmac_f32_e32 v20, v5, v21
	v_fmac_f32_e32 v17, v5, v13
	v_mul_f32_e32 v5, v34, v89
	s_delay_alu instid0(VALU_DEP_4) | instskip(NEXT) | instid1(VALU_DEP_4)
	v_dual_mul_f32 v21, v25, v85 :: v_dual_add_f32 v18, v18, v26
	v_add_f32_e32 v13, v56, v20
	s_delay_alu instid0(VALU_DEP_4) | instskip(NEXT) | instid1(VALU_DEP_4)
	v_add_f32_e32 v17, v38, v17
	v_fmac_f32_e32 v5, v6, v14
	s_delay_alu instid0(VALU_DEP_4) | instskip(SKIP_1) | instid1(VALU_DEP_3)
	v_dual_mul_f32 v20, v10, v87 :: v_dual_fmac_f32 v21, v8, v28
	v_add_f32_e32 v58, v12, v29
	v_add_f32_e32 v5, v17, v5
	s_delay_alu instid0(VALU_DEP_3) | instskip(NEXT) | instid1(VALU_DEP_4)
	v_dual_mul_f32 v19, v34, v82 :: v_dual_fmac_f32 v20, v7, v23
	v_add_f32_e32 v57, v18, v21
	s_delay_alu instid0(VALU_DEP_2) | instskip(SKIP_1) | instid1(VALU_DEP_2)
	v_fmac_f32_e32 v19, v6, v22
	v_mul_f32_e32 v6, v10, v72
	v_add_f32_e32 v10, v13, v19
	s_delay_alu instid0(VALU_DEP_2) | instskip(NEXT) | instid1(VALU_DEP_2)
	v_dual_mul_f32 v13, v25, v86 :: v_dual_fmac_f32 v6, v7, v15
	v_dual_mul_f32 v7, v25, v39 :: v_dual_add_f32 v10, v10, v20
	s_delay_alu instid0(VALU_DEP_2) | instskip(NEXT) | instid1(VALU_DEP_3)
	v_fmac_f32_e32 v13, v8, v24
	v_add_f32_e32 v5, v5, v6
	s_delay_alu instid0(VALU_DEP_2) | instskip(NEXT) | instid1(VALU_DEP_1)
	v_dual_fmac_f32 v7, v8, v16 :: v_dual_add_f32 v56, v10, v13
	v_add_f32_e32 v38, v5, v7
.LBB259_15:                             ;   in Loop: Header=BB259_16 Depth=2
	s_or_b32 exec_lo, exec_lo, s2
	s_addk_i32 s4, 0x100
	s_delay_alu instid0(SALU_CYCLE_1)
	s_cmp_ge_u32 s4, s16
	s_cbranch_scc1 .LBB259_27
.LBB259_16:                             ;   Parent Loop BB259_12 Depth=1
                                        ; =>  This Loop Header: Depth=2
                                        ;       Child Loop BB259_21 Depth 3
	s_cmp_eq_u32 s4, 0
	s_cselect_b32 s5, -1, 0
	s_add_i32 s2, s3, s24
	s_delay_alu instid0(SALU_CYCLE_1) | instskip(SKIP_1) | instid1(SALU_CYCLE_1)
	s_cmp_eq_u32 s4, s2
	s_cselect_b32 s40, -1, 0
	s_or_b32 s40, s5, s40
	s_delay_alu instid0(SALU_CYCLE_1)
	s_and_not1_b32 vcc_lo, exec_lo, s40
	s_cbranch_vccz .LBB259_18
; %bb.17:                               ;   in Loop: Header=BB259_16 Depth=2
	s_and_saveexec_b32 s2, s1
	s_cbranch_execz .LBB259_15
	s_branch .LBB259_25
.LBB259_18:                             ;   in Loop: Header=BB259_16 Depth=2
	s_and_b32 s5, s5, exec_lo
	s_cselect_b32 s3, s3, s2
	s_and_not1_b32 vcc_lo, exec_lo, s21
	s_waitcnt vmcnt(0)
	s_waitcnt_vscnt null, 0x0
	s_barrier
	buffer_gl0_inv
	s_cbranch_vccnz .LBB259_24
; %bb.19:                               ;   in Loop: Header=BB259_16 Depth=2
	v_add_nc_u32_e32 v5, s3, v53
	v_dual_mov_b32 v9, v52 :: v_dual_add_nc_u32 v6, s3, v41
	v_add_nc_u32_e32 v7, s3, v54
	v_add_nc_u32_e32 v8, s3, v0
	s_mov_b32 s5, 0
	s_mov_b32 s40, 0
                                        ; implicit-def: $sgpr41
	s_branch .LBB259_21
.LBB259_20:                             ;   in Loop: Header=BB259_21 Depth=3
	s_or_b32 exec_lo, exec_lo, s2
	s_delay_alu instid0(SALU_CYCLE_1) | instskip(NEXT) | instid1(SALU_CYCLE_1)
	s_and_b32 s2, exec_lo, s41
	s_or_b32 s5, s2, s5
	s_delay_alu instid0(SALU_CYCLE_1)
	s_and_not1_b32 exec_lo, exec_lo, s5
	s_cbranch_execz .LBB259_23
.LBB259_21:                             ;   Parent Loop BB259_12 Depth=1
                                        ;     Parent Loop BB259_16 Depth=2
                                        ; =>    This Inner Loop Header: Depth=3
	s_delay_alu instid0(VALU_DEP_1) | instskip(SKIP_2) | instid1(VALU_DEP_2)
	v_add_nc_u32_e32 v39, s40, v8
	v_add_nc_u32_e32 v10, s40, v0
	s_or_b32 s41, s41, exec_lo
	v_cmp_gt_u32_e32 vcc_lo, s18, v39
	s_delay_alu instid0(VALU_DEP_2) | instskip(NEXT) | instid1(VALU_DEP_1)
	v_cmp_gt_u32_e64 s2, s24, v10
	s_and_b32 s42, s2, vcc_lo
	s_delay_alu instid0(SALU_CYCLE_1)
	s_and_saveexec_b32 s2, s42
	s_cbranch_execz .LBB259_20
; %bb.22:                               ;   in Loop: Header=BB259_21 Depth=3
	v_lshlrev_b64 v[10:11], 1, v[39:40]
	v_add_nc_u32_e32 v39, s40, v7
	v_add_nc_u32_e32 v26, s39, v9
	;; [unrolled: 1-line block ×3, first 2 shown]
	s_delay_alu instid0(VALU_DEP_3) | instskip(SKIP_3) | instid1(VALU_DEP_3)
	v_lshlrev_b64 v[12:13], 1, v[39:40]
	v_add_nc_u32_e32 v39, s40, v5
	v_add_co_u32 v10, vcc_lo, s12, v10
	v_add_co_ci_u32_e32 v11, vcc_lo, s13, v11, vcc_lo
	v_lshlrev_b64 v[18:19], 1, v[39:40]
	v_add_nc_u32_e32 v39, s40, v6
	v_add_co_u32 v14, vcc_lo, s12, v12
	v_add_co_ci_u32_e32 v15, vcc_lo, s13, v13, vcc_lo
	s_delay_alu instid0(VALU_DEP_3)
	v_lshlrev_b64 v[20:21], 1, v[39:40]
	v_add_co_u32 v18, vcc_lo, s12, v18
	v_add_co_ci_u32_e32 v19, vcc_lo, s13, v19, vcc_lo
	s_clause 0x1
	global_load_b128 v[10:13], v[10:11], off
	global_load_b128 v[14:17], v[14:15], off
	v_add_co_u32 v22, vcc_lo, s12, v20
	v_add_co_ci_u32_e32 v23, vcc_lo, s13, v21, vcc_lo
	s_clause 0x1
	global_load_b128 v[18:21], v[18:19], off
	global_load_b128 v[22:25], v[22:23], off
	s_add_i32 s40, s40, s26
	s_waitcnt vmcnt(3)
	ds_store_b128 v9, v[10:13]
	s_waitcnt vmcnt(2)
	ds_store_2addr_b64 v26, v[14:15], v[16:17] offset1:1
	s_cmp_ge_u32 s40, s24
	v_add_nc_u32_e32 v10, s9, v9
	s_cselect_b32 s42, -1, 0
	v_add_nc_u32_e32 v9, s20, v9
	s_and_not1_b32 s41, s41, exec_lo
	s_and_b32 s42, s42, exec_lo
	s_waitcnt vmcnt(1)
	ds_store_2addr_b32 v27, v18, v19 offset1:1
	ds_store_2addr_b32 v27, v20, v21 offset0:2 offset1:3
	s_or_b32 s41, s41, s42
	s_waitcnt vmcnt(0)
	ds_store_2addr_b64 v10, v[22:23], v[24:25] offset1:1
	s_branch .LBB259_20
.LBB259_23:                             ;   in Loop: Header=BB259_16 Depth=2
	s_or_b32 exec_lo, exec_lo, s5
.LBB259_24:                             ;   in Loop: Header=BB259_16 Depth=2
	s_waitcnt lgkmcnt(0)
	s_barrier
	buffer_gl0_inv
	s_and_saveexec_b32 s2, s1
	s_cbranch_execz .LBB259_15
.LBB259_25:                             ;   in Loop: Header=BB259_16 Depth=2
	v_add_nc_u32_e32 v71, s4, v51
	v_dual_mov_b32 v19, 0 :: v_dual_mov_b32 v18, 0
	s_waitcnt vmcnt(4)
	v_dual_mov_b32 v17, 0 :: v_dual_mov_b32 v36, 0
	s_delay_alu instid0(VALU_DEP_3)
	v_min_u32_e32 v39, s27, v71
	s_waitcnt vmcnt(3)
	v_dual_mov_b32 v35, 0 :: v_dual_mov_b32 v34, 0
	v_mov_b32_e32 v33, 0
	s_mov_b32 s5, exec_lo
	v_lshlrev_b64 v[5:6], 1, v[39:40]
	v_mov_b32_e32 v20, 0
	s_delay_alu instid0(VALU_DEP_2) | instskip(NEXT) | instid1(VALU_DEP_3)
	v_add_co_u32 v11, vcc_lo, s10, v5
	v_add_co_ci_u32_e32 v12, vcc_lo, s11, v6, vcc_lo
	s_delay_alu instid0(VALU_DEP_2) | instskip(NEXT) | instid1(VALU_DEP_2)
	v_add_co_u32 v5, vcc_lo, v11, v42
	v_add_co_ci_u32_e32 v6, vcc_lo, v12, v43, vcc_lo
	v_add_co_u32 v7, vcc_lo, v11, v44
	v_add_co_ci_u32_e32 v8, vcc_lo, v12, v45, vcc_lo
	;; [unrolled: 2-line block ×4, first 2 shown]
	s_clause 0x3
	global_load_b128 v[29:32], v[5:6], off slc dlc
	global_load_b128 v[25:28], v[7:8], off slc dlc
	;; [unrolled: 1-line block ×4, first 2 shown]
	v_dual_mov_b32 v8, 0 :: v_dual_mov_b32 v7, 0
	v_dual_mov_b32 v6, 0 :: v_dual_mov_b32 v5, 0
	;; [unrolled: 1-line block ×4, first 2 shown]
	v_cmpx_gt_u32_e64 s16, v71
	s_cbranch_execz .LBB259_14
; %bb.26:                               ;   in Loop: Header=BB259_16 Depth=2
	v_subrev_nc_u32_e32 v5, s3, v71
	s_delay_alu instid0(VALU_DEP_1) | instskip(NEXT) | instid1(VALU_DEP_1)
	v_lshlrev_b32_e32 v5, 1, v5
	v_add_nc_u32_e32 v6, s39, v5
	s_delay_alu instid0(VALU_DEP_1) | instskip(NEXT) | instid1(VALU_DEP_1)
	v_add_nc_u32_e32 v7, s39, v6
	v_add_nc_u32_e32 v8, s39, v7
	ds_load_b128 v[33:36], v5
	ds_load_b128 v[17:20], v6
	;; [unrolled: 1-line block ×4, first 2 shown]
	s_branch .LBB259_14
.LBB259_27:                             ;   in Loop: Header=BB259_12 Depth=1
	s_mov_b32 s1, exec_lo
	v_cmpx_le_u32_e64 s19, v37
	s_xor_b32 s1, exec_lo, s1
; %bb.28:                               ;   in Loop: Header=BB259_12 Depth=1
	v_add_nc_u32_e32 v37, s29, v37
                                        ; implicit-def: $vgpr38
                                        ; implicit-def: $vgpr56
                                        ; implicit-def: $vgpr57
                                        ; implicit-def: $vgpr58
                                        ; implicit-def: $vgpr59
                                        ; implicit-def: $vgpr62
                                        ; implicit-def: $vgpr60
                                        ; implicit-def: $vgpr64
                                        ; implicit-def: $vgpr61
                                        ; implicit-def: $vgpr63
                                        ; implicit-def: $vgpr70
                                        ; implicit-def: $vgpr67
                                        ; implicit-def: $vgpr68
                                        ; implicit-def: $vgpr66
                                        ; implicit-def: $vgpr69
                                        ; implicit-def: $vgpr65
; %bb.29:                               ;   in Loop: Header=BB259_12 Depth=1
	s_and_not1_saveexec_b32 s40, s1
	s_cbranch_execz .LBB259_11
; %bb.30:                               ;   in Loop: Header=BB259_12 Depth=1
	v_cvt_i32_f32_e32 v5, v65
	v_xor_b32_e32 v6, 16, v50
	s_waitcnt lgkmcnt(2)
	v_cvt_i32_f32_e32 v10, v67
	v_cvt_i32_f32_e32 v11, v70
	;; [unrolled: 1-line block ×3, first 2 shown]
	v_cvt_f32_i32_dpp v5, v5 row_shr:8 row_mask:0xf bank_mask:0xf bound_ctrl:1
	v_cmp_gt_i32_e32 vcc_lo, 32, v6
	s_waitcnt lgkmcnt(0)
	v_cvt_i32_f32_e32 v8, v66
	v_cvt_i32_f32_e32 v9, v68
	v_cvt_f32_i32_dpp v10, v10 row_shr:8 row_mask:0xf bank_mask:0xf bound_ctrl:1
	v_dual_add_f32 v5, v65, v5 :: v_dual_cndmask_b32 v6, v50, v6
	v_cvt_f32_i32_dpp v11, v11 row_shr:8 row_mask:0xf bank_mask:0xf bound_ctrl:1
	v_cvt_f32_i32_dpp v7, v7 row_shr:8 row_mask:0xf bank_mask:0xf bound_ctrl:1
	;; [unrolled: 1-line block ×4, first 2 shown]
	v_cvt_i32_f32_e32 v12, v5
	v_dual_add_f32 v10, v67, v10 :: v_dual_add_f32 v11, v70, v11
	s_waitcnt vmcnt(0)
	v_lshlrev_b32_e32 v22, 2, v6
	v_dual_add_f32 v6, v69, v7 :: v_dual_add_f32 v9, v68, v9
	v_add_f32_e32 v7, v66, v8
	v_cvt_f32_i32_dpp v8, v12 row_shr:4 row_mask:0xf bank_mask:0xf bound_ctrl:1
	v_cvt_i32_f32_e32 v15, v11
	v_cvt_i32_f32_e32 v14, v10
	;; [unrolled: 1-line block ×4, first 2 shown]
	s_delay_alu instid0(VALU_DEP_4)
	v_cvt_f32_i32_dpp v15, v15 row_shr:4 row_mask:0xf bank_mask:0xf bound_ctrl:1
	v_add_f32_e32 v5, v5, v8
	v_cvt_i32_f32_e32 v8, v7
	v_cvt_f32_i32_dpp v13, v13 row_shr:4 row_mask:0xf bank_mask:0xf bound_ctrl:1
	v_cvt_f32_i32_dpp v14, v14 row_shr:4 row_mask:0xf bank_mask:0xf bound_ctrl:1
	;; [unrolled: 1-line block ×3, first 2 shown]
	s_delay_alu instid0(VALU_DEP_4) | instskip(NEXT) | instid1(VALU_DEP_1)
	v_cvt_f32_i32_dpp v8, v8 row_shr:4 row_mask:0xf bank_mask:0xf bound_ctrl:1
	v_dual_add_f32 v7, v7, v8 :: v_dual_add_f32 v8, v9, v13
	s_delay_alu instid0(VALU_DEP_4) | instskip(SKIP_1) | instid1(VALU_DEP_3)
	v_dual_add_f32 v9, v10, v14 :: v_dual_add_f32 v10, v11, v15
	v_cvt_i32_f32_e32 v16, v5
	v_cvt_i32_f32_e32 v14, v8
	s_delay_alu instid0(VALU_DEP_2) | instskip(NEXT) | instid1(VALU_DEP_2)
	v_cvt_f32_i32_dpp v16, v16 row_shr:2 row_mask:0xf bank_mask:0xf bound_ctrl:1
	v_cvt_f32_i32_dpp v14, v14 row_shr:2 row_mask:0xf bank_mask:0xf bound_ctrl:1
	s_delay_alu instid0(VALU_DEP_2) | instskip(SKIP_1) | instid1(VALU_DEP_2)
	v_add_f32_e32 v5, v5, v16
	v_cvt_i32_f32_e32 v16, v10
	v_cvt_i32_f32_e32 v13, v5
	s_delay_alu instid0(VALU_DEP_2) | instskip(NEXT) | instid1(VALU_DEP_2)
	v_cvt_f32_i32_dpp v16, v16 row_shr:2 row_mask:0xf bank_mask:0xf bound_ctrl:1
	v_cvt_f32_i32_dpp v13, v13 row_shr:1 row_mask:0xf bank_mask:0xf bound_ctrl:1
	v_add_f32_e32 v6, v6, v12
	v_cvt_i32_f32_e32 v12, v7
	s_delay_alu instid0(VALU_DEP_3) | instskip(NEXT) | instid1(VALU_DEP_3)
	v_add_f32_e32 v47, v5, v13
	v_cvt_i32_f32_e32 v11, v6
	s_delay_alu instid0(VALU_DEP_3) | instskip(SKIP_2) | instid1(VALU_DEP_1)
	v_cvt_f32_i32_dpp v12, v12 row_shr:2 row_mask:0xf bank_mask:0xf bound_ctrl:1
	ds_bpermute_b32 v49, v22, v47
	v_cvt_f32_i32_dpp v11, v11 row_shr:2 row_mask:0xf bank_mask:0xf bound_ctrl:1
	v_dual_add_f32 v5, v6, v11 :: v_dual_add_f32 v6, v7, v12
	v_cvt_i32_f32_e32 v15, v9
	s_delay_alu instid0(VALU_DEP_2) | instskip(NEXT) | instid1(VALU_DEP_2)
	v_cvt_i32_f32_e32 v11, v6
	v_cvt_f32_i32_dpp v15, v15 row_shr:2 row_mask:0xf bank_mask:0xf bound_ctrl:1
	v_add_f32_e32 v7, v8, v14
	s_delay_alu instid0(VALU_DEP_3) | instskip(NEXT) | instid1(VALU_DEP_3)
	v_cvt_f32_i32_dpp v11, v11 row_shr:1 row_mask:0xf bank_mask:0xf bound_ctrl:1
	v_add_f32_e32 v8, v9, v15
	s_delay_alu instid0(VALU_DEP_3) | instskip(NEXT) | instid1(VALU_DEP_3)
	v_cvt_i32_f32_e32 v12, v7
	v_add_f32_e32 v42, v6, v11
	s_delay_alu instid0(VALU_DEP_3) | instskip(NEXT) | instid1(VALU_DEP_3)
	v_cvt_i32_f32_e32 v13, v8
	v_cvt_f32_i32_dpp v12, v12 row_shr:1 row_mask:0xf bank_mask:0xf bound_ctrl:1
	ds_bpermute_b32 v43, v22, v42
	v_cvt_f32_i32_dpp v13, v13 row_shr:1 row_mask:0xf bank_mask:0xf bound_ctrl:1
	v_add_f32_e32 v9, v10, v16
	v_add_f32_e32 v6, v7, v12
	v_cvt_i32_f32_e32 v10, v5
	v_cvt_i32_f32_e32 v7, v61
	v_add_f32_e32 v32, v8, v13
	v_cvt_i32_f32_e32 v8, v64
	v_cvt_i32_f32_e32 v14, v9
	v_cvt_f32_i32_dpp v10, v10 row_shr:1 row_mask:0xf bank_mask:0xf bound_ctrl:1
	v_cvt_f32_i32_dpp v7, v7 row_shr:8 row_mask:0xf bank_mask:0xf bound_ctrl:1
	ds_bpermute_b32 v35, v22, v6
	v_cvt_f32_i32_dpp v8, v8 row_shr:8 row_mask:0xf bank_mask:0xf bound_ctrl:1
	v_cvt_f32_i32_dpp v14, v14 row_shr:1 row_mask:0xf bank_mask:0xf bound_ctrl:1
	v_add_f32_e32 v45, v5, v10
	v_cvt_i32_f32_e32 v5, v63
	v_cvt_i32_f32_e32 v10, v62
	v_add_f32_e32 v8, v64, v8
	ds_bpermute_b32 v33, v22, v32
	ds_bpermute_b32 v46, v22, v45
	v_cvt_f32_i32_dpp v5, v5 row_shr:8 row_mask:0xf bank_mask:0xf bound_ctrl:1
	v_cvt_f32_i32_dpp v10, v10 row_shr:8 row_mask:0xf bank_mask:0xf bound_ctrl:1
	v_cvt_i32_f32_e32 v13, v8
	s_delay_alu instid0(VALU_DEP_2) | instskip(NEXT) | instid1(VALU_DEP_2)
	v_dual_add_f32 v5, v63, v5 :: v_dual_add_f32 v10, v62, v10
	v_cvt_f32_i32_dpp v13, v13 row_shr:4 row_mask:0xf bank_mask:0xf bound_ctrl:1
	v_add_f32_e32 v27, v9, v14
	v_cvt_i32_f32_e32 v9, v60
	s_delay_alu instid0(VALU_DEP_4)
	v_cvt_i32_f32_e32 v11, v5
	v_cvt_i32_f32_e32 v15, v10
	v_add_f32_e32 v8, v8, v13
	ds_bpermute_b32 v28, v22, v27
	v_cvt_f32_i32_dpp v9, v9 row_shr:8 row_mask:0xf bank_mask:0xf bound_ctrl:1
	v_cvt_f32_i32_dpp v11, v11 row_shr:4 row_mask:0xf bank_mask:0xf bound_ctrl:1
	;; [unrolled: 1-line block ×3, first 2 shown]
	v_cvt_i32_f32_e32 v13, v8
	s_delay_alu instid0(VALU_DEP_2) | instskip(NEXT) | instid1(VALU_DEP_2)
	v_dual_add_f32 v9, v60, v9 :: v_dual_add_f32 v10, v10, v15
	v_cvt_f32_i32_dpp v13, v13 row_shr:2 row_mask:0xf bank_mask:0xf bound_ctrl:1
	v_add_f32_e32 v7, v61, v7
	s_delay_alu instid0(VALU_DEP_3) | instskip(NEXT) | instid1(VALU_DEP_4)
	v_cvt_i32_f32_e32 v14, v9
	v_cvt_i32_f32_e32 v15, v10
	s_delay_alu instid0(VALU_DEP_4) | instskip(NEXT) | instid1(VALU_DEP_4)
	v_add_f32_e32 v8, v8, v13
	v_cvt_i32_f32_e32 v12, v7
	s_delay_alu instid0(VALU_DEP_4) | instskip(NEXT) | instid1(VALU_DEP_4)
	v_cvt_f32_i32_dpp v14, v14 row_shr:4 row_mask:0xf bank_mask:0xf bound_ctrl:1
	v_cvt_f32_i32_dpp v15, v15 row_shr:2 row_mask:0xf bank_mask:0xf bound_ctrl:1
	s_delay_alu instid0(VALU_DEP_4) | instskip(NEXT) | instid1(VALU_DEP_4)
	v_cvt_i32_f32_e32 v13, v8
	v_cvt_f32_i32_dpp v12, v12 row_shr:4 row_mask:0xf bank_mask:0xf bound_ctrl:1
	s_delay_alu instid0(VALU_DEP_3) | instskip(NEXT) | instid1(VALU_DEP_3)
	v_add_f32_e32 v10, v10, v15
	v_cvt_f32_i32_dpp v13, v13 row_shr:1 row_mask:0xf bank_mask:0xf bound_ctrl:1
	s_delay_alu instid0(VALU_DEP_3) | instskip(NEXT) | instid1(VALU_DEP_3)
	v_add_f32_e32 v7, v7, v12
	v_cvt_i32_f32_e32 v15, v10
	s_delay_alu instid0(VALU_DEP_3) | instskip(SKIP_1) | instid1(VALU_DEP_4)
	v_add_f32_e32 v21, v8, v13
	v_cvt_i32_f32_e32 v8, v57
	v_cvt_i32_f32_e32 v12, v7
	s_delay_alu instid0(VALU_DEP_4) | instskip(NEXT) | instid1(VALU_DEP_3)
	v_cvt_f32_i32_dpp v15, v15 row_shr:1 row_mask:0xf bank_mask:0xf bound_ctrl:1
	v_cvt_f32_i32_dpp v8, v8 row_shr:8 row_mask:0xf bank_mask:0xf bound_ctrl:1
	s_delay_alu instid0(VALU_DEP_3) | instskip(NEXT) | instid1(VALU_DEP_3)
	v_cvt_f32_i32_dpp v12, v12 row_shr:2 row_mask:0xf bank_mask:0xf bound_ctrl:1
	v_add_f32_e32 v15, v10, v15
	v_cvt_i32_f32_e32 v10, v38
	s_delay_alu instid0(VALU_DEP_4)
	v_add_f32_e32 v8, v57, v8
	ds_bpermute_b32 v23, v22, v21
	ds_bpermute_b32 v16, v22, v15
	v_cvt_f32_i32_dpp v10, v10 row_shr:8 row_mask:0xf bank_mask:0xf bound_ctrl:1
	v_add_f32_e32 v5, v5, v11
	v_cvt_i32_f32_e32 v13, v8
	s_delay_alu instid0(VALU_DEP_3) | instskip(NEXT) | instid1(VALU_DEP_3)
	v_add_f32_e32 v10, v38, v10
	v_cvt_i32_f32_e32 v11, v5
	s_delay_alu instid0(VALU_DEP_3) | instskip(SKIP_1) | instid1(VALU_DEP_4)
	v_cvt_f32_i32_dpp v13, v13 row_shr:4 row_mask:0xf bank_mask:0xf bound_ctrl:1
	v_add_f32_e32 v9, v9, v14
	v_cvt_i32_f32_e32 v17, v10
	s_delay_alu instid0(VALU_DEP_4) | instskip(NEXT) | instid1(VALU_DEP_4)
	v_cvt_f32_i32_dpp v11, v11 row_shr:2 row_mask:0xf bank_mask:0xf bound_ctrl:1
	v_add_f32_e32 v8, v8, v13
	s_delay_alu instid0(VALU_DEP_4) | instskip(NEXT) | instid1(VALU_DEP_4)
	v_cvt_i32_f32_e32 v14, v9
	v_cvt_f32_i32_dpp v17, v17 row_shr:4 row_mask:0xf bank_mask:0xf bound_ctrl:1
	s_delay_alu instid0(VALU_DEP_4) | instskip(NEXT) | instid1(VALU_DEP_4)
	v_add_f32_e32 v5, v5, v11
	v_cvt_i32_f32_e32 v13, v8
	s_delay_alu instid0(VALU_DEP_4) | instskip(NEXT) | instid1(VALU_DEP_4)
	v_cvt_f32_i32_dpp v14, v14 row_shr:2 row_mask:0xf bank_mask:0xf bound_ctrl:1
	v_add_f32_e32 v10, v10, v17
	s_delay_alu instid0(VALU_DEP_4) | instskip(NEXT) | instid1(VALU_DEP_4)
	v_cvt_i32_f32_e32 v11, v5
	v_cvt_f32_i32_dpp v13, v13 row_shr:2 row_mask:0xf bank_mask:0xf bound_ctrl:1
	s_delay_alu instid0(VALU_DEP_4) | instskip(NEXT) | instid1(VALU_DEP_4)
	v_add_f32_e32 v9, v9, v14
	v_cvt_i32_f32_e32 v17, v10
	s_delay_alu instid0(VALU_DEP_4) | instskip(NEXT) | instid1(VALU_DEP_4)
	v_cvt_f32_i32_dpp v11, v11 row_shr:1 row_mask:0xf bank_mask:0xf bound_ctrl:1
	v_dual_add_f32 v8, v8, v13 :: v_dual_add_f32 v7, v7, v12
	s_delay_alu instid0(VALU_DEP_4) | instskip(NEXT) | instid1(VALU_DEP_4)
	v_cvt_i32_f32_e32 v14, v9
	v_cvt_f32_i32_dpp v17, v17 row_shr:2 row_mask:0xf bank_mask:0xf bound_ctrl:1
	s_delay_alu instid0(VALU_DEP_4)
	v_add_f32_e32 v30, v5, v11
	v_cvt_i32_f32_e32 v5, v59
	v_cvt_i32_f32_e32 v12, v7
	v_cvt_f32_i32_dpp v14, v14 row_shr:1 row_mask:0xf bank_mask:0xf bound_ctrl:1
	v_add_f32_e32 v10, v10, v17
	v_cvt_i32_f32_e32 v13, v8
	v_cvt_f32_i32_dpp v5, v5 row_shr:8 row_mask:0xf bank_mask:0xf bound_ctrl:1
	v_cvt_f32_i32_dpp v12, v12 row_shr:1 row_mask:0xf bank_mask:0xf bound_ctrl:1
	v_add_f32_e32 v19, v9, v14
	v_cvt_i32_f32_e32 v9, v56
	v_cvt_i32_f32_e32 v17, v10
	v_add_f32_e32 v5, v59, v5
	v_add_f32_e32 v25, v7, v12
	v_cvt_i32_f32_e32 v7, v58
	v_cvt_f32_i32_dpp v9, v9 row_shr:8 row_mask:0xf bank_mask:0xf bound_ctrl:1
	v_cvt_f32_i32_dpp v18, v13 row_shr:1 row_mask:0xf bank_mask:0xf bound_ctrl:1
	v_cvt_i32_f32_e32 v11, v5
	v_cvt_f32_i32_dpp v24, v17 row_shr:1 row_mask:0xf bank_mask:0xf bound_ctrl:1
	v_cvt_f32_i32_dpp v7, v7 row_shr:8 row_mask:0xf bank_mask:0xf bound_ctrl:1
	v_add_f32_e32 v9, v56, v9
	ds_bpermute_b32 v31, v22, v30
	v_cvt_f32_i32_dpp v11, v11 row_shr:4 row_mask:0xf bank_mask:0xf bound_ctrl:1
	ds_bpermute_b32 v26, v22, v25
	v_add_f32_e32 v7, v58, v7
	v_cvt_i32_f32_e32 v14, v9
	ds_bpermute_b32 v20, v22, v19
	v_add_f32_e32 v5, v5, v11
	v_cvt_i32_f32_e32 v12, v7
	v_cvt_f32_i32_dpp v14, v14 row_shr:4 row_mask:0xf bank_mask:0xf bound_ctrl:1
	s_delay_alu instid0(VALU_DEP_3) | instskip(NEXT) | instid1(VALU_DEP_3)
	v_cvt_i32_f32_e32 v11, v5
	v_cvt_f32_i32_dpp v12, v12 row_shr:4 row_mask:0xf bank_mask:0xf bound_ctrl:1
	s_delay_alu instid0(VALU_DEP_3) | instskip(NEXT) | instid1(VALU_DEP_3)
	v_add_f32_e32 v9, v9, v14
	v_cvt_f32_i32_dpp v11, v11 row_shr:2 row_mask:0xf bank_mask:0xf bound_ctrl:1
	s_delay_alu instid0(VALU_DEP_3) | instskip(NEXT) | instid1(VALU_DEP_3)
	v_add_f32_e32 v7, v7, v12
	v_cvt_i32_f32_e32 v14, v9
	s_delay_alu instid0(VALU_DEP_3) | instskip(NEXT) | instid1(VALU_DEP_3)
	v_add_f32_e32 v5, v5, v11
	v_cvt_i32_f32_e32 v12, v7
	s_delay_alu instid0(VALU_DEP_3) | instskip(NEXT) | instid1(VALU_DEP_3)
	v_cvt_f32_i32_dpp v14, v14 row_shr:2 row_mask:0xf bank_mask:0xf bound_ctrl:1
	v_cvt_i32_f32_e32 v11, v5
	s_delay_alu instid0(VALU_DEP_3) | instskip(NEXT) | instid1(VALU_DEP_3)
	v_cvt_f32_i32_dpp v12, v12 row_shr:2 row_mask:0xf bank_mask:0xf bound_ctrl:1
	v_add_f32_e32 v9, v9, v14
	s_delay_alu instid0(VALU_DEP_3) | instskip(NEXT) | instid1(VALU_DEP_3)
	v_cvt_f32_i32_dpp v11, v11 row_shr:1 row_mask:0xf bank_mask:0xf bound_ctrl:1
	v_add_f32_e32 v7, v7, v12
	s_delay_alu instid0(VALU_DEP_3) | instskip(NEXT) | instid1(VALU_DEP_3)
	v_cvt_i32_f32_e32 v14, v9
	v_add_f32_e32 v17, v5, v11
	v_add_f32_e32 v11, v8, v18
	s_delay_alu instid0(VALU_DEP_4) | instskip(NEXT) | instid1(VALU_DEP_4)
	v_cvt_i32_f32_e32 v12, v7
	v_cvt_f32_i32_dpp v14, v14 row_shr:1 row_mask:0xf bank_mask:0xf bound_ctrl:1
	ds_bpermute_b32 v18, v22, v17
	v_cvt_f32_i32_dpp v12, v12 row_shr:1 row_mask:0xf bank_mask:0xf bound_ctrl:1
	v_add_f32_e32 v9, v9, v14
	s_delay_alu instid0(VALU_DEP_2)
	v_add_f32_e32 v13, v7, v12
	v_add_f32_e32 v7, v10, v24
	ds_bpermute_b32 v12, v22, v11
	ds_bpermute_b32 v10, v22, v9
	;; [unrolled: 1-line block ×4, first 2 shown]
	s_and_saveexec_b32 s5, s0
	s_cbranch_execz .LBB259_129
; %bb.31:                               ;   in Loop: Header=BB259_12 Depth=1
	v_dual_mov_b32 v38, 0 :: v_dual_add_nc_u32 v39, 2, v37
	v_dual_mov_b32 v62, 0 :: v_dual_add_nc_u32 v5, 3, v37
	v_dual_mov_b32 v63, 0 :: v_dual_mov_b32 v60, 0
	v_dual_mov_b32 v61, 0 :: v_dual_mov_b32 v58, 0
	;; [unrolled: 1-line block ×5, first 2 shown]
	v_mov_b32_e32 v36, 0
	v_mov_b32_e32 v34, 0
	;; [unrolled: 1-line block ×4, first 2 shown]
	s_and_not1_b32 vcc_lo, exec_lo, s30
	s_cbranch_vccnz .LBB259_33
; %bb.32:                               ;   in Loop: Header=BB259_12 Depth=1
	v_mul_hi_u32 v22, v37, v55
	v_dual_mov_b32 v65, v40 :: v_dual_add_nc_u32 v24, 1, v37
	v_mul_hi_u32 v29, v39, v55
	v_mul_hi_u32 v34, v5, v55
	s_delay_alu instid0(VALU_DEP_3) | instskip(SKIP_1) | instid1(VALU_DEP_4)
	v_mul_hi_u32 v36, v24, v55
	v_mul_lo_u32 v22, v22, s8
	v_mul_lo_u32 v29, v29, s8
	s_delay_alu instid0(VALU_DEP_4) | instskip(NEXT) | instid1(VALU_DEP_4)
	v_mul_lo_u32 v34, v34, s8
	v_mul_lo_u32 v36, v36, s8
	s_delay_alu instid0(VALU_DEP_4) | instskip(NEXT) | instid1(VALU_DEP_4)
	v_sub_nc_u32_e32 v22, v37, v22
	v_sub_nc_u32_e32 v29, v39, v29
	s_delay_alu instid0(VALU_DEP_4) | instskip(NEXT) | instid1(VALU_DEP_3)
	v_sub_nc_u32_e32 v34, v5, v34
	v_subrev_nc_u32_e32 v38, s8, v22
	v_cmp_le_u32_e32 vcc_lo, s8, v22
	v_mov_b32_e32 v67, v40
	v_sub_nc_u32_e32 v24, v24, v36
	v_subrev_nc_u32_e32 v36, s8, v29
	v_subrev_nc_u32_e32 v44, s8, v34
	v_cndmask_b32_e32 v22, v22, v38, vcc_lo
	v_cmp_le_u32_e32 vcc_lo, s8, v29
	v_mov_b32_e32 v58, v40
	v_subrev_nc_u32_e32 v38, s8, v24
	v_cndmask_b32_e32 v29, v29, v36, vcc_lo
	v_cmp_le_u32_e32 vcc_lo, s8, v34
	v_mov_b32_e32 v69, v40
	v_subrev_nc_u32_e32 v36, s8, v22
	v_cndmask_b32_e32 v34, v34, v44, vcc_lo
	v_cmp_le_u32_e32 vcc_lo, s8, v24
	s_delay_alu instid0(VALU_DEP_2)
	v_subrev_nc_u32_e32 v44, s8, v34
	v_cndmask_b32_e32 v24, v24, v38, vcc_lo
	v_cmp_le_u32_e32 vcc_lo, s8, v22
	v_subrev_nc_u32_e32 v38, s8, v29
	v_cndmask_b32_e32 v57, v22, v36, vcc_lo
	v_cmp_le_u32_e32 vcc_lo, s8, v29
	v_subrev_nc_u32_e32 v22, s8, v24
	s_delay_alu instid0(VALU_DEP_3) | instskip(SKIP_4) | instid1(VALU_DEP_4)
	v_dual_mov_b32 v74, v40 :: v_dual_add_nc_u32 v71, s33, v57
	v_cndmask_b32_e32 v66, v29, v38, vcc_lo
	v_cmp_le_u32_e32 vcc_lo, s8, v34
	v_lshlrev_b64 v[58:59], 1, v[57:58]
	v_mov_b32_e32 v84, v40
	v_lshlrev_b64 v[60:61], 1, v[66:67]
	v_cndmask_b32_e32 v68, v34, v44, vcc_lo
	v_cmp_le_u32_e32 vcc_lo, s8, v24
	s_delay_alu instid0(VALU_DEP_2) | instskip(SKIP_3) | instid1(VALU_DEP_3)
	v_lshlrev_b64 v[62:63], 1, v[68:69]
	v_cndmask_b32_e32 v64, v24, v22, vcc_lo
	v_add_co_u32 v58, vcc_lo, s14, v58
	v_add_co_ci_u32_e32 v59, vcc_lo, s15, v59, vcc_lo
	v_lshlrev_b64 v[69:70], 1, v[64:65]
	v_dual_mov_b32 v72, v40 :: v_dual_add_nc_u32 v73, s33, v64
	s_delay_alu instid0(VALU_DEP_2) | instskip(NEXT) | instid1(VALU_DEP_3)
	v_add_co_u32 v69, vcc_lo, s14, v69
	v_add_co_ci_u32_e32 v70, vcc_lo, s15, v70, vcc_lo
	v_add_co_u32 v60, vcc_lo, s14, v60
	v_add_co_ci_u32_e32 v61, vcc_lo, s15, v61, vcc_lo
	v_lshlrev_b64 v[71:72], 1, v[71:72]
	v_add_co_u32 v75, vcc_lo, s14, v62
	v_add_co_ci_u32_e32 v76, vcc_lo, s15, v63, vcc_lo
	v_lshlrev_b64 v[62:63], 1, v[73:74]
	v_add_nc_u32_e32 v73, s33, v66
	v_add_co_u32 v71, vcc_lo, s14, v71
	v_dual_mov_b32 v78, v40 :: v_dual_add_nc_u32 v77, s33, v68
	v_add_nc_u32_e32 v83, s34, v64
	v_add_co_ci_u32_e32 v72, vcc_lo, s15, v72, vcc_lo
	v_add_co_u32 v79, vcc_lo, s14, v62
	v_add_co_ci_u32_e32 v80, vcc_lo, s15, v63, vcc_lo
	v_lshlrev_b64 v[62:63], 1, v[77:78]
	v_add_nc_u32_e32 v77, s34, v57
	v_lshlrev_b64 v[73:74], 1, v[73:74]
	v_add_nc_u32_e32 v64, s38, v64
	s_delay_alu instid0(VALU_DEP_3) | instskip(NEXT) | instid1(VALU_DEP_3)
	v_lshlrev_b64 v[77:78], 1, v[77:78]
	v_add_co_u32 v73, vcc_lo, s14, v73
	s_delay_alu instid0(VALU_DEP_4)
	v_add_co_ci_u32_e32 v74, vcc_lo, s15, v74, vcc_lo
	v_add_co_u32 v81, vcc_lo, s14, v62
	v_add_co_ci_u32_e32 v82, vcc_lo, s15, v63, vcc_lo
	s_clause 0x7
	global_load_u16 v38, v[58:59], off
	global_load_u16 v63, v[69:70], off
	;; [unrolled: 1-line block ×8, first 2 shown]
	v_dual_mov_b32 v72, v40 :: v_dual_add_nc_u32 v71, s34, v66
	v_add_nc_u32_e32 v75, s34, v68
	v_lshlrev_b64 v[69:70], 1, v[83:84]
	v_mov_b32_e32 v76, v40
	v_add_co_u32 v73, vcc_lo, s14, v77
	v_add_nc_u32_e32 v77, s38, v57
	v_lshlrev_b64 v[71:72], 1, v[71:72]
	v_add_co_ci_u32_e32 v74, vcc_lo, s15, v78, vcc_lo
	v_dual_mov_b32 v78, v40 :: v_dual_add_nc_u32 v79, s38, v68
	v_add_co_u32 v69, vcc_lo, s14, v69
	v_lshlrev_b64 v[75:76], 1, v[75:76]
	v_add_co_ci_u32_e32 v70, vcc_lo, s15, v70, vcc_lo
	v_add_co_u32 v71, vcc_lo, s14, v71
	v_lshlrev_b64 v[77:78], 1, v[77:78]
	v_add_nc_u32_e32 v66, s38, v66
	v_add_co_ci_u32_e32 v72, vcc_lo, s15, v72, vcc_lo
	v_add_co_u32 v75, vcc_lo, s14, v75
	v_lshlrev_b64 v[64:65], 1, v[64:65]
	v_mov_b32_e32 v80, v40
	v_add_co_ci_u32_e32 v76, vcc_lo, s15, v76, vcc_lo
	v_add_co_u32 v77, vcc_lo, s14, v77
	v_lshlrev_b64 v[66:67], 1, v[66:67]
	v_add_co_ci_u32_e32 v78, vcc_lo, s15, v78, vcc_lo
	v_add_co_u32 v64, vcc_lo, s14, v64
	v_lshlrev_b64 v[79:80], 1, v[79:80]
	v_add_co_ci_u32_e32 v65, vcc_lo, s15, v65, vcc_lo
	v_add_co_u32 v66, vcc_lo, s14, v66
	v_add_co_ci_u32_e32 v67, vcc_lo, s15, v67, vcc_lo
	s_delay_alu instid0(VALU_DEP_4)
	v_add_co_u32 v79, vcc_lo, s14, v79
	v_add_co_ci_u32_e32 v80, vcc_lo, s15, v80, vcc_lo
	s_clause 0x7
	global_load_u16 v57, v[73:74], off
	global_load_u16 v48, v[69:70], off
	;; [unrolled: 1-line block ×8, first 2 shown]
.LBB259_33:                             ;   in Loop: Header=BB259_12 Depth=1
	v_cmp_ne_u32_e32 vcc_lo, 0, v1
	s_and_saveexec_b32 s2, vcc_lo
	s_cbranch_execnz .LBB259_49
; %bb.34:                               ;   in Loop: Header=BB259_12 Depth=1
	s_or_b32 exec_lo, exec_lo, s2
	v_cmp_ne_u32_e64 s1, 0, v2
	s_delay_alu instid0(VALU_DEP_1)
	s_and_saveexec_b32 s3, s1
	s_cbranch_execnz .LBB259_54
.LBB259_35:                             ;   in Loop: Header=BB259_12 Depth=1
	s_or_b32 exec_lo, exec_lo, s3
	v_cmp_ne_u32_e64 s2, 0, v3
	s_delay_alu instid0(VALU_DEP_1)
	s_and_saveexec_b32 s4, s2
	s_cbranch_execnz .LBB259_59
.LBB259_36:                             ;   in Loop: Header=BB259_12 Depth=1
	s_or_b32 exec_lo, exec_lo, s4
	v_cmp_ne_u32_e64 s3, 0, v4
	s_delay_alu instid0(VALU_DEP_1)
	s_and_saveexec_b32 s41, s3
	s_cbranch_execnz .LBB259_64
.LBB259_37:                             ;   in Loop: Header=BB259_12 Depth=1
	s_or_b32 exec_lo, exec_lo, s41
	v_add_nc_u32_e32 v39, s19, v37
	s_and_saveexec_b32 s41, vcc_lo
	s_cbranch_execnz .LBB259_69
.LBB259_38:                             ;   in Loop: Header=BB259_12 Depth=1
	s_or_b32 exec_lo, exec_lo, s41
	s_and_saveexec_b32 s41, s1
	s_cbranch_execnz .LBB259_74
.LBB259_39:                             ;   in Loop: Header=BB259_12 Depth=1
	s_or_b32 exec_lo, exec_lo, s41
	s_and_saveexec_b32 s41, s2
	s_cbranch_execnz .LBB259_79
.LBB259_40:                             ;   in Loop: Header=BB259_12 Depth=1
	s_or_b32 exec_lo, exec_lo, s41
	s_and_saveexec_b32 s41, s3
	s_cbranch_execnz .LBB259_84
.LBB259_41:                             ;   in Loop: Header=BB259_12 Depth=1
	s_or_b32 exec_lo, exec_lo, s41
	v_add_nc_u32_e32 v39, s19, v39
	s_and_saveexec_b32 s41, vcc_lo
	s_cbranch_execnz .LBB259_89
.LBB259_42:                             ;   in Loop: Header=BB259_12 Depth=1
	s_or_b32 exec_lo, exec_lo, s41
	s_and_saveexec_b32 s41, s1
	s_cbranch_execnz .LBB259_94
.LBB259_43:                             ;   in Loop: Header=BB259_12 Depth=1
	s_or_b32 exec_lo, exec_lo, s41
	s_and_saveexec_b32 s41, s2
	s_cbranch_execnz .LBB259_99
.LBB259_44:                             ;   in Loop: Header=BB259_12 Depth=1
	s_or_b32 exec_lo, exec_lo, s41
	s_and_saveexec_b32 s41, s3
	s_cbranch_execnz .LBB259_104
.LBB259_45:                             ;   in Loop: Header=BB259_12 Depth=1
	s_or_b32 exec_lo, exec_lo, s41
	v_add_nc_u32_e32 v39, s19, v39
	s_and_saveexec_b32 s4, vcc_lo
	s_cbranch_execnz .LBB259_109
.LBB259_46:                             ;   in Loop: Header=BB259_12 Depth=1
	s_or_b32 exec_lo, exec_lo, s4
	s_and_saveexec_b32 s4, s1
	s_cbranch_execnz .LBB259_114
.LBB259_47:                             ;   in Loop: Header=BB259_12 Depth=1
	s_or_b32 exec_lo, exec_lo, s4
	s_and_saveexec_b32 s1, s2
	s_cbranch_execnz .LBB259_119
.LBB259_48:                             ;   in Loop: Header=BB259_12 Depth=1
	s_or_b32 exec_lo, exec_lo, s1
	s_delay_alu instid0(SALU_CYCLE_1)
	s_and_b32 exec_lo, exec_lo, s3
	s_cbranch_execnz .LBB259_124
	s_branch .LBB259_129
.LBB259_49:                             ;   in Loop: Header=BB259_12 Depth=1
	s_waitcnt vmcnt(15) lgkmcnt(15)
	v_dual_add_f32 v47, v47, v49 :: v_dual_lshlrev_b32 v38, 16, v38
	s_delay_alu instid0(VALU_DEP_1) | instskip(NEXT) | instid1(VALU_DEP_1)
	v_add_f32_e32 v38, v47, v38
	v_and_b32_e32 v47, 0x7f800000, v38
	s_delay_alu instid0(VALU_DEP_1) | instskip(NEXT) | instid1(VALU_DEP_1)
	v_cmp_ne_u32_e64 s1, 0x7f800000, v47
                                        ; implicit-def: $vgpr47
	s_and_saveexec_b32 s3, s1
	s_delay_alu instid0(SALU_CYCLE_1)
	s_xor_b32 s1, exec_lo, s3
; %bb.50:                               ;   in Loop: Header=BB259_12 Depth=1
	v_bfe_u32 v47, v38, 16, 1
	s_delay_alu instid0(VALU_DEP_1)
	v_add3_u32 v47, v38, v47, 0x7fff
                                        ; implicit-def: $vgpr38
; %bb.51:                               ;   in Loop: Header=BB259_12 Depth=1
	s_and_not1_saveexec_b32 s3, s1
; %bb.52:                               ;   in Loop: Header=BB259_12 Depth=1
	v_and_b32_e32 v47, 0xffff, v38
	v_or_b32_e32 v49, 0x10000, v38
	s_delay_alu instid0(VALU_DEP_2) | instskip(NEXT) | instid1(VALU_DEP_1)
	v_cmp_eq_u32_e64 s1, 0, v47
	v_cndmask_b32_e64 v47, v49, v38, s1
; %bb.53:                               ;   in Loop: Header=BB259_12 Depth=1
	s_or_b32 exec_lo, exec_lo, s3
	v_mov_b32_e32 v38, v40
	s_delay_alu instid0(VALU_DEP_1) | instskip(NEXT) | instid1(VALU_DEP_1)
	v_lshlrev_b64 v[64:65], 1, v[37:38]
	v_add_co_u32 v64, s1, s6, v64
	s_delay_alu instid0(VALU_DEP_1) | instskip(SKIP_3) | instid1(VALU_DEP_1)
	v_add_co_ci_u32_e64 v65, s1, s7, v65, s1
	global_store_d16_hi_b16 v[64:65], v47, off
	s_or_b32 exec_lo, exec_lo, s2
	v_cmp_ne_u32_e64 s1, 0, v2
	s_and_saveexec_b32 s3, s1
	s_cbranch_execz .LBB259_35
.LBB259_54:                             ;   in Loop: Header=BB259_12 Depth=1
	s_waitcnt vmcnt(14) lgkmcnt(11)
	v_dual_add_f32 v38, v45, v46 :: v_dual_lshlrev_b32 v45, 16, v63
	s_delay_alu instid0(VALU_DEP_1) | instskip(NEXT) | instid1(VALU_DEP_1)
	v_add_f32_e32 v38, v38, v45
	v_and_b32_e32 v45, 0x7f800000, v38
	s_delay_alu instid0(VALU_DEP_1) | instskip(NEXT) | instid1(VALU_DEP_1)
	v_cmp_ne_u32_e64 s2, 0x7f800000, v45
                                        ; implicit-def: $vgpr45
	s_and_saveexec_b32 s4, s2
	s_delay_alu instid0(SALU_CYCLE_1)
	s_xor_b32 s2, exec_lo, s4
; %bb.55:                               ;   in Loop: Header=BB259_12 Depth=1
	v_bfe_u32 v45, v38, 16, 1
	s_delay_alu instid0(VALU_DEP_1)
	v_add3_u32 v45, v38, v45, 0x7fff
                                        ; implicit-def: $vgpr38
; %bb.56:                               ;   in Loop: Header=BB259_12 Depth=1
	s_and_not1_saveexec_b32 s4, s2
; %bb.57:                               ;   in Loop: Header=BB259_12 Depth=1
	v_and_b32_e32 v45, 0xffff, v38
	v_or_b32_e32 v46, 0x10000, v38
	s_delay_alu instid0(VALU_DEP_2) | instskip(NEXT) | instid1(VALU_DEP_1)
	v_cmp_eq_u32_e64 s2, 0, v45
	v_cndmask_b32_e64 v45, v46, v38, s2
; %bb.58:                               ;   in Loop: Header=BB259_12 Depth=1
	s_or_b32 exec_lo, exec_lo, s4
	v_mov_b32_e32 v38, v40
	s_delay_alu instid0(VALU_DEP_1) | instskip(NEXT) | instid1(VALU_DEP_1)
	v_lshlrev_b64 v[46:47], 1, v[37:38]
	v_add_co_u32 v46, s2, s35, v46
	s_delay_alu instid0(VALU_DEP_1) | instskip(SKIP_3) | instid1(VALU_DEP_1)
	v_add_co_ci_u32_e64 v47, s2, s36, v47, s2
	global_store_d16_hi_b16 v[46:47], v45, off
	s_or_b32 exec_lo, exec_lo, s3
	v_cmp_ne_u32_e64 s2, 0, v3
	s_and_saveexec_b32 s4, s2
	s_cbranch_execz .LBB259_36
.LBB259_59:                             ;   in Loop: Header=BB259_12 Depth=1
	s_waitcnt vmcnt(15) lgkmcnt(14)
	v_add_f32_e32 v38, v42, v43
	s_waitcnt vmcnt(13)
	v_lshlrev_b32_e32 v42, 16, v62
	s_delay_alu instid0(VALU_DEP_1) | instskip(NEXT) | instid1(VALU_DEP_1)
	v_add_f32_e32 v42, v38, v42
	v_and_b32_e32 v38, 0x7f800000, v42
	s_delay_alu instid0(VALU_DEP_1) | instskip(NEXT) | instid1(VALU_DEP_1)
	v_cmp_ne_u32_e64 s3, 0x7f800000, v38
                                        ; implicit-def: $vgpr38
	s_and_saveexec_b32 s41, s3
	s_delay_alu instid0(SALU_CYCLE_1)
	s_xor_b32 s3, exec_lo, s41
; %bb.60:                               ;   in Loop: Header=BB259_12 Depth=1
	v_bfe_u32 v38, v42, 16, 1
	s_delay_alu instid0(VALU_DEP_1)
	v_add3_u32 v38, v42, v38, 0x7fff
                                        ; implicit-def: $vgpr42
; %bb.61:                               ;   in Loop: Header=BB259_12 Depth=1
	s_and_not1_saveexec_b32 s41, s3
; %bb.62:                               ;   in Loop: Header=BB259_12 Depth=1
	v_and_b32_e32 v38, 0xffff, v42
	v_or_b32_e32 v43, 0x10000, v42
	s_delay_alu instid0(VALU_DEP_2) | instskip(NEXT) | instid1(VALU_DEP_1)
	v_cmp_eq_u32_e64 s3, 0, v38
	v_cndmask_b32_e64 v38, v43, v42, s3
; %bb.63:                               ;   in Loop: Header=BB259_12 Depth=1
	s_or_b32 exec_lo, exec_lo, s41
	v_lshlrev_b64 v[42:43], 1, v[39:40]
	s_delay_alu instid0(VALU_DEP_1) | instskip(NEXT) | instid1(VALU_DEP_1)
	v_add_co_u32 v42, s3, s6, v42
	v_add_co_ci_u32_e64 v43, s3, s7, v43, s3
	global_store_d16_hi_b16 v[42:43], v38, off
	s_or_b32 exec_lo, exec_lo, s4
	v_cmp_ne_u32_e64 s3, 0, v4
	s_delay_alu instid0(VALU_DEP_1)
	s_and_saveexec_b32 s41, s3
	s_cbranch_execz .LBB259_37
.LBB259_64:                             ;   in Loop: Header=BB259_12 Depth=1
	s_waitcnt vmcnt(12) lgkmcnt(13)
	v_dual_add_f32 v6, v6, v35 :: v_dual_lshlrev_b32 v35, 16, v61
	s_delay_alu instid0(VALU_DEP_1) | instskip(NEXT) | instid1(VALU_DEP_1)
	v_add_f32_e32 v6, v6, v35
	v_and_b32_e32 v35, 0x7f800000, v6
	s_delay_alu instid0(VALU_DEP_1) | instskip(NEXT) | instid1(VALU_DEP_1)
	v_cmp_ne_u32_e64 s4, 0x7f800000, v35
                                        ; implicit-def: $vgpr35
	s_and_saveexec_b32 s42, s4
	s_delay_alu instid0(SALU_CYCLE_1)
	s_xor_b32 s4, exec_lo, s42
; %bb.65:                               ;   in Loop: Header=BB259_12 Depth=1
	v_bfe_u32 v35, v6, 16, 1
	s_delay_alu instid0(VALU_DEP_1)
	v_add3_u32 v35, v6, v35, 0x7fff
                                        ; implicit-def: $vgpr6
; %bb.66:                               ;   in Loop: Header=BB259_12 Depth=1
	s_and_not1_saveexec_b32 s42, s4
; %bb.67:                               ;   in Loop: Header=BB259_12 Depth=1
	v_and_b32_e32 v35, 0xffff, v6
	v_or_b32_e32 v38, 0x10000, v6
	s_delay_alu instid0(VALU_DEP_2) | instskip(NEXT) | instid1(VALU_DEP_1)
	v_cmp_eq_u32_e64 s4, 0, v35
	v_cndmask_b32_e64 v35, v38, v6, s4
; %bb.68:                               ;   in Loop: Header=BB259_12 Depth=1
	s_or_b32 exec_lo, exec_lo, s42
	v_mov_b32_e32 v6, v40
	s_delay_alu instid0(VALU_DEP_1) | instskip(NEXT) | instid1(VALU_DEP_1)
	v_lshlrev_b64 v[5:6], 1, v[5:6]
	v_add_co_u32 v5, s4, s6, v5
	s_delay_alu instid0(VALU_DEP_1)
	v_add_co_ci_u32_e64 v6, s4, s7, v6, s4
	global_store_d16_hi_b16 v[5:6], v35, off
	s_or_b32 exec_lo, exec_lo, s41
	v_add_nc_u32_e32 v39, s19, v37
	s_and_saveexec_b32 s41, vcc_lo
	s_cbranch_execz .LBB259_38
.LBB259_69:                             ;   in Loop: Header=BB259_12 Depth=1
	s_waitcnt vmcnt(11) lgkmcnt(12)
	v_dual_add_f32 v5, v32, v33 :: v_dual_lshlrev_b32 v6, 16, v60
	s_delay_alu instid0(VALU_DEP_1) | instskip(NEXT) | instid1(VALU_DEP_1)
	v_add_f32_e32 v6, v5, v6
	v_and_b32_e32 v5, 0x7f800000, v6
	s_delay_alu instid0(VALU_DEP_1) | instskip(NEXT) | instid1(VALU_DEP_1)
	v_cmp_ne_u32_e64 s4, 0x7f800000, v5
                                        ; implicit-def: $vgpr5
	s_and_saveexec_b32 s42, s4
	s_delay_alu instid0(SALU_CYCLE_1)
	s_xor_b32 s4, exec_lo, s42
; %bb.70:                               ;   in Loop: Header=BB259_12 Depth=1
	v_bfe_u32 v5, v6, 16, 1
	s_delay_alu instid0(VALU_DEP_1)
	v_add3_u32 v5, v6, v5, 0x7fff
                                        ; implicit-def: $vgpr6
; %bb.71:                               ;   in Loop: Header=BB259_12 Depth=1
	s_and_not1_saveexec_b32 s42, s4
; %bb.72:                               ;   in Loop: Header=BB259_12 Depth=1
	v_and_b32_e32 v5, 0xffff, v6
	v_or_b32_e32 v32, 0x10000, v6
	s_delay_alu instid0(VALU_DEP_2) | instskip(NEXT) | instid1(VALU_DEP_1)
	v_cmp_eq_u32_e64 s4, 0, v5
	v_cndmask_b32_e64 v5, v32, v6, s4
; %bb.73:                               ;   in Loop: Header=BB259_12 Depth=1
	s_or_b32 exec_lo, exec_lo, s42
	v_lshlrev_b64 v[32:33], 1, v[39:40]
	s_delay_alu instid0(VALU_DEP_1) | instskip(NEXT) | instid1(VALU_DEP_1)
	v_add_co_u32 v32, s4, s6, v32
	v_add_co_ci_u32_e64 v33, s4, s7, v33, s4
	global_store_d16_hi_b16 v[32:33], v5, off
	s_or_b32 exec_lo, exec_lo, s41
	s_and_saveexec_b32 s41, s1
	s_cbranch_execz .LBB259_39
.LBB259_74:                             ;   in Loop: Header=BB259_12 Depth=1
	s_waitcnt vmcnt(10) lgkmcnt(10)
	v_dual_add_f32 v5, v27, v28 :: v_dual_lshlrev_b32 v6, 16, v59
	s_delay_alu instid0(VALU_DEP_1) | instskip(NEXT) | instid1(VALU_DEP_1)
	v_add_f32_e32 v6, v5, v6
	v_and_b32_e32 v5, 0x7f800000, v6
	s_delay_alu instid0(VALU_DEP_1) | instskip(NEXT) | instid1(VALU_DEP_1)
	v_cmp_ne_u32_e64 s4, 0x7f800000, v5
                                        ; implicit-def: $vgpr5
	s_and_saveexec_b32 s42, s4
	s_delay_alu instid0(SALU_CYCLE_1)
	s_xor_b32 s4, exec_lo, s42
; %bb.75:                               ;   in Loop: Header=BB259_12 Depth=1
	v_bfe_u32 v5, v6, 16, 1
	s_delay_alu instid0(VALU_DEP_1)
	v_add3_u32 v5, v6, v5, 0x7fff
                                        ; implicit-def: $vgpr6
; %bb.76:                               ;   in Loop: Header=BB259_12 Depth=1
	s_and_not1_saveexec_b32 s42, s4
; %bb.77:                               ;   in Loop: Header=BB259_12 Depth=1
	v_and_b32_e32 v5, 0xffff, v6
	v_or_b32_e32 v27, 0x10000, v6
	s_delay_alu instid0(VALU_DEP_2) | instskip(NEXT) | instid1(VALU_DEP_1)
	v_cmp_eq_u32_e64 s4, 0, v5
	v_cndmask_b32_e64 v5, v27, v6, s4
; %bb.78:                               ;   in Loop: Header=BB259_12 Depth=1
	s_or_b32 exec_lo, exec_lo, s42
	v_dual_mov_b32 v28, v40 :: v_dual_add_nc_u32 v27, 1, v39
	s_delay_alu instid0(VALU_DEP_1) | instskip(NEXT) | instid1(VALU_DEP_1)
	v_lshlrev_b64 v[27:28], 1, v[27:28]
	v_add_co_u32 v27, s4, s6, v27
	s_delay_alu instid0(VALU_DEP_1)
	v_add_co_ci_u32_e64 v28, s4, s7, v28, s4
	global_store_d16_hi_b16 v[27:28], v5, off
	s_or_b32 exec_lo, exec_lo, s41
	s_and_saveexec_b32 s41, s2
	s_cbranch_execz .LBB259_40
.LBB259_79:                             ;   in Loop: Header=BB259_12 Depth=1
	s_waitcnt vmcnt(9) lgkmcnt(7)
	v_dual_add_f32 v5, v30, v31 :: v_dual_lshlrev_b32 v6, 16, v58
	s_delay_alu instid0(VALU_DEP_1) | instskip(NEXT) | instid1(VALU_DEP_1)
	v_add_f32_e32 v6, v5, v6
	v_and_b32_e32 v5, 0x7f800000, v6
	s_delay_alu instid0(VALU_DEP_1) | instskip(NEXT) | instid1(VALU_DEP_1)
	v_cmp_ne_u32_e64 s4, 0x7f800000, v5
                                        ; implicit-def: $vgpr5
	s_and_saveexec_b32 s42, s4
	s_delay_alu instid0(SALU_CYCLE_1)
	s_xor_b32 s4, exec_lo, s42
; %bb.80:                               ;   in Loop: Header=BB259_12 Depth=1
	v_bfe_u32 v5, v6, 16, 1
	s_delay_alu instid0(VALU_DEP_1)
	v_add3_u32 v5, v6, v5, 0x7fff
                                        ; implicit-def: $vgpr6
; %bb.81:                               ;   in Loop: Header=BB259_12 Depth=1
	s_and_not1_saveexec_b32 s42, s4
; %bb.82:                               ;   in Loop: Header=BB259_12 Depth=1
	v_and_b32_e32 v5, 0xffff, v6
	v_or_b32_e32 v27, 0x10000, v6
	s_delay_alu instid0(VALU_DEP_2) | instskip(NEXT) | instid1(VALU_DEP_1)
	v_cmp_eq_u32_e64 s4, 0, v5
	v_cndmask_b32_e64 v5, v27, v6, s4
; %bb.83:                               ;   in Loop: Header=BB259_12 Depth=1
	s_or_b32 exec_lo, exec_lo, s42
	v_dual_mov_b32 v28, v40 :: v_dual_add_nc_u32 v27, 2, v39
	s_delay_alu instid0(VALU_DEP_1) | instskip(NEXT) | instid1(VALU_DEP_1)
	v_lshlrev_b64 v[27:28], 1, v[27:28]
	v_add_co_u32 v27, s4, s6, v27
	s_delay_alu instid0(VALU_DEP_1)
	v_add_co_ci_u32_e64 v28, s4, s7, v28, s4
	global_store_d16_hi_b16 v[27:28], v5, off
	s_or_b32 exec_lo, exec_lo, s41
	s_and_saveexec_b32 s41, s3
	s_cbranch_execz .LBB259_41
.LBB259_84:                             ;   in Loop: Header=BB259_12 Depth=1
	s_waitcnt vmcnt(8) lgkmcnt(6)
	v_dual_add_f32 v5, v25, v26 :: v_dual_lshlrev_b32 v6, 16, v56
	s_delay_alu instid0(VALU_DEP_1) | instskip(NEXT) | instid1(VALU_DEP_1)
	v_add_f32_e32 v6, v5, v6
	v_and_b32_e32 v5, 0x7f800000, v6
	s_delay_alu instid0(VALU_DEP_1) | instskip(NEXT) | instid1(VALU_DEP_1)
	v_cmp_ne_u32_e64 s4, 0x7f800000, v5
                                        ; implicit-def: $vgpr5
	s_and_saveexec_b32 s42, s4
	s_delay_alu instid0(SALU_CYCLE_1)
	s_xor_b32 s4, exec_lo, s42
; %bb.85:                               ;   in Loop: Header=BB259_12 Depth=1
	v_bfe_u32 v5, v6, 16, 1
	s_delay_alu instid0(VALU_DEP_1)
	v_add3_u32 v5, v6, v5, 0x7fff
                                        ; implicit-def: $vgpr6
; %bb.86:                               ;   in Loop: Header=BB259_12 Depth=1
	s_and_not1_saveexec_b32 s42, s4
; %bb.87:                               ;   in Loop: Header=BB259_12 Depth=1
	v_and_b32_e32 v5, 0xffff, v6
	v_or_b32_e32 v25, 0x10000, v6
	s_delay_alu instid0(VALU_DEP_2) | instskip(NEXT) | instid1(VALU_DEP_1)
	v_cmp_eq_u32_e64 s4, 0, v5
	v_cndmask_b32_e64 v5, v25, v6, s4
; %bb.88:                               ;   in Loop: Header=BB259_12 Depth=1
	s_or_b32 exec_lo, exec_lo, s42
	v_dual_mov_b32 v26, v40 :: v_dual_add_nc_u32 v25, 3, v39
	s_delay_alu instid0(VALU_DEP_1) | instskip(NEXT) | instid1(VALU_DEP_1)
	v_lshlrev_b64 v[25:26], 1, v[25:26]
	v_add_co_u32 v25, s4, s6, v25
	s_delay_alu instid0(VALU_DEP_1)
	v_add_co_ci_u32_e64 v26, s4, s7, v26, s4
	global_store_d16_hi_b16 v[25:26], v5, off
	s_or_b32 exec_lo, exec_lo, s41
	v_add_nc_u32_e32 v39, s19, v39
	s_and_saveexec_b32 s41, vcc_lo
	s_cbranch_execz .LBB259_42
.LBB259_89:                             ;   in Loop: Header=BB259_12 Depth=1
	s_waitcnt vmcnt(7) lgkmcnt(9)
	v_dual_add_f32 v5, v21, v23 :: v_dual_lshlrev_b32 v6, 16, v57
	s_delay_alu instid0(VALU_DEP_1) | instskip(NEXT) | instid1(VALU_DEP_1)
	v_add_f32_e32 v6, v5, v6
	v_and_b32_e32 v5, 0x7f800000, v6
	s_delay_alu instid0(VALU_DEP_1) | instskip(NEXT) | instid1(VALU_DEP_1)
	v_cmp_ne_u32_e64 s4, 0x7f800000, v5
                                        ; implicit-def: $vgpr5
	s_and_saveexec_b32 s42, s4
	s_delay_alu instid0(SALU_CYCLE_1)
	s_xor_b32 s4, exec_lo, s42
; %bb.90:                               ;   in Loop: Header=BB259_12 Depth=1
	v_bfe_u32 v5, v6, 16, 1
	s_delay_alu instid0(VALU_DEP_1)
	v_add3_u32 v5, v6, v5, 0x7fff
                                        ; implicit-def: $vgpr6
; %bb.91:                               ;   in Loop: Header=BB259_12 Depth=1
	s_and_not1_saveexec_b32 s42, s4
; %bb.92:                               ;   in Loop: Header=BB259_12 Depth=1
	v_and_b32_e32 v5, 0xffff, v6
	v_or_b32_e32 v21, 0x10000, v6
	s_delay_alu instid0(VALU_DEP_2) | instskip(NEXT) | instid1(VALU_DEP_1)
	v_cmp_eq_u32_e64 s4, 0, v5
	v_cndmask_b32_e64 v5, v21, v6, s4
; %bb.93:                               ;   in Loop: Header=BB259_12 Depth=1
	s_or_b32 exec_lo, exec_lo, s42
	s_waitcnt lgkmcnt(6)
	v_lshlrev_b64 v[25:26], 1, v[39:40]
	s_delay_alu instid0(VALU_DEP_1) | instskip(NEXT) | instid1(VALU_DEP_1)
	v_add_co_u32 v25, s4, s6, v25
	v_add_co_ci_u32_e64 v26, s4, s7, v26, s4
	global_store_d16_hi_b16 v[25:26], v5, off
	s_or_b32 exec_lo, exec_lo, s41
	s_and_saveexec_b32 s41, s1
	s_cbranch_execz .LBB259_43
.LBB259_94:                             ;   in Loop: Header=BB259_12 Depth=1
	s_waitcnt lgkmcnt(5)
	v_add_f32_e32 v5, v19, v20
	s_waitcnt vmcnt(6)
	v_lshlrev_b32_e32 v6, 16, v48
	s_delay_alu instid0(VALU_DEP_1) | instskip(NEXT) | instid1(VALU_DEP_1)
	v_add_f32_e32 v6, v5, v6
	v_and_b32_e32 v5, 0x7f800000, v6
	s_delay_alu instid0(VALU_DEP_1) | instskip(NEXT) | instid1(VALU_DEP_1)
	v_cmp_ne_u32_e64 s4, 0x7f800000, v5
                                        ; implicit-def: $vgpr5
	s_and_saveexec_b32 s42, s4
	s_delay_alu instid0(SALU_CYCLE_1)
	s_xor_b32 s4, exec_lo, s42
; %bb.95:                               ;   in Loop: Header=BB259_12 Depth=1
	v_bfe_u32 v5, v6, 16, 1
	s_delay_alu instid0(VALU_DEP_1)
	v_add3_u32 v5, v6, v5, 0x7fff
                                        ; implicit-def: $vgpr6
; %bb.96:                               ;   in Loop: Header=BB259_12 Depth=1
	s_and_not1_saveexec_b32 s42, s4
; %bb.97:                               ;   in Loop: Header=BB259_12 Depth=1
	v_and_b32_e32 v5, 0xffff, v6
	v_or_b32_e32 v19, 0x10000, v6
	s_delay_alu instid0(VALU_DEP_2) | instskip(NEXT) | instid1(VALU_DEP_1)
	v_cmp_eq_u32_e64 s4, 0, v5
	v_cndmask_b32_e64 v5, v19, v6, s4
; %bb.98:                               ;   in Loop: Header=BB259_12 Depth=1
	s_or_b32 exec_lo, exec_lo, s42
	v_dual_mov_b32 v20, v40 :: v_dual_add_nc_u32 v19, 1, v39
	s_delay_alu instid0(VALU_DEP_1) | instskip(NEXT) | instid1(VALU_DEP_1)
	v_lshlrev_b64 v[19:20], 1, v[19:20]
	v_add_co_u32 v19, s4, s6, v19
	s_delay_alu instid0(VALU_DEP_1)
	v_add_co_ci_u32_e64 v20, s4, s7, v20, s4
	global_store_d16_hi_b16 v[19:20], v5, off
	s_or_b32 exec_lo, exec_lo, s41
	s_and_saveexec_b32 s41, s2
	s_cbranch_execz .LBB259_44
.LBB259_99:                             ;   in Loop: Header=BB259_12 Depth=1
	s_waitcnt lgkmcnt(8)
	v_add_f32_e32 v5, v15, v16
	s_waitcnt vmcnt(5)
	v_lshlrev_b32_e32 v6, 16, v44
	s_delay_alu instid0(VALU_DEP_1) | instskip(NEXT) | instid1(VALU_DEP_1)
	v_add_f32_e32 v6, v5, v6
	v_and_b32_e32 v5, 0x7f800000, v6
	s_delay_alu instid0(VALU_DEP_1) | instskip(NEXT) | instid1(VALU_DEP_1)
	v_cmp_ne_u32_e64 s4, 0x7f800000, v5
                                        ; implicit-def: $vgpr5
	s_and_saveexec_b32 s42, s4
	s_delay_alu instid0(SALU_CYCLE_1)
	s_xor_b32 s4, exec_lo, s42
; %bb.100:                              ;   in Loop: Header=BB259_12 Depth=1
	v_bfe_u32 v5, v6, 16, 1
	s_delay_alu instid0(VALU_DEP_1)
	v_add3_u32 v5, v6, v5, 0x7fff
                                        ; implicit-def: $vgpr6
; %bb.101:                              ;   in Loop: Header=BB259_12 Depth=1
	s_and_not1_saveexec_b32 s42, s4
; %bb.102:                              ;   in Loop: Header=BB259_12 Depth=1
	v_and_b32_e32 v5, 0xffff, v6
	v_or_b32_e32 v15, 0x10000, v6
	s_delay_alu instid0(VALU_DEP_2) | instskip(NEXT) | instid1(VALU_DEP_1)
	v_cmp_eq_u32_e64 s4, 0, v5
	v_cndmask_b32_e64 v5, v15, v6, s4
; %bb.103:                              ;   in Loop: Header=BB259_12 Depth=1
	s_or_b32 exec_lo, exec_lo, s42
	v_dual_mov_b32 v16, v40 :: v_dual_add_nc_u32 v15, 2, v39
	s_delay_alu instid0(VALU_DEP_1) | instskip(NEXT) | instid1(VALU_DEP_1)
	v_lshlrev_b64 v[15:16], 1, v[15:16]
	v_add_co_u32 v15, s4, s6, v15
	s_delay_alu instid0(VALU_DEP_1)
	v_add_co_ci_u32_e64 v16, s4, s7, v16, s4
	global_store_d16_hi_b16 v[15:16], v5, off
	s_or_b32 exec_lo, exec_lo, s41
	s_and_saveexec_b32 s41, s3
	s_cbranch_execz .LBB259_45
.LBB259_104:                            ;   in Loop: Header=BB259_12 Depth=1
	s_waitcnt vmcnt(4) lgkmcnt(4)
	v_dual_add_f32 v5, v17, v18 :: v_dual_lshlrev_b32 v6, 16, v36
	s_delay_alu instid0(VALU_DEP_1) | instskip(NEXT) | instid1(VALU_DEP_1)
	v_add_f32_e32 v6, v5, v6
	v_and_b32_e32 v5, 0x7f800000, v6
	s_delay_alu instid0(VALU_DEP_1) | instskip(NEXT) | instid1(VALU_DEP_1)
	v_cmp_ne_u32_e64 s4, 0x7f800000, v5
                                        ; implicit-def: $vgpr5
	s_and_saveexec_b32 s42, s4
	s_delay_alu instid0(SALU_CYCLE_1)
	s_xor_b32 s4, exec_lo, s42
; %bb.105:                              ;   in Loop: Header=BB259_12 Depth=1
	v_bfe_u32 v5, v6, 16, 1
	s_delay_alu instid0(VALU_DEP_1)
	v_add3_u32 v5, v6, v5, 0x7fff
                                        ; implicit-def: $vgpr6
; %bb.106:                              ;   in Loop: Header=BB259_12 Depth=1
	s_and_not1_saveexec_b32 s42, s4
; %bb.107:                              ;   in Loop: Header=BB259_12 Depth=1
	v_and_b32_e32 v5, 0xffff, v6
	v_or_b32_e32 v15, 0x10000, v6
	s_delay_alu instid0(VALU_DEP_2) | instskip(NEXT) | instid1(VALU_DEP_1)
	v_cmp_eq_u32_e64 s4, 0, v5
	v_cndmask_b32_e64 v5, v15, v6, s4
; %bb.108:                              ;   in Loop: Header=BB259_12 Depth=1
	s_or_b32 exec_lo, exec_lo, s42
	v_dual_mov_b32 v16, v40 :: v_dual_add_nc_u32 v15, 3, v39
	s_delay_alu instid0(VALU_DEP_1) | instskip(NEXT) | instid1(VALU_DEP_1)
	v_lshlrev_b64 v[15:16], 1, v[15:16]
	v_add_co_u32 v15, s4, s6, v15
	s_delay_alu instid0(VALU_DEP_1)
	v_add_co_ci_u32_e64 v16, s4, s7, v16, s4
	global_store_d16_hi_b16 v[15:16], v5, off
	s_or_b32 exec_lo, exec_lo, s41
	v_add_nc_u32_e32 v39, s19, v39
	s_and_saveexec_b32 s4, vcc_lo
	s_cbranch_execz .LBB259_46
.LBB259_109:                            ;   in Loop: Header=BB259_12 Depth=1
	s_waitcnt lgkmcnt(1)
	v_add_f32_e32 v5, v13, v14
	s_waitcnt vmcnt(3)
	v_lshlrev_b32_e32 v6, 16, v34
	s_delay_alu instid0(VALU_DEP_1) | instskip(NEXT) | instid1(VALU_DEP_1)
	v_add_f32_e32 v6, v5, v6
	v_and_b32_e32 v5, 0x7f800000, v6
	s_delay_alu instid0(VALU_DEP_1) | instskip(SKIP_1) | instid1(SALU_CYCLE_1)
	v_cmp_ne_u32_e32 vcc_lo, 0x7f800000, v5
                                        ; implicit-def: $vgpr5
	s_and_saveexec_b32 s41, vcc_lo
	s_xor_b32 s41, exec_lo, s41
; %bb.110:                              ;   in Loop: Header=BB259_12 Depth=1
	v_bfe_u32 v5, v6, 16, 1
	s_delay_alu instid0(VALU_DEP_1)
	v_add3_u32 v5, v6, v5, 0x7fff
                                        ; implicit-def: $vgpr6
; %bb.111:                              ;   in Loop: Header=BB259_12 Depth=1
	s_and_not1_saveexec_b32 s41, s41
; %bb.112:                              ;   in Loop: Header=BB259_12 Depth=1
	v_and_b32_e32 v5, 0xffff, v6
	v_or_b32_e32 v13, 0x10000, v6
	s_delay_alu instid0(VALU_DEP_2) | instskip(NEXT) | instid1(VALU_DEP_2)
	v_cmp_eq_u32_e32 vcc_lo, 0, v5
	v_cndmask_b32_e32 v5, v13, v6, vcc_lo
; %bb.113:                              ;   in Loop: Header=BB259_12 Depth=1
	s_or_b32 exec_lo, exec_lo, s41
	v_lshlrev_b64 v[13:14], 1, v[39:40]
	s_delay_alu instid0(VALU_DEP_1) | instskip(NEXT) | instid1(VALU_DEP_2)
	v_add_co_u32 v13, vcc_lo, s6, v13
	v_add_co_ci_u32_e32 v14, vcc_lo, s7, v14, vcc_lo
	global_store_d16_hi_b16 v[13:14], v5, off
	s_or_b32 exec_lo, exec_lo, s4
	s_and_saveexec_b32 s4, s1
	s_cbranch_execz .LBB259_47
.LBB259_114:                            ;   in Loop: Header=BB259_12 Depth=1
	s_waitcnt vmcnt(2) lgkmcnt(3)
	v_dual_add_f32 v5, v11, v12 :: v_dual_lshlrev_b32 v6, 16, v29
	s_delay_alu instid0(VALU_DEP_1) | instskip(NEXT) | instid1(VALU_DEP_1)
	v_add_f32_e32 v6, v5, v6
	v_and_b32_e32 v5, 0x7f800000, v6
	s_delay_alu instid0(VALU_DEP_1) | instskip(SKIP_1) | instid1(SALU_CYCLE_1)
	v_cmp_ne_u32_e32 vcc_lo, 0x7f800000, v5
                                        ; implicit-def: $vgpr5
	s_and_saveexec_b32 s1, vcc_lo
	s_xor_b32 s1, exec_lo, s1
; %bb.115:                              ;   in Loop: Header=BB259_12 Depth=1
	v_bfe_u32 v5, v6, 16, 1
	s_delay_alu instid0(VALU_DEP_1)
	v_add3_u32 v5, v6, v5, 0x7fff
                                        ; implicit-def: $vgpr6
; %bb.116:                              ;   in Loop: Header=BB259_12 Depth=1
	s_and_not1_saveexec_b32 s1, s1
; %bb.117:                              ;   in Loop: Header=BB259_12 Depth=1
	v_and_b32_e32 v5, 0xffff, v6
	v_or_b32_e32 v11, 0x10000, v6
	s_delay_alu instid0(VALU_DEP_2) | instskip(NEXT) | instid1(VALU_DEP_2)
	v_cmp_eq_u32_e32 vcc_lo, 0, v5
	v_cndmask_b32_e32 v5, v11, v6, vcc_lo
; %bb.118:                              ;   in Loop: Header=BB259_12 Depth=1
	s_or_b32 exec_lo, exec_lo, s1
	v_dual_mov_b32 v12, v40 :: v_dual_add_nc_u32 v11, 1, v39
	s_delay_alu instid0(VALU_DEP_1) | instskip(NEXT) | instid1(VALU_DEP_1)
	v_lshlrev_b64 v[11:12], 1, v[11:12]
	v_add_co_u32 v11, vcc_lo, s6, v11
	s_delay_alu instid0(VALU_DEP_2)
	v_add_co_ci_u32_e32 v12, vcc_lo, s7, v12, vcc_lo
	global_store_d16_hi_b16 v[11:12], v5, off
	s_or_b32 exec_lo, exec_lo, s4
	s_and_saveexec_b32 s1, s2
	s_cbranch_execz .LBB259_48
.LBB259_119:                            ;   in Loop: Header=BB259_12 Depth=1
	s_waitcnt vmcnt(1) lgkmcnt(2)
	v_dual_add_f32 v5, v9, v10 :: v_dual_lshlrev_b32 v6, 16, v24
	s_delay_alu instid0(VALU_DEP_1) | instskip(NEXT) | instid1(VALU_DEP_1)
	v_add_f32_e32 v6, v5, v6
	v_and_b32_e32 v5, 0x7f800000, v6
	s_delay_alu instid0(VALU_DEP_1) | instskip(SKIP_1) | instid1(SALU_CYCLE_1)
	v_cmp_ne_u32_e32 vcc_lo, 0x7f800000, v5
                                        ; implicit-def: $vgpr5
	s_and_saveexec_b32 s2, vcc_lo
	s_xor_b32 s2, exec_lo, s2
; %bb.120:                              ;   in Loop: Header=BB259_12 Depth=1
	v_bfe_u32 v5, v6, 16, 1
	s_delay_alu instid0(VALU_DEP_1)
	v_add3_u32 v5, v6, v5, 0x7fff
                                        ; implicit-def: $vgpr6
; %bb.121:                              ;   in Loop: Header=BB259_12 Depth=1
	s_and_not1_saveexec_b32 s2, s2
; %bb.122:                              ;   in Loop: Header=BB259_12 Depth=1
	v_and_b32_e32 v5, 0xffff, v6
	v_or_b32_e32 v9, 0x10000, v6
	s_delay_alu instid0(VALU_DEP_2) | instskip(NEXT) | instid1(VALU_DEP_2)
	v_cmp_eq_u32_e32 vcc_lo, 0, v5
	v_cndmask_b32_e32 v5, v9, v6, vcc_lo
; %bb.123:                              ;   in Loop: Header=BB259_12 Depth=1
	s_or_b32 exec_lo, exec_lo, s2
	v_dual_mov_b32 v10, v40 :: v_dual_add_nc_u32 v9, 2, v39
	s_delay_alu instid0(VALU_DEP_1) | instskip(NEXT) | instid1(VALU_DEP_1)
	v_lshlrev_b64 v[9:10], 1, v[9:10]
	v_add_co_u32 v9, vcc_lo, s6, v9
	s_delay_alu instid0(VALU_DEP_2) | instskip(SKIP_2) | instid1(SALU_CYCLE_1)
	v_add_co_ci_u32_e32 v10, vcc_lo, s7, v10, vcc_lo
	global_store_d16_hi_b16 v[9:10], v5, off
	s_or_b32 exec_lo, exec_lo, s1
	s_and_b32 exec_lo, exec_lo, s3
	s_cbranch_execz .LBB259_129
.LBB259_124:                            ;   in Loop: Header=BB259_12 Depth=1
	s_waitcnt vmcnt(0) lgkmcnt(0)
	v_dual_add_f32 v5, v7, v8 :: v_dual_lshlrev_b32 v6, 16, v22
	s_delay_alu instid0(VALU_DEP_1) | instskip(NEXT) | instid1(VALU_DEP_1)
	v_add_f32_e32 v6, v5, v6
	v_and_b32_e32 v5, 0x7f800000, v6
	s_delay_alu instid0(VALU_DEP_1) | instskip(SKIP_1) | instid1(SALU_CYCLE_1)
	v_cmp_ne_u32_e32 vcc_lo, 0x7f800000, v5
                                        ; implicit-def: $vgpr5
	s_and_saveexec_b32 s1, vcc_lo
	s_xor_b32 s1, exec_lo, s1
; %bb.125:                              ;   in Loop: Header=BB259_12 Depth=1
	v_bfe_u32 v5, v6, 16, 1
	s_delay_alu instid0(VALU_DEP_1)
	v_add3_u32 v5, v6, v5, 0x7fff
                                        ; implicit-def: $vgpr6
; %bb.126:                              ;   in Loop: Header=BB259_12 Depth=1
	s_and_not1_saveexec_b32 s1, s1
; %bb.127:                              ;   in Loop: Header=BB259_12 Depth=1
	v_and_b32_e32 v5, 0xffff, v6
	v_or_b32_e32 v7, 0x10000, v6
	s_delay_alu instid0(VALU_DEP_2) | instskip(NEXT) | instid1(VALU_DEP_2)
	v_cmp_eq_u32_e32 vcc_lo, 0, v5
	v_cndmask_b32_e32 v5, v7, v6, vcc_lo
; %bb.128:                              ;   in Loop: Header=BB259_12 Depth=1
	s_or_b32 exec_lo, exec_lo, s1
	v_add_nc_u32_e32 v39, 3, v39
	s_delay_alu instid0(VALU_DEP_1) | instskip(NEXT) | instid1(VALU_DEP_1)
	v_lshlrev_b64 v[6:7], 1, v[39:40]
	v_add_co_u32 v6, vcc_lo, s6, v6
	s_delay_alu instid0(VALU_DEP_2)
	v_add_co_ci_u32_e32 v7, vcc_lo, s7, v7, vcc_lo
	global_store_d16_hi_b16 v[6:7], v5, off
.LBB259_129:                            ;   in Loop: Header=BB259_12 Depth=1
	s_or_b32 exec_lo, exec_lo, s5
	v_add_nc_u32_e32 v37, s29, v37
	s_delay_alu instid0(VALU_DEP_1) | instskip(SKIP_1) | instid1(VALU_DEP_2)
	v_add_nc_u32_e32 v5, 4, v37
	v_cmp_gt_u32_e32 vcc_lo, s19, v37
	v_cmp_le_u32_e64 s1, s19, v5
	s_delay_alu instid0(VALU_DEP_1) | instskip(NEXT) | instid1(SALU_CYCLE_1)
	s_and_b32 s1, vcc_lo, s1
	s_and_saveexec_b32 s41, s1
	s_cbranch_execz .LBB259_10
; %bb.130:                              ;   in Loop: Header=BB259_12 Depth=1
	s_mov_b32 s42, exec_lo
	v_cmpx_ne_u32_e64 s31, v37
	s_cbranch_execz .LBB259_9
; %bb.131:                              ;   in Loop: Header=BB259_12 Depth=1
	v_subrev_nc_u32_e32 v5, s31, v37
	s_mov_b32 s43, 0
	s_mov_b64 s[4:5], 0
	s_delay_alu instid0(VALU_DEP_1)
	v_cmp_lt_u32_e32 vcc_lo, 1, v5
	v_cndmask_b32_e32 v5, 1, v5, vcc_lo
	.p2align	6
.LBB259_132:                            ;   Parent Loop BB259_12 Depth=1
                                        ; =>  This Inner Loop Header: Depth=2
	s_cmp_lg_u32 s4, 3
	s_cselect_b32 vcc_lo, -1, 0
	s_cmp_lg_u32 s4, 2
	v_cndmask_b32_e32 v4, 0, v4, vcc_lo
	s_cselect_b32 s1, -1, 0
	s_cmp_lg_u32 s4, 1
	v_cndmask_b32_e64 v3, 0, v3, s1
	s_cselect_b32 s2, -1, 0
	s_cmp_lg_u32 s4, 0
	v_cndmask_b32_e64 v2, 0, v2, s2
	s_cselect_b32 s3, -1, 0
	s_add_u32 s4, s4, 1
	v_cndmask_b32_e64 v1, 0, v1, s3
	v_cmp_eq_u32_e32 vcc_lo, s4, v5
	s_addc_u32 s5, s5, 0
	s_or_b32 s43, vcc_lo, s43
	s_delay_alu instid0(SALU_CYCLE_1)
	s_and_not1_b32 exec_lo, exec_lo, s43
	s_cbranch_execnz .LBB259_132
; %bb.133:                              ;   in Loop: Header=BB259_12 Depth=1
	s_or_b32 exec_lo, exec_lo, s43
	s_branch .LBB259_9
.LBB259_134:
	s_nop 0
	s_sendmsg sendmsg(MSG_DEALLOC_VGPRS)
	s_endpgm
	.section	.rodata,"a",@progbits
	.p2align	6, 0x0
	.amdhsa_kernel _Z16wvSplitK_hf_big_I14__hip_bfloat16Li32ELi4ELi16ELi8ELi1ELi4EEviiiiiiPKT_S3_S3_PS1_ii
		.amdhsa_group_segment_fixed_size 65536
		.amdhsa_private_segment_fixed_size 0
		.amdhsa_kernarg_size 64
		.amdhsa_user_sgpr_count 15
		.amdhsa_user_sgpr_dispatch_ptr 0
		.amdhsa_user_sgpr_queue_ptr 0
		.amdhsa_user_sgpr_kernarg_segment_ptr 1
		.amdhsa_user_sgpr_dispatch_id 0
		.amdhsa_user_sgpr_private_segment_size 0
		.amdhsa_wavefront_size32 1
		.amdhsa_uses_dynamic_stack 0
		.amdhsa_enable_private_segment 0
		.amdhsa_system_sgpr_workgroup_id_x 1
		.amdhsa_system_sgpr_workgroup_id_y 0
		.amdhsa_system_sgpr_workgroup_id_z 0
		.amdhsa_system_sgpr_workgroup_info 0
		.amdhsa_system_vgpr_workitem_id 1
		.amdhsa_next_free_vgpr 92
		.amdhsa_next_free_sgpr 44
		.amdhsa_reserve_vcc 1
		.amdhsa_float_round_mode_32 0
		.amdhsa_float_round_mode_16_64 0
		.amdhsa_float_denorm_mode_32 3
		.amdhsa_float_denorm_mode_16_64 3
		.amdhsa_dx10_clamp 1
		.amdhsa_ieee_mode 1
		.amdhsa_fp16_overflow 0
		.amdhsa_workgroup_processor_mode 1
		.amdhsa_memory_ordered 1
		.amdhsa_forward_progress 0
		.amdhsa_shared_vgpr_count 0
		.amdhsa_exception_fp_ieee_invalid_op 0
		.amdhsa_exception_fp_denorm_src 0
		.amdhsa_exception_fp_ieee_div_zero 0
		.amdhsa_exception_fp_ieee_overflow 0
		.amdhsa_exception_fp_ieee_underflow 0
		.amdhsa_exception_fp_ieee_inexact 0
		.amdhsa_exception_int_div_zero 0
	.end_amdhsa_kernel
	.section	.text._Z16wvSplitK_hf_big_I14__hip_bfloat16Li32ELi4ELi16ELi8ELi1ELi4EEviiiiiiPKT_S3_S3_PS1_ii,"axG",@progbits,_Z16wvSplitK_hf_big_I14__hip_bfloat16Li32ELi4ELi16ELi8ELi1ELi4EEviiiiiiPKT_S3_S3_PS1_ii,comdat
.Lfunc_end259:
	.size	_Z16wvSplitK_hf_big_I14__hip_bfloat16Li32ELi4ELi16ELi8ELi1ELi4EEviiiiiiPKT_S3_S3_PS1_ii, .Lfunc_end259-_Z16wvSplitK_hf_big_I14__hip_bfloat16Li32ELi4ELi16ELi8ELi1ELi4EEviiiiiiPKT_S3_S3_PS1_ii
                                        ; -- End function
	.section	.AMDGPU.csdata,"",@progbits
; Kernel info:
; codeLenInByte = 8908
; NumSgprs: 46
; NumVgprs: 92
; ScratchSize: 0
; MemoryBound: 0
; FloatMode: 240
; IeeeMode: 1
; LDSByteSize: 65536 bytes/workgroup (compile time only)
; SGPRBlocks: 5
; VGPRBlocks: 11
; NumSGPRsForWavesPerEU: 46
; NumVGPRsForWavesPerEU: 92
; Occupancy: 8
; WaveLimiterHint : 0
; COMPUTE_PGM_RSRC2:SCRATCH_EN: 0
; COMPUTE_PGM_RSRC2:USER_SGPR: 15
; COMPUTE_PGM_RSRC2:TRAP_HANDLER: 0
; COMPUTE_PGM_RSRC2:TGID_X_EN: 1
; COMPUTE_PGM_RSRC2:TGID_Y_EN: 0
; COMPUTE_PGM_RSRC2:TGID_Z_EN: 0
; COMPUTE_PGM_RSRC2:TIDIG_COMP_CNT: 1
	.section	.text._Z16wvSplitK_hf_sml_I14__hip_bfloat16Li32ELi4ELi16ELi8ELi2ELi4EEviiiiiiPKT_S3_S3_PS1_ii,"axG",@progbits,_Z16wvSplitK_hf_sml_I14__hip_bfloat16Li32ELi4ELi16ELi8ELi2ELi4EEviiiiiiPKT_S3_S3_PS1_ii,comdat
	.protected	_Z16wvSplitK_hf_sml_I14__hip_bfloat16Li32ELi4ELi16ELi8ELi2ELi4EEviiiiiiPKT_S3_S3_PS1_ii ; -- Begin function _Z16wvSplitK_hf_sml_I14__hip_bfloat16Li32ELi4ELi16ELi8ELi2ELi4EEviiiiiiPKT_S3_S3_PS1_ii
	.globl	_Z16wvSplitK_hf_sml_I14__hip_bfloat16Li32ELi4ELi16ELi8ELi2ELi4EEviiiiiiPKT_S3_S3_PS1_ii
	.p2align	8
	.type	_Z16wvSplitK_hf_sml_I14__hip_bfloat16Li32ELi4ELi16ELi8ELi2ELi4EEviiiiiiPKT_S3_S3_PS1_ii,@function
_Z16wvSplitK_hf_sml_I14__hip_bfloat16Li32ELi4ELi16ELi8ELi2ELi4EEviiiiiiPKT_S3_S3_PS1_ii: ; @_Z16wvSplitK_hf_sml_I14__hip_bfloat16Li32ELi4ELi16ELi8ELi2ELi4EEviiiiiiPKT_S3_S3_PS1_ii
; %bb.0:
	s_load_b128 s[4:7], s[0:1], 0x0
	v_and_b32_e32 v1, 0x3ff, v0
	v_bfe_u32 v0, v0, 10, 10
	s_mov_b32 s8, exec_lo
	s_delay_alu instid0(VALU_DEP_2) | instskip(NEXT) | instid1(VALU_DEP_1)
	v_lshlrev_b32_e32 v75, 3, v1
	v_lshl_add_u32 v3, v0, 8, v75
	s_waitcnt lgkmcnt(0)
	s_lshl_b32 s14, s6, 2
	s_delay_alu instid0(SALU_CYCLE_1)
	s_min_u32 s9, s14, 0x8000
	s_delay_alu instid0(VALU_DEP_1) | instid1(SALU_CYCLE_1)
	v_cmpx_gt_u32_e64 s9, v3
	s_cbranch_execz .LBB260_9
; %bb.1:
	s_load_b64 s[2:3], s[0:1], 0x20
	v_lshlrev_b32_e32 v2, 1, v3
	v_add_nc_u32_e32 v8, 0x1000, v3
	s_mov_b32 s10, exec_lo
	s_waitcnt lgkmcnt(0)
	global_load_b128 v[4:7], v2, s[2:3]
	s_waitcnt vmcnt(0)
	ds_store_b128 v2, v[4:7]
	v_cmpx_gt_u32_e64 s9, v8
	s_xor_b32 s10, exec_lo, s10
	s_cbranch_execz .LBB260_9
; %bb.2:
	v_add_co_u32 v4, s2, s2, v2
	s_delay_alu instid0(VALU_DEP_1) | instskip(SKIP_1) | instid1(VALU_DEP_3)
	v_add_co_ci_u32_e64 v5, null, s3, 0, s2
	v_add_nc_u32_e32 v10, 0x2000, v3
	v_add_co_u32 v6, vcc_lo, 0x2000, v4
	s_delay_alu instid0(VALU_DEP_3)
	v_add_co_ci_u32_e32 v7, vcc_lo, 0, v5, vcc_lo
	s_mov_b32 s2, exec_lo
	global_load_b128 v[6:9], v[6:7], off
	s_waitcnt vmcnt(0)
	ds_store_b128 v2, v[6:9] offset:8192
	v_cmpx_gt_u32_e64 s9, v10
	s_xor_b32 s2, exec_lo, s2
	s_cbranch_execz .LBB260_9
; %bb.3:
	v_add_co_u32 v6, vcc_lo, 0x4000, v4
	v_add_co_ci_u32_e32 v7, vcc_lo, 0, v5, vcc_lo
	v_add_nc_u32_e32 v10, 0x3000, v3
	s_mov_b32 s2, exec_lo
	global_load_b128 v[6:9], v[6:7], off
	s_waitcnt vmcnt(0)
	ds_store_b128 v2, v[6:9] offset:16384
	v_cmpx_gt_u32_e64 s9, v10
	s_xor_b32 s2, exec_lo, s2
	s_cbranch_execz .LBB260_9
; %bb.4:
	v_add_co_u32 v6, vcc_lo, 0x6000, v4
	v_add_co_ci_u32_e32 v7, vcc_lo, 0, v5, vcc_lo
	v_add_nc_u32_e32 v10, 0x4000, v3
	;; [unrolled: 11-line block ×5, first 2 shown]
	s_mov_b32 s2, exec_lo
	global_load_b128 v[6:9], v[6:7], off
	s_waitcnt vmcnt(0)
	ds_store_b128 v2, v[6:9] offset:49152
	v_cmpx_gt_u32_e64 s9, v3
	s_xor_b32 s2, exec_lo, s2
	s_cbranch_execz .LBB260_9
; %bb.8:
	v_add_co_u32 v3, vcc_lo, 0xe000, v4
	v_add_co_ci_u32_e32 v4, vcc_lo, 0, v5, vcc_lo
	global_load_b128 v[3:6], v[3:4], off
	s_waitcnt vmcnt(0)
	ds_store_b128 v2, v[3:6] offset:57344
.LBB260_9:
	s_or_b32 exec_lo, exec_lo, s8
	s_load_b64 s[16:17], s[0:1], 0x38
	s_waitcnt lgkmcnt(0)
	s_barrier
	buffer_gl0_inv
	s_mov_b32 s2, exec_lo
	v_cmpx_gt_u32_e64 s16, v0
	s_cbranch_execz .LBB260_88
; %bb.10:
	s_load_b64 s[2:3], s[0:1], 0x10
	s_mul_i32 s15, s15, s16
	s_delay_alu instid0(SALU_CYCLE_1) | instskip(NEXT) | instid1(VALU_DEP_1)
	v_add_lshl_u32 v56, s15, v0, 2
	v_cmp_gt_u32_e32 vcc_lo, s7, v56
	s_and_b32 exec_lo, exec_lo, vcc_lo
	s_cbranch_execz .LBB260_88
; %bb.11:
	s_clause 0x1
	s_load_b128 s[8:11], s[0:1], 0x28
	s_load_b64 s[12:13], s[0:1], 0x18
	s_cmp_lg_u32 s4, 0
	v_mbcnt_lo_u32_b32 v3, -1, 0
	s_cselect_b32 s1, -1, 0
	s_add_i32 s15, s4, -8
	s_add_i32 s18, s7, -1
	s_waitcnt lgkmcnt(0)
	v_cvt_f32_u32_e32 v2, s2
	s_mul_i32 s16, s16, s17
	v_cmp_eq_u32_e64 s0, 31, v1
	v_lshlrev_b32_e32 v76, 4, v1
	s_delay_alu instid0(VALU_DEP_3)
	v_rcp_iflag_f32_e32 v2, v2
	s_cmp_lg_u64 s[8:9], 0
	s_cselect_b32 s19, -1, 0
	s_abs_i32 s20, s3
	s_lshl_b32 s16, s16, 2
	v_cvt_f32_u32_e32 v0, s20
	s_sub_i32 s21, 0, s20
	s_sub_i32 s22, 0, s2
	;; [unrolled: 1-line block ×3, first 2 shown]
	s_mov_b32 s3, 0
	v_rcp_iflag_f32_e32 v0, v0
	s_waitcnt_depctr 0xfff
	v_mul_f32_e32 v0, 0x4f7ffffe, v0
	s_delay_alu instid0(VALU_DEP_1) | instskip(NEXT) | instid1(VALU_DEP_1)
	v_cvt_u32_f32_e32 v0, v0
	v_readfirstlane_b32 s17, v0
	v_mul_f32_e32 v0, 0x4f7ffffe, v2
	v_xor_b32_e32 v2, 16, v3
	s_delay_alu instid0(VALU_DEP_3) | instskip(NEXT) | instid1(VALU_DEP_2)
	s_mul_i32 s21, s21, s17
	v_cvt_u32_f32_e32 v0, v0
	s_mul_hi_u32 s21, s17, s21
	s_delay_alu instid0(VALU_DEP_2)
	v_cmp_gt_i32_e32 vcc_lo, 32, v2
	s_add_i32 s21, s17, s21
	s_cmp_lt_u32 s20, 2
	v_mul_lo_u32 v4, s22, v0
	s_cselect_b32 s23, s23, 1
	v_cndmask_b32_e32 v1, v3, v2, vcc_lo
	s_sub_i32 s24, s23, s20
	s_cmp_ge_u32 s23, s20
	v_mov_b32_e32 v58, 0
	s_cselect_b32 s23, s24, s23
	v_lshlrev_b32_e32 v77, 2, v1
	s_lshr_b32 s24, s21, 31
	s_mul_hi_u32 s21, s21, 3
	s_mul_i32 s24, s24, s20
	s_mul_i32 s21, s21, s20
	s_sub_i32 s22, 2, s24
	v_mul_hi_u32 v2, v0, v4
	s_sub_i32 s24, s22, s20
	s_cmp_ge_u32 s22, s20
	s_mul_i32 s17, s6, 6
	s_cselect_b32 s22, s24, s22
	s_delay_alu instid0(SALU_CYCLE_1) | instskip(SKIP_1) | instid1(VALU_DEP_1)
	s_sub_i32 s24, s22, s20
	s_cmp_ge_u32 s22, s20
	v_add_nc_u32_e32 v78, v0, v2
	s_cselect_b32 s22, s24, s22
	s_sub_i32 s21, 3, s21
	s_delay_alu instid0(SALU_CYCLE_1) | instskip(SKIP_2) | instid1(SALU_CYCLE_1)
	s_sub_i32 s24, s21, s20
	s_cmp_ge_u32 s21, s20
	s_cselect_b32 s21, s24, s21
	s_sub_i32 s24, s21, s20
	s_cmp_ge_u32 s21, s20
	s_mul_i32 s20, s23, s2
	s_cselect_b32 s23, s24, s21
	s_mul_i32 s21, s22, s2
	s_mul_i32 s22, s23, s2
	s_lshl_b32 s6, s6, 1
	s_branch .LBB260_14
.LBB260_12:                             ;   in Loop: Header=BB260_14 Depth=1
	s_or_b32 exec_lo, exec_lo, s24
	v_add_nc_u32_e32 v57, 3, v57
	s_delay_alu instid0(VALU_DEP_1) | instskip(NEXT) | instid1(VALU_DEP_1)
	v_lshlrev_b64 v[1:2], 1, v[57:58]
	v_add_co_u32 v1, vcc_lo, s10, v1
	s_delay_alu instid0(VALU_DEP_2)
	v_add_co_ci_u32_e32 v2, vcc_lo, s11, v2, vcc_lo
	global_store_d16_hi_b16 v[1:2], v0, off
.LBB260_13:                             ;   in Loop: Header=BB260_14 Depth=1
	s_or_b32 exec_lo, exec_lo, s23
	v_add_nc_u32_e32 v56, s16, v56
	s_delay_alu instid0(VALU_DEP_1) | instskip(SKIP_1) | instid1(SALU_CYCLE_1)
	v_cmp_le_u32_e32 vcc_lo, s7, v56
	s_or_b32 s3, vcc_lo, s3
	s_and_not1_b32 exec_lo, exec_lo, s3
	s_cbranch_execz .LBB260_88
.LBB260_14:                             ; =>This Loop Header: Depth=1
                                        ;     Child Loop BB260_18 Depth 2
	v_mov_b32_e32 v80, v58
	v_mov_b32_e32 v81, v58
	;; [unrolled: 1-line block ×16, first 2 shown]
	s_and_not1_b32 vcc_lo, exec_lo, s1
	s_cbranch_vccnz .LBB260_21
; %bb.15:                               ;   in Loop: Header=BB260_14 Depth=1
	v_or_b32_e32 v0, 1, v56
	s_waitcnt lgkmcnt(14)
	v_or_b32_e32 v1, 2, v56
	v_or_b32_e32 v2, 3, v56
	s_waitcnt lgkmcnt(3)
	v_min_u32_e32 v3, s18, v56
	s_waitcnt lgkmcnt(0)
	v_dual_mov_b32 v5, v58 :: v_dual_mov_b32 v92, 0
	v_min_u32_e32 v0, s18, v0
	v_min_u32_e32 v1, s18, v1
	;; [unrolled: 1-line block ×3, first 2 shown]
	v_mul_lo_u32 v57, v3, s5
	v_dual_mov_b32 v3, v58 :: v_dual_mov_b32 v94, 0
	v_mul_lo_u32 v0, v0, s5
	v_mul_lo_u32 v2, v1, s5
	;; [unrolled: 1-line block ×3, first 2 shown]
	v_dual_mov_b32 v1, v58 :: v_dual_mov_b32 v90, 0
	v_lshlrev_b64 v[59:60], 1, v[57:58]
	v_dual_mov_b32 v79, v76 :: v_dual_mov_b32 v88, 0
	s_delay_alu instid0(VALU_DEP_3)
	v_lshlrev_b64 v[61:62], 1, v[0:1]
	v_lshlrev_b64 v[63:64], 1, v[2:3]
	;; [unrolled: 1-line block ×3, first 2 shown]
	v_dual_mov_b32 v91, 0 :: v_dual_mov_b32 v86, 0
	v_dual_mov_b32 v93, 0 :: v_dual_mov_b32 v84, 0
	;; [unrolled: 1-line block ×4, first 2 shown]
	v_mov_b32_e32 v87, 0
	v_mov_b32_e32 v85, 0
	;; [unrolled: 1-line block ×4, first 2 shown]
	s_mov_b32 s23, 0
	s_branch .LBB260_18
.LBB260_16:                             ;   in Loop: Header=BB260_18 Depth=2
	s_or_b32 exec_lo, exec_lo, s25
.LBB260_17:                             ;   in Loop: Header=BB260_18 Depth=2
	s_delay_alu instid0(SALU_CYCLE_1)
	s_or_b32 exec_lo, exec_lo, s24
	s_waitcnt lgkmcnt(4)
	v_and_b32_e32 v101, 0xffff0000, v54
	s_waitcnt vmcnt(7)
	v_and_b32_e32 v102, 0xffff0000, v50
	v_and_b32_e32 v96, 0xffff0000, v48
	;; [unrolled: 1-line block ×3, first 2 shown]
	v_lshlrev_b32_e32 v54, 16, v54
	v_lshlrev_b32_e32 v50, 16, v50
	v_dual_mul_f32 v103, v101, v102 :: v_dual_and_b32 v98, 0xffff0000, v49
	v_and_b32_e32 v57, 0xffff0000, v52
	v_lshlrev_b32_e32 v52, 16, v52
	s_addk_i32 s23, 0x200
	s_delay_alu instid0(VALU_DEP_3)
	v_fmac_f32_e32 v103, v54, v50
	v_mul_f32_e32 v100, v97, v98
	v_lshlrev_b32_e32 v48, 16, v48
	v_mul_f32_e32 v99, v57, v96
	s_cmp_ge_u32 s23, s4
	s_waitcnt vmcnt(5)
	v_and_b32_e32 v113, 0xffff0000, v43
	v_lshlrev_b32_e32 v43, 16, v43
	v_add_nc_u32_e32 v79, 0x400, v79
	v_fmac_f32_e32 v99, v52, v48
	s_delay_alu instid0(VALU_DEP_1) | instskip(SKIP_3) | instid1(VALU_DEP_3)
	v_dual_add_f32 v90, v90, v99 :: v_dual_lshlrev_b32 v53, 16, v53
	v_and_b32_e32 v99, 0xffff0000, v44
	v_lshlrev_b32_e32 v49, 16, v49
	v_lshlrev_b32_e32 v44, 16, v44
	v_mul_f32_e32 v104, v57, v99
	s_delay_alu instid0(VALU_DEP_3) | instskip(NEXT) | instid1(VALU_DEP_2)
	v_fmac_f32_e32 v100, v53, v49
	v_dual_fmac_f32 v104, v52, v44 :: v_dual_and_b32 v105, 0xffff0000, v45
	s_delay_alu instid0(VALU_DEP_2) | instskip(NEXT) | instid1(VALU_DEP_2)
	v_add_f32_e32 v90, v90, v100
	v_mul_f32_e32 v106, v97, v105
	s_delay_alu instid0(VALU_DEP_3) | instskip(NEXT) | instid1(VALU_DEP_3)
	v_add_f32_e32 v94, v94, v104
	v_add_f32_e32 v90, v90, v103
	v_and_b32_e32 v103, 0xffff0000, v51
	v_lshlrev_b32_e32 v45, 16, v45
	v_lshlrev_b32_e32 v51, 16, v51
	s_delay_alu instid0(VALU_DEP_2) | instskip(SKIP_1) | instid1(VALU_DEP_2)
	v_dual_fmac_f32 v106, v53, v45 :: v_dual_and_b32 v107, 0xffff0000, v46
	v_and_b32_e32 v109, 0xffff0000, v47
	v_mul_f32_e32 v104, v101, v107
	s_delay_alu instid0(VALU_DEP_3) | instskip(SKIP_1) | instid1(VALU_DEP_1)
	v_add_f32_e32 v94, v94, v106
	v_and_b32_e32 v106, 0xffff0000, v40
	v_dual_mul_f32 v111, v57, v106 :: v_dual_lshlrev_b32 v40, 16, v40
	s_delay_alu instid0(VALU_DEP_1) | instskip(NEXT) | instid1(VALU_DEP_1)
	v_fmac_f32_e32 v111, v52, v40
	v_add_f32_e32 v91, v91, v111
	s_waitcnt vmcnt(4)
	v_and_b32_e32 v111, 0xffff0000, v32
	v_and_b32_e32 v100, 0xffff0000, v55
	s_delay_alu instid0(VALU_DEP_2) | instskip(SKIP_1) | instid1(VALU_DEP_3)
	v_dual_mul_f32 v57, v57, v111 :: v_dual_lshlrev_b32 v32, 16, v32
	v_lshlrev_b32_e32 v46, 16, v46
	v_mul_f32_e32 v108, v100, v103
	s_delay_alu instid0(VALU_DEP_3) | instskip(NEXT) | instid1(VALU_DEP_3)
	v_fmac_f32_e32 v57, v52, v32
	v_dual_fmac_f32 v104, v54, v46 :: v_dual_lshlrev_b32 v55, 16, v55
	s_delay_alu instid0(VALU_DEP_1) | instskip(NEXT) | instid1(VALU_DEP_2)
	v_dual_add_f32 v57, v92, v57 :: v_dual_fmac_f32 v108, v55, v51
	v_add_f32_e32 v94, v94, v104
	v_and_b32_e32 v104, 0xffff0000, v41
	v_lshlrev_b32_e32 v41, 16, v41
	s_waitcnt lgkmcnt(3)
	v_and_b32_e32 v92, 0xffff0000, v36
	v_add_f32_e32 v90, v90, v108
	v_lshlrev_b32_e32 v36, 16, v36
	v_mul_f32_e32 v108, v97, v104
	s_delay_alu instid0(VALU_DEP_1) | instskip(NEXT) | instid1(VALU_DEP_1)
	v_fmac_f32_e32 v108, v53, v41
	v_dual_add_f32 v91, v91, v108 :: v_dual_mul_f32 v114, v100, v113
	v_dual_mul_f32 v110, v100, v109 :: v_dual_lshlrev_b32 v47, 16, v47
	s_delay_alu instid0(VALU_DEP_2) | instskip(SKIP_1) | instid1(VALU_DEP_3)
	v_fmac_f32_e32 v114, v55, v43
	v_and_b32_e32 v108, 0xffff0000, v33
	v_dual_fmac_f32 v110, v55, v47 :: v_dual_lshlrev_b32 v33, 16, v33
	s_delay_alu instid0(VALU_DEP_2) | instskip(NEXT) | instid1(VALU_DEP_2)
	v_dual_mul_f32 v52, v97, v108 :: v_dual_and_b32 v97, 0xffff0000, v34
	v_add_f32_e32 v94, v94, v110
	s_delay_alu instid0(VALU_DEP_2) | instskip(NEXT) | instid1(VALU_DEP_3)
	v_fmac_f32_e32 v52, v53, v33
	v_mul_f32_e32 v53, v101, v97
	s_delay_alu instid0(VALU_DEP_2) | instskip(SKIP_1) | instid1(VALU_DEP_1)
	v_add_f32_e32 v52, v57, v52
	v_dual_mul_f32 v57, v92, v96 :: v_dual_and_b32 v110, 0xffff0000, v42
	v_dual_fmac_f32 v57, v36, v48 :: v_dual_lshlrev_b32 v42, 16, v42
	s_delay_alu instid0(VALU_DEP_2) | instskip(SKIP_1) | instid1(VALU_DEP_3)
	v_dual_mul_f32 v112, v101, v110 :: v_dual_and_b32 v101, 0xffff0000, v37
	v_lshlrev_b32_e32 v37, 16, v37
	v_dual_add_f32 v57, v93, v57 :: v_dual_lshlrev_b32 v34, 16, v34
	s_delay_alu instid0(VALU_DEP_3) | instskip(NEXT) | instid1(VALU_DEP_2)
	v_dual_fmac_f32 v112, v54, v42 :: v_dual_mul_f32 v93, v92, v99
	v_dual_fmac_f32 v53, v54, v34 :: v_dual_and_b32 v54, 0xffff0000, v35
	s_delay_alu instid0(VALU_DEP_2) | instskip(NEXT) | instid1(VALU_DEP_3)
	v_add_f32_e32 v91, v91, v112
	v_fmac_f32_e32 v93, v36, v44
	s_delay_alu instid0(VALU_DEP_3) | instskip(SKIP_4) | instid1(VALU_DEP_4)
	v_dual_add_f32 v52, v52, v53 :: v_dual_lshlrev_b32 v35, 16, v35
	v_mul_f32_e32 v53, v101, v98
	v_mul_f32_e32 v100, v100, v54
	v_mul_f32_e32 v112, v101, v105
	v_add_f32_e32 v93, v95, v93
	v_fmac_f32_e32 v53, v37, v49
	s_delay_alu instid0(VALU_DEP_3) | instskip(NEXT) | instid1(VALU_DEP_2)
	v_fmac_f32_e32 v112, v37, v45
	v_add_f32_e32 v53, v57, v53
	v_and_b32_e32 v57, 0xffff0000, v39
	v_lshlrev_b32_e32 v39, 16, v39
	s_delay_alu instid0(VALU_DEP_4) | instskip(SKIP_3) | instid1(VALU_DEP_2)
	v_dual_fmac_f32 v100, v55, v35 :: v_dual_add_f32 v93, v93, v112
	v_add_f32_e32 v55, v91, v114
	v_and_b32_e32 v91, 0xffff0000, v38
	v_lshlrev_b32_e32 v38, 16, v38
	v_dual_mul_f32 v112, v57, v109 :: v_dual_mul_f32 v95, v91, v107
	v_add_f32_e32 v52, v52, v100
	s_delay_alu instid0(VALU_DEP_2) | instskip(NEXT) | instid1(VALU_DEP_1)
	v_dual_fmac_f32 v112, v39, v47 :: v_dual_fmac_f32 v95, v38, v46
	v_dual_add_f32 v93, v93, v95 :: v_dual_mul_f32 v100, v91, v102
	v_dual_mul_f32 v95, v91, v110 :: v_dual_mul_f32 v114, v57, v103
	s_delay_alu instid0(VALU_DEP_2) | instskip(NEXT) | instid1(VALU_DEP_2)
	v_dual_add_f32 v93, v93, v112 :: v_dual_fmac_f32 v100, v38, v50
	v_dual_fmac_f32 v95, v38, v42 :: v_dual_fmac_f32 v114, v39, v51
	s_delay_alu instid0(VALU_DEP_2) | instskip(NEXT) | instid1(VALU_DEP_1)
	v_dual_add_f32 v53, v53, v100 :: v_dual_mul_f32 v100, v92, v106
	v_dual_mul_f32 v92, v92, v111 :: v_dual_add_f32 v53, v53, v114
	s_delay_alu instid0(VALU_DEP_2) | instskip(SKIP_1) | instid1(VALU_DEP_3)
	v_fmac_f32_e32 v100, v36, v40
	v_mul_f32_e32 v114, v101, v104
	v_fmac_f32_e32 v92, v36, v32
	v_mul_f32_e32 v36, v101, v108
	s_delay_alu instid0(VALU_DEP_4) | instskip(SKIP_3) | instid1(VALU_DEP_3)
	v_add_f32_e32 v88, v88, v100
	v_mul_f32_e32 v100, v57, v113
	v_mul_f32_e32 v57, v57, v54
	v_fmac_f32_e32 v114, v37, v41
	v_fmac_f32_e32 v100, v39, v43
	s_delay_alu instid0(VALU_DEP_3)
	v_fmac_f32_e32 v57, v39, v35
	s_waitcnt lgkmcnt(1)
	v_and_b32_e32 v39, 0xffff0000, v71
	v_dual_fmac_f32 v36, v37, v33 :: v_dual_lshlrev_b32 v71, 16, v71
	v_mul_f32_e32 v37, v91, v97
	v_and_b32_e32 v91, 0xffff0000, v73
	s_delay_alu instid0(VALU_DEP_2) | instskip(NEXT) | instid1(VALU_DEP_2)
	v_dual_fmac_f32 v37, v38, v34 :: v_dual_lshlrev_b32 v38, 16, v73
	v_mul_f32_e32 v73, v91, v96
	s_delay_alu instid0(VALU_DEP_1) | instskip(NEXT) | instid1(VALU_DEP_1)
	v_fmac_f32_e32 v73, v38, v48
	v_add_f32_e32 v73, v89, v73
	v_dual_mul_f32 v89, v91, v99 :: v_dual_add_f32 v88, v88, v114
	v_add_f32_e32 v86, v86, v92
	s_delay_alu instid0(VALU_DEP_2) | instskip(NEXT) | instid1(VALU_DEP_3)
	v_dual_mul_f32 v92, v39, v102 :: v_dual_fmac_f32 v89, v38, v44
	v_dual_add_f32 v88, v88, v95 :: v_dual_mul_f32 v95, v91, v106
	s_delay_alu instid0(VALU_DEP_3) | instskip(NEXT) | instid1(VALU_DEP_3)
	v_dual_add_f32 v36, v86, v36 :: v_dual_mul_f32 v91, v91, v111
	v_add_f32_e32 v87, v87, v89
	s_delay_alu instid0(VALU_DEP_3) | instskip(NEXT) | instid1(VALU_DEP_1)
	v_dual_mul_f32 v89, v39, v107 :: v_dual_add_f32 v86, v88, v100
	v_dual_fmac_f32 v89, v71, v46 :: v_dual_add_f32 v36, v36, v37
	v_fmac_f32_e32 v95, v38, v40
	v_lshlrev_b32_e32 v37, 16, v74
	v_fmac_f32_e32 v92, v71, v50
	v_and_b32_e32 v88, 0xffff0000, v74
	s_delay_alu instid0(VALU_DEP_4) | instskip(NEXT) | instid1(VALU_DEP_2)
	v_dual_add_f32 v36, v36, v57 :: v_dual_add_f32 v85, v85, v95
	v_mul_f32_e32 v74, v88, v98
	s_delay_alu instid0(VALU_DEP_1) | instskip(NEXT) | instid1(VALU_DEP_1)
	v_fmac_f32_e32 v74, v37, v49
	v_dual_add_f32 v73, v73, v74 :: v_dual_and_b32 v74, 0xffff0000, v72
	s_delay_alu instid0(VALU_DEP_1) | instskip(NEXT) | instid1(VALU_DEP_2)
	v_add_f32_e32 v73, v73, v92
	v_dual_mul_f32 v57, v88, v105 :: v_dual_mul_f32 v100, v74, v103
	s_delay_alu instid0(VALU_DEP_1) | instskip(NEXT) | instid1(VALU_DEP_1)
	v_fmac_f32_e32 v57, v37, v45
	v_add_f32_e32 v57, v87, v57
	v_mul_f32_e32 v87, v88, v104
	s_delay_alu instid0(VALU_DEP_2) | instskip(SKIP_1) | instid1(VALU_DEP_3)
	v_add_f32_e32 v57, v57, v89
	v_mul_f32_e32 v89, v74, v109
	v_dual_fmac_f32 v87, v37, v41 :: v_dual_lshlrev_b32 v72, 16, v72
	s_delay_alu instid0(VALU_DEP_1) | instskip(NEXT) | instid1(VALU_DEP_2)
	v_dual_add_f32 v85, v85, v87 :: v_dual_mul_f32 v92, v39, v110
	v_fmac_f32_e32 v89, v72, v47
	v_fmac_f32_e32 v91, v38, v32
	v_mul_f32_e32 v87, v74, v113
	v_mul_f32_e32 v74, v74, v54
	v_fmac_f32_e32 v92, v71, v42
	v_dual_add_f32 v38, v57, v89 :: v_dual_mul_f32 v57, v88, v108
	v_fmac_f32_e32 v100, v72, v51
	s_delay_alu instid0(VALU_DEP_3) | instskip(SKIP_1) | instid1(VALU_DEP_3)
	v_dual_add_f32 v84, v84, v91 :: v_dual_add_f32 v85, v85, v92
	s_waitcnt lgkmcnt(0)
	v_dual_fmac_f32 v57, v37, v33 :: v_dual_and_b32 v88, 0xffff0000, v28
	s_delay_alu instid0(VALU_DEP_3) | instskip(SKIP_2) | instid1(VALU_DEP_4)
	v_add_f32_e32 v73, v73, v100
	v_dual_fmac_f32 v87, v72, v43 :: v_dual_lshlrev_b32 v28, 16, v28
	v_fmac_f32_e32 v74, v72, v35
	v_add_f32_e32 v57, v84, v57
	v_and_b32_e32 v84, 0xffff0000, v29
	v_mul_f32_e32 v37, v39, v97
	v_mul_f32_e32 v39, v88, v96
	v_lshlrev_b32_e32 v29, 16, v29
	s_delay_alu instid0(VALU_DEP_2) | instskip(SKIP_1) | instid1(VALU_DEP_1)
	v_dual_fmac_f32 v39, v28, v48 :: v_dual_and_b32 v72, 0xffff0000, v31
	v_mul_f32_e32 v48, v84, v98
	v_dual_fmac_f32 v37, v71, v34 :: v_dual_fmac_f32 v48, v29, v49
	s_delay_alu instid0(VALU_DEP_3) | instskip(NEXT) | instid1(VALU_DEP_2)
	v_add_f32_e32 v39, v83, v39
	v_add_f32_e32 v37, v57, v37
	v_and_b32_e32 v57, 0xffff0000, v30
	s_delay_alu instid0(VALU_DEP_3) | instskip(SKIP_2) | instid1(VALU_DEP_4)
	v_dual_add_f32 v39, v39, v48 :: v_dual_lshlrev_b32 v30, 16, v30
	v_mul_f32_e32 v48, v88, v99
	v_add_f32_e32 v71, v85, v87
	v_mul_f32_e32 v49, v57, v102
	s_waitcnt vmcnt(0)
	v_dual_add_f32 v37, v37, v74 :: v_dual_and_b32 v74, 0xffff0000, v5
	v_dual_fmac_f32 v48, v28, v44 :: v_dual_lshlrev_b32 v31, 16, v31
	v_mul_f32_e32 v44, v84, v105
	s_delay_alu instid0(VALU_DEP_2) | instskip(SKIP_1) | instid1(VALU_DEP_3)
	v_dual_add_f32 v48, v82, v48 :: v_dual_lshlrev_b32 v5, 16, v5
	v_dual_fmac_f32 v49, v30, v50 :: v_dual_mul_f32 v50, v72, v103
	v_fmac_f32_e32 v44, v29, v45
	v_mul_f32_e32 v45, v57, v107
	s_delay_alu instid0(VALU_DEP_3) | instskip(NEXT) | instid1(VALU_DEP_3)
	v_fmac_f32_e32 v50, v31, v51
	v_dual_add_f32 v39, v39, v49 :: v_dual_add_f32 v44, v48, v44
	v_mul_f32_e32 v49, v88, v106
	s_delay_alu instid0(VALU_DEP_4) | instskip(SKIP_2) | instid1(VALU_DEP_4)
	v_dual_fmac_f32 v45, v30, v46 :: v_dual_mul_f32 v46, v72, v109
	v_and_b32_e32 v51, 0xffff0000, v19
	v_lshlrev_b32_e32 v19, 16, v19
	v_fmac_f32_e32 v49, v28, v40
	v_mul_f32_e32 v40, v84, v104
	v_fmac_f32_e32 v46, v31, v47
	s_delay_alu instid0(VALU_DEP_3) | instskip(NEXT) | instid1(VALU_DEP_3)
	v_dual_add_f32 v39, v39, v50 :: v_dual_add_f32 v48, v81, v49
	v_dual_fmac_f32 v40, v29, v41 :: v_dual_mul_f32 v49, v88, v111
	s_delay_alu instid0(VALU_DEP_1) | instskip(SKIP_1) | instid1(VALU_DEP_2)
	v_dual_add_f32 v40, v48, v40 :: v_dual_mul_f32 v41, v57, v110
	v_dual_add_f32 v44, v44, v45 :: v_dual_and_b32 v45, 0xffff0000, v22
	v_dual_fmac_f32 v41, v30, v42 :: v_dual_mul_f32 v42, v72, v113
	s_delay_alu instid0(VALU_DEP_4) | instskip(SKIP_1) | instid1(VALU_DEP_4)
	v_fmac_f32_e32 v49, v28, v32
	v_mul_f32_e32 v28, v84, v108
	v_add_f32_e32 v32, v44, v46
	s_delay_alu instid0(VALU_DEP_4) | instskip(NEXT) | instid1(VALU_DEP_3)
	v_add_f32_e32 v40, v40, v41
	v_fmac_f32_e32 v28, v29, v33
	v_mul_f32_e32 v29, v57, v97
	v_dual_fmac_f32 v42, v31, v43 :: v_dual_and_b32 v33, 0xffff0000, v24
	v_and_b32_e32 v43, 0xffff0000, v20
	v_dual_add_f32 v41, v80, v49 :: v_dual_lshlrev_b32 v24, 16, v24
	s_delay_alu instid0(VALU_DEP_4) | instskip(NEXT) | instid1(VALU_DEP_4)
	v_fmac_f32_e32 v29, v30, v34
	v_add_f32_e32 v34, v40, v42
	v_mul_f32_e32 v42, v72, v54
	s_delay_alu instid0(VALU_DEP_4) | instskip(SKIP_1) | instid1(VALU_DEP_3)
	v_add_f32_e32 v28, v41, v28
	v_dual_mul_f32 v30, v33, v43 :: v_dual_and_b32 v41, 0xffff0000, v21
	v_dual_fmac_f32 v42, v31, v35 :: v_dual_lshlrev_b32 v21, 16, v21
	v_and_b32_e32 v31, 0xffff0000, v23
	v_and_b32_e32 v40, 0xffff0000, v25
	v_lshlrev_b32_e32 v20, 16, v20
	v_add_f32_e32 v28, v28, v29
	v_lshlrev_b32_e32 v25, 16, v25
	v_and_b32_e32 v35, 0xffff0000, v16
	v_mul_f32_e32 v29, v40, v41
	v_dual_fmac_f32 v30, v24, v20 :: v_dual_lshlrev_b32 v23, 16, v23
	s_delay_alu instid0(VALU_DEP_3) | instskip(NEXT) | instid1(VALU_DEP_2)
	v_mul_f32_e32 v48, v33, v35
	v_dual_fmac_f32 v29, v25, v21 :: v_dual_add_f32 v30, v90, v30
	s_delay_alu instid0(VALU_DEP_1) | instskip(SKIP_1) | instid1(VALU_DEP_2)
	v_dual_add_f32 v29, v30, v29 :: v_dual_and_b32 v44, 0xffff0000, v26
	v_and_b32_e32 v30, 0xffff0000, v27
	v_dual_mul_f32 v46, v44, v45 :: v_dual_lshlrev_b32 v27, 16, v27
	s_delay_alu instid0(VALU_DEP_2) | instskip(NEXT) | instid1(VALU_DEP_1)
	v_dual_mul_f32 v47, v30, v31 :: v_dual_lshlrev_b32 v26, 16, v26
	v_dual_fmac_f32 v47, v27, v23 :: v_dual_lshlrev_b32 v16, 16, v16
	s_delay_alu instid0(VALU_DEP_1) | instskip(SKIP_1) | instid1(VALU_DEP_1)
	v_fmac_f32_e32 v48, v24, v16
	v_lshlrev_b32_e32 v22, 16, v22
	v_fmac_f32_e32 v46, v26, v22
	s_delay_alu instid0(VALU_DEP_1) | instskip(SKIP_1) | instid1(VALU_DEP_2)
	v_add_f32_e32 v29, v29, v46
	v_add_f32_e32 v28, v28, v42
	v_dual_add_f32 v90, v29, v47 :: v_dual_and_b32 v29, 0xffff0000, v18
	v_dual_add_f32 v47, v94, v48 :: v_dual_lshlrev_b32 v18, 16, v18
	s_delay_alu instid0(VALU_DEP_2) | instskip(SKIP_4) | instid1(VALU_DEP_4)
	v_mul_f32_e32 v49, v44, v29
	v_dual_mul_f32 v72, v30, v51 :: v_dual_and_b32 v57, 0xffff0000, v14
	v_and_b32_e32 v48, 0xffff0000, v12
	v_lshlrev_b32_e32 v12, 16, v12
	v_lshlrev_b32_e32 v14, 16, v14
	v_dual_fmac_f32 v49, v26, v18 :: v_dual_fmac_f32 v72, v27, v19
	s_delay_alu instid0(VALU_DEP_4) | instskip(NEXT) | instid1(VALU_DEP_1)
	v_mul_f32_e32 v50, v33, v48
	v_fmac_f32_e32 v50, v24, v12
	s_delay_alu instid0(VALU_DEP_1) | instskip(SKIP_2) | instid1(VALU_DEP_3)
	v_dual_add_f32 v50, v55, v50 :: v_dual_mul_f32 v55, v44, v57
	v_and_b32_e32 v46, 0xffff0000, v17
	v_lshlrev_b32_e32 v17, 16, v17
	v_fmac_f32_e32 v55, v26, v14
	s_delay_alu instid0(VALU_DEP_3) | instskip(NEXT) | instid1(VALU_DEP_1)
	v_mul_f32_e32 v42, v40, v46
	v_fmac_f32_e32 v42, v25, v17
	s_delay_alu instid0(VALU_DEP_1) | instskip(SKIP_1) | instid1(VALU_DEP_2)
	v_dual_add_f32 v42, v47, v42 :: v_dual_and_b32 v47, 0xffff0000, v13
	v_lshlrev_b32_e32 v13, 16, v13
	v_dual_add_f32 v42, v42, v49 :: v_dual_and_b32 v49, 0xffff0000, v4
	v_lshlrev_b32_e32 v4, 16, v4
	s_delay_alu instid0(VALU_DEP_2) | instskip(NEXT) | instid1(VALU_DEP_1)
	v_dual_mul_f32 v54, v40, v47 :: v_dual_mul_f32 v33, v33, v49
	v_dual_fmac_f32 v54, v25, v13 :: v_dual_fmac_f32 v33, v24, v4
	v_mul_f32_e32 v24, v40, v74
	v_and_b32_e32 v40, 0xffff0000, v6
	s_delay_alu instid0(VALU_DEP_3) | instskip(NEXT) | instid1(VALU_DEP_4)
	v_add_f32_e32 v50, v50, v54
	v_dual_add_f32 v33, v52, v33 :: v_dual_and_b32 v54, 0xffff0000, v15
	s_delay_alu instid0(VALU_DEP_4) | instskip(SKIP_3) | instid1(VALU_DEP_4)
	v_dual_fmac_f32 v24, v25, v5 :: v_dual_and_b32 v25, 0xffff0000, v8
	v_add_f32_e32 v94, v42, v72
	v_lshlrev_b32_e32 v6, 16, v6
	v_mul_f32_e32 v42, v44, v40
	v_dual_add_f32 v24, v33, v24 :: v_dual_and_b32 v33, 0xffff0000, v7
	v_dual_mul_f32 v80, v30, v54 :: v_dual_lshlrev_b32 v7, 16, v7
	s_delay_alu instid0(VALU_DEP_3) | instskip(SKIP_1) | instid1(VALU_DEP_4)
	v_fmac_f32_e32 v42, v26, v6
	v_lshlrev_b32_e32 v8, 16, v8
	v_mul_f32_e32 v30, v30, v33
	v_and_b32_e32 v26, 0xffff0000, v9
	s_delay_alu instid0(VALU_DEP_4) | instskip(NEXT) | instid1(VALU_DEP_3)
	v_dual_add_f32 v24, v24, v42 :: v_dual_lshlrev_b32 v15, 16, v15
	v_dual_fmac_f32 v30, v27, v7 :: v_dual_lshlrev_b32 v9, 16, v9
	s_delay_alu instid0(VALU_DEP_3) | instskip(SKIP_2) | instid1(VALU_DEP_4)
	v_mul_f32_e32 v52, v26, v46
	v_add_f32_e32 v50, v50, v55
	v_mul_f32_e32 v44, v25, v43
	v_dual_mul_f32 v55, v26, v47 :: v_dual_add_f32 v92, v24, v30
	v_mul_f32_e32 v30, v25, v35
	v_fmac_f32_e32 v52, v9, v17
	s_delay_alu instid0(VALU_DEP_4) | instskip(NEXT) | instid1(VALU_DEP_4)
	v_fmac_f32_e32 v44, v8, v20
	v_dual_fmac_f32 v55, v9, v13 :: v_dual_and_b32 v42, 0xffff0000, v10
	s_delay_alu instid0(VALU_DEP_4) | instskip(SKIP_2) | instid1(VALU_DEP_3)
	v_fmac_f32_e32 v30, v8, v16
	v_lshlrev_b32_e32 v10, 16, v10
	v_and_b32_e32 v24, 0xffff0000, v11
	v_dual_add_f32 v30, v93, v30 :: v_dual_lshlrev_b32 v11, 16, v11
	v_dual_fmac_f32 v80, v27, v15 :: v_dual_add_f32 v27, v53, v44
	v_mul_f32_e32 v44, v42, v45
	v_mul_f32_e32 v53, v42, v29
	s_delay_alu instid0(VALU_DEP_3) | instskip(SKIP_1) | instid1(VALU_DEP_4)
	v_add_f32_e32 v91, v50, v80
	v_mul_f32_e32 v50, v26, v41
	v_fmac_f32_e32 v44, v10, v22
	s_delay_alu instid0(VALU_DEP_2) | instskip(NEXT) | instid1(VALU_DEP_1)
	v_dual_fmac_f32 v53, v10, v18 :: v_dual_fmac_f32 v50, v9, v21
	v_dual_add_f32 v27, v27, v50 :: v_dual_mul_f32 v50, v24, v31
	s_delay_alu instid0(VALU_DEP_1) | instskip(NEXT) | instid1(VALU_DEP_2)
	v_add_f32_e32 v27, v27, v44
	v_fmac_f32_e32 v50, v11, v23
	s_delay_alu instid0(VALU_DEP_1) | instskip(SKIP_3) | instid1(VALU_DEP_3)
	v_add_f32_e32 v93, v27, v50
	v_dual_add_f32 v27, v30, v52 :: v_dual_and_b32 v52, 0xffff0000, v70
	v_mul_f32_e32 v44, v25, v48
	v_dual_mul_f32 v25, v25, v49 :: v_dual_mul_f32 v50, v24, v51
	v_add_f32_e32 v27, v27, v53
	s_delay_alu instid0(VALU_DEP_4) | instskip(NEXT) | instid1(VALU_DEP_4)
	v_mul_f32_e32 v53, v52, v41
	v_fmac_f32_e32 v44, v8, v12
	s_delay_alu instid0(VALU_DEP_4) | instskip(NEXT) | instid1(VALU_DEP_2)
	v_dual_fmac_f32 v25, v8, v4 :: v_dual_fmac_f32 v50, v11, v19
	v_add_f32_e32 v30, v86, v44
	v_mul_f32_e32 v44, v42, v57
	s_delay_alu instid0(VALU_DEP_3) | instskip(NEXT) | instid1(VALU_DEP_3)
	v_dual_mul_f32 v42, v42, v40 :: v_dual_add_f32 v25, v36, v25
	v_dual_add_f32 v95, v27, v50 :: v_dual_add_f32 v30, v30, v55
	s_delay_alu instid0(VALU_DEP_3) | instskip(NEXT) | instid1(VALU_DEP_3)
	v_fmac_f32_e32 v44, v10, v14
	v_fmac_f32_e32 v42, v10, v6
	v_and_b32_e32 v10, 0xffff0000, v67
	s_delay_alu instid0(VALU_DEP_3) | instskip(NEXT) | instid1(VALU_DEP_2)
	v_dual_add_f32 v30, v30, v44 :: v_dual_lshlrev_b32 v55, 16, v67
	v_dual_mul_f32 v44, v24, v54 :: v_dual_mul_f32 v67, v10, v45
	v_mul_f32_e32 v50, v10, v57
	s_delay_alu instid0(VALU_DEP_2) | instskip(NEXT) | instid1(VALU_DEP_3)
	v_fmac_f32_e32 v44, v11, v15
	v_fmac_f32_e32 v67, v55, v22
	v_mul_f32_e32 v8, v26, v74
	v_and_b32_e32 v26, 0xffff0000, v69
	v_fmac_f32_e32 v50, v55, v14
	v_add_f32_e32 v88, v30, v44
	v_mul_f32_e32 v44, v52, v47
	v_fmac_f32_e32 v8, v9, v5
	v_lshlrev_b32_e32 v9, 16, v69
	v_mul_f32_e32 v27, v26, v48
	v_mul_f32_e32 v36, v26, v43
	v_lshlrev_b32_e32 v30, 16, v68
	v_dual_add_f32 v8, v25, v8 :: v_dual_lshlrev_b32 v25, 16, v70
	s_delay_alu instid0(VALU_DEP_4) | instskip(NEXT) | instid1(VALU_DEP_4)
	v_fmac_f32_e32 v27, v9, v12
	v_fmac_f32_e32 v36, v9, v20
	s_delay_alu instid0(VALU_DEP_3) | instskip(NEXT) | instid1(VALU_DEP_3)
	v_add_f32_e32 v8, v8, v42
	v_dual_fmac_f32 v44, v25, v13 :: v_dual_add_f32 v27, v71, v27
	s_delay_alu instid0(VALU_DEP_3) | instskip(SKIP_1) | instid1(VALU_DEP_3)
	v_add_f32_e32 v36, v73, v36
	v_fmac_f32_e32 v53, v25, v21
	v_dual_add_f32 v27, v27, v44 :: v_dual_mul_f32 v24, v24, v33
	s_delay_alu instid0(VALU_DEP_1) | instskip(NEXT) | instid1(VALU_DEP_2)
	v_add_f32_e32 v27, v27, v50
	v_dual_fmac_f32 v24, v11, v7 :: v_dual_add_f32 v11, v36, v53
	v_mul_f32_e32 v36, v52, v46
	s_delay_alu instid0(VALU_DEP_2) | instskip(SKIP_2) | instid1(VALU_DEP_4)
	v_add_f32_e32 v86, v8, v24
	v_mul_f32_e32 v8, v26, v35
	v_and_b32_e32 v24, 0xffff0000, v68
	v_dual_fmac_f32 v36, v25, v17 :: v_dual_add_f32 v11, v11, v67
	v_mul_f32_e32 v26, v26, v49
	s_delay_alu instid0(VALU_DEP_4) | instskip(NEXT) | instid1(VALU_DEP_4)
	v_fmac_f32_e32 v8, v9, v16
	v_mul_f32_e32 v42, v24, v31
	v_mul_f32_e32 v44, v24, v54
	s_delay_alu instid0(VALU_DEP_4) | instskip(NEXT) | instid1(VALU_DEP_4)
	v_fmac_f32_e32 v26, v9, v4
	v_add_f32_e32 v8, v38, v8
	v_mul_f32_e32 v38, v10, v29
	v_fmac_f32_e32 v42, v30, v23
	v_dual_fmac_f32 v44, v30, v15 :: v_dual_mul_f32 v9, v52, v74
	s_delay_alu instid0(VALU_DEP_4) | instskip(NEXT) | instid1(VALU_DEP_4)
	v_add_f32_e32 v8, v8, v36
	v_fmac_f32_e32 v38, v55, v18
	s_delay_alu instid0(VALU_DEP_4) | instskip(NEXT) | instid1(VALU_DEP_4)
	v_dual_mul_f32 v36, v24, v51 :: v_dual_add_f32 v89, v11, v42
	v_add_f32_e32 v85, v27, v44
	s_delay_alu instid0(VALU_DEP_3) | instskip(NEXT) | instid1(VALU_DEP_3)
	v_dual_add_f32 v8, v8, v38 :: v_dual_and_b32 v27, 0xffff0000, v1
	v_fmac_f32_e32 v36, v30, v19
	v_add_f32_e32 v26, v37, v26
	v_dual_fmac_f32 v9, v25, v5 :: v_dual_mul_f32 v10, v10, v40
	v_lshlrev_b32_e32 v1, 16, v1
	s_delay_alu instid0(VALU_DEP_4) | instskip(SKIP_1) | instid1(VALU_DEP_4)
	v_add_f32_e32 v87, v8, v36
	v_and_b32_e32 v8, 0xffff0000, v0
	v_dual_add_f32 v9, v26, v9 :: v_dual_lshlrev_b32 v0, 16, v0
	v_dual_fmac_f32 v10, v55, v6 :: v_dual_and_b32 v25, 0xffff0000, v3
	s_delay_alu instid0(VALU_DEP_3) | instskip(SKIP_1) | instid1(VALU_DEP_3)
	v_mul_f32_e32 v11, v8, v43
	v_dual_mul_f32 v24, v24, v33 :: v_dual_lshlrev_b32 v3, 16, v3
	v_add_f32_e32 v9, v9, v10
	s_delay_alu instid0(VALU_DEP_3) | instskip(SKIP_3) | instid1(VALU_DEP_3)
	v_dual_fmac_f32 v11, v0, v20 :: v_dual_and_b32 v10, 0xffff0000, v2
	v_mul_f32_e32 v20, v27, v41
	v_lshlrev_b32_e32 v2, 16, v2
	v_fmac_f32_e32 v24, v30, v7
	v_dual_add_f32 v11, v39, v11 :: v_dual_fmac_f32 v20, v1, v21
	s_delay_alu instid0(VALU_DEP_2) | instskip(NEXT) | instid1(VALU_DEP_2)
	v_dual_mul_f32 v21, v8, v35 :: v_dual_add_f32 v84, v9, v24
	v_add_f32_e32 v11, v11, v20
	s_delay_alu instid0(VALU_DEP_2) | instskip(SKIP_1) | instid1(VALU_DEP_2)
	v_dual_fmac_f32 v21, v0, v16 :: v_dual_mul_f32 v16, v27, v46
	v_mul_f32_e32 v20, v10, v45
	v_add_f32_e32 v21, v32, v21
	s_delay_alu instid0(VALU_DEP_3) | instskip(SKIP_1) | instid1(VALU_DEP_4)
	v_fmac_f32_e32 v16, v1, v17
	v_mul_f32_e32 v17, v10, v29
	v_fmac_f32_e32 v20, v2, v22
	v_mul_f32_e32 v22, v25, v31
	s_delay_alu instid0(VALU_DEP_3) | instskip(SKIP_1) | instid1(VALU_DEP_4)
	v_dual_add_f32 v16, v21, v16 :: v_dual_fmac_f32 v17, v2, v18
	v_mul_f32_e32 v18, v8, v48
	v_dual_mul_f32 v8, v8, v49 :: v_dual_add_f32 v11, v11, v20
	s_delay_alu instid0(VALU_DEP_4) | instskip(NEXT) | instid1(VALU_DEP_4)
	v_fmac_f32_e32 v22, v3, v23
	v_add_f32_e32 v16, v16, v17
	s_delay_alu instid0(VALU_DEP_4) | instskip(SKIP_3) | instid1(VALU_DEP_4)
	v_fmac_f32_e32 v18, v0, v12
	v_mul_f32_e32 v12, v27, v47
	v_fmac_f32_e32 v8, v0, v4
	v_dual_mul_f32 v0, v27, v74 :: v_dual_mul_f32 v17, v25, v51
	v_add_f32_e32 v4, v34, v18
	s_delay_alu instid0(VALU_DEP_4) | instskip(NEXT) | instid1(VALU_DEP_4)
	v_fmac_f32_e32 v12, v1, v13
	v_dual_mul_f32 v13, v10, v57 :: v_dual_add_f32 v8, v28, v8
	s_delay_alu instid0(VALU_DEP_4) | instskip(NEXT) | instid1(VALU_DEP_2)
	v_dual_fmac_f32 v0, v1, v5 :: v_dual_mul_f32 v1, v10, v40
	v_dual_add_f32 v4, v4, v12 :: v_dual_fmac_f32 v13, v2, v14
	s_delay_alu instid0(VALU_DEP_2) | instskip(NEXT) | instid1(VALU_DEP_3)
	v_dual_mul_f32 v5, v25, v54 :: v_dual_add_f32 v0, v8, v0
	v_dual_fmac_f32 v1, v2, v6 :: v_dual_mul_f32 v2, v25, v33
	s_delay_alu instid0(VALU_DEP_3) | instskip(NEXT) | instid1(VALU_DEP_2)
	v_dual_fmac_f32 v17, v3, v19 :: v_dual_add_f32 v4, v4, v13
	v_dual_fmac_f32 v5, v3, v15 :: v_dual_add_f32 v0, v0, v1
	s_delay_alu instid0(VALU_DEP_3) | instskip(NEXT) | instid1(VALU_DEP_3)
	v_fmac_f32_e32 v2, v3, v7
	v_dual_add_f32 v83, v11, v22 :: v_dual_add_f32 v82, v16, v17
	s_delay_alu instid0(VALU_DEP_3) | instskip(NEXT) | instid1(VALU_DEP_3)
	v_add_f32_e32 v81, v4, v5
	v_add_f32_e32 v80, v0, v2
	s_cbranch_scc1 .LBB260_21
.LBB260_18:                             ;   Parent Loop BB260_14 Depth=1
                                        ; =>  This Inner Loop Header: Depth=2
	v_add_nc_u32_e32 v24, s23, v75
	v_mov_b32_e32 v68, 0
	v_mov_b32_e32 v70, 0
	v_dual_mov_b32 v26, 0 :: v_dual_mov_b32 v31, 0
	s_delay_alu instid0(VALU_DEP_4) | instskip(SKIP_3) | instid1(VALU_DEP_4)
	v_min_u32_e32 v57, s15, v24
	v_add_nc_u32_e32 v96, 0x100, v24
	v_dual_mov_b32 v30, 0 :: v_dual_mov_b32 v71, 0
	v_dual_mov_b32 v28, 0 :: v_dual_mov_b32 v73, 0
	v_lshlrev_b64 v[0:1], 1, v[57:58]
	s_delay_alu instid0(VALU_DEP_4) | instskip(SKIP_2) | instid1(VALU_DEP_4)
	v_min_u32_e32 v57, s15, v96
	v_dual_mov_b32 v72, 0 :: v_dual_mov_b32 v39, 0
	v_dual_mov_b32 v74, 0 :: v_dual_mov_b32 v37, 0
	v_add_co_u32 v8, vcc_lo, s12, v0
	v_add_co_ci_u32_e32 v9, vcc_lo, s13, v1, vcc_lo
	v_lshlrev_b64 v[0:1], 1, v[57:58]
	s_delay_alu instid0(VALU_DEP_3) | instskip(NEXT) | instid1(VALU_DEP_3)
	v_add_co_u32 v2, vcc_lo, v8, v59
	v_add_co_ci_u32_e32 v3, vcc_lo, v9, v60, vcc_lo
	v_add_co_u32 v4, vcc_lo, v8, v61
	v_add_co_ci_u32_e32 v5, vcc_lo, v9, v62, vcc_lo
	;; [unrolled: 2-line block ×5, first 2 shown]
	s_clause 0x1
	global_load_b128 v[48:51], v[2:3], off slc dlc
	global_load_b128 v[44:47], v[4:5], off slc dlc
	v_add_co_u32 v2, vcc_lo, v10, v59
	v_add_co_ci_u32_e32 v3, vcc_lo, v11, v60, vcc_lo
	v_add_co_u32 v4, vcc_lo, v10, v61
	v_add_co_ci_u32_e32 v5, vcc_lo, v11, v62, vcc_lo
	;; [unrolled: 2-line block ×4, first 2 shown]
	s_clause 0x5
	global_load_b128 v[40:43], v[6:7], off slc dlc
	global_load_b128 v[32:35], v[0:1], off slc dlc
	;; [unrolled: 1-line block ×6, first 2 shown]
	v_mov_b32_e32 v3, 0
	v_cmp_gt_u32_e32 vcc_lo, s4, v24
	v_dual_mov_b32 v2, 0 :: v_dual_mov_b32 v67, 0
	v_dual_mov_b32 v1, 0 :: v_dual_mov_b32 v0, 0
	v_mov_b32_e32 v69, 0
	v_dual_mov_b32 v11, 0 :: v_dual_mov_b32 v10, 0
	v_mov_b32_e32 v27, 0
	v_dual_mov_b32 v9, 0 :: v_dual_mov_b32 v8, 0
	v_dual_mov_b32 v25, 0 :: v_dual_mov_b32 v24, 0
	;; [unrolled: 1-line block ×5, first 2 shown]
	v_mov_b32_e32 v52, 0
	s_and_saveexec_b32 s24, vcc_lo
	s_cbranch_execz .LBB260_17
; %bb.19:                               ;   in Loop: Header=BB260_18 Depth=2
	v_dual_mov_b32 v25, 0 :: v_dual_add_nc_u32 v98, s6, v79
	v_dual_mov_b32 v24, 0 :: v_dual_add_nc_u32 v57, s14, v79
	;; [unrolled: 1-line block ×3, first 2 shown]
	ds_load_b128 v[52:55], v79
	ds_load_b128 v[36:39], v98
	ds_load_2addr_b32 v[73:74], v57 offset1:1
	ds_load_2addr_b32 v[71:72], v57 offset0:2 offset1:3
	ds_load_b128 v[28:31], v97
	v_dual_mov_b32 v27, 0 :: v_dual_mov_b32 v8, 0
	v_dual_mov_b32 v9, 0 :: v_dual_mov_b32 v10, 0
	;; [unrolled: 1-line block ×6, first 2 shown]
	v_mov_b32_e32 v3, 0
	s_mov_b32 s25, exec_lo
	v_cmpx_gt_u32_e64 s4, v96
	s_cbranch_execz .LBB260_16
; %bb.20:                               ;   in Loop: Header=BB260_18 Depth=2
	ds_load_b128 v[24:27], v79 offset:512
	ds_load_b128 v[8:11], v98 offset:512
	ds_load_2addr_b32 v[69:70], v57 offset0:128 offset1:129
	ds_load_2addr_b32 v[67:68], v57 offset0:130 offset1:131
	ds_load_b128 v[0:3], v97 offset:512
	s_branch .LBB260_16
.LBB260_21:                             ;   in Loop: Header=BB260_14 Depth=1
	; sched_barrier mask(0x00000000)
	s_delay_alu instid0(VALU_DEP_1)
	v_cvt_i32_f32_e32 v0, v90
	s_waitcnt lgkmcnt(14)
	v_cvt_i32_f32_e32 v1, v94
	v_cvt_i32_f32_e32 v2, v91
	s_waitcnt lgkmcnt(3)
	v_cvt_i32_f32_e32 v3, v92
	v_cvt_i32_f32_e32 v4, v93
	v_cvt_f32_i32_dpp v0, v0 row_shr:8 row_mask:0xf bank_mask:0xf bound_ctrl:1
	v_cvt_f32_i32_dpp v1, v1 row_shr:8 row_mask:0xf bank_mask:0xf bound_ctrl:1
	;; [unrolled: 1-line block ×4, first 2 shown]
	s_waitcnt lgkmcnt(0)
	v_cvt_i32_f32_e32 v5, v95
	v_add_f32_e32 v0, v90, v0
	v_cvt_f32_i32_dpp v4, v4 row_shr:8 row_mask:0xf bank_mask:0xf bound_ctrl:1
	v_dual_add_f32 v1, v94, v1 :: v_dual_add_f32 v2, v91, v2
	v_add_f32_e32 v3, v92, v3
	s_delay_alu instid0(VALU_DEP_4)
	v_cvt_i32_f32_e32 v6, v0
	v_cvt_f32_i32_dpp v5, v5 row_shr:8 row_mask:0xf bank_mask:0xf bound_ctrl:1
	v_add_f32_e32 v4, v93, v4
	v_cvt_i32_f32_e32 v7, v1
	v_cvt_i32_f32_e32 v8, v2
	v_cvt_f32_i32_dpp v6, v6 row_shr:4 row_mask:0xf bank_mask:0xf bound_ctrl:1
	v_add_f32_e32 v5, v95, v5
	v_cvt_i32_f32_e32 v9, v3
	v_cvt_i32_f32_e32 v10, v4
	s_delay_alu instid0(VALU_DEP_4)
	v_add_f32_e32 v0, v0, v6
	v_cvt_f32_i32_dpp v6, v7 row_shr:4 row_mask:0xf bank_mask:0xf bound_ctrl:1
	v_cvt_f32_i32_dpp v7, v8 row_shr:4 row_mask:0xf bank_mask:0xf bound_ctrl:1
	;; [unrolled: 1-line block ×4, first 2 shown]
	v_cvt_i32_f32_e32 v11, v5
	s_delay_alu instid0(VALU_DEP_4) | instskip(NEXT) | instid1(VALU_DEP_4)
	v_dual_add_f32 v1, v1, v6 :: v_dual_add_f32 v2, v2, v7
	v_add_f32_e32 v3, v3, v8
	v_cvt_i32_f32_e32 v10, v0
	s_delay_alu instid0(VALU_DEP_4) | instskip(NEXT) | instid1(VALU_DEP_4)
	v_cvt_f32_i32_dpp v11, v11 row_shr:4 row_mask:0xf bank_mask:0xf bound_ctrl:1
	v_cvt_i32_f32_e32 v7, v1
	v_add_f32_e32 v4, v4, v9
	v_cvt_i32_f32_e32 v8, v2
	v_cvt_f32_i32_dpp v6, v10 row_shr:2 row_mask:0xf bank_mask:0xf bound_ctrl:1
	v_add_f32_e32 v5, v5, v11
	v_cvt_f32_i32_dpp v7, v7 row_shr:2 row_mask:0xf bank_mask:0xf bound_ctrl:1
	v_cvt_i32_f32_e32 v9, v4
	v_cvt_f32_i32_dpp v8, v8 row_shr:2 row_mask:0xf bank_mask:0xf bound_ctrl:1
	v_add_f32_e32 v0, v0, v6
	v_cvt_i32_f32_e32 v6, v3
	v_add_f32_e32 v1, v1, v7
	v_cvt_i32_f32_e32 v10, v5
	v_cvt_f32_i32_dpp v9, v9 row_shr:2 row_mask:0xf bank_mask:0xf bound_ctrl:1
	v_cvt_i32_f32_e32 v11, v0
	v_cvt_f32_i32_dpp v6, v6 row_shr:2 row_mask:0xf bank_mask:0xf bound_ctrl:1
	v_add_f32_e32 v2, v2, v8
	v_cvt_f32_i32_dpp v10, v10 row_shr:2 row_mask:0xf bank_mask:0xf bound_ctrl:1
	v_add_f32_e32 v4, v4, v9
	;; [unrolled: 2-line block ×3, first 2 shown]
	v_cvt_i32_f32_e32 v6, v2
	v_add_f32_e32 v5, v5, v10
	v_cvt_i32_f32_e32 v8, v4
	s_delay_alu instid0(VALU_DEP_4) | instskip(NEXT) | instid1(VALU_DEP_4)
	v_cvt_i32_f32_e32 v7, v3
	v_cvt_f32_i32_dpp v6, v6 row_shr:1 row_mask:0xf bank_mask:0xf bound_ctrl:1
	v_add_f32_e32 v34, v0, v11
	v_cvt_i32_f32_e32 v0, v1
	v_cvt_f32_i32_dpp v8, v8 row_shr:1 row_mask:0xf bank_mask:0xf bound_ctrl:1
	v_cvt_f32_i32_dpp v7, v7 row_shr:1 row_mask:0xf bank_mask:0xf bound_ctrl:1
	v_add_f32_e32 v31, v2, v6
	v_cvt_i32_f32_e32 v9, v5
	v_cvt_f32_i32_dpp v0, v0 row_shr:1 row_mask:0xf bank_mask:0xf bound_ctrl:1
	s_delay_alu instid0(VALU_DEP_4) | instskip(SKIP_1) | instid1(VALU_DEP_4)
	v_dual_add_f32 v23, v4, v8 :: v_dual_add_f32 v28, v3, v7
	v_cvt_i32_f32_e32 v3, v86
	v_cvt_f32_i32_dpp v9, v9 row_shr:1 row_mask:0xf bank_mask:0xf bound_ctrl:1
	v_cvt_i32_f32_e32 v2, v88
	v_cvt_i32_f32_e32 v6, v85
	;; [unrolled: 1-line block ×3, first 2 shown]
	v_cvt_f32_i32_dpp v3, v3 row_shr:8 row_mask:0xf bank_mask:0xf bound_ctrl:1
	v_add_f32_e32 v0, v1, v0
	v_cvt_f32_i32_dpp v2, v2 row_shr:8 row_mask:0xf bank_mask:0xf bound_ctrl:1
	v_cvt_f32_i32_dpp v6, v6 row_shr:8 row_mask:0xf bank_mask:0xf bound_ctrl:1
	;; [unrolled: 1-line block ×3, first 2 shown]
	v_add_f32_e32 v3, v86, v3
	ds_bpermute_b32 v35, v77, v34
	ds_bpermute_b32 v1, v77, v0
	;; [unrolled: 1-line block ×4, first 2 shown]
	v_cvt_i32_f32_e32 v8, v3
	ds_bpermute_b32 v24, v77, v23
	v_cvt_f32_i32_dpp v8, v8 row_shr:4 row_mask:0xf bank_mask:0xf bound_ctrl:1
	v_add_f32_e32 v18, v5, v9
	v_cvt_i32_f32_e32 v5, v87
	s_delay_alu instid0(VALU_DEP_3) | instskip(SKIP_4) | instid1(VALU_DEP_3)
	v_add_f32_e32 v3, v3, v8
	ds_bpermute_b32 v19, v77, v18
	v_cvt_f32_i32_dpp v5, v5 row_shr:8 row_mask:0xf bank_mask:0xf bound_ctrl:1
	v_add_f32_e32 v2, v88, v2
	v_cvt_i32_f32_e32 v8, v3
	v_add_f32_e32 v5, v87, v5
	s_delay_alu instid0(VALU_DEP_3) | instskip(NEXT) | instid1(VALU_DEP_3)
	v_cvt_i32_f32_e32 v7, v2
	v_cvt_f32_i32_dpp v8, v8 row_shr:2 row_mask:0xf bank_mask:0xf bound_ctrl:1
	v_add_f32_e32 v6, v85, v6
	s_delay_alu instid0(VALU_DEP_4) | instskip(NEXT) | instid1(VALU_DEP_4)
	v_cvt_i32_f32_e32 v10, v5
	v_cvt_f32_i32_dpp v7, v7 row_shr:4 row_mask:0xf bank_mask:0xf bound_ctrl:1
	s_delay_alu instid0(VALU_DEP_4) | instskip(NEXT) | instid1(VALU_DEP_4)
	v_add_f32_e32 v3, v3, v8
	v_cvt_i32_f32_e32 v11, v6
	s_delay_alu instid0(VALU_DEP_4) | instskip(NEXT) | instid1(VALU_DEP_4)
	v_cvt_f32_i32_dpp v10, v10 row_shr:4 row_mask:0xf bank_mask:0xf bound_ctrl:1
	v_add_f32_e32 v2, v2, v7
	s_delay_alu instid0(VALU_DEP_4) | instskip(NEXT) | instid1(VALU_DEP_4)
	v_cvt_i32_f32_e32 v8, v3
	v_cvt_f32_i32_dpp v11, v11 row_shr:4 row_mask:0xf bank_mask:0xf bound_ctrl:1
	s_delay_alu instid0(VALU_DEP_4) | instskip(NEXT) | instid1(VALU_DEP_4)
	v_add_f32_e32 v5, v5, v10
	v_cvt_i32_f32_e32 v7, v2
	s_delay_alu instid0(VALU_DEP_4) | instskip(NEXT) | instid1(VALU_DEP_3)
	v_cvt_f32_i32_dpp v8, v8 row_shr:1 row_mask:0xf bank_mask:0xf bound_ctrl:1
	v_cvt_i32_f32_e32 v10, v5
	s_delay_alu instid0(VALU_DEP_3) | instskip(NEXT) | instid1(VALU_DEP_3)
	v_cvt_f32_i32_dpp v7, v7 row_shr:2 row_mask:0xf bank_mask:0xf bound_ctrl:1
	v_add_f32_e32 v20, v3, v8
	v_cvt_i32_f32_e32 v3, v83
	s_delay_alu instid0(VALU_DEP_4) | instskip(NEXT) | instid1(VALU_DEP_2)
	v_cvt_f32_i32_dpp v10, v10 row_shr:2 row_mask:0xf bank_mask:0xf bound_ctrl:1
	v_cvt_f32_i32_dpp v3, v3 row_shr:8 row_mask:0xf bank_mask:0xf bound_ctrl:1
	s_delay_alu instid0(VALU_DEP_2) | instskip(NEXT) | instid1(VALU_DEP_2)
	v_add_f32_e32 v5, v5, v10
	v_add_f32_e32 v3, v83, v3
	;; [unrolled: 1-line block ×3, first 2 shown]
	s_delay_alu instid0(VALU_DEP_3) | instskip(NEXT) | instid1(VALU_DEP_2)
	v_cvt_i32_f32_e32 v10, v5
	v_cvt_i32_f32_e32 v7, v2
	s_delay_alu instid0(VALU_DEP_2) | instskip(NEXT) | instid1(VALU_DEP_2)
	v_cvt_f32_i32_dpp v10, v10 row_shr:1 row_mask:0xf bank_mask:0xf bound_ctrl:1
	v_cvt_f32_i32_dpp v7, v7 row_shr:1 row_mask:0xf bank_mask:0xf bound_ctrl:1
	v_add_f32_e32 v4, v89, v4
	s_delay_alu instid0(VALU_DEP_3)
	v_add_f32_e32 v12, v5, v10
	v_cvt_i32_f32_e32 v5, v81
	v_cvt_i32_f32_e32 v10, v3
	v_add_f32_e32 v25, v2, v7
	v_cvt_i32_f32_e32 v9, v4
	v_cvt_i32_f32_e32 v2, v84
	v_cvt_f32_i32_dpp v5, v5 row_shr:8 row_mask:0xf bank_mask:0xf bound_ctrl:1
	v_add_f32_e32 v6, v6, v11
	v_cvt_f32_i32_dpp v10, v10 row_shr:4 row_mask:0xf bank_mask:0xf bound_ctrl:1
	v_cvt_f32_i32_dpp v9, v9 row_shr:4 row_mask:0xf bank_mask:0xf bound_ctrl:1
	;; [unrolled: 1-line block ×3, first 2 shown]
	v_add_f32_e32 v5, v81, v5
	v_cvt_i32_f32_e32 v11, v6
	s_delay_alu instid0(VALU_DEP_4) | instskip(NEXT) | instid1(VALU_DEP_4)
	v_dual_add_f32 v3, v3, v10 :: v_dual_add_f32 v4, v4, v9
	v_add_f32_e32 v2, v84, v2
	ds_bpermute_b32 v27, v77, v25
	ds_bpermute_b32 v13, v77, v12
	v_cvt_f32_i32_dpp v11, v11 row_shr:2 row_mask:0xf bank_mask:0xf bound_ctrl:1
	v_cvt_i32_f32_e32 v10, v3
	v_cvt_i32_f32_e32 v9, v4
	;; [unrolled: 1-line block ×4, first 2 shown]
	s_delay_alu instid0(VALU_DEP_4)
	v_cvt_f32_i32_dpp v10, v10 row_shr:2 row_mask:0xf bank_mask:0xf bound_ctrl:1
	v_add_f32_e32 v6, v6, v11
	v_cvt_f32_i32_dpp v9, v9 row_shr:2 row_mask:0xf bank_mask:0xf bound_ctrl:1
	v_cvt_f32_i32_dpp v14, v14 row_shr:4 row_mask:0xf bank_mask:0xf bound_ctrl:1
	;; [unrolled: 1-line block ×3, first 2 shown]
	v_add_f32_e32 v3, v3, v10
	v_cvt_i32_f32_e32 v11, v6
	s_delay_alu instid0(VALU_DEP_4) | instskip(NEXT) | instid1(VALU_DEP_4)
	v_dual_add_f32 v4, v4, v9 :: v_dual_add_f32 v5, v5, v14
	v_add_f32_e32 v2, v2, v7
	s_delay_alu instid0(VALU_DEP_4) | instskip(NEXT) | instid1(VALU_DEP_4)
	v_cvt_i32_f32_e32 v10, v3
	v_cvt_f32_i32_dpp v11, v11 row_shr:1 row_mask:0xf bank_mask:0xf bound_ctrl:1
	s_delay_alu instid0(VALU_DEP_4)
	v_cvt_i32_f32_e32 v9, v4
	v_cvt_i32_f32_e32 v14, v5
	;; [unrolled: 1-line block ×3, first 2 shown]
	v_cvt_f32_i32_dpp v10, v10 row_shr:1 row_mask:0xf bank_mask:0xf bound_ctrl:1
	v_add_f32_e32 v8, v6, v11
	v_cvt_i32_f32_e32 v6, v80
	v_cvt_f32_i32_dpp v9, v9 row_shr:1 row_mask:0xf bank_mask:0xf bound_ctrl:1
	v_cvt_f32_i32_dpp v7, v7 row_shr:2 row_mask:0xf bank_mask:0xf bound_ctrl:1
	;; [unrolled: 1-line block ×3, first 2 shown]
	v_add_f32_e32 v10, v3, v10
	v_cvt_f32_i32_dpp v6, v6 row_shr:8 row_mask:0xf bank_mask:0xf bound_ctrl:1
	s_delay_alu instid0(VALU_DEP_3) | instskip(SKIP_3) | instid1(VALU_DEP_2)
	v_dual_add_f32 v2, v2, v7 :: v_dual_add_f32 v5, v5, v14
	ds_bpermute_b32 v22, v77, v20
	v_add_f32_e32 v6, v80, v6
	v_cvt_i32_f32_e32 v14, v5
	v_cvt_i32_f32_e32 v15, v6
	s_delay_alu instid0(VALU_DEP_2) | instskip(NEXT) | instid1(VALU_DEP_2)
	v_cvt_f32_i32_dpp v21, v14 row_shr:1 row_mask:0xf bank_mask:0xf bound_ctrl:1
	v_cvt_f32_i32_dpp v15, v15 row_shr:4 row_mask:0xf bank_mask:0xf bound_ctrl:1
	s_delay_alu instid0(VALU_DEP_1) | instskip(NEXT) | instid1(VALU_DEP_1)
	v_add_f32_e32 v6, v6, v15
	v_cvt_i32_f32_e32 v15, v6
	s_delay_alu instid0(VALU_DEP_1)
	v_cvt_f32_i32_dpp v15, v15 row_shr:2 row_mask:0xf bank_mask:0xf bound_ctrl:1
	v_add_f32_e32 v16, v4, v9
	v_cvt_i32_f32_e32 v4, v82
	ds_bpermute_b32 v9, v77, v8
	v_add_f32_e32 v7, v6, v15
	v_cvt_i32_f32_e32 v6, v2
	v_cvt_f32_i32_dpp v4, v4 row_shr:8 row_mask:0xf bank_mask:0xf bound_ctrl:1
	ds_bpermute_b32 v17, v77, v16
	v_cvt_i32_f32_e32 v15, v7
	v_cvt_f32_i32_dpp v6, v6 row_shr:1 row_mask:0xf bank_mask:0xf bound_ctrl:1
	v_add_f32_e32 v4, v82, v4
	s_delay_alu instid0(VALU_DEP_3) | instskip(NEXT) | instid1(VALU_DEP_3)
	v_cvt_f32_i32_dpp v15, v15 row_shr:1 row_mask:0xf bank_mask:0xf bound_ctrl:1
	v_add_f32_e32 v14, v2, v6
	s_delay_alu instid0(VALU_DEP_3) | instskip(NEXT) | instid1(VALU_DEP_3)
	v_cvt_i32_f32_e32 v11, v4
	v_add_f32_e32 v2, v7, v15
	ds_bpermute_b32 v15, v77, v14
	v_cvt_f32_i32_dpp v11, v11 row_shr:4 row_mask:0xf bank_mask:0xf bound_ctrl:1
	ds_bpermute_b32 v3, v77, v2
	v_add_f32_e32 v4, v4, v11
	s_delay_alu instid0(VALU_DEP_1) | instskip(NEXT) | instid1(VALU_DEP_1)
	v_cvt_i32_f32_e32 v11, v4
	v_cvt_f32_i32_dpp v11, v11 row_shr:2 row_mask:0xf bank_mask:0xf bound_ctrl:1
	s_delay_alu instid0(VALU_DEP_1) | instskip(NEXT) | instid1(VALU_DEP_1)
	v_add_f32_e32 v4, v4, v11
	v_cvt_i32_f32_e32 v11, v4
	s_delay_alu instid0(VALU_DEP_1) | instskip(NEXT) | instid1(VALU_DEP_1)
	v_cvt_f32_i32_dpp v11, v11 row_shr:1 row_mask:0xf bank_mask:0xf bound_ctrl:1
	v_add_f32_e32 v6, v4, v11
	v_add_f32_e32 v4, v5, v21
	ds_bpermute_b32 v11, v77, v10
	ds_bpermute_b32 v7, v77, v6
	;; [unrolled: 1-line block ×3, first 2 shown]
	s_and_saveexec_b32 s23, s0
	s_cbranch_execz .LBB260_13
; %bb.22:                               ;   in Loop: Header=BB260_14 Depth=1
	v_dual_mov_b32 v47, 0 :: v_dual_mov_b32 v46, 0
	v_dual_mov_b32 v45, 0 :: v_dual_mov_b32 v44, 0
	;; [unrolled: 1-line block ×8, first 2 shown]
	s_and_not1_b32 vcc_lo, exec_lo, s19
	s_cbranch_vccnz .LBB260_24
; %bb.23:                               ;   in Loop: Header=BB260_14 Depth=1
	v_mul_hi_u32 v21, v56, v78
	v_or_b32_e32 v26, 1, v56
	v_or_b32_e32 v30, 2, v56
	v_or_b32_e32 v33, 3, v56
	s_delay_alu instid0(VALU_DEP_3) | instskip(NEXT) | instid1(VALU_DEP_3)
	v_mul_hi_u32 v36, v26, v78
	v_mul_hi_u32 v37, v30, v78
	v_mul_lo_u32 v21, v21, s2
	s_delay_alu instid0(VALU_DEP_4) | instskip(NEXT) | instid1(VALU_DEP_4)
	v_mul_hi_u32 v38, v33, v78
	v_mul_lo_u32 v36, v36, s2
	s_delay_alu instid0(VALU_DEP_4) | instskip(NEXT) | instid1(VALU_DEP_4)
	v_mul_lo_u32 v40, v37, s2
	v_sub_nc_u32_e32 v21, v56, v21
	s_delay_alu instid0(VALU_DEP_4) | instskip(NEXT) | instid1(VALU_DEP_2)
	v_mul_lo_u32 v38, v38, s2
	v_subrev_nc_u32_e32 v41, s2, v21
	v_sub_nc_u32_e32 v26, v26, v36
	v_cmp_le_u32_e32 vcc_lo, s2, v21
	v_sub_nc_u32_e32 v30, v30, v40
	v_sub_nc_u32_e32 v33, v33, v38
	s_delay_alu instid0(VALU_DEP_4)
	v_subrev_nc_u32_e32 v36, s2, v26
	v_cndmask_b32_e32 v21, v21, v41, vcc_lo
	v_cmp_le_u32_e32 vcc_lo, s2, v26
	v_subrev_nc_u32_e32 v38, s2, v30
	v_subrev_nc_u32_e32 v40, s2, v33
	v_cndmask_b32_e32 v26, v26, v36, vcc_lo
	v_cmp_le_u32_e32 vcc_lo, s2, v30
	v_subrev_nc_u32_e32 v42, s2, v21
	s_delay_alu instid0(VALU_DEP_3) | instskip(SKIP_4) | instid1(VALU_DEP_2)
	v_subrev_nc_u32_e32 v36, s2, v26
	v_cndmask_b32_e32 v30, v30, v38, vcc_lo
	v_cmp_le_u32_e32 vcc_lo, s2, v33
	v_cndmask_b32_e32 v33, v33, v40, vcc_lo
	v_cmp_le_u32_e32 vcc_lo, s2, v21
	v_subrev_nc_u32_e32 v40, s2, v33
	v_cndmask_b32_e32 v57, v21, v42, vcc_lo
	v_cmp_le_u32_e32 vcc_lo, s2, v26
	v_subrev_nc_u32_e32 v21, s2, v30
	v_cndmask_b32_e32 v36, v26, v36, vcc_lo
	v_cmp_le_u32_e32 vcc_lo, s2, v30
	v_lshlrev_b64 v[42:43], 1, v[57:58]
	v_dual_mov_b32 v39, v58 :: v_dual_add_nc_u32 v50, s20, v57
	s_delay_alu instid0(VALU_DEP_4) | instskip(SKIP_3) | instid1(VALU_DEP_4)
	v_dual_cndmask_b32 v38, v30, v21 :: v_dual_add_nc_u32 v65, s21, v36
	v_cmp_le_u32_e32 vcc_lo, s2, v33
	v_mov_b32_e32 v37, v58
	v_mov_b32_e32 v41, v58
	v_dual_mov_b32 v51, v58 :: v_dual_add_nc_u32 v54, s20, v38
	v_cndmask_b32_e32 v40, v33, v40, vcc_lo
	s_delay_alu instid0(VALU_DEP_4) | instskip(SKIP_3) | instid1(VALU_DEP_4)
	v_lshlrev_b64 v[44:45], 1, v[36:37]
	v_lshlrev_b64 v[46:47], 1, v[38:39]
	v_add_co_u32 v42, vcc_lo, s8, v42
	v_add_co_ci_u32_e32 v43, vcc_lo, s9, v43, vcc_lo
	v_add_co_u32 v44, vcc_lo, s8, v44
	v_add_co_ci_u32_e32 v45, vcc_lo, s9, v45, vcc_lo
	;; [unrolled: 2-line block ×3, first 2 shown]
	v_lshlrev_b64 v[46:47], 1, v[50:51]
	v_add_nc_u32_e32 v50, s20, v36
	v_lshlrev_b64 v[48:49], 1, v[40:41]
	v_mov_b32_e32 v55, v58
	v_mov_b32_e32 v66, v58
	s_delay_alu instid0(VALU_DEP_4) | instskip(NEXT) | instid1(VALU_DEP_4)
	v_lshlrev_b64 v[50:51], 1, v[50:51]
	v_add_co_u32 v48, vcc_lo, s8, v48
	v_add_co_ci_u32_e32 v49, vcc_lo, s9, v49, vcc_lo
	v_add_co_u32 v59, vcc_lo, s8, v46
	v_add_co_ci_u32_e32 v60, vcc_lo, s9, v47, vcc_lo
	v_lshlrev_b64 v[46:47], 1, v[54:55]
	v_add_nc_u32_e32 v54, s20, v40
	v_add_co_u32 v50, vcc_lo, s8, v50
	v_add_co_ci_u32_e32 v51, vcc_lo, s9, v51, vcc_lo
	s_delay_alu instid0(VALU_DEP_3) | instskip(SKIP_3) | instid1(VALU_DEP_4)
	v_lshlrev_b64 v[54:55], 1, v[54:55]
	v_add_co_u32 v61, vcc_lo, s8, v46
	v_add_co_ci_u32_e32 v62, vcc_lo, s9, v47, vcc_lo
	v_dual_mov_b32 v47, v58 :: v_dual_add_nc_u32 v46, s21, v57
	v_add_co_u32 v54, vcc_lo, s8, v54
	v_add_co_ci_u32_e32 v55, vcc_lo, s9, v55, vcc_lo
	s_delay_alu instid0(VALU_DEP_3)
	v_lshlrev_b64 v[63:64], 1, v[46:47]
	s_clause 0x7
	global_load_u16 v47, v[42:43], off
	global_load_u16 v46, v[44:45], off
	;; [unrolled: 1-line block ×8, first 2 shown]
	v_dual_mov_b32 v51, v58 :: v_dual_add_nc_u32 v50, s21, v38
	v_add_nc_u32_e32 v57, s22, v57
	v_lshlrev_b64 v[48:49], 1, v[65:66]
	v_dual_mov_b32 v55, v58 :: v_dual_add_nc_u32 v54, s21, v40
	v_add_co_u32 v52, vcc_lo, s8, v63
	v_lshlrev_b64 v[50:51], 1, v[50:51]
	v_add_co_ci_u32_e32 v53, vcc_lo, s9, v64, vcc_lo
	v_lshlrev_b64 v[59:60], 1, v[57:58]
	v_add_nc_u32_e32 v57, s22, v36
	v_add_co_u32 v48, vcc_lo, s8, v48
	v_lshlrev_b64 v[54:55], 1, v[54:55]
	v_add_co_ci_u32_e32 v49, vcc_lo, s9, v49, vcc_lo
	v_add_co_u32 v50, vcc_lo, s8, v50
	v_lshlrev_b64 v[36:37], 1, v[57:58]
	v_add_nc_u32_e32 v57, s22, v38
	v_add_co_ci_u32_e32 v51, vcc_lo, s9, v51, vcc_lo
	v_add_co_u32 v54, vcc_lo, s8, v54
	v_add_co_ci_u32_e32 v55, vcc_lo, s9, v55, vcc_lo
	v_add_co_u32 v59, vcc_lo, s8, v59
	v_lshlrev_b64 v[61:62], 1, v[57:58]
	v_add_nc_u32_e32 v57, s22, v40
	v_add_co_ci_u32_e32 v60, vcc_lo, s9, v60, vcc_lo
	v_add_co_u32 v63, vcc_lo, s8, v36
	v_add_co_ci_u32_e32 v64, vcc_lo, s9, v37, vcc_lo
	s_delay_alu instid0(VALU_DEP_4) | instskip(SKIP_2) | instid1(VALU_DEP_3)
	v_lshlrev_b64 v[36:37], 1, v[57:58]
	v_add_co_u32 v61, vcc_lo, s8, v61
	v_add_co_ci_u32_e32 v62, vcc_lo, s9, v62, vcc_lo
	v_add_co_u32 v65, vcc_lo, s8, v36
	s_delay_alu instid0(VALU_DEP_4)
	v_add_co_ci_u32_e32 v66, vcc_lo, s9, v37, vcc_lo
	s_clause 0x7
	global_load_u16 v40, v[52:53], off
	global_load_u16 v38, v[48:49], off
	;; [unrolled: 1-line block ×8, first 2 shown]
.LBB260_24:                             ;   in Loop: Header=BB260_14 Depth=1
	s_waitcnt lgkmcnt(15)
	v_add_f32_e32 v34, v34, v35
	s_waitcnt vmcnt(15)
	v_lshlrev_b32_e32 v35, 16, v47
	s_delay_alu instid0(VALU_DEP_1) | instskip(NEXT) | instid1(VALU_DEP_1)
	v_add_f32_e32 v35, v34, v35
	v_and_b32_e32 v34, 0x7f800000, v35
	s_delay_alu instid0(VALU_DEP_1) | instskip(SKIP_1) | instid1(SALU_CYCLE_1)
	v_cmp_ne_u32_e32 vcc_lo, 0x7f800000, v34
                                        ; implicit-def: $vgpr34
	s_and_saveexec_b32 s24, vcc_lo
	s_xor_b32 s24, exec_lo, s24
; %bb.25:                               ;   in Loop: Header=BB260_14 Depth=1
	v_bfe_u32 v34, v35, 16, 1
	s_delay_alu instid0(VALU_DEP_1)
	v_add3_u32 v34, v35, v34, 0x7fff
                                        ; implicit-def: $vgpr35
; %bb.26:                               ;   in Loop: Header=BB260_14 Depth=1
	s_and_not1_saveexec_b32 s24, s24
; %bb.27:                               ;   in Loop: Header=BB260_14 Depth=1
	v_and_b32_e32 v34, 0xffff, v35
	v_or_b32_e32 v47, 0x10000, v35
	s_delay_alu instid0(VALU_DEP_2) | instskip(NEXT) | instid1(VALU_DEP_2)
	v_cmp_eq_u32_e32 vcc_lo, 0, v34
	v_cndmask_b32_e32 v34, v47, v35, vcc_lo
; %bb.28:                               ;   in Loop: Header=BB260_14 Depth=1
	s_or_b32 exec_lo, exec_lo, s24
	s_waitcnt vmcnt(14) lgkmcnt(14)
	v_dual_add_f32 v0, v0, v1 :: v_dual_lshlrev_b32 v1, 16, v46
	s_mov_b32 s24, exec_lo
	s_delay_alu instid0(VALU_DEP_1) | instskip(NEXT) | instid1(VALU_DEP_1)
	v_add_f32_e32 v35, v0, v1
	v_dual_mov_b32 v57, v58 :: v_dual_and_b32 v46, 0x7f800000, v35
	s_delay_alu instid0(VALU_DEP_1) | instskip(NEXT) | instid1(VALU_DEP_1)
	v_lshlrev_b64 v[0:1], 1, v[56:57]
	v_add_co_u32 v0, vcc_lo, s10, v0
	s_delay_alu instid0(VALU_DEP_2)
	v_add_co_ci_u32_e32 v1, vcc_lo, s11, v1, vcc_lo
	global_store_d16_hi_b16 v[0:1], v34, off
                                        ; implicit-def: $vgpr34
	v_cmpx_ne_u32_e32 0x7f800000, v46
	s_xor_b32 s24, exec_lo, s24
; %bb.29:                               ;   in Loop: Header=BB260_14 Depth=1
	v_bfe_u32 v34, v35, 16, 1
	s_delay_alu instid0(VALU_DEP_1)
	v_add3_u32 v34, v35, v34, 0x7fff
                                        ; implicit-def: $vgpr35
; %bb.30:                               ;   in Loop: Header=BB260_14 Depth=1
	s_and_not1_saveexec_b32 s24, s24
; %bb.31:                               ;   in Loop: Header=BB260_14 Depth=1
	v_and_b32_e32 v34, 0xffff, v35
	v_or_b32_e32 v46, 0x10000, v35
	s_delay_alu instid0(VALU_DEP_2) | instskip(NEXT) | instid1(VALU_DEP_2)
	v_cmp_eq_u32_e32 vcc_lo, 0, v34
	v_cndmask_b32_e32 v34, v46, v35, vcc_lo
; %bb.32:                               ;   in Loop: Header=BB260_14 Depth=1
	s_or_b32 exec_lo, exec_lo, s24
	s_waitcnt vmcnt(13) lgkmcnt(13)
	v_dual_add_f32 v31, v31, v32 :: v_dual_lshlrev_b32 v32, 16, v45
	global_store_d16_hi_b16 v[0:1], v34, off offset:2
	v_add_f32_e32 v32, v31, v32
	s_delay_alu instid0(VALU_DEP_1) | instskip(NEXT) | instid1(VALU_DEP_1)
	v_and_b32_e32 v31, 0x7f800000, v32
	v_cmp_ne_u32_e32 vcc_lo, 0x7f800000, v31
                                        ; implicit-def: $vgpr31
	s_and_saveexec_b32 s24, vcc_lo
	s_delay_alu instid0(SALU_CYCLE_1)
	s_xor_b32 s24, exec_lo, s24
; %bb.33:                               ;   in Loop: Header=BB260_14 Depth=1
	v_bfe_u32 v31, v32, 16, 1
	s_delay_alu instid0(VALU_DEP_1)
	v_add3_u32 v31, v32, v31, 0x7fff
                                        ; implicit-def: $vgpr32
; %bb.34:                               ;   in Loop: Header=BB260_14 Depth=1
	s_and_not1_saveexec_b32 s24, s24
; %bb.35:                               ;   in Loop: Header=BB260_14 Depth=1
	v_and_b32_e32 v31, 0xffff, v32
	v_or_b32_e32 v34, 0x10000, v32
	s_delay_alu instid0(VALU_DEP_2) | instskip(NEXT) | instid1(VALU_DEP_2)
	v_cmp_eq_u32_e32 vcc_lo, 0, v31
	v_cndmask_b32_e32 v31, v34, v32, vcc_lo
; %bb.36:                               ;   in Loop: Header=BB260_14 Depth=1
	s_or_b32 exec_lo, exec_lo, s24
	s_waitcnt vmcnt(12) lgkmcnt(12)
	v_dual_add_f32 v28, v28, v29 :: v_dual_lshlrev_b32 v29, 16, v44
	global_store_d16_hi_b16 v[0:1], v31, off offset:4
	v_add_f32_e32 v29, v28, v29
	s_delay_alu instid0(VALU_DEP_1) | instskip(NEXT) | instid1(VALU_DEP_1)
	v_and_b32_e32 v28, 0x7f800000, v29
	v_cmp_ne_u32_e32 vcc_lo, 0x7f800000, v28
                                        ; implicit-def: $vgpr28
	s_and_saveexec_b32 s24, vcc_lo
	s_delay_alu instid0(SALU_CYCLE_1)
	s_xor_b32 s24, exec_lo, s24
; %bb.37:                               ;   in Loop: Header=BB260_14 Depth=1
	v_bfe_u32 v28, v29, 16, 1
	s_delay_alu instid0(VALU_DEP_1)
	v_add3_u32 v28, v29, v28, 0x7fff
                                        ; implicit-def: $vgpr29
; %bb.38:                               ;   in Loop: Header=BB260_14 Depth=1
	s_and_not1_saveexec_b32 s24, s24
; %bb.39:                               ;   in Loop: Header=BB260_14 Depth=1
	v_and_b32_e32 v28, 0xffff, v29
	v_or_b32_e32 v31, 0x10000, v29
	s_delay_alu instid0(VALU_DEP_2) | instskip(NEXT) | instid1(VALU_DEP_2)
	v_cmp_eq_u32_e32 vcc_lo, 0, v28
	v_cndmask_b32_e32 v28, v31, v29, vcc_lo
; %bb.40:                               ;   in Loop: Header=BB260_14 Depth=1
	s_or_b32 exec_lo, exec_lo, s24
	s_waitcnt vmcnt(11) lgkmcnt(11)
	v_dual_add_f32 v23, v23, v24 :: v_dual_lshlrev_b32 v24, 16, v43
	s_mov_b32 s24, exec_lo
	global_store_d16_hi_b16 v[0:1], v28, off offset:6
                                        ; implicit-def: $vgpr0
	v_add_f32_e32 v23, v23, v24
	s_delay_alu instid0(VALU_DEP_1) | instskip(NEXT) | instid1(VALU_DEP_1)
	v_and_b32_e32 v24, 0x7f800000, v23
	v_cmpx_ne_u32_e32 0x7f800000, v24
	s_xor_b32 s24, exec_lo, s24
; %bb.41:                               ;   in Loop: Header=BB260_14 Depth=1
	v_bfe_u32 v0, v23, 16, 1
	s_delay_alu instid0(VALU_DEP_1)
	v_add3_u32 v0, v23, v0, 0x7fff
                                        ; implicit-def: $vgpr23
; %bb.42:                               ;   in Loop: Header=BB260_14 Depth=1
	s_and_not1_saveexec_b32 s24, s24
; %bb.43:                               ;   in Loop: Header=BB260_14 Depth=1
	v_and_b32_e32 v0, 0xffff, v23
	v_or_b32_e32 v1, 0x10000, v23
	s_delay_alu instid0(VALU_DEP_2) | instskip(NEXT) | instid1(VALU_DEP_2)
	v_cmp_eq_u32_e32 vcc_lo, 0, v0
	v_cndmask_b32_e32 v0, v1, v23, vcc_lo
; %bb.44:                               ;   in Loop: Header=BB260_14 Depth=1
	s_or_b32 exec_lo, exec_lo, s24
	s_waitcnt vmcnt(10) lgkmcnt(10)
	v_dual_add_f32 v1, v18, v19 :: v_dual_lshlrev_b32 v18, 16, v42
	v_add_nc_u32_e32 v57, s7, v56
	s_mov_b32 s24, exec_lo
	s_delay_alu instid0(VALU_DEP_2) | instskip(NEXT) | instid1(VALU_DEP_2)
	v_add_f32_e32 v1, v1, v18
	v_lshlrev_b64 v[18:19], 1, v[57:58]
	s_delay_alu instid0(VALU_DEP_2) | instskip(NEXT) | instid1(VALU_DEP_2)
	v_and_b32_e32 v23, 0x7f800000, v1
	v_add_co_u32 v18, vcc_lo, s10, v18
	s_delay_alu instid0(VALU_DEP_3)
	v_add_co_ci_u32_e32 v19, vcc_lo, s11, v19, vcc_lo
	global_store_d16_hi_b16 v[18:19], v0, off
                                        ; implicit-def: $vgpr0
	v_cmpx_ne_u32_e32 0x7f800000, v23
	s_xor_b32 s24, exec_lo, s24
; %bb.45:                               ;   in Loop: Header=BB260_14 Depth=1
	v_bfe_u32 v0, v1, 16, 1
	s_delay_alu instid0(VALU_DEP_1)
	v_add3_u32 v0, v1, v0, 0x7fff
                                        ; implicit-def: $vgpr1
; %bb.46:                               ;   in Loop: Header=BB260_14 Depth=1
	s_and_not1_saveexec_b32 s24, s24
; %bb.47:                               ;   in Loop: Header=BB260_14 Depth=1
	v_and_b32_e32 v0, 0xffff, v1
	v_or_b32_e32 v18, 0x10000, v1
	s_delay_alu instid0(VALU_DEP_2) | instskip(NEXT) | instid1(VALU_DEP_2)
	v_cmp_eq_u32_e32 vcc_lo, 0, v0
	v_cndmask_b32_e32 v0, v18, v1, vcc_lo
; %bb.48:                               ;   in Loop: Header=BB260_14 Depth=1
	s_or_b32 exec_lo, exec_lo, s24
	s_waitcnt lgkmcnt(9)
	v_dual_add_f32 v1, v25, v27 :: v_dual_add_nc_u32 v18, 1, v57
	v_mov_b32_e32 v19, v58
	s_waitcnt vmcnt(9)
	v_lshlrev_b32_e32 v23, 16, v41
	s_mov_b32 s24, exec_lo
	s_delay_alu instid0(VALU_DEP_2) | instskip(NEXT) | instid1(VALU_DEP_2)
	v_lshlrev_b64 v[18:19], 1, v[18:19]
	v_add_f32_e32 v1, v1, v23
	s_delay_alu instid0(VALU_DEP_1) | instskip(NEXT) | instid1(VALU_DEP_3)
	v_and_b32_e32 v23, 0x7f800000, v1
	v_add_co_u32 v18, vcc_lo, s10, v18
	s_delay_alu instid0(VALU_DEP_4)
	v_add_co_ci_u32_e32 v19, vcc_lo, s11, v19, vcc_lo
	global_store_d16_hi_b16 v[18:19], v0, off
                                        ; implicit-def: $vgpr0
	v_cmpx_ne_u32_e32 0x7f800000, v23
	s_xor_b32 s24, exec_lo, s24
; %bb.49:                               ;   in Loop: Header=BB260_14 Depth=1
	v_bfe_u32 v0, v1, 16, 1
	s_delay_alu instid0(VALU_DEP_1)
	v_add3_u32 v0, v1, v0, 0x7fff
                                        ; implicit-def: $vgpr1
; %bb.50:                               ;   in Loop: Header=BB260_14 Depth=1
	s_and_not1_saveexec_b32 s24, s24
; %bb.51:                               ;   in Loop: Header=BB260_14 Depth=1
	v_and_b32_e32 v0, 0xffff, v1
	v_or_b32_e32 v18, 0x10000, v1
	s_delay_alu instid0(VALU_DEP_2) | instskip(NEXT) | instid1(VALU_DEP_2)
	v_cmp_eq_u32_e32 vcc_lo, 0, v0
	v_cndmask_b32_e32 v0, v18, v1, vcc_lo
; %bb.52:                               ;   in Loop: Header=BB260_14 Depth=1
	s_or_b32 exec_lo, exec_lo, s24
	s_waitcnt lgkmcnt(7)
	v_dual_add_f32 v1, v20, v22 :: v_dual_add_nc_u32 v18, 2, v57
	s_waitcnt vmcnt(8)
	v_dual_mov_b32 v19, v58 :: v_dual_lshlrev_b32 v20, 16, v39
	s_mov_b32 s24, exec_lo
	s_delay_alu instid0(VALU_DEP_1) | instskip(NEXT) | instid1(VALU_DEP_2)
	v_add_f32_e32 v1, v1, v20
	v_lshlrev_b64 v[18:19], 1, v[18:19]
	s_delay_alu instid0(VALU_DEP_2) | instskip(NEXT) | instid1(VALU_DEP_2)
	v_and_b32_e32 v20, 0x7f800000, v1
	v_add_co_u32 v18, vcc_lo, s10, v18
	s_delay_alu instid0(VALU_DEP_3)
	v_add_co_ci_u32_e32 v19, vcc_lo, s11, v19, vcc_lo
	global_store_d16_hi_b16 v[18:19], v0, off
                                        ; implicit-def: $vgpr0
	v_cmpx_ne_u32_e32 0x7f800000, v20
	s_xor_b32 s24, exec_lo, s24
; %bb.53:                               ;   in Loop: Header=BB260_14 Depth=1
	v_bfe_u32 v0, v1, 16, 1
	s_delay_alu instid0(VALU_DEP_1)
	v_add3_u32 v0, v1, v0, 0x7fff
                                        ; implicit-def: $vgpr1
; %bb.54:                               ;   in Loop: Header=BB260_14 Depth=1
	s_and_not1_saveexec_b32 s24, s24
; %bb.55:                               ;   in Loop: Header=BB260_14 Depth=1
	v_and_b32_e32 v0, 0xffff, v1
	v_or_b32_e32 v18, 0x10000, v1
	s_delay_alu instid0(VALU_DEP_2) | instskip(NEXT) | instid1(VALU_DEP_2)
	v_cmp_eq_u32_e32 vcc_lo, 0, v0
	v_cndmask_b32_e32 v0, v18, v1, vcc_lo
; %bb.56:                               ;   in Loop: Header=BB260_14 Depth=1
	s_or_b32 exec_lo, exec_lo, s24
	s_waitcnt vmcnt(7) lgkmcnt(5)
	v_dual_add_f32 v1, v16, v17 :: v_dual_lshlrev_b32 v18, 16, v40
	v_dual_mov_b32 v17, v58 :: v_dual_add_nc_u32 v16, 3, v57
	s_mov_b32 s24, exec_lo
	s_delay_alu instid0(VALU_DEP_2) | instskip(NEXT) | instid1(VALU_DEP_2)
	v_add_f32_e32 v1, v1, v18
	v_lshlrev_b64 v[16:17], 1, v[16:17]
	s_delay_alu instid0(VALU_DEP_2) | instskip(NEXT) | instid1(VALU_DEP_2)
	v_and_b32_e32 v18, 0x7f800000, v1
	v_add_co_u32 v16, vcc_lo, s10, v16
	s_delay_alu instid0(VALU_DEP_3)
	v_add_co_ci_u32_e32 v17, vcc_lo, s11, v17, vcc_lo
	global_store_d16_hi_b16 v[16:17], v0, off
                                        ; implicit-def: $vgpr16
	v_cmpx_ne_u32_e32 0x7f800000, v18
	s_xor_b32 s24, exec_lo, s24
; %bb.57:                               ;   in Loop: Header=BB260_14 Depth=1
	v_bfe_u32 v0, v1, 16, 1
	s_delay_alu instid0(VALU_DEP_1)
	v_add3_u32 v16, v1, v0, 0x7fff
                                        ; implicit-def: $vgpr1
; %bb.58:                               ;   in Loop: Header=BB260_14 Depth=1
	s_and_not1_saveexec_b32 s24, s24
; %bb.59:                               ;   in Loop: Header=BB260_14 Depth=1
	v_and_b32_e32 v0, 0xffff, v1
	v_or_b32_e32 v16, 0x10000, v1
	s_delay_alu instid0(VALU_DEP_2) | instskip(NEXT) | instid1(VALU_DEP_2)
	v_cmp_eq_u32_e32 vcc_lo, 0, v0
	v_cndmask_b32_e32 v16, v16, v1, vcc_lo
; %bb.60:                               ;   in Loop: Header=BB260_14 Depth=1
	s_or_b32 exec_lo, exec_lo, s24
	s_waitcnt vmcnt(6)
	v_dual_add_f32 v0, v12, v13 :: v_dual_lshlrev_b32 v1, 16, v38
	v_add_nc_u32_e32 v57, s7, v57
	s_delay_alu instid0(VALU_DEP_2) | instskip(NEXT) | instid1(VALU_DEP_2)
	v_add_f32_e32 v12, v0, v1
	v_lshlrev_b64 v[0:1], 1, v[57:58]
	s_delay_alu instid0(VALU_DEP_2) | instskip(NEXT) | instid1(VALU_DEP_2)
	v_and_b32_e32 v13, 0x7f800000, v12
	v_add_co_u32 v0, vcc_lo, s10, v0
	s_delay_alu instid0(VALU_DEP_3) | instskip(NEXT) | instid1(VALU_DEP_3)
	v_add_co_ci_u32_e32 v1, vcc_lo, s11, v1, vcc_lo
	v_cmp_ne_u32_e32 vcc_lo, 0x7f800000, v13
                                        ; implicit-def: $vgpr13
	global_store_d16_hi_b16 v[0:1], v16, off
	s_and_saveexec_b32 s24, vcc_lo
	s_delay_alu instid0(SALU_CYCLE_1)
	s_xor_b32 s24, exec_lo, s24
; %bb.61:                               ;   in Loop: Header=BB260_14 Depth=1
	v_bfe_u32 v13, v12, 16, 1
	s_delay_alu instid0(VALU_DEP_1)
	v_add3_u32 v13, v12, v13, 0x7fff
                                        ; implicit-def: $vgpr12
; %bb.62:                               ;   in Loop: Header=BB260_14 Depth=1
	s_and_not1_saveexec_b32 s24, s24
; %bb.63:                               ;   in Loop: Header=BB260_14 Depth=1
	v_and_b32_e32 v13, 0xffff, v12
	v_or_b32_e32 v16, 0x10000, v12
	s_delay_alu instid0(VALU_DEP_2) | instskip(NEXT) | instid1(VALU_DEP_2)
	v_cmp_eq_u32_e32 vcc_lo, 0, v13
	v_cndmask_b32_e32 v13, v16, v12, vcc_lo
; %bb.64:                               ;   in Loop: Header=BB260_14 Depth=1
	s_or_b32 exec_lo, exec_lo, s24
	v_add_f32_e32 v8, v8, v9
	s_waitcnt vmcnt(5)
	v_lshlrev_b32_e32 v9, 16, v37
	s_mov_b32 s24, exec_lo
	global_store_d16_hi_b16 v[0:1], v13, off offset:2
                                        ; implicit-def: $vgpr0
	v_add_f32_e32 v8, v8, v9
	s_delay_alu instid0(VALU_DEP_1) | instskip(NEXT) | instid1(VALU_DEP_1)
	v_and_b32_e32 v9, 0x7f800000, v8
	v_cmpx_ne_u32_e32 0x7f800000, v9
	s_xor_b32 s24, exec_lo, s24
; %bb.65:                               ;   in Loop: Header=BB260_14 Depth=1
	v_bfe_u32 v0, v8, 16, 1
	s_delay_alu instid0(VALU_DEP_1)
	v_add3_u32 v0, v8, v0, 0x7fff
                                        ; implicit-def: $vgpr8
; %bb.66:                               ;   in Loop: Header=BB260_14 Depth=1
	s_and_not1_saveexec_b32 s24, s24
; %bb.67:                               ;   in Loop: Header=BB260_14 Depth=1
	v_and_b32_e32 v0, 0xffff, v8
	v_or_b32_e32 v1, 0x10000, v8
	s_delay_alu instid0(VALU_DEP_2) | instskip(NEXT) | instid1(VALU_DEP_2)
	v_cmp_eq_u32_e32 vcc_lo, 0, v0
	v_cndmask_b32_e32 v0, v1, v8, vcc_lo
; %bb.68:                               ;   in Loop: Header=BB260_14 Depth=1
	s_or_b32 exec_lo, exec_lo, s24
	s_waitcnt lgkmcnt(4)
	v_dual_add_f32 v1, v14, v15 :: v_dual_add_nc_u32 v8, 2, v57
	s_waitcnt vmcnt(4)
	v_dual_mov_b32 v9, v58 :: v_dual_lshlrev_b32 v12, 16, v36
	s_mov_b32 s24, exec_lo
	s_delay_alu instid0(VALU_DEP_1) | instskip(NEXT) | instid1(VALU_DEP_2)
	v_add_f32_e32 v1, v1, v12
	v_lshlrev_b64 v[8:9], 1, v[8:9]
	s_delay_alu instid0(VALU_DEP_2) | instskip(NEXT) | instid1(VALU_DEP_2)
	v_and_b32_e32 v12, 0x7f800000, v1
	v_add_co_u32 v8, vcc_lo, s10, v8
	s_delay_alu instid0(VALU_DEP_3)
	v_add_co_ci_u32_e32 v9, vcc_lo, s11, v9, vcc_lo
	global_store_d16_hi_b16 v[8:9], v0, off
                                        ; implicit-def: $vgpr0
	v_cmpx_ne_u32_e32 0x7f800000, v12
	s_xor_b32 s24, exec_lo, s24
; %bb.69:                               ;   in Loop: Header=BB260_14 Depth=1
	v_bfe_u32 v0, v1, 16, 1
	s_delay_alu instid0(VALU_DEP_1)
	v_add3_u32 v0, v1, v0, 0x7fff
                                        ; implicit-def: $vgpr1
; %bb.70:                               ;   in Loop: Header=BB260_14 Depth=1
	s_and_not1_saveexec_b32 s24, s24
; %bb.71:                               ;   in Loop: Header=BB260_14 Depth=1
	v_and_b32_e32 v0, 0xffff, v1
	v_or_b32_e32 v8, 0x10000, v1
	s_delay_alu instid0(VALU_DEP_2) | instskip(NEXT) | instid1(VALU_DEP_2)
	v_cmp_eq_u32_e32 vcc_lo, 0, v0
	v_cndmask_b32_e32 v0, v8, v1, vcc_lo
; %bb.72:                               ;   in Loop: Header=BB260_14 Depth=1
	s_or_b32 exec_lo, exec_lo, s24
	s_waitcnt lgkmcnt(2)
	v_dual_add_f32 v1, v10, v11 :: v_dual_add_nc_u32 v8, 3, v57
	s_waitcnt vmcnt(3)
	v_dual_mov_b32 v9, v58 :: v_dual_lshlrev_b32 v10, 16, v33
	s_mov_b32 s24, exec_lo
	s_delay_alu instid0(VALU_DEP_1) | instskip(NEXT) | instid1(VALU_DEP_2)
	v_add_f32_e32 v1, v1, v10
	v_lshlrev_b64 v[8:9], 1, v[8:9]
	s_delay_alu instid0(VALU_DEP_2) | instskip(NEXT) | instid1(VALU_DEP_2)
	v_and_b32_e32 v10, 0x7f800000, v1
	v_add_co_u32 v8, vcc_lo, s10, v8
	s_delay_alu instid0(VALU_DEP_3)
	v_add_co_ci_u32_e32 v9, vcc_lo, s11, v9, vcc_lo
	global_store_d16_hi_b16 v[8:9], v0, off
                                        ; implicit-def: $vgpr0
	v_cmpx_ne_u32_e32 0x7f800000, v10
	s_xor_b32 s24, exec_lo, s24
; %bb.73:                               ;   in Loop: Header=BB260_14 Depth=1
	v_bfe_u32 v0, v1, 16, 1
	s_delay_alu instid0(VALU_DEP_1)
	v_add3_u32 v0, v1, v0, 0x7fff
                                        ; implicit-def: $vgpr1
; %bb.74:                               ;   in Loop: Header=BB260_14 Depth=1
	s_and_not1_saveexec_b32 s24, s24
; %bb.75:                               ;   in Loop: Header=BB260_14 Depth=1
	v_and_b32_e32 v0, 0xffff, v1
	v_or_b32_e32 v8, 0x10000, v1
	s_delay_alu instid0(VALU_DEP_2) | instskip(NEXT) | instid1(VALU_DEP_2)
	v_cmp_eq_u32_e32 vcc_lo, 0, v0
	v_cndmask_b32_e32 v0, v8, v1, vcc_lo
; %bb.76:                               ;   in Loop: Header=BB260_14 Depth=1
	s_or_b32 exec_lo, exec_lo, s24
	s_waitcnt vmcnt(2) lgkmcnt(1)
	v_dual_add_f32 v1, v6, v7 :: v_dual_lshlrev_b32 v6, 16, v30
	v_add_nc_u32_e32 v57, s7, v57
	s_mov_b32 s24, exec_lo
	s_delay_alu instid0(VALU_DEP_2) | instskip(NEXT) | instid1(VALU_DEP_2)
	v_add_f32_e32 v1, v1, v6
	v_lshlrev_b64 v[6:7], 1, v[57:58]
	s_delay_alu instid0(VALU_DEP_2) | instskip(NEXT) | instid1(VALU_DEP_2)
	v_and_b32_e32 v8, 0x7f800000, v1
	v_add_co_u32 v6, vcc_lo, s10, v6
	s_delay_alu instid0(VALU_DEP_3)
	v_add_co_ci_u32_e32 v7, vcc_lo, s11, v7, vcc_lo
	global_store_d16_hi_b16 v[6:7], v0, off
                                        ; implicit-def: $vgpr0
	v_cmpx_ne_u32_e32 0x7f800000, v8
	s_xor_b32 s24, exec_lo, s24
; %bb.77:                               ;   in Loop: Header=BB260_14 Depth=1
	v_bfe_u32 v0, v1, 16, 1
	s_delay_alu instid0(VALU_DEP_1)
	v_add3_u32 v0, v1, v0, 0x7fff
                                        ; implicit-def: $vgpr1
; %bb.78:                               ;   in Loop: Header=BB260_14 Depth=1
	s_and_not1_saveexec_b32 s24, s24
; %bb.79:                               ;   in Loop: Header=BB260_14 Depth=1
	v_and_b32_e32 v0, 0xffff, v1
	v_or_b32_e32 v6, 0x10000, v1
	s_delay_alu instid0(VALU_DEP_2) | instskip(NEXT) | instid1(VALU_DEP_2)
	v_cmp_eq_u32_e32 vcc_lo, 0, v0
	v_cndmask_b32_e32 v0, v6, v1, vcc_lo
; %bb.80:                               ;   in Loop: Header=BB260_14 Depth=1
	s_or_b32 exec_lo, exec_lo, s24
	s_waitcnt vmcnt(1) lgkmcnt(0)
	v_dual_add_f32 v1, v4, v5 :: v_dual_lshlrev_b32 v6, 16, v26
	v_dual_mov_b32 v5, v58 :: v_dual_add_nc_u32 v4, 1, v57
	s_mov_b32 s24, exec_lo
	s_delay_alu instid0(VALU_DEP_2) | instskip(NEXT) | instid1(VALU_DEP_2)
	v_add_f32_e32 v1, v1, v6
	v_lshlrev_b64 v[4:5], 1, v[4:5]
	s_delay_alu instid0(VALU_DEP_2) | instskip(NEXT) | instid1(VALU_DEP_2)
	v_and_b32_e32 v6, 0x7f800000, v1
	v_add_co_u32 v4, vcc_lo, s10, v4
	s_delay_alu instid0(VALU_DEP_3)
	v_add_co_ci_u32_e32 v5, vcc_lo, s11, v5, vcc_lo
	global_store_d16_hi_b16 v[4:5], v0, off
                                        ; implicit-def: $vgpr0
	v_cmpx_ne_u32_e32 0x7f800000, v6
	s_xor_b32 s24, exec_lo, s24
; %bb.81:                               ;   in Loop: Header=BB260_14 Depth=1
	v_bfe_u32 v0, v1, 16, 1
	s_delay_alu instid0(VALU_DEP_1)
	v_add3_u32 v0, v1, v0, 0x7fff
                                        ; implicit-def: $vgpr1
; %bb.82:                               ;   in Loop: Header=BB260_14 Depth=1
	s_and_not1_saveexec_b32 s24, s24
; %bb.83:                               ;   in Loop: Header=BB260_14 Depth=1
	v_and_b32_e32 v0, 0xffff, v1
	v_or_b32_e32 v4, 0x10000, v1
	s_delay_alu instid0(VALU_DEP_2) | instskip(NEXT) | instid1(VALU_DEP_2)
	v_cmp_eq_u32_e32 vcc_lo, 0, v0
	v_cndmask_b32_e32 v0, v4, v1, vcc_lo
; %bb.84:                               ;   in Loop: Header=BB260_14 Depth=1
	s_or_b32 exec_lo, exec_lo, s24
	v_dual_add_f32 v1, v2, v3 :: v_dual_add_nc_u32 v2, 2, v57
	s_waitcnt vmcnt(0)
	v_dual_mov_b32 v3, v58 :: v_dual_lshlrev_b32 v4, 16, v21
	s_mov_b32 s24, exec_lo
	s_delay_alu instid0(VALU_DEP_1) | instskip(NEXT) | instid1(VALU_DEP_2)
	v_add_f32_e32 v1, v1, v4
	v_lshlrev_b64 v[2:3], 1, v[2:3]
	s_delay_alu instid0(VALU_DEP_2) | instskip(NEXT) | instid1(VALU_DEP_2)
	v_and_b32_e32 v4, 0x7f800000, v1
	v_add_co_u32 v2, vcc_lo, s10, v2
	s_delay_alu instid0(VALU_DEP_3)
	v_add_co_ci_u32_e32 v3, vcc_lo, s11, v3, vcc_lo
	global_store_d16_hi_b16 v[2:3], v0, off
                                        ; implicit-def: $vgpr0
	v_cmpx_ne_u32_e32 0x7f800000, v4
	s_xor_b32 s24, exec_lo, s24
; %bb.85:                               ;   in Loop: Header=BB260_14 Depth=1
	v_bfe_u32 v0, v1, 16, 1
	s_delay_alu instid0(VALU_DEP_1)
	v_add3_u32 v0, v1, v0, 0x7fff
                                        ; implicit-def: $vgpr1
; %bb.86:                               ;   in Loop: Header=BB260_14 Depth=1
	s_and_not1_saveexec_b32 s24, s24
	s_cbranch_execz .LBB260_12
; %bb.87:                               ;   in Loop: Header=BB260_14 Depth=1
	v_and_b32_e32 v0, 0xffff, v1
	v_or_b32_e32 v2, 0x10000, v1
	s_delay_alu instid0(VALU_DEP_2) | instskip(NEXT) | instid1(VALU_DEP_2)
	v_cmp_eq_u32_e32 vcc_lo, 0, v0
	v_cndmask_b32_e32 v0, v2, v1, vcc_lo
	s_branch .LBB260_12
.LBB260_88:
	s_nop 0
	s_sendmsg sendmsg(MSG_DEALLOC_VGPRS)
	s_endpgm
	.section	.rodata,"a",@progbits
	.p2align	6, 0x0
	.amdhsa_kernel _Z16wvSplitK_hf_sml_I14__hip_bfloat16Li32ELi4ELi16ELi8ELi2ELi4EEviiiiiiPKT_S3_S3_PS1_ii
		.amdhsa_group_segment_fixed_size 65536
		.amdhsa_private_segment_fixed_size 0
		.amdhsa_kernarg_size 64
		.amdhsa_user_sgpr_count 15
		.amdhsa_user_sgpr_dispatch_ptr 0
		.amdhsa_user_sgpr_queue_ptr 0
		.amdhsa_user_sgpr_kernarg_segment_ptr 1
		.amdhsa_user_sgpr_dispatch_id 0
		.amdhsa_user_sgpr_private_segment_size 0
		.amdhsa_wavefront_size32 1
		.amdhsa_uses_dynamic_stack 0
		.amdhsa_enable_private_segment 0
		.amdhsa_system_sgpr_workgroup_id_x 1
		.amdhsa_system_sgpr_workgroup_id_y 0
		.amdhsa_system_sgpr_workgroup_id_z 0
		.amdhsa_system_sgpr_workgroup_info 0
		.amdhsa_system_vgpr_workitem_id 1
		.amdhsa_next_free_vgpr 115
		.amdhsa_next_free_sgpr 26
		.amdhsa_reserve_vcc 1
		.amdhsa_float_round_mode_32 0
		.amdhsa_float_round_mode_16_64 0
		.amdhsa_float_denorm_mode_32 3
		.amdhsa_float_denorm_mode_16_64 3
		.amdhsa_dx10_clamp 1
		.amdhsa_ieee_mode 1
		.amdhsa_fp16_overflow 0
		.amdhsa_workgroup_processor_mode 1
		.amdhsa_memory_ordered 1
		.amdhsa_forward_progress 0
		.amdhsa_shared_vgpr_count 0
		.amdhsa_exception_fp_ieee_invalid_op 0
		.amdhsa_exception_fp_denorm_src 0
		.amdhsa_exception_fp_ieee_div_zero 0
		.amdhsa_exception_fp_ieee_overflow 0
		.amdhsa_exception_fp_ieee_underflow 0
		.amdhsa_exception_fp_ieee_inexact 0
		.amdhsa_exception_int_div_zero 0
	.end_amdhsa_kernel
	.section	.text._Z16wvSplitK_hf_sml_I14__hip_bfloat16Li32ELi4ELi16ELi8ELi2ELi4EEviiiiiiPKT_S3_S3_PS1_ii,"axG",@progbits,_Z16wvSplitK_hf_sml_I14__hip_bfloat16Li32ELi4ELi16ELi8ELi2ELi4EEviiiiiiPKT_S3_S3_PS1_ii,comdat
.Lfunc_end260:
	.size	_Z16wvSplitK_hf_sml_I14__hip_bfloat16Li32ELi4ELi16ELi8ELi2ELi4EEviiiiiiPKT_S3_S3_PS1_ii, .Lfunc_end260-_Z16wvSplitK_hf_sml_I14__hip_bfloat16Li32ELi4ELi16ELi8ELi2ELi4EEviiiiiiPKT_S3_S3_PS1_ii
                                        ; -- End function
	.section	.AMDGPU.csdata,"",@progbits
; Kernel info:
; codeLenInByte = 9072
; NumSgprs: 28
; NumVgprs: 115
; ScratchSize: 0
; MemoryBound: 0
; FloatMode: 240
; IeeeMode: 1
; LDSByteSize: 65536 bytes/workgroup (compile time only)
; SGPRBlocks: 3
; VGPRBlocks: 14
; NumSGPRsForWavesPerEU: 28
; NumVGPRsForWavesPerEU: 115
; Occupancy: 8
; WaveLimiterHint : 0
; COMPUTE_PGM_RSRC2:SCRATCH_EN: 0
; COMPUTE_PGM_RSRC2:USER_SGPR: 15
; COMPUTE_PGM_RSRC2:TRAP_HANDLER: 0
; COMPUTE_PGM_RSRC2:TGID_X_EN: 1
; COMPUTE_PGM_RSRC2:TGID_Y_EN: 0
; COMPUTE_PGM_RSRC2:TGID_Z_EN: 0
; COMPUTE_PGM_RSRC2:TIDIG_COMP_CNT: 1
	.section	.text._Z12wvSplitK_hf_I14__hip_bfloat16Li32ELi4ELi16ELi8ELi2ELi4EEviiiiiiPKT_S3_S3_PS1_ii,"axG",@progbits,_Z12wvSplitK_hf_I14__hip_bfloat16Li32ELi4ELi16ELi8ELi2ELi4EEviiiiiiPKT_S3_S3_PS1_ii,comdat
	.protected	_Z12wvSplitK_hf_I14__hip_bfloat16Li32ELi4ELi16ELi8ELi2ELi4EEviiiiiiPKT_S3_S3_PS1_ii ; -- Begin function _Z12wvSplitK_hf_I14__hip_bfloat16Li32ELi4ELi16ELi8ELi2ELi4EEviiiiiiPKT_S3_S3_PS1_ii
	.globl	_Z12wvSplitK_hf_I14__hip_bfloat16Li32ELi4ELi16ELi8ELi2ELi4EEviiiiiiPKT_S3_S3_PS1_ii
	.p2align	8
	.type	_Z12wvSplitK_hf_I14__hip_bfloat16Li32ELi4ELi16ELi8ELi2ELi4EEviiiiiiPKT_S3_S3_PS1_ii,@function
_Z12wvSplitK_hf_I14__hip_bfloat16Li32ELi4ELi16ELi8ELi2ELi4EEviiiiiiPKT_S3_S3_PS1_ii: ; @_Z12wvSplitK_hf_I14__hip_bfloat16Li32ELi4ELi16ELi8ELi2ELi4EEviiiiiiPKT_S3_S3_PS1_ii
; %bb.0:
	s_clause 0x1
	s_load_b64 s[20:21], s[0:1], 0x38
	s_load_b128 s[8:11], s[0:1], 0x0
	v_bfe_u32 v5, v0, 10, 10
	s_clause 0x1
	s_load_b64 s[16:17], s[0:1], 0x20
	s_load_b64 s[18:19], s[0:1], 0x10
	s_mov_b32 s4, 1
	s_delay_alu instid0(SALU_CYCLE_1) | instskip(SKIP_4) | instid1(SALU_CYCLE_1)
	s_mov_b32 s5, s4
	s_mov_b32 s6, s4
	;; [unrolled: 1-line block ×3, first 2 shown]
	s_waitcnt lgkmcnt(0)
	s_mul_i32 s15, s15, s20
	v_add_lshl_u32 v69, s15, v5, 2
	s_delay_alu instid0(VALU_DEP_1) | instskip(SKIP_1) | instid1(VALU_DEP_2)
	v_add_nc_u32_e32 v1, 4, v69
	v_cmp_gt_u32_e32 vcc_lo, s11, v69
	v_cmp_le_u32_e64 s2, s11, v1
	v_dual_mov_b32 v1, s4 :: v_dual_mov_b32 v4, s7
	v_dual_mov_b32 v2, s5 :: v_dual_mov_b32 v3, s6
	s_delay_alu instid0(VALU_DEP_3) | instskip(NEXT) | instid1(SALU_CYCLE_1)
	s_and_b32 s2, vcc_lo, s2
	s_and_saveexec_b32 s12, s2
	s_cbranch_execz .LBB261_6
; %bb.1:
	v_dual_mov_b32 v1, s4 :: v_dual_mov_b32 v2, s5
	v_dual_mov_b32 v3, s6 :: v_dual_mov_b32 v4, s7
	s_add_i32 s13, s11, -4
	s_mov_b32 s14, exec_lo
	v_cmpx_ne_u32_e64 s13, v69
	s_cbranch_execz .LBB261_5
; %bb.2:
	v_subrev_nc_u32_e32 v1, s13, v69
	s_mov_b32 s15, 0
	s_mov_b64 s[2:3], 0
	s_mov_b32 s5, s4
	s_mov_b32 s6, s4
	v_cmp_lt_u32_e32 vcc_lo, 1, v1
	s_mov_b32 s7, s4
	v_cndmask_b32_e32 v6, 1, v1, vcc_lo
	.p2align	6
.LBB261_3:                              ; =>This Inner Loop Header: Depth=1
	s_cmp_lg_u32 s2, 3
	s_cselect_b32 s7, s7, 0
	s_cmp_lg_u32 s2, 2
	s_cselect_b32 s6, s6, 0
	;; [unrolled: 2-line block ×4, first 2 shown]
	s_add_u32 s2, s2, 1
	v_dual_mov_b32 v1, s4 :: v_dual_mov_b32 v2, s5
	v_cmp_eq_u32_e32 vcc_lo, s2, v6
	v_dual_mov_b32 v3, s6 :: v_dual_mov_b32 v4, s7
	s_addc_u32 s3, s3, 0
	s_or_b32 s15, vcc_lo, s15
	s_delay_alu instid0(SALU_CYCLE_1)
	s_and_not1_b32 exec_lo, exec_lo, s15
	s_cbranch_execnz .LBB261_3
; %bb.4:
	s_or_b32 exec_lo, exec_lo, s15
	v_mov_b32_e32 v69, s13
.LBB261_5:
	s_or_b32 exec_lo, exec_lo, s14
.LBB261_6:
	s_delay_alu instid0(SALU_CYCLE_1) | instskip(SKIP_4) | instid1(VALU_DEP_1)
	s_or_b32 exec_lo, exec_lo, s12
	v_and_b32_e32 v6, 0x3ff, v0
	s_lshl_b32 s22, s10, 2
	s_mov_b32 s2, exec_lo
	s_min_u32 s3, s22, 0x8000
	v_lshlrev_b32_e32 v0, 3, v6
	s_delay_alu instid0(VALU_DEP_1) | instskip(NEXT) | instid1(VALU_DEP_1)
	v_lshl_add_u32 v8, v5, 8, v0
	v_cmpx_gt_u32_e64 s3, v8
	s_cbranch_execz .LBB261_15
; %bb.7:
	v_lshlrev_b32_e32 v7, 1, v8
	v_add_nc_u32_e32 v13, 0x1000, v8
	s_mov_b32 s4, exec_lo
	global_load_b128 v[9:12], v7, s[16:17]
	s_waitcnt vmcnt(0)
	ds_store_b128 v7, v[9:12]
	v_cmpx_gt_u32_e64 s3, v13
	s_xor_b32 s4, exec_lo, s4
	s_cbranch_execz .LBB261_15
; %bb.8:
	v_add_co_u32 v9, s4, s16, v7
	s_delay_alu instid0(VALU_DEP_1) | instskip(SKIP_1) | instid1(VALU_DEP_3)
	v_add_co_ci_u32_e64 v10, null, s17, 0, s4
	v_add_nc_u32_e32 v15, 0x2000, v8
	v_add_co_u32 v11, vcc_lo, 0x2000, v9
	s_delay_alu instid0(VALU_DEP_3)
	v_add_co_ci_u32_e32 v12, vcc_lo, 0, v10, vcc_lo
	s_mov_b32 s4, exec_lo
	global_load_b128 v[11:14], v[11:12], off
	s_waitcnt vmcnt(0)
	ds_store_b128 v7, v[11:14] offset:8192
	v_cmpx_gt_u32_e64 s3, v15
	s_xor_b32 s4, exec_lo, s4
	s_cbranch_execz .LBB261_15
; %bb.9:
	v_add_co_u32 v11, vcc_lo, 0x4000, v9
	v_add_co_ci_u32_e32 v12, vcc_lo, 0, v10, vcc_lo
	v_add_nc_u32_e32 v15, 0x3000, v8
	s_mov_b32 s4, exec_lo
	global_load_b128 v[11:14], v[11:12], off
	s_waitcnt vmcnt(0)
	ds_store_b128 v7, v[11:14] offset:16384
	v_cmpx_gt_u32_e64 s3, v15
	s_xor_b32 s4, exec_lo, s4
	s_cbranch_execz .LBB261_15
; %bb.10:
	v_add_co_u32 v11, vcc_lo, 0x6000, v9
	v_add_co_ci_u32_e32 v12, vcc_lo, 0, v10, vcc_lo
	v_add_nc_u32_e32 v15, 0x4000, v8
	;; [unrolled: 11-line block ×5, first 2 shown]
	global_load_b128 v[11:14], v[11:12], off
	v_cmp_gt_u32_e32 vcc_lo, s3, v8
	s_waitcnt vmcnt(0)
	ds_store_b128 v7, v[11:14] offset:49152
	s_and_saveexec_b32 s3, vcc_lo
	s_delay_alu instid0(SALU_CYCLE_1)
	s_xor_b32 s3, exec_lo, s3
	s_cbranch_execz .LBB261_15
; %bb.14:
	v_add_co_u32 v8, vcc_lo, 0xe000, v9
	v_add_co_ci_u32_e32 v9, vcc_lo, 0, v10, vcc_lo
	global_load_b128 v[8:11], v[8:9], off
	s_waitcnt vmcnt(0)
	ds_store_b128 v7, v[8:11] offset:57344
.LBB261_15:
	s_or_b32 exec_lo, exec_lo, s2
	v_cmp_gt_u32_e32 vcc_lo, s20, v5
	v_cmp_gt_u32_e64 s2, s11, v69
	s_waitcnt lgkmcnt(0)
	s_barrier
	buffer_gl0_inv
	s_and_b32 s2, vcc_lo, s2
	s_delay_alu instid0(SALU_CYCLE_1)
	s_and_saveexec_b32 s3, s2
	s_cbranch_execz .LBB261_162
; %bb.16:
	s_clause 0x1
	s_load_b128 s[12:15], s[0:1], 0x28
	s_load_b64 s[6:7], s[0:1], 0x18
	s_cmp_lg_u32 s8, 0
	s_mul_i32 s2, s20, s21
	s_cselect_b32 s23, -1, 0
	s_add_i32 s24, s8, -8
	s_add_i32 s25, s11, -1
	v_cvt_f32_u32_e32 v7, s18
	v_mbcnt_lo_u32_b32 v8, -1, 0
	v_cmp_eq_u32_e64 s0, 31, v6
	v_mad_u64_u32 v[72:73], null, s10, 3, v[0:1]
	v_add_nc_u32_e32 v91, s10, v0
	v_lshlrev_b32_e32 v90, 4, v6
	v_xor_b32_e32 v6, 16, v8
	s_delay_alu instid0(VALU_DEP_1)
	v_cmp_gt_i32_e32 vcc_lo, 32, v6
	s_waitcnt lgkmcnt(0)
	s_cmp_lg_u64 s[12:13], 0
	v_mov_b32_e32 v71, 0
	s_cselect_b32 s26, -1, 0
	s_abs_i32 s1, s19
	v_cndmask_b32_e32 v6, v8, v6, vcc_lo
	v_cvt_f32_u32_e32 v5, s1
	s_lshl_b32 s20, s2, 2
	s_sub_i32 s2, 0, s1
	s_add_i32 s21, s11, -4
	s_sub_i32 s4, 0, s18
	v_rcp_iflag_f32_e32 v5, v5
	s_sub_i32 s5, 1, s1
	s_mov_b32 s19, 0
	s_waitcnt_depctr 0xfff
	v_dual_mul_f32 v5, 0x4f7ffffe, v5 :: v_dual_lshlrev_b32 v92, 2, v6
	s_delay_alu instid0(VALU_DEP_1) | instskip(NEXT) | instid1(VALU_DEP_1)
	v_cvt_u32_f32_e32 v5, v5
	v_readfirstlane_b32 s3, v5
	v_rcp_iflag_f32_e32 v5, v7
	s_delay_alu instid0(VALU_DEP_1) | instskip(NEXT) | instid1(SALU_CYCLE_1)
	s_mul_i32 s2, s2, s3
	s_mul_hi_u32 s2, s3, s2
	s_delay_alu instid0(SALU_CYCLE_1) | instskip(SKIP_4) | instid1(SALU_CYCLE_1)
	s_add_i32 s3, s3, s2
	s_cmp_lt_u32 s1, 2
	s_waitcnt_depctr 0xfff
	v_mul_f32_e32 v5, 0x4f7ffffe, v5
	s_cselect_b32 s2, s5, 1
	s_sub_i32 s5, s2, s1
	s_cmp_ge_u32 s2, s1
	s_delay_alu instid0(VALU_DEP_1)
	v_cvt_u32_f32_e32 v5, v5
	s_cselect_b32 s28, s5, s2
	s_lshr_b32 s2, s3, 31
	s_mul_hi_u32 s3, s3, 3
	s_mul_i32 s2, s2, s1
	v_mul_lo_u32 v7, s4, v5
	s_sub_i32 s2, 2, s2
	s_mul_i32 s3, s3, s1
	s_sub_i32 s5, s2, s1
	s_cmp_ge_u32 s2, s1
	s_mul_i32 s28, s28, s18
	s_cselect_b32 s2, s5, s2
	s_delay_alu instid0(SALU_CYCLE_1)
	s_sub_i32 s4, s2, s1
	s_cmp_ge_u32 s2, s1
	v_mul_hi_u32 v7, v5, v7
	s_cselect_b32 s29, s4, s2
	s_sub_i32 s2, 3, s3
	s_mul_i32 s29, s29, s18
	s_sub_i32 s3, s2, s1
	s_cmp_ge_u32 s2, s1
	s_cselect_b32 s2, s3, s2
	s_delay_alu instid0(VALU_DEP_1)
	v_add_nc_u32_e32 v93, v5, v7
	s_sub_i32 s3, s2, s1
	s_cmp_ge_u32 s2, s1
	s_cselect_b32 s30, s3, s2
	s_lshl_b32 s27, s10, 1
	s_mul_i32 s30, s30, s18
	v_add_nc_u32_e32 v94, s27, v0
	s_mul_i32 s10, s10, 6
	s_branch .LBB261_19
.LBB261_17:                             ;   in Loop: Header=BB261_19 Depth=1
	s_or_b32 exec_lo, exec_lo, s33
	v_mov_b32_e32 v69, s21
.LBB261_18:                             ;   in Loop: Header=BB261_19 Depth=1
	s_or_b32 exec_lo, exec_lo, s31
	s_delay_alu instid0(VALU_DEP_1) | instskip(SKIP_1) | instid1(SALU_CYCLE_1)
	v_cmp_le_u32_e32 vcc_lo, s11, v69
	s_or_b32 s19, vcc_lo, s19
	s_and_not1_b32 exec_lo, exec_lo, s19
	s_cbranch_execz .LBB261_162
.LBB261_19:                             ; =>This Loop Header: Depth=1
                                        ;     Child Loop BB261_24 Depth 2
                                        ;     Child Loop BB261_160 Depth 2
	v_dual_mov_b32 v96, v71 :: v_dual_add_nc_u32 v75, 1, v69
	v_dual_mov_b32 v95, v71 :: v_dual_add_nc_u32 v74, 2, v69
	;; [unrolled: 1-line block ×3, first 2 shown]
	v_mov_b32_e32 v97, v71
	v_mov_b32_e32 v104, v71
	;; [unrolled: 1-line block ×13, first 2 shown]
	s_and_not1_b32 vcc_lo, exec_lo, s23
	s_cbranch_vccnz .LBB261_58
; %bb.20:                               ;   in Loop: Header=BB261_19 Depth=1
	v_min_u32_e32 v5, s25, v69
	s_waitcnt lgkmcnt(0)
	v_min_u32_e32 v6, s25, v75
	v_min_u32_e32 v7, s25, v74
	;; [unrolled: 1-line block ×3, first 2 shown]
	v_dual_mov_b32 v10, v71 :: v_dual_mov_b32 v109, 0
	v_mul_lo_u32 v70, v5, s9
	v_mul_lo_u32 v5, v6, s9
	v_mul_lo_u32 v7, v7, s9
	v_mul_lo_u32 v9, v8, s9
	v_dual_mov_b32 v6, v71 :: v_dual_mov_b32 v105, v90
	v_dual_mov_b32 v8, v71 :: v_dual_mov_b32 v111, 0
	v_lshlrev_b64 v[76:77], 1, v[70:71]
	s_delay_alu instid0(VALU_DEP_3) | instskip(SKIP_1) | instid1(VALU_DEP_4)
	v_lshlrev_b64 v[78:79], 1, v[5:6]
	v_dual_mov_b32 v108, 0 :: v_dual_mov_b32 v107, 0
	v_lshlrev_b64 v[80:81], 1, v[7:8]
	v_lshlrev_b64 v[82:83], 1, v[9:10]
	v_dual_mov_b32 v110, 0 :: v_dual_mov_b32 v103, 0
	v_dual_mov_b32 v106, 0 :: v_dual_mov_b32 v101, 0
	;; [unrolled: 1-line block ×5, first 2 shown]
	v_mov_b32_e32 v98, 0
	v_mov_b32_e32 v96, 0
	s_mov_b32 s1, 0
	s_branch .LBB261_24
.LBB261_21:                             ;   in Loop: Header=BB261_24 Depth=2
	s_or_b32 exec_lo, exec_lo, s4
.LBB261_22:                             ;   in Loop: Header=BB261_24 Depth=2
	s_delay_alu instid0(SALU_CYCLE_1)
	s_or_b32 exec_lo, exec_lo, s3
.LBB261_23:                             ;   in Loop: Header=BB261_24 Depth=2
	s_delay_alu instid0(SALU_CYCLE_1)
	s_or_b32 exec_lo, exec_lo, s2
	s_waitcnt vmcnt(0) lgkmcnt(0)
	v_and_b32_e32 v118, 0xffff0000, v62
	v_lshlrev_b32_e32 v119, 16, v62
	v_and_b32_e32 v120, 0xffff0000, v63
	v_and_b32_e32 v62, 0xffff0000, v59
	;; [unrolled: 1-line block ×4, first 2 shown]
	v_lshlrev_b32_e32 v117, 16, v61
	v_lshlrev_b32_e32 v61, 16, v57
	v_lshlrev_b32_e32 v121, 16, v63
	v_dual_mul_f32 v87, v120, v62 :: v_dual_and_b32 v70, 0xffff0000, v57
	v_lshlrev_b32_e32 v122, 16, v64
	v_lshlrev_b32_e32 v57, 16, v58
	;; [unrolled: 1-line block ×3, first 2 shown]
	v_dual_mul_f32 v86, v118, v84 :: v_dual_and_b32 v115, 0xffff0000, v41
	v_lshlrev_b32_e32 v114, 16, v41
	s_delay_alu instid0(VALU_DEP_3) | instskip(NEXT) | instid1(VALU_DEP_3)
	v_dual_fmac_f32 v87, v121, v58 :: v_dual_lshlrev_b32 v134, 16, v68
	v_dual_mul_f32 v85, v116, v70 :: v_dual_fmac_f32 v86, v119, v57
	v_and_b32_e32 v133, 0xffff0000, v68
	v_add_nc_u32_e32 v105, 0x400, v105
	s_addk_i32 s1, 0x200
	s_delay_alu instid0(VALU_DEP_3) | instskip(SKIP_3) | instid1(VALU_DEP_3)
	v_fmac_f32_e32 v85, v117, v61
	s_cmp_ge_u32 s1, s8
	v_lshlrev_b32_e32 v128, 16, v65
	v_lshlrev_b32_e32 v130, 16, v66
	v_dual_add_f32 v59, v108, v85 :: v_dual_lshlrev_b32 v132, 16, v67
	v_and_b32_e32 v108, 0xffff0000, v64
	s_delay_alu instid0(VALU_DEP_2) | instskip(SKIP_1) | instid1(VALU_DEP_2)
	v_dual_add_f32 v88, v59, v86 :: v_dual_lshlrev_b32 v63, 16, v49
	v_and_b32_e32 v59, 0xffff0000, v51
	v_dual_add_f32 v87, v88, v87 :: v_dual_and_b32 v86, 0xffff0000, v50
	v_lshlrev_b32_e32 v50, 16, v50
	s_delay_alu instid0(VALU_DEP_2) | instskip(SKIP_3) | instid1(VALU_DEP_3)
	v_mul_f32_e32 v112, v118, v86
	v_mul_f32_e32 v126, v116, v115
	v_lshlrev_b32_e32 v51, 16, v51
	v_and_b32_e32 v85, 0xffff0000, v49
	v_dual_fmac_f32 v126, v117, v114 :: v_dual_lshlrev_b32 v49, 16, v60
	v_and_b32_e32 v64, 0xffff0000, v60
	s_delay_alu instid0(VALU_DEP_2) | instskip(NEXT) | instid1(VALU_DEP_2)
	v_add_f32_e32 v110, v110, v126
	v_mul_f32_e32 v60, v108, v64
	v_and_b32_e32 v126, 0xffff0000, v17
	s_delay_alu instid0(VALU_DEP_2) | instskip(NEXT) | instid1(VALU_DEP_1)
	v_fmac_f32_e32 v60, v122, v49
	v_add_f32_e32 v123, v87, v60
	v_dual_fmac_f32 v112, v119, v50 :: v_dual_mul_f32 v89, v116, v85
	v_and_b32_e32 v87, 0xffff0000, v52
	s_delay_alu instid0(VALU_DEP_1) | instskip(NEXT) | instid1(VALU_DEP_3)
	v_mul_f32_e32 v124, v108, v87
	v_fmac_f32_e32 v89, v117, v63
	s_delay_alu instid0(VALU_DEP_1) | instskip(SKIP_1) | instid1(VALU_DEP_2)
	v_add_f32_e32 v89, v111, v89
	v_mul_f32_e32 v111, v120, v59
	v_add_f32_e32 v89, v89, v112
	s_delay_alu instid0(VALU_DEP_2) | instskip(NEXT) | instid1(VALU_DEP_1)
	v_dual_fmac_f32 v111, v121, v51 :: v_dual_and_b32 v88, 0xffff0000, v45
	v_dual_add_f32 v111, v89, v111 :: v_dual_lshlrev_b32 v60, 16, v45
	s_delay_alu instid0(VALU_DEP_2) | instskip(SKIP_3) | instid1(VALU_DEP_4)
	v_mul_f32_e32 v113, v116, v88
	v_lshlrev_b32_e32 v45, 16, v52
	v_and_b32_e32 v89, 0xffff0000, v46
	v_lshlrev_b32_e32 v52, 16, v46
	v_dual_fmac_f32 v113, v117, v60 :: v_dual_and_b32 v116, 0xffff0000, v42
	v_and_b32_e32 v112, 0xffff0000, v47
	v_fmac_f32_e32 v124, v122, v45
	v_mul_f32_e32 v46, v118, v89
	s_delay_alu instid0(VALU_DEP_4) | instskip(SKIP_2) | instid1(VALU_DEP_4)
	v_dual_mul_f32 v117, v118, v116 :: v_dual_lshlrev_b32 v42, 16, v42
	v_add_f32_e32 v109, v109, v113
	v_mul_f32_e32 v125, v120, v112
	v_fmac_f32_e32 v46, v119, v52
	v_add_f32_e32 v111, v111, v124
	v_fmac_f32_e32 v117, v119, v42
	v_lshlrev_b32_e32 v41, 16, v48
	s_delay_alu instid0(VALU_DEP_4) | instskip(SKIP_1) | instid1(VALU_DEP_4)
	v_dual_add_f32 v109, v109, v46 :: v_dual_and_b32 v118, 0xffff0000, v37
	v_and_b32_e32 v46, 0xffff0000, v48
	v_dual_add_f32 v110, v110, v117 :: v_dual_lshlrev_b32 v117, 16, v44
	v_and_b32_e32 v129, 0xffff0000, v66
	s_delay_alu instid0(VALU_DEP_3)
	v_dual_mul_f32 v48, v108, v46 :: v_dual_and_b32 v127, 0xffff0000, v65
	v_lshlrev_b32_e32 v113, 16, v47
	v_and_b32_e32 v65, 0xffff0000, v44
	v_and_b32_e32 v47, 0xffff0000, v43
	v_lshlrev_b32_e32 v66, 16, v38
	v_fmac_f32_e32 v48, v122, v41
	v_fmac_f32_e32 v125, v121, v113
	v_mul_f32_e32 v108, v108, v65
	v_dual_mul_f32 v119, v120, v47 :: v_dual_lshlrev_b32 v68, 16, v30
	s_delay_alu instid0(VALU_DEP_3) | instskip(NEXT) | instid1(VALU_DEP_1)
	v_add_f32_e32 v109, v109, v125
	v_dual_fmac_f32 v108, v122, v117 :: v_dual_add_f32 v109, v109, v48
	v_dual_mul_f32 v37, v127, v118 :: v_dual_lshlrev_b32 v48, 16, v37
	s_delay_alu instid0(VALU_DEP_1) | instskip(NEXT) | instid1(VALU_DEP_1)
	v_fmac_f32_e32 v37, v128, v48
	v_dual_add_f32 v120, v123, v37 :: v_dual_lshlrev_b32 v43, 16, v43
	s_delay_alu instid0(VALU_DEP_1) | instskip(NEXT) | instid1(VALU_DEP_1)
	v_fmac_f32_e32 v119, v121, v43
	v_dual_add_f32 v110, v110, v119 :: v_dual_and_b32 v119, 0xffff0000, v38
	v_and_b32_e32 v38, 0xffff0000, v39
	v_lshlrev_b32_e32 v37, 16, v39
	v_lshlrev_b32_e32 v39, 16, v40
	s_delay_alu instid0(VALU_DEP_4) | instskip(SKIP_1) | instid1(VALU_DEP_1)
	v_add_f32_e32 v110, v110, v108
	v_mul_f32_e32 v44, v129, v119
	v_fmac_f32_e32 v44, v130, v66
	s_delay_alu instid0(VALU_DEP_1) | instskip(SKIP_3) | instid1(VALU_DEP_2)
	v_add_f32_e32 v120, v120, v44
	v_and_b32_e32 v44, 0xffff0000, v40
	v_and_b32_e32 v131, 0xffff0000, v67
	v_lshlrev_b32_e32 v40, 16, v29
	v_dual_mul_f32 v122, v133, v44 :: v_dual_mul_f32 v121, v131, v38
	s_delay_alu instid0(VALU_DEP_1) | instskip(NEXT) | instid1(VALU_DEP_1)
	v_fmac_f32_e32 v121, v132, v37
	v_dual_add_f32 v121, v120, v121 :: v_dual_and_b32 v120, 0xffff0000, v30
	s_delay_alu instid0(VALU_DEP_1) | instskip(NEXT) | instid1(VALU_DEP_1)
	v_dual_mul_f32 v30, v129, v120 :: v_dual_and_b32 v67, 0xffff0000, v29
	v_mul_f32_e32 v29, v127, v67
	s_delay_alu instid0(VALU_DEP_1) | instskip(NEXT) | instid1(VALU_DEP_1)
	v_dual_fmac_f32 v122, v134, v39 :: v_dual_fmac_f32 v29, v128, v40
	v_add_f32_e32 v108, v121, v122
	v_and_b32_e32 v122, 0xffff0000, v25
	s_delay_alu instid0(VALU_DEP_3)
	v_add_f32_e32 v111, v111, v29
	v_dual_fmac_f32 v30, v130, v68 :: v_dual_and_b32 v121, 0xffff0000, v31
	v_lshlrev_b32_e32 v124, 16, v31
	v_lshlrev_b32_e32 v29, 16, v25
	v_mul_f32_e32 v125, v127, v122
	v_and_b32_e32 v31, 0xffff0000, v32
	v_lshlrev_b32_e32 v25, 16, v32
	v_dual_mul_f32 v127, v127, v126 :: v_dual_and_b32 v32, 0xffff0000, v27
	s_delay_alu instid0(VALU_DEP_4) | instskip(SKIP_1) | instid1(VALU_DEP_3)
	v_fmac_f32_e32 v125, v128, v29
	v_mul_f32_e32 v123, v131, v121
	v_mul_f32_e32 v137, v131, v32
	s_delay_alu instid0(VALU_DEP_3) | instskip(SKIP_1) | instid1(VALU_DEP_4)
	v_add_f32_e32 v109, v109, v125
	v_lshlrev_b32_e32 v125, 16, v17
	v_fmac_f32_e32 v123, v132, v124
	v_lshlrev_b32_e32 v17, 16, v28
	s_delay_alu instid0(VALU_DEP_3) | instskip(NEXT) | instid1(VALU_DEP_1)
	v_fmac_f32_e32 v127, v128, v125
	v_add_f32_e32 v110, v110, v127
	v_dual_mul_f32 v136, v133, v31 :: v_dual_add_f32 v111, v111, v30
	v_and_b32_e32 v30, 0xffff0000, v26
	v_and_b32_e32 v127, 0xffff0000, v19
	s_delay_alu instid0(VALU_DEP_3) | instskip(NEXT) | instid1(VALU_DEP_4)
	v_dual_fmac_f32 v136, v134, v25 :: v_dual_lshlrev_b32 v19, 16, v19
	v_add_f32_e32 v111, v111, v123
	v_and_b32_e32 v123, 0xffff0000, v28
	v_and_b32_e32 v28, 0xffff0000, v18
	v_lshlrev_b32_e32 v18, 16, v18
	v_lshlrev_b32_e32 v26, 16, v26
	v_mul_f32_e32 v135, v129, v30
	s_delay_alu instid0(VALU_DEP_4) | instskip(SKIP_1) | instid1(VALU_DEP_3)
	v_dual_mul_f32 v128, v129, v28 :: v_dual_and_b32 v129, 0xffff0000, v33
	v_add_f32_e32 v111, v111, v136
	v_fmac_f32_e32 v135, v130, v26
	s_delay_alu instid0(VALU_DEP_3) | instskip(SKIP_2) | instid1(VALU_DEP_3)
	v_dual_fmac_f32 v128, v130, v18 :: v_dual_lshlrev_b32 v27, 16, v27
	v_mul_f32_e32 v130, v131, v127
	v_mul_f32_e32 v136, v129, v88
	v_add_f32_e32 v110, v110, v128
	v_dual_add_f32 v109, v109, v135 :: v_dual_and_b32 v128, 0xffff0000, v20
	v_dual_fmac_f32 v137, v132, v27 :: v_dual_lshlrev_b32 v20, 16, v20
	v_fmac_f32_e32 v130, v132, v19
	v_mul_f32_e32 v135, v133, v123
	s_delay_alu instid0(VALU_DEP_4) | instskip(SKIP_1) | instid1(VALU_DEP_4)
	v_dual_mul_f32 v133, v133, v128 :: v_dual_and_b32 v132, 0xffff0000, v34
	v_lshlrev_b32_e32 v34, 16, v34
	v_dual_add_f32 v110, v110, v130 :: v_dual_lshlrev_b32 v33, 16, v33
	s_delay_alu instid0(VALU_DEP_3) | instskip(SKIP_1) | instid1(VALU_DEP_3)
	v_fmac_f32_e32 v133, v134, v20
	v_dual_add_f32 v109, v109, v137 :: v_dual_and_b32 v130, 0xffff0000, v35
	v_fmac_f32_e32 v136, v33, v60
	s_delay_alu instid0(VALU_DEP_3)
	v_add_f32_e32 v110, v110, v133
	v_fmac_f32_e32 v135, v134, v17
	v_and_b32_e32 v133, 0xffff0000, v36
	v_lshlrev_b32_e32 v36, 16, v36
	v_add_f32_e32 v102, v102, v136
	v_mul_f32_e32 v134, v129, v85
	v_add_f32_e32 v109, v109, v135
	v_mul_f32_e32 v131, v129, v70
	v_dual_mul_f32 v135, v132, v84 :: v_dual_mul_f32 v136, v133, v87
	s_delay_alu instid0(VALU_DEP_4) | instskip(SKIP_1) | instid1(VALU_DEP_3)
	v_fmac_f32_e32 v134, v33, v63
	v_mul_f32_e32 v129, v129, v115
	v_fmac_f32_e32 v135, v34, v57
	s_delay_alu instid0(VALU_DEP_4) | instskip(NEXT) | instid1(VALU_DEP_4)
	v_fmac_f32_e32 v136, v36, v45
	v_add_f32_e32 v106, v106, v134
	v_mul_f32_e32 v134, v132, v89
	s_delay_alu instid0(VALU_DEP_1) | instskip(SKIP_1) | instid1(VALU_DEP_2)
	v_dual_fmac_f32 v134, v34, v52 :: v_dual_fmac_f32 v131, v33, v61
	v_fmac_f32_e32 v129, v33, v114
	v_dual_add_f32 v102, v102, v134 :: v_dual_add_f32 v107, v107, v131
	v_dual_mul_f32 v134, v133, v46 :: v_dual_lshlrev_b32 v35, 16, v35
	s_delay_alu instid0(VALU_DEP_3) | instskip(NEXT) | instid1(VALU_DEP_2)
	v_dual_mul_f32 v131, v130, v62 :: v_dual_add_f32 v100, v100, v129
	v_dual_add_f32 v107, v107, v135 :: v_dual_fmac_f32 v134, v36, v41
	v_and_b32_e32 v129, 0xffff0000, v53
	s_delay_alu instid0(VALU_DEP_3) | instskip(SKIP_1) | instid1(VALU_DEP_2)
	v_fmac_f32_e32 v131, v35, v58
	v_lshlrev_b32_e32 v53, 16, v53
	v_add_f32_e32 v107, v107, v131
	v_mul_f32_e32 v131, v132, v86
	s_delay_alu instid0(VALU_DEP_1) | instskip(NEXT) | instid1(VALU_DEP_1)
	v_fmac_f32_e32 v131, v34, v50
	v_add_f32_e32 v106, v106, v131
	v_mul_f32_e32 v131, v130, v112
	s_delay_alu instid0(VALU_DEP_1) | instskip(NEXT) | instid1(VALU_DEP_1)
	v_fmac_f32_e32 v131, v35, v113
	v_dual_add_f32 v33, v102, v131 :: v_dual_mul_f32 v102, v132, v116
	s_delay_alu instid0(VALU_DEP_1) | instskip(SKIP_1) | instid1(VALU_DEP_2)
	v_dual_fmac_f32 v102, v34, v42 :: v_dual_mul_f32 v135, v133, v64
	v_mul_f32_e32 v34, v130, v47
	v_add_f32_e32 v100, v100, v102
	s_delay_alu instid0(VALU_DEP_3) | instskip(NEXT) | instid1(VALU_DEP_3)
	v_dual_fmac_f32 v135, v36, v49 :: v_dual_and_b32 v102, 0xffff0000, v54
	v_fmac_f32_e32 v34, v35, v43
	s_delay_alu instid0(VALU_DEP_2) | instskip(NEXT) | instid1(VALU_DEP_2)
	v_dual_add_f32 v107, v107, v135 :: v_dual_lshlrev_b32 v54, 16, v54
	v_dual_mul_f32 v135, v130, v59 :: v_dual_add_f32 v34, v100, v34
	s_delay_alu instid0(VALU_DEP_4) | instskip(SKIP_1) | instid1(VALU_DEP_3)
	v_dual_mul_f32 v130, v129, v118 :: v_dual_mul_f32 v131, v102, v119
	v_and_b32_e32 v100, 0xffff0000, v55
	v_fmac_f32_e32 v135, v35, v51
	v_mul_f32_e32 v35, v133, v65
	s_delay_alu instid0(VALU_DEP_4) | instskip(SKIP_1) | instid1(VALU_DEP_2)
	v_dual_fmac_f32 v130, v53, v48 :: v_dual_fmac_f32 v131, v54, v66
	v_lshlrev_b32_e32 v55, 16, v55
	v_dual_fmac_f32 v35, v36, v117 :: v_dual_add_f32 v36, v107, v130
	s_delay_alu instid0(VALU_DEP_1) | instskip(NEXT) | instid1(VALU_DEP_2)
	v_dual_add_f32 v34, v34, v35 :: v_dual_and_b32 v35, 0xffff0000, v56
	v_dual_mul_f32 v133, v102, v120 :: v_dual_add_f32 v36, v36, v131
	v_lshlrev_b32_e32 v56, 16, v56
	s_delay_alu instid0(VALU_DEP_3) | instskip(NEXT) | instid1(VALU_DEP_3)
	v_dual_add_f32 v106, v106, v135 :: v_dual_mul_f32 v131, v35, v44
	v_fmac_f32_e32 v133, v54, v68
	s_delay_alu instid0(VALU_DEP_2) | instskip(NEXT) | instid1(VALU_DEP_1)
	v_dual_mul_f32 v107, v100, v38 :: v_dual_add_f32 v106, v106, v136
	v_fmac_f32_e32 v107, v55, v37
	s_delay_alu instid0(VALU_DEP_1) | instskip(SKIP_3) | instid1(VALU_DEP_3)
	v_add_f32_e32 v36, v36, v107
	v_mul_f32_e32 v130, v129, v67
	v_mul_f32_e32 v132, v129, v122
	;; [unrolled: 1-line block ×3, first 2 shown]
	v_fmac_f32_e32 v130, v53, v40
	v_add_f32_e32 v33, v33, v134
	s_delay_alu instid0(VALU_DEP_4) | instskip(NEXT) | instid1(VALU_DEP_3)
	v_fmac_f32_e32 v132, v53, v29
	v_dual_fmac_f32 v129, v53, v125 :: v_dual_add_f32 v106, v106, v130
	v_mul_f32_e32 v130, v102, v30
	s_delay_alu instid0(VALU_DEP_2) | instskip(NEXT) | instid1(VALU_DEP_2)
	v_add_f32_e32 v34, v34, v129
	v_dual_fmac_f32 v130, v54, v26 :: v_dual_fmac_f32 v131, v56, v39
	s_delay_alu instid0(VALU_DEP_1) | instskip(SKIP_2) | instid1(VALU_DEP_2)
	v_add_f32_e32 v107, v36, v131
	v_dual_mul_f32 v36, v100, v121 :: v_dual_add_f32 v33, v33, v132
	v_mul_f32_e32 v132, v35, v31
	v_fmac_f32_e32 v36, v55, v124
	s_delay_alu instid0(VALU_DEP_2) | instskip(SKIP_2) | instid1(VALU_DEP_2)
	v_dual_fmac_f32 v132, v56, v25 :: v_dual_add_f32 v33, v33, v130
	v_mul_f32_e32 v130, v35, v123
	v_dual_add_f32 v106, v106, v133 :: v_dual_mul_f32 v35, v35, v128
	v_fmac_f32_e32 v130, v56, v17
	s_delay_alu instid0(VALU_DEP_2) | instskip(SKIP_1) | instid1(VALU_DEP_4)
	v_add_f32_e32 v36, v106, v36
	v_mul_f32_e32 v131, v100, v32
	v_fmac_f32_e32 v35, v56, v20
	s_delay_alu instid0(VALU_DEP_3) | instskip(SKIP_4) | instid1(VALU_DEP_2)
	v_add_f32_e32 v106, v36, v132
	v_and_b32_e32 v36, 0xffff0000, v13
	v_lshlrev_b32_e32 v13, 16, v13
	v_mul_f32_e32 v53, v102, v28
	v_fmac_f32_e32 v131, v55, v27
	v_fmac_f32_e32 v53, v54, v18
	v_mul_f32_e32 v54, v36, v70
	s_delay_alu instid0(VALU_DEP_2) | instskip(NEXT) | instid1(VALU_DEP_2)
	v_add_f32_e32 v34, v34, v53
	v_fmac_f32_e32 v54, v13, v61
	s_delay_alu instid0(VALU_DEP_1) | instskip(NEXT) | instid1(VALU_DEP_1)
	v_dual_add_f32 v33, v33, v131 :: v_dual_add_f32 v54, v103, v54
	v_dual_add_f32 v102, v33, v130 :: v_dual_mul_f32 v33, v100, v127
	v_and_b32_e32 v53, 0xffff0000, v14
	s_delay_alu instid0(VALU_DEP_2) | instskip(NEXT) | instid1(VALU_DEP_1)
	v_dual_fmac_f32 v33, v55, v19 :: v_dual_lshlrev_b32 v14, 16, v14
	v_dual_add_f32 v33, v34, v33 :: v_dual_and_b32 v34, 0xffff0000, v15
	s_delay_alu instid0(VALU_DEP_1) | instskip(NEXT) | instid1(VALU_DEP_1)
	v_dual_mul_f32 v56, v34, v62 :: v_dual_lshlrev_b32 v15, 16, v15
	v_dual_mul_f32 v55, v53, v84 :: v_dual_fmac_f32 v56, v15, v58
	s_delay_alu instid0(VALU_DEP_1) | instskip(NEXT) | instid1(VALU_DEP_1)
	v_fmac_f32_e32 v55, v14, v57
	v_dual_add_f32 v54, v54, v55 :: v_dual_mul_f32 v103, v53, v86
	s_delay_alu instid0(VALU_DEP_1) | instskip(SKIP_4) | instid1(VALU_DEP_4)
	v_dual_mul_f32 v129, v53, v89 :: v_dual_add_f32 v54, v54, v56
	v_mul_f32_e32 v56, v36, v88
	v_dual_add_f32 v100, v33, v35 :: v_dual_and_b32 v33, 0xffff0000, v16
	v_dual_mul_f32 v35, v36, v85 :: v_dual_lshlrev_b32 v16, 16, v16
	v_mul_f32_e32 v36, v36, v115
	v_fmac_f32_e32 v56, v13, v60
	s_delay_alu instid0(VALU_DEP_4) | instskip(NEXT) | instid1(VALU_DEP_1)
	v_mul_f32_e32 v55, v33, v64
	v_dual_fmac_f32 v36, v13, v114 :: v_dual_fmac_f32 v55, v16, v49
	s_delay_alu instid0(VALU_DEP_1) | instskip(SKIP_1) | instid1(VALU_DEP_3)
	v_add_f32_e32 v36, v104, v36
	v_and_b32_e32 v104, 0xffff0000, v22
	v_dual_add_f32 v54, v54, v55 :: v_dual_add_f32 v55, v99, v56
	v_dual_mul_f32 v56, v34, v112 :: v_dual_fmac_f32 v35, v13, v63
	v_mul_f32_e32 v13, v53, v116
	v_and_b32_e32 v53, 0xffff0000, v21
	v_lshlrev_b32_e32 v22, 16, v22
	s_delay_alu instid0(VALU_DEP_4)
	v_dual_fmac_f32 v56, v15, v113 :: v_dual_add_f32 v35, v101, v35
	v_mul_f32_e32 v101, v34, v59
	v_fmac_f32_e32 v13, v14, v42
	v_mul_f32_e32 v34, v34, v47
	v_fmac_f32_e32 v129, v14, v52
	v_dual_fmac_f32 v103, v14, v50 :: v_dual_lshlrev_b32 v14, 16, v21
	s_delay_alu instid0(VALU_DEP_3) | instskip(SKIP_1) | instid1(VALU_DEP_3)
	v_dual_add_f32 v13, v36, v13 :: v_dual_fmac_f32 v34, v15, v43
	v_dual_mul_f32 v21, v53, v118 :: v_dual_mul_f32 v36, v104, v119
	v_add_f32_e32 v35, v35, v103
	s_delay_alu instid0(VALU_DEP_3) | instskip(SKIP_1) | instid1(VALU_DEP_4)
	v_add_f32_e32 v13, v13, v34
	v_dual_mul_f32 v34, v53, v67 :: v_dual_add_f32 v55, v55, v129
	v_fmac_f32_e32 v21, v14, v48
	v_fmac_f32_e32 v36, v22, v66
	s_delay_alu instid0(VALU_DEP_3) | instskip(NEXT) | instid1(VALU_DEP_4)
	v_fmac_f32_e32 v34, v14, v40
	v_dual_add_f32 v55, v55, v56 :: v_dual_mul_f32 v56, v33, v46
	v_fmac_f32_e32 v101, v15, v51
	v_and_b32_e32 v15, 0xffff0000, v23
	v_mul_f32_e32 v99, v33, v87
	v_mul_f32_e32 v33, v33, v65
	v_lshlrev_b32_e32 v23, 16, v23
	s_delay_alu instid0(VALU_DEP_4) | instskip(NEXT) | instid1(VALU_DEP_4)
	v_dual_add_f32 v21, v54, v21 :: v_dual_mul_f32 v54, v15, v38
	v_fmac_f32_e32 v99, v16, v45
	v_fmac_f32_e32 v56, v16, v41
	v_add_f32_e32 v35, v35, v101
	s_delay_alu instid0(VALU_DEP_4) | instskip(SKIP_1) | instid1(VALU_DEP_3)
	v_dual_fmac_f32 v33, v16, v117 :: v_dual_add_f32 v16, v21, v36
	v_fmac_f32_e32 v54, v23, v37
	v_dual_mul_f32 v36, v104, v120 :: v_dual_add_f32 v21, v35, v99
	s_delay_alu instid0(VALU_DEP_2) | instskip(SKIP_1) | instid1(VALU_DEP_3)
	v_add_f32_e32 v16, v16, v54
	v_dual_mul_f32 v54, v53, v122 :: v_dual_add_f32 v35, v55, v56
	v_dual_add_f32 v21, v21, v34 :: v_dual_fmac_f32 v36, v22, v68
	v_mul_f32_e32 v34, v104, v30
	s_delay_alu instid0(VALU_DEP_3) | instskip(SKIP_1) | instid1(VALU_DEP_3)
	v_fmac_f32_e32 v54, v14, v29
	v_dual_mul_f32 v56, v15, v121 :: v_dual_mul_f32 v53, v53, v126
	v_dual_add_f32 v21, v21, v36 :: v_dual_fmac_f32 v34, v22, v26
	s_delay_alu instid0(VALU_DEP_3) | instskip(NEXT) | instid1(VALU_DEP_3)
	v_add_f32_e32 v35, v35, v54
	v_dual_mul_f32 v36, v15, v32 :: v_dual_fmac_f32 v53, v14, v125
	s_delay_alu instid0(VALU_DEP_4) | instskip(NEXT) | instid1(VALU_DEP_3)
	v_fmac_f32_e32 v56, v23, v124
	v_add_f32_e32 v34, v35, v34
	s_delay_alu instid0(VALU_DEP_3) | instskip(NEXT) | instid1(VALU_DEP_3)
	v_dual_fmac_f32 v36, v23, v27 :: v_dual_add_f32 v13, v13, v33
	v_add_f32_e32 v21, v21, v56
	s_delay_alu instid0(VALU_DEP_2) | instskip(SKIP_4) | instid1(VALU_DEP_4)
	v_add_f32_e32 v34, v34, v36
	v_and_b32_e32 v36, 0xffff0000, v5
	v_and_b32_e32 v33, 0xffff0000, v24
	v_lshlrev_b32_e32 v24, 16, v24
	v_lshlrev_b32_e32 v5, 16, v5
	v_dual_add_f32 v13, v13, v53 :: v_dual_mul_f32 v14, v36, v70
	s_delay_alu instid0(VALU_DEP_4) | instskip(NEXT) | instid1(VALU_DEP_1)
	v_mul_f32_e32 v55, v33, v44
	v_dual_fmac_f32 v14, v5, v61 :: v_dual_fmac_f32 v55, v24, v39
	s_delay_alu instid0(VALU_DEP_1) | instskip(SKIP_1) | instid1(VALU_DEP_1)
	v_dual_add_f32 v14, v98, v14 :: v_dual_add_f32 v103, v16, v55
	v_mul_f32_e32 v16, v33, v31
	v_fmac_f32_e32 v16, v24, v25
	s_delay_alu instid0(VALU_DEP_1) | instskip(SKIP_2) | instid1(VALU_DEP_2)
	v_dual_add_f32 v101, v21, v16 :: v_dual_and_b32 v16, 0xffff0000, v6
	v_dual_mul_f32 v35, v33, v123 :: v_dual_lshlrev_b32 v6, 16, v6
	v_mul_f32_e32 v21, v104, v28
	v_fmac_f32_e32 v35, v24, v17
	s_delay_alu instid0(VALU_DEP_2) | instskip(SKIP_1) | instid1(VALU_DEP_3)
	v_dual_fmac_f32 v21, v22, v18 :: v_dual_and_b32 v22, 0xffff0000, v7
	v_lshlrev_b32_e32 v7, 16, v7
	v_dual_add_f32 v99, v34, v35 :: v_dual_mul_f32 v34, v16, v84
	s_delay_alu instid0(VALU_DEP_1) | instskip(NEXT) | instid1(VALU_DEP_1)
	v_fmac_f32_e32 v34, v6, v57
	v_add_f32_e32 v14, v14, v34
	v_mul_f32_e32 v34, v36, v88
	s_delay_alu instid0(VALU_DEP_1) | instskip(NEXT) | instid1(VALU_DEP_1)
	v_dual_fmac_f32 v34, v5, v60 :: v_dual_mul_f32 v15, v15, v127
	v_dual_add_f32 v34, v96, v34 :: v_dual_fmac_f32 v15, v23, v19
	v_mul_f32_e32 v23, v36, v85
	v_dual_mul_f32 v36, v36, v115 :: v_dual_add_f32 v13, v13, v21
	v_mul_f32_e32 v21, v33, v128
	s_delay_alu instid0(VALU_DEP_2) | instskip(NEXT) | instid1(VALU_DEP_4)
	v_fmac_f32_e32 v36, v5, v114
	v_fmac_f32_e32 v23, v5, v63
	s_delay_alu instid0(VALU_DEP_3) | instskip(SKIP_2) | instid1(VALU_DEP_4)
	v_fmac_f32_e32 v21, v24, v20
	v_dual_mul_f32 v24, v16, v86 :: v_dual_add_f32 v13, v13, v15
	v_and_b32_e32 v15, 0xffff0000, v8
	v_dual_add_f32 v23, v97, v23 :: v_dual_lshlrev_b32 v8, 16, v8
	s_delay_alu instid0(VALU_DEP_3) | instskip(SKIP_1) | instid1(VALU_DEP_4)
	v_fmac_f32_e32 v24, v6, v50
	v_mul_f32_e32 v50, v22, v112
	v_mul_f32_e32 v33, v15, v64
	s_delay_alu instid0(VALU_DEP_3) | instskip(SKIP_1) | instid1(VALU_DEP_4)
	v_add_f32_e32 v23, v23, v24
	v_dual_mul_f32 v24, v15, v87 :: v_dual_mul_f32 v35, v22, v62
	v_fmac_f32_e32 v50, v7, v113
	s_delay_alu instid0(VALU_DEP_2) | instskip(NEXT) | instid1(VALU_DEP_1)
	v_dual_fmac_f32 v24, v8, v45 :: v_dual_fmac_f32 v35, v7, v58
	v_add_f32_e32 v14, v14, v35
	v_mul_f32_e32 v35, v22, v59
	v_dual_mul_f32 v22, v22, v47 :: v_dual_fmac_f32 v33, v8, v49
	s_delay_alu instid0(VALU_DEP_2) | instskip(NEXT) | instid1(VALU_DEP_2)
	v_fmac_f32_e32 v35, v7, v51
	v_dual_fmac_f32 v22, v7, v43 :: v_dual_add_f32 v5, v14, v33
	v_and_b32_e32 v33, 0xffff0000, v9
	v_lshlrev_b32_e32 v9, 16, v9
	v_mul_f32_e32 v49, v16, v89
	v_dual_add_f32 v23, v23, v35 :: v_dual_mul_f32 v14, v16, v116
	s_delay_alu instid0(VALU_DEP_2) | instskip(NEXT) | instid1(VALU_DEP_2)
	v_fmac_f32_e32 v49, v6, v52
	v_add_f32_e32 v16, v23, v24
	v_add_f32_e32 v24, v95, v36
	s_delay_alu instid0(VALU_DEP_4) | instskip(SKIP_2) | instid1(VALU_DEP_3)
	v_fmac_f32_e32 v14, v6, v42
	v_add_f32_e32 v104, v13, v21
	v_add_f32_e32 v34, v34, v49
	;; [unrolled: 1-line block ×3, first 2 shown]
	v_and_b32_e32 v24, 0xffff0000, v10
	s_delay_alu instid0(VALU_DEP_3) | instskip(SKIP_3) | instid1(VALU_DEP_3)
	v_add_f32_e32 v23, v34, v50
	v_dual_mul_f32 v34, v33, v118 :: v_dual_mul_f32 v7, v15, v65
	v_mul_f32_e32 v6, v15, v46
	v_add_f32_e32 v14, v14, v22
	v_dual_fmac_f32 v7, v8, v117 :: v_dual_lshlrev_b32 v10, 16, v10
	s_delay_alu instid0(VALU_DEP_3) | instskip(SKIP_1) | instid1(VALU_DEP_3)
	v_fmac_f32_e32 v6, v8, v41
	v_mul_f32_e32 v8, v33, v67
	v_add_f32_e32 v7, v14, v7
	v_and_b32_e32 v14, 0xffff0000, v11
	s_delay_alu instid0(VALU_DEP_4) | instskip(NEXT) | instid1(VALU_DEP_2)
	v_dual_mul_f32 v15, v24, v119 :: v_dual_add_f32 v6, v23, v6
	v_dual_mul_f32 v22, v14, v38 :: v_dual_lshlrev_b32 v11, 16, v11
	v_fmac_f32_e32 v34, v9, v48
	v_fmac_f32_e32 v8, v9, v40
	s_delay_alu instid0(VALU_DEP_2) | instskip(NEXT) | instid1(VALU_DEP_2)
	v_dual_fmac_f32 v22, v11, v37 :: v_dual_add_f32 v5, v5, v34
	v_add_f32_e32 v8, v16, v8
	v_dual_mul_f32 v16, v14, v121 :: v_dual_and_b32 v23, 0xffff0000, v12
	v_dual_fmac_f32 v15, v10, v66 :: v_dual_lshlrev_b32 v12, 16, v12
	s_delay_alu instid0(VALU_DEP_2) | instskip(NEXT) | instid1(VALU_DEP_2)
	v_mul_f32_e32 v34, v23, v44
	v_dual_fmac_f32 v16, v11, v124 :: v_dual_add_f32 v5, v5, v15
	v_mul_f32_e32 v15, v24, v120
	s_delay_alu instid0(VALU_DEP_1) | instskip(NEXT) | instid1(VALU_DEP_1)
	v_dual_fmac_f32 v34, v12, v39 :: v_dual_fmac_f32 v15, v10, v68
	v_dual_add_f32 v8, v8, v15 :: v_dual_mul_f32 v15, v33, v122
	s_delay_alu instid0(VALU_DEP_1) | instskip(NEXT) | instid1(VALU_DEP_2)
	v_add_f32_e32 v8, v8, v16
	v_dual_mul_f32 v16, v24, v30 :: v_dual_fmac_f32 v15, v9, v29
	s_delay_alu instid0(VALU_DEP_1) | instskip(NEXT) | instid1(VALU_DEP_2)
	v_fmac_f32_e32 v16, v10, v26
	v_dual_add_f32 v5, v5, v22 :: v_dual_add_f32 v6, v6, v15
	v_dual_mul_f32 v22, v33, v126 :: v_dual_mul_f32 v29, v23, v31
	s_delay_alu instid0(VALU_DEP_2) | instskip(NEXT) | instid1(VALU_DEP_3)
	v_add_f32_e32 v98, v5, v34
	v_add_f32_e32 v6, v6, v16
	s_delay_alu instid0(VALU_DEP_3) | instskip(NEXT) | instid1(VALU_DEP_1)
	v_dual_fmac_f32 v22, v9, v125 :: v_dual_mul_f32 v9, v24, v28
	v_add_f32_e32 v7, v7, v22
	s_delay_alu instid0(VALU_DEP_2) | instskip(SKIP_2) | instid1(VALU_DEP_2)
	v_fmac_f32_e32 v9, v10, v18
	v_mul_f32_e32 v10, v14, v127
	v_dual_mul_f32 v15, v14, v32 :: v_dual_mul_f32 v14, v23, v123
	v_fmac_f32_e32 v10, v11, v19
	s_delay_alu instid0(VALU_DEP_2) | instskip(SKIP_1) | instid1(VALU_DEP_2)
	v_dual_fmac_f32 v15, v11, v27 :: v_dual_fmac_f32 v14, v12, v17
	v_add_f32_e32 v7, v7, v9
	v_dual_mul_f32 v9, v23, v128 :: v_dual_add_f32 v6, v6, v15
	v_fmac_f32_e32 v29, v12, v25
	s_delay_alu instid0(VALU_DEP_3) | instskip(NEXT) | instid1(VALU_DEP_3)
	v_add_f32_e32 v7, v7, v10
	v_dual_fmac_f32 v9, v12, v20 :: v_dual_add_f32 v96, v6, v14
	s_delay_alu instid0(VALU_DEP_3) | instskip(NEXT) | instid1(VALU_DEP_2)
	v_add_f32_e32 v97, v8, v29
	v_add_f32_e32 v95, v7, v9
	s_cbranch_scc1 .LBB261_58
.LBB261_24:                             ;   Parent Loop BB261_19 Depth=1
                                        ; =>  This Inner Loop Header: Depth=2
	v_dual_mov_b32 v24, 0 :: v_dual_add_nc_u32 v85, s1, v0
	s_waitcnt vmcnt(1)
	v_dual_mov_b32 v23, 0 :: v_dual_mov_b32 v22, 0
	v_mov_b32_e32 v21, 0
	s_delay_alu instid0(VALU_DEP_3) | instskip(SKIP_3) | instid1(VALU_DEP_4)
	v_min_u32_e32 v70, s24, v85
	v_add_nc_u32_e32 v84, 0x100, v85
	v_dual_mov_b32 v56, 0 :: v_dual_mov_b32 v55, 0
	v_dual_mov_b32 v54, 0 :: v_dual_mov_b32 v53, 0
	v_lshlrev_b64 v[5:6], 1, v[70:71]
	s_delay_alu instid0(VALU_DEP_4) | instskip(SKIP_2) | instid1(VALU_DEP_4)
	v_min_u32_e32 v70, s24, v84
	v_dual_mov_b32 v68, 0 :: v_dual_mov_b32 v67, 0
	v_dual_mov_b32 v66, 0 :: v_dual_mov_b32 v65, 0
	v_add_co_u32 v13, vcc_lo, s6, v5
	v_add_co_ci_u32_e32 v14, vcc_lo, s7, v6, vcc_lo
	v_lshlrev_b64 v[5:6], 1, v[70:71]
	s_delay_alu instid0(VALU_DEP_3) | instskip(NEXT) | instid1(VALU_DEP_3)
	v_add_co_u32 v7, vcc_lo, v13, v76
	v_add_co_ci_u32_e32 v8, vcc_lo, v14, v77, vcc_lo
	v_add_co_u32 v9, vcc_lo, v13, v78
	v_add_co_ci_u32_e32 v10, vcc_lo, v14, v79, vcc_lo
	;; [unrolled: 2-line block ×5, first 2 shown]
	s_clause 0x1
	global_load_b128 v[57:60], v[7:8], off slc dlc
	global_load_b128 v[49:52], v[9:10], off slc dlc
	v_add_co_u32 v7, vcc_lo, v15, v76
	v_add_co_ci_u32_e32 v8, vcc_lo, v16, v77, vcc_lo
	v_add_co_u32 v9, vcc_lo, v15, v78
	v_add_co_ci_u32_e32 v10, vcc_lo, v16, v79, vcc_lo
	;; [unrolled: 2-line block ×4, first 2 shown]
	s_clause 0x5
	global_load_b128 v[45:48], v[11:12], off slc dlc
	global_load_b128 v[41:44], v[5:6], off slc dlc
	;; [unrolled: 1-line block ×6, first 2 shown]
	v_mov_b32_e32 v12, 0
	v_cmp_gt_u32_e32 vcc_lo, s8, v85
	v_dual_mov_b32 v11, 0 :: v_dual_mov_b32 v10, 0
	v_dual_mov_b32 v9, 0 :: v_dual_mov_b32 v8, 0
	v_dual_mov_b32 v7, 0 :: v_dual_mov_b32 v6, 0
	v_dual_mov_b32 v5, 0 :: v_dual_mov_b32 v16, 0
	v_dual_mov_b32 v15, 0 :: v_dual_mov_b32 v14, 0
	v_dual_mov_b32 v13, 0 :: v_dual_mov_b32 v36, 0
	v_dual_mov_b32 v35, 0 :: v_dual_mov_b32 v34, 0
	v_dual_mov_b32 v33, 0 :: v_dual_mov_b32 v64, 0
	v_dual_mov_b32 v63, 0 :: v_dual_mov_b32 v62, 0
	v_mov_b32_e32 v61, 0
	s_and_saveexec_b32 s2, vcc_lo
	s_cbranch_execz .LBB261_23
; %bb.25:                               ;   in Loop: Header=BB261_24 Depth=2
	s_mov_b32 s3, exec_lo
                                        ; implicit-def: $vgpr64
	v_cmpx_lt_u32_e32 0x7fff, v85
	s_xor_b32 s3, exec_lo, s3
	s_cbranch_execz .LBB261_27
; %bb.26:                               ;   in Loop: Header=BB261_24 Depth=2
	v_mov_b32_e32 v86, v71
	s_delay_alu instid0(VALU_DEP_1) | instskip(NEXT) | instid1(VALU_DEP_1)
	v_lshlrev_b64 v[5:6], 1, v[85:86]
	v_add_co_u32 v5, vcc_lo, s16, v5
	s_delay_alu instid0(VALU_DEP_2)
	v_add_co_ci_u32_e32 v6, vcc_lo, s17, v6, vcc_lo
	global_load_b128 v[61:64], v[5:6], off
.LBB261_27:                             ;   in Loop: Header=BB261_24 Depth=2
	s_and_not1_saveexec_b32 s3, s3
	s_cbranch_execz .LBB261_29
; %bb.28:                               ;   in Loop: Header=BB261_24 Depth=2
	s_waitcnt vmcnt(0)
	ds_load_b128 v[61:64], v105
.LBB261_29:                             ;   in Loop: Header=BB261_24 Depth=2
	s_or_b32 exec_lo, exec_lo, s3
	v_add_nc_u32_e32 v70, s1, v91
	s_mov_b32 s3, exec_lo
                                        ; implicit-def: $vgpr36
	s_delay_alu instid0(VALU_DEP_1)
	v_cmpx_lt_u32_e32 0x7fff, v70
	s_xor_b32 s3, exec_lo, s3
	s_cbranch_execz .LBB261_31
; %bb.30:                               ;   in Loop: Header=BB261_24 Depth=2
	v_lshlrev_b64 v[5:6], 1, v[70:71]
	s_delay_alu instid0(VALU_DEP_1) | instskip(NEXT) | instid1(VALU_DEP_2)
	v_add_co_u32 v5, vcc_lo, s16, v5
	v_add_co_ci_u32_e32 v6, vcc_lo, s17, v6, vcc_lo
	global_load_b128 v[33:36], v[5:6], off
.LBB261_31:                             ;   in Loop: Header=BB261_24 Depth=2
	s_and_not1_saveexec_b32 s3, s3
	s_cbranch_execz .LBB261_33
; %bb.32:                               ;   in Loop: Header=BB261_24 Depth=2
	v_add_nc_u32_e32 v5, s27, v105
	s_waitcnt vmcnt(0)
	ds_load_b128 v[33:36], v5
.LBB261_33:                             ;   in Loop: Header=BB261_24 Depth=2
	s_or_b32 exec_lo, exec_lo, s3
	v_add_nc_u32_e32 v88, s1, v94
	s_mov_b32 s3, exec_lo
                                        ; implicit-def: $vgpr16
	s_delay_alu instid0(VALU_DEP_1)
	v_cmpx_lt_u32_e32 0x7fff, v88
	s_xor_b32 s3, exec_lo, s3
	s_cbranch_execz .LBB261_35
; %bb.34:                               ;   in Loop: Header=BB261_24 Depth=2
	v_mov_b32_e32 v89, v71
	s_delay_alu instid0(VALU_DEP_1) | instskip(NEXT) | instid1(VALU_DEP_1)
	v_lshlrev_b64 v[5:6], 1, v[88:89]
	v_add_co_u32 v5, vcc_lo, s16, v5
	s_delay_alu instid0(VALU_DEP_2)
	v_add_co_ci_u32_e32 v6, vcc_lo, s17, v6, vcc_lo
	global_load_b128 v[13:16], v[5:6], off
.LBB261_35:                             ;   in Loop: Header=BB261_24 Depth=2
	s_and_not1_saveexec_b32 s3, s3
	s_cbranch_execz .LBB261_37
; %bb.36:                               ;   in Loop: Header=BB261_24 Depth=2
	v_add_nc_u32_e32 v5, s22, v105
	s_waitcnt vmcnt(0)
	ds_load_2addr_b32 v[13:14], v5 offset1:1
	ds_load_2addr_b32 v[15:16], v5 offset0:2 offset1:3
.LBB261_37:                             ;   in Loop: Header=BB261_24 Depth=2
	s_or_b32 exec_lo, exec_lo, s3
	v_add_nc_u32_e32 v86, s1, v72
	s_mov_b32 s3, exec_lo
                                        ; implicit-def: $vgpr8
	s_delay_alu instid0(VALU_DEP_1)
	v_cmpx_lt_u32_e32 0x7fff, v86
	s_xor_b32 s3, exec_lo, s3
	s_cbranch_execz .LBB261_39
; %bb.38:                               ;   in Loop: Header=BB261_24 Depth=2
	v_mov_b32_e32 v87, v71
	s_delay_alu instid0(VALU_DEP_1) | instskip(NEXT) | instid1(VALU_DEP_1)
	v_lshlrev_b64 v[5:6], 1, v[86:87]
	v_add_co_u32 v5, vcc_lo, s16, v5
	s_delay_alu instid0(VALU_DEP_2)
	v_add_co_ci_u32_e32 v6, vcc_lo, s17, v6, vcc_lo
	global_load_b128 v[5:8], v[5:6], off
.LBB261_39:                             ;   in Loop: Header=BB261_24 Depth=2
	s_and_not1_saveexec_b32 s3, s3
	s_cbranch_execz .LBB261_41
; %bb.40:                               ;   in Loop: Header=BB261_24 Depth=2
	s_waitcnt vmcnt(0)
	v_add_nc_u32_e32 v5, s10, v105
	ds_load_b128 v[5:8], v5
.LBB261_41:                             ;   in Loop: Header=BB261_24 Depth=2
	s_or_b32 exec_lo, exec_lo, s3
	v_dual_mov_b32 v12, 0 :: v_dual_mov_b32 v11, 0
	v_dual_mov_b32 v10, 0 :: v_dual_mov_b32 v9, 0
	;; [unrolled: 1-line block ×8, first 2 shown]
	s_mov_b32 s3, exec_lo
	v_cmpx_gt_u32_e64 s8, v84
	s_cbranch_execz .LBB261_22
; %bb.42:                               ;   in Loop: Header=BB261_24 Depth=2
	s_mov_b32 s4, exec_lo
                                        ; implicit-def: $vgpr68
	v_cmpx_lt_u32_e32 0x7fff, v84
	s_xor_b32 s4, exec_lo, s4
	s_cbranch_execz .LBB261_44
; %bb.43:                               ;   in Loop: Header=BB261_24 Depth=2
	v_mov_b32_e32 v85, v71
	s_delay_alu instid0(VALU_DEP_1) | instskip(NEXT) | instid1(VALU_DEP_1)
	v_lshlrev_b64 v[9:10], 1, v[84:85]
	v_add_co_u32 v9, vcc_lo, s16, v9
	s_delay_alu instid0(VALU_DEP_2)
	v_add_co_ci_u32_e32 v10, vcc_lo, s17, v10, vcc_lo
	global_load_b128 v[65:68], v[9:10], off
.LBB261_44:                             ;   in Loop: Header=BB261_24 Depth=2
	s_and_not1_saveexec_b32 s4, s4
	s_cbranch_execz .LBB261_46
; %bb.45:                               ;   in Loop: Header=BB261_24 Depth=2
	s_waitcnt vmcnt(0)
	ds_load_b128 v[65:68], v105 offset:512
.LBB261_46:                             ;   in Loop: Header=BB261_24 Depth=2
	s_or_b32 exec_lo, exec_lo, s4
	v_add_nc_u32_e32 v70, 0x100, v70
	s_mov_b32 s4, exec_lo
                                        ; implicit-def: $vgpr56
	s_delay_alu instid0(VALU_DEP_1)
	v_cmpx_lt_u32_e32 0x7fff, v70
	s_xor_b32 s4, exec_lo, s4
	s_cbranch_execz .LBB261_48
; %bb.47:                               ;   in Loop: Header=BB261_24 Depth=2
	v_lshlrev_b64 v[9:10], 1, v[70:71]
	s_delay_alu instid0(VALU_DEP_1) | instskip(NEXT) | instid1(VALU_DEP_2)
	v_add_co_u32 v9, vcc_lo, s16, v9
	v_add_co_ci_u32_e32 v10, vcc_lo, s17, v10, vcc_lo
	global_load_b128 v[53:56], v[9:10], off
.LBB261_48:                             ;   in Loop: Header=BB261_24 Depth=2
	s_and_not1_saveexec_b32 s4, s4
	s_cbranch_execz .LBB261_50
; %bb.49:                               ;   in Loop: Header=BB261_24 Depth=2
	v_add_nc_u32_e32 v9, s27, v105
	s_waitcnt vmcnt(0)
	ds_load_b128 v[53:56], v9 offset:512
.LBB261_50:                             ;   in Loop: Header=BB261_24 Depth=2
	s_or_b32 exec_lo, exec_lo, s4
	v_add_nc_u32_e32 v70, 0x100, v88
	s_mov_b32 s4, exec_lo
                                        ; implicit-def: $vgpr24
	s_delay_alu instid0(VALU_DEP_1)
	v_cmpx_lt_u32_e32 0x7fff, v70
	s_xor_b32 s4, exec_lo, s4
	s_cbranch_execz .LBB261_52
; %bb.51:                               ;   in Loop: Header=BB261_24 Depth=2
	v_lshlrev_b64 v[9:10], 1, v[70:71]
	s_delay_alu instid0(VALU_DEP_1) | instskip(NEXT) | instid1(VALU_DEP_2)
	v_add_co_u32 v9, vcc_lo, s16, v9
	v_add_co_ci_u32_e32 v10, vcc_lo, s17, v10, vcc_lo
	global_load_b128 v[21:24], v[9:10], off
.LBB261_52:                             ;   in Loop: Header=BB261_24 Depth=2
	s_and_not1_saveexec_b32 s4, s4
	s_cbranch_execz .LBB261_54
; %bb.53:                               ;   in Loop: Header=BB261_24 Depth=2
	v_add_nc_u32_e32 v9, s22, v105
	s_waitcnt vmcnt(0)
	ds_load_2addr_b32 v[21:22], v9 offset0:128 offset1:129
	ds_load_2addr_b32 v[23:24], v9 offset0:130 offset1:131
.LBB261_54:                             ;   in Loop: Header=BB261_24 Depth=2
	s_or_b32 exec_lo, exec_lo, s4
	v_add_nc_u32_e32 v70, 0x100, v86
	s_mov_b32 s4, exec_lo
                                        ; implicit-def: $vgpr12
	s_delay_alu instid0(VALU_DEP_1)
	v_cmpx_lt_u32_e32 0x7fff, v70
	s_xor_b32 s4, exec_lo, s4
	s_cbranch_execz .LBB261_56
; %bb.55:                               ;   in Loop: Header=BB261_24 Depth=2
	v_lshlrev_b64 v[9:10], 1, v[70:71]
	s_delay_alu instid0(VALU_DEP_1) | instskip(NEXT) | instid1(VALU_DEP_2)
	v_add_co_u32 v9, vcc_lo, s16, v9
	v_add_co_ci_u32_e32 v10, vcc_lo, s17, v10, vcc_lo
	global_load_b128 v[9:12], v[9:10], off
.LBB261_56:                             ;   in Loop: Header=BB261_24 Depth=2
	s_and_not1_saveexec_b32 s4, s4
	s_cbranch_execz .LBB261_21
; %bb.57:                               ;   in Loop: Header=BB261_24 Depth=2
	s_waitcnt vmcnt(0)
	v_add_nc_u32_e32 v9, s10, v105
	ds_load_b128 v[9:12], v9 offset:512
	s_branch .LBB261_21
.LBB261_58:                             ;   in Loop: Header=BB261_19 Depth=1
	s_delay_alu instid0(VALU_DEP_1)
	v_cvt_i32_f32_e32 v5, v108
	s_waitcnt lgkmcnt(0)
	v_cvt_i32_f32_e32 v6, v111
	v_cvt_i32_f32_e32 v7, v109
	;; [unrolled: 1-line block ×4, first 2 shown]
	v_cvt_f32_i32_dpp v5, v5 row_shr:8 row_mask:0xf bank_mask:0xf bound_ctrl:1
	v_cvt_f32_i32_dpp v6, v6 row_shr:8 row_mask:0xf bank_mask:0xf bound_ctrl:1
	;; [unrolled: 1-line block ×4, first 2 shown]
	v_cvt_i32_f32_e32 v10, v106
	s_delay_alu instid0(VALU_DEP_4) | instskip(SKIP_1) | instid1(VALU_DEP_4)
	v_dual_add_f32 v5, v108, v5 :: v_dual_add_f32 v6, v111, v6
	v_cvt_f32_i32_dpp v9, v9 row_shr:8 row_mask:0xf bank_mask:0xf bound_ctrl:1
	v_dual_add_f32 v7, v109, v7 :: v_dual_add_f32 v8, v110, v8
	s_delay_alu instid0(VALU_DEP_3) | instskip(SKIP_1) | instid1(VALU_DEP_4)
	v_cvt_i32_f32_e32 v11, v5
	v_cvt_f32_i32_dpp v10, v10 row_shr:8 row_mask:0xf bank_mask:0xf bound_ctrl:1
	v_add_f32_e32 v9, v107, v9
	v_cvt_i32_f32_e32 v12, v6
	v_cvt_i32_f32_e32 v13, v7
	v_cvt_f32_i32_dpp v11, v11 row_shr:4 row_mask:0xf bank_mask:0xf bound_ctrl:1
	v_add_f32_e32 v10, v106, v10
	v_cvt_i32_f32_e32 v14, v8
	v_cvt_i32_f32_e32 v15, v9
	s_delay_alu instid0(VALU_DEP_4)
	v_add_f32_e32 v5, v5, v11
	v_cvt_f32_i32_dpp v11, v12 row_shr:4 row_mask:0xf bank_mask:0xf bound_ctrl:1
	v_cvt_f32_i32_dpp v12, v13 row_shr:4 row_mask:0xf bank_mask:0xf bound_ctrl:1
	;; [unrolled: 1-line block ×3, first 2 shown]
	v_cvt_i32_f32_e32 v16, v10
	v_cvt_f32_i32_dpp v14, v15 row_shr:4 row_mask:0xf bank_mask:0xf bound_ctrl:1
	s_delay_alu instid0(VALU_DEP_4) | instskip(NEXT) | instid1(VALU_DEP_4)
	v_dual_add_f32 v6, v6, v11 :: v_dual_add_f32 v7, v7, v12
	v_add_f32_e32 v8, v8, v13
	v_cvt_i32_f32_e32 v15, v5
	v_cvt_f32_i32_dpp v16, v16 row_shr:4 row_mask:0xf bank_mask:0xf bound_ctrl:1
	s_delay_alu instid0(VALU_DEP_4)
	v_cvt_i32_f32_e32 v12, v6
	v_cvt_i32_f32_e32 v13, v7
	v_add_f32_e32 v9, v9, v14
	v_cvt_f32_i32_dpp v11, v15 row_shr:2 row_mask:0xf bank_mask:0xf bound_ctrl:1
	v_add_f32_e32 v10, v10, v16
	v_cvt_f32_i32_dpp v12, v12 row_shr:2 row_mask:0xf bank_mask:0xf bound_ctrl:1
	v_cvt_f32_i32_dpp v13, v13 row_shr:2 row_mask:0xf bank_mask:0xf bound_ctrl:1
	v_cvt_i32_f32_e32 v14, v9
	v_add_f32_e32 v5, v5, v11
	v_cvt_i32_f32_e32 v11, v8
	v_add_f32_e32 v6, v6, v12
	v_cvt_i32_f32_e32 v15, v10
	v_cvt_f32_i32_dpp v14, v14 row_shr:2 row_mask:0xf bank_mask:0xf bound_ctrl:1
	v_cvt_i32_f32_e32 v16, v5
	v_cvt_f32_i32_dpp v11, v11 row_shr:2 row_mask:0xf bank_mask:0xf bound_ctrl:1
	v_add_f32_e32 v7, v7, v13
	v_cvt_f32_i32_dpp v15, v15 row_shr:2 row_mask:0xf bank_mask:0xf bound_ctrl:1
	s_delay_alu instid0(VALU_DEP_4) | instskip(NEXT) | instid1(VALU_DEP_4)
	v_cvt_f32_i32_dpp v16, v16 row_shr:1 row_mask:0xf bank_mask:0xf bound_ctrl:1
	v_add_f32_e32 v8, v8, v11
	s_delay_alu instid0(VALU_DEP_4) | instskip(NEXT) | instid1(VALU_DEP_3)
	v_cvt_i32_f32_e32 v11, v7
	v_dual_add_f32 v42, v5, v16 :: v_dual_add_f32 v5, v10, v15
	v_cvt_i32_f32_e32 v10, v6
	s_delay_alu instid0(VALU_DEP_3)
	v_cvt_f32_i32_dpp v11, v11 row_shr:1 row_mask:0xf bank_mask:0xf bound_ctrl:1
	v_add_f32_e32 v9, v9, v14
	v_cvt_i32_f32_e32 v12, v8
	v_cvt_i32_f32_e32 v14, v5
	v_cvt_f32_i32_dpp v10, v10 row_shr:1 row_mask:0xf bank_mask:0xf bound_ctrl:1
	v_add_f32_e32 v36, v7, v11
	v_cvt_i32_f32_e32 v13, v9
	v_cvt_i32_f32_e32 v7, v103
	v_cvt_f32_i32_dpp v12, v12 row_shr:1 row_mask:0xf bank_mask:0xf bound_ctrl:1
	v_cvt_f32_i32_dpp v14, v14 row_shr:1 row_mask:0xf bank_mask:0xf bound_ctrl:1
	ds_bpermute_b32 v43, v92, v42
	v_cvt_f32_i32_dpp v13, v13 row_shr:1 row_mask:0xf bank_mask:0xf bound_ctrl:1
	v_add_f32_e32 v39, v6, v10
	v_cvt_i32_f32_e32 v6, v100
	v_cvt_f32_i32_dpp v7, v7 row_shr:8 row_mask:0xf bank_mask:0xf bound_ctrl:1
	ds_bpermute_b32 v37, v92, v36
	v_add_f32_e32 v30, v9, v13
	v_cvt_i32_f32_e32 v9, v99
	v_cvt_f32_i32_dpp v6, v6 row_shr:8 row_mask:0xf bank_mask:0xf bound_ctrl:1
	v_add_f32_e32 v7, v103, v7
	ds_bpermute_b32 v40, v92, v39
	ds_bpermute_b32 v31, v92, v30
	v_cvt_f32_i32_dpp v9, v9 row_shr:8 row_mask:0xf bank_mask:0xf bound_ctrl:1
	s_delay_alu instid0(VALU_DEP_1) | instskip(NEXT) | instid1(VALU_DEP_1)
	v_dual_add_f32 v6, v100, v6 :: v_dual_add_f32 v9, v99, v9
	v_cvt_i32_f32_e32 v11, v6
	s_delay_alu instid0(VALU_DEP_1) | instskip(SKIP_3) | instid1(VALU_DEP_4)
	v_cvt_f32_i32_dpp v11, v11 row_shr:4 row_mask:0xf bank_mask:0xf bound_ctrl:1
	v_add_f32_e32 v33, v8, v12
	v_cvt_i32_f32_e32 v8, v101
	v_cvt_i32_f32_e32 v12, v7
	v_add_f32_e32 v6, v6, v11
	ds_bpermute_b32 v34, v92, v33
	v_cvt_f32_i32_dpp v8, v8 row_shr:8 row_mask:0xf bank_mask:0xf bound_ctrl:1
	v_cvt_f32_i32_dpp v12, v12 row_shr:4 row_mask:0xf bank_mask:0xf bound_ctrl:1
	v_cvt_i32_f32_e32 v11, v6
	s_delay_alu instid0(VALU_DEP_3) | instskip(NEXT) | instid1(VALU_DEP_2)
	v_add_f32_e32 v8, v101, v8
	v_cvt_f32_i32_dpp v11, v11 row_shr:2 row_mask:0xf bank_mask:0xf bound_ctrl:1
	s_delay_alu instid0(VALU_DEP_2) | instskip(NEXT) | instid1(VALU_DEP_2)
	v_cvt_i32_f32_e32 v13, v8
	v_add_f32_e32 v6, v6, v11
	s_delay_alu instid0(VALU_DEP_2)
	v_cvt_f32_i32_dpp v13, v13 row_shr:4 row_mask:0xf bank_mask:0xf bound_ctrl:1
	v_add_f32_e32 v25, v5, v14
	v_cvt_i32_f32_e32 v14, v9
	v_cvt_i32_f32_e32 v5, v102
	;; [unrolled: 1-line block ×3, first 2 shown]
	v_add_f32_e32 v8, v8, v13
	ds_bpermute_b32 v26, v92, v25
	v_cvt_f32_i32_dpp v14, v14 row_shr:4 row_mask:0xf bank_mask:0xf bound_ctrl:1
	v_cvt_f32_i32_dpp v5, v5 row_shr:8 row_mask:0xf bank_mask:0xf bound_ctrl:1
	;; [unrolled: 1-line block ×3, first 2 shown]
	v_cvt_i32_f32_e32 v13, v8
	s_delay_alu instid0(VALU_DEP_1) | instskip(NEXT) | instid1(VALU_DEP_1)
	v_cvt_f32_i32_dpp v13, v13 row_shr:2 row_mask:0xf bank_mask:0xf bound_ctrl:1
	v_dual_add_f32 v7, v7, v12 :: v_dual_add_f32 v8, v8, v13
	s_delay_alu instid0(VALU_DEP_1) | instskip(NEXT) | instid1(VALU_DEP_2)
	v_cvt_i32_f32_e32 v12, v7
	v_cvt_i32_f32_e32 v13, v8
	s_delay_alu instid0(VALU_DEP_2) | instskip(NEXT) | instid1(VALU_DEP_2)
	v_cvt_f32_i32_dpp v12, v12 row_shr:2 row_mask:0xf bank_mask:0xf bound_ctrl:1
	v_cvt_f32_i32_dpp v13, v13 row_shr:1 row_mask:0xf bank_mask:0xf bound_ctrl:1
	s_delay_alu instid0(VALU_DEP_2) | instskip(NEXT) | instid1(VALU_DEP_2)
	v_add_f32_e32 v7, v7, v12
	v_add_f32_e32 v17, v8, v13
	v_cvt_i32_f32_e32 v8, v96
	s_delay_alu instid0(VALU_DEP_3) | instskip(NEXT) | instid1(VALU_DEP_2)
	v_cvt_i32_f32_e32 v12, v7
	v_cvt_f32_i32_dpp v8, v8 row_shr:8 row_mask:0xf bank_mask:0xf bound_ctrl:1
	v_add_f32_e32 v9, v9, v14
	s_delay_alu instid0(VALU_DEP_3) | instskip(NEXT) | instid1(VALU_DEP_3)
	v_cvt_f32_i32_dpp v12, v12 row_shr:1 row_mask:0xf bank_mask:0xf bound_ctrl:1
	v_dual_add_f32 v5, v102, v5 :: v_dual_add_f32 v8, v96, v8
	s_delay_alu instid0(VALU_DEP_3) | instskip(NEXT) | instid1(VALU_DEP_3)
	v_cvt_i32_f32_e32 v14, v9
	v_add_f32_e32 v20, v7, v12
	s_delay_alu instid0(VALU_DEP_3)
	v_cvt_i32_f32_e32 v10, v5
	v_cvt_i32_f32_e32 v7, v97
	;; [unrolled: 1-line block ×3, first 2 shown]
	v_cvt_f32_i32_dpp v14, v14 row_shr:2 row_mask:0xf bank_mask:0xf bound_ctrl:1
	ds_bpermute_b32 v21, v92, v20
	v_cvt_f32_i32_dpp v10, v10 row_shr:4 row_mask:0xf bank_mask:0xf bound_ctrl:1
	v_cvt_f32_i32_dpp v7, v7 row_shr:8 row_mask:0xf bank_mask:0xf bound_ctrl:1
	;; [unrolled: 1-line block ×3, first 2 shown]
	v_add_f32_e32 v9, v9, v14
	s_delay_alu instid0(VALU_DEP_4) | instskip(NEXT) | instid1(VALU_DEP_4)
	v_add_f32_e32 v5, v5, v10
	v_add_f32_e32 v7, v97, v7
	s_delay_alu instid0(VALU_DEP_4) | instskip(NEXT) | instid1(VALU_DEP_4)
	v_add_f32_e32 v8, v8, v15
	v_cvt_i32_f32_e32 v14, v9
	s_delay_alu instid0(VALU_DEP_4) | instskip(NEXT) | instid1(VALU_DEP_4)
	v_cvt_i32_f32_e32 v10, v5
	v_cvt_i32_f32_e32 v12, v7
	s_delay_alu instid0(VALU_DEP_4) | instskip(NEXT) | instid1(VALU_DEP_4)
	v_cvt_i32_f32_e32 v15, v8
	v_cvt_f32_i32_dpp v14, v14 row_shr:1 row_mask:0xf bank_mask:0xf bound_ctrl:1
	s_delay_alu instid0(VALU_DEP_4) | instskip(NEXT) | instid1(VALU_DEP_4)
	v_cvt_f32_i32_dpp v10, v10 row_shr:2 row_mask:0xf bank_mask:0xf bound_ctrl:1
	v_cvt_f32_i32_dpp v12, v12 row_shr:4 row_mask:0xf bank_mask:0xf bound_ctrl:1
	s_delay_alu instid0(VALU_DEP_4) | instskip(NEXT) | instid1(VALU_DEP_4)
	v_cvt_f32_i32_dpp v15, v15 row_shr:2 row_mask:0xf bank_mask:0xf bound_ctrl:1
	v_add_f32_e32 v13, v9, v14
	v_cvt_i32_f32_e32 v9, v95
	s_delay_alu instid0(VALU_DEP_3) | instskip(NEXT) | instid1(VALU_DEP_2)
	v_dual_add_f32 v7, v7, v12 :: v_dual_add_f32 v8, v8, v15
	v_cvt_f32_i32_dpp v9, v9 row_shr:8 row_mask:0xf bank_mask:0xf bound_ctrl:1
	s_delay_alu instid0(VALU_DEP_2) | instskip(NEXT) | instid1(VALU_DEP_3)
	v_cvt_i32_f32_e32 v12, v7
	v_cvt_i32_f32_e32 v15, v8
	s_delay_alu instid0(VALU_DEP_3) | instskip(NEXT) | instid1(VALU_DEP_3)
	v_add_f32_e32 v9, v95, v9
	v_cvt_f32_i32_dpp v12, v12 row_shr:2 row_mask:0xf bank_mask:0xf bound_ctrl:1
	s_waitcnt vmcnt(0)
	s_delay_alu instid0(VALU_DEP_3) | instskip(NEXT) | instid1(VALU_DEP_3)
	v_cvt_f32_i32_dpp v19, v15 row_shr:1 row_mask:0xf bank_mask:0xf bound_ctrl:1
	v_cvt_i32_f32_e32 v16, v9
	s_delay_alu instid0(VALU_DEP_3) | instskip(NEXT) | instid1(VALU_DEP_2)
	v_add_f32_e32 v7, v7, v12
	v_cvt_f32_i32_dpp v16, v16 row_shr:4 row_mask:0xf bank_mask:0xf bound_ctrl:1
	s_delay_alu instid0(VALU_DEP_2) | instskip(NEXT) | instid1(VALU_DEP_2)
	v_cvt_i32_f32_e32 v12, v7
	v_add_f32_e32 v9, v9, v16
	s_delay_alu instid0(VALU_DEP_2) | instskip(NEXT) | instid1(VALU_DEP_2)
	v_cvt_f32_i32_dpp v12, v12 row_shr:1 row_mask:0xf bank_mask:0xf bound_ctrl:1
	v_cvt_i32_f32_e32 v16, v9
	s_delay_alu instid0(VALU_DEP_1) | instskip(SKIP_2) | instid1(VALU_DEP_1)
	v_cvt_f32_i32_dpp v16, v16 row_shr:2 row_mask:0xf bank_mask:0xf bound_ctrl:1
	v_add_f32_e32 v23, v6, v11
	v_cvt_i32_f32_e32 v6, v98
	v_cvt_f32_i32_dpp v6, v6 row_shr:8 row_mask:0xf bank_mask:0xf bound_ctrl:1
	s_delay_alu instid0(VALU_DEP_1) | instskip(SKIP_2) | instid1(VALU_DEP_1)
	v_add_f32_e32 v6, v98, v6
	ds_bpermute_b32 v18, v92, v17
	v_cvt_i32_f32_e32 v11, v6
	v_cvt_f32_i32_dpp v11, v11 row_shr:4 row_mask:0xf bank_mask:0xf bound_ctrl:1
	s_delay_alu instid0(VALU_DEP_1) | instskip(NEXT) | instid1(VALU_DEP_1)
	v_dual_add_f32 v5, v5, v10 :: v_dual_add_f32 v6, v6, v11
	v_cvt_i32_f32_e32 v10, v5
	s_delay_alu instid0(VALU_DEP_2) | instskip(NEXT) | instid1(VALU_DEP_2)
	v_cvt_i32_f32_e32 v11, v6
	v_cvt_f32_i32_dpp v10, v10 row_shr:1 row_mask:0xf bank_mask:0xf bound_ctrl:1
	s_delay_alu instid0(VALU_DEP_2) | instskip(NEXT) | instid1(VALU_DEP_2)
	v_cvt_f32_i32_dpp v11, v11 row_shr:2 row_mask:0xf bank_mask:0xf bound_ctrl:1
	v_add_f32_e32 v28, v5, v10
	v_cvt_i32_f32_e32 v5, v104
	s_delay_alu instid0(VALU_DEP_3)
	v_add_f32_e32 v6, v6, v11
	ds_bpermute_b32 v29, v92, v28
	v_cvt_f32_i32_dpp v5, v5 row_shr:8 row_mask:0xf bank_mask:0xf bound_ctrl:1
	ds_bpermute_b32 v14, v92, v13
	v_cvt_i32_f32_e32 v11, v6
	v_add_f32_e32 v5, v104, v5
	s_delay_alu instid0(VALU_DEP_2) | instskip(NEXT) | instid1(VALU_DEP_2)
	v_cvt_f32_i32_dpp v11, v11 row_shr:1 row_mask:0xf bank_mask:0xf bound_ctrl:1
	v_cvt_i32_f32_e32 v10, v5
	s_delay_alu instid0(VALU_DEP_2) | instskip(NEXT) | instid1(VALU_DEP_2)
	v_add_f32_e32 v11, v6, v11
	v_cvt_f32_i32_dpp v10, v10 row_shr:4 row_mask:0xf bank_mask:0xf bound_ctrl:1
	s_delay_alu instid0(VALU_DEP_1) | instskip(NEXT) | instid1(VALU_DEP_1)
	v_add_f32_e32 v5, v5, v10
	v_cvt_i32_f32_e32 v10, v5
	s_delay_alu instid0(VALU_DEP_1) | instskip(NEXT) | instid1(VALU_DEP_1)
	v_cvt_f32_i32_dpp v10, v10 row_shr:2 row_mask:0xf bank_mask:0xf bound_ctrl:1
	v_add_f32_e32 v5, v5, v10
	v_add_f32_e32 v10, v9, v16
	ds_bpermute_b32 v24, v92, v23
	v_cvt_i32_f32_e32 v9, v5
	v_cvt_i32_f32_e32 v16, v10
	s_delay_alu instid0(VALU_DEP_2) | instskip(NEXT) | instid1(VALU_DEP_2)
	v_cvt_f32_i32_dpp v9, v9 row_shr:1 row_mask:0xf bank_mask:0xf bound_ctrl:1
	v_cvt_f32_i32_dpp v16, v16 row_shr:1 row_mask:0xf bank_mask:0xf bound_ctrl:1
	s_delay_alu instid0(VALU_DEP_2) | instskip(SKIP_2) | instid1(VALU_DEP_4)
	v_add_f32_e32 v15, v5, v9
	v_add_f32_e32 v9, v7, v12
	;; [unrolled: 1-line block ×4, first 2 shown]
	ds_bpermute_b32 v12, v92, v11
	ds_bpermute_b32 v16, v92, v15
	;; [unrolled: 1-line block ×5, first 2 shown]
	s_and_saveexec_b32 s5, s0
	s_cbranch_execz .LBB261_157
; %bb.59:                               ;   in Loop: Header=BB261_19 Depth=1
	v_dual_mov_b32 v52, 0 :: v_dual_mov_b32 v51, 0
	v_dual_mov_b32 v50, 0 :: v_dual_mov_b32 v49, 0
	v_dual_mov_b32 v48, 0 :: v_dual_mov_b32 v47, 0
	v_dual_mov_b32 v46, 0 :: v_dual_mov_b32 v45, 0
	v_dual_mov_b32 v44, 0 :: v_dual_mov_b32 v41, 0
	v_dual_mov_b32 v38, 0 :: v_dual_mov_b32 v35, 0
	v_dual_mov_b32 v32, 0 :: v_dual_mov_b32 v27, 0
	v_dual_mov_b32 v22, 0 :: v_dual_mov_b32 v19, 0
	s_and_not1_b32 vcc_lo, exec_lo, s26
	s_cbranch_vccnz .LBB261_61
; %bb.60:                               ;   in Loop: Header=BB261_19 Depth=1
	v_mul_hi_u32 v19, v69, v93
	v_mul_hi_u32 v22, v75, v93
	v_mul_hi_u32 v27, v74, v93
	v_mul_hi_u32 v32, v73, v93
	v_mov_b32_e32 v56, v71
	v_mov_b32_e32 v63, v71
	;; [unrolled: 1-line block ×3, first 2 shown]
	v_mul_lo_u32 v19, v19, s18
	v_mul_lo_u32 v22, v22, s18
	v_mul_lo_u32 v27, v27, s18
	v_mul_lo_u32 v32, v32, s18
	s_delay_alu instid0(VALU_DEP_4) | instskip(NEXT) | instid1(VALU_DEP_4)
	v_sub_nc_u32_e32 v19, v69, v19
	v_sub_nc_u32_e32 v22, v75, v22
	s_delay_alu instid0(VALU_DEP_4) | instskip(NEXT) | instid1(VALU_DEP_4)
	v_sub_nc_u32_e32 v27, v74, v27
	v_sub_nc_u32_e32 v32, v73, v32
	s_delay_alu instid0(VALU_DEP_4)
	v_subrev_nc_u32_e32 v35, s18, v19
	v_cmp_le_u32_e32 vcc_lo, s18, v19
	v_subrev_nc_u32_e32 v38, s18, v22
	v_subrev_nc_u32_e32 v41, s18, v27
	;; [unrolled: 1-line block ×3, first 2 shown]
	v_cndmask_b32_e32 v19, v19, v35, vcc_lo
	v_cmp_le_u32_e32 vcc_lo, s18, v22
	v_cndmask_b32_e32 v22, v22, v38, vcc_lo
	v_cmp_le_u32_e32 vcc_lo, s18, v27
	s_delay_alu instid0(VALU_DEP_4) | instskip(NEXT) | instid1(VALU_DEP_3)
	v_subrev_nc_u32_e32 v35, s18, v19
	v_subrev_nc_u32_e32 v38, s18, v22
	v_cndmask_b32_e32 v27, v27, v41, vcc_lo
	v_cmp_le_u32_e32 vcc_lo, s18, v32
	v_cndmask_b32_e32 v32, v32, v44, vcc_lo
	v_cmp_le_u32_e32 vcc_lo, s18, v19
	s_delay_alu instid0(VALU_DEP_4) | instskip(NEXT) | instid1(VALU_DEP_3)
	v_subrev_nc_u32_e32 v41, s18, v27
	v_subrev_nc_u32_e32 v44, s18, v32
	v_cndmask_b32_e32 v70, v19, v35, vcc_lo
	v_cmp_le_u32_e32 vcc_lo, s18, v22
	v_mov_b32_e32 v46, v71
	s_delay_alu instid0(VALU_DEP_3) | instskip(SKIP_3) | instid1(VALU_DEP_3)
	v_lshlrev_b64 v[47:48], 1, v[70:71]
	v_cndmask_b32_e32 v45, v22, v38, vcc_lo
	v_cmp_le_u32_e32 vcc_lo, s18, v27
	v_dual_mov_b32 v59, v71 :: v_dual_add_nc_u32 v58, s28, v70
	v_lshlrev_b64 v[49:50], 1, v[45:46]
	v_cndmask_b32_e32 v53, v27, v41, vcc_lo
	v_cmp_le_u32_e32 vcc_lo, s18, v32
	v_mov_b32_e32 v54, v71
	v_add_nc_u32_e32 v78, s29, v45
	s_delay_alu instid0(VALU_DEP_4) | instskip(NEXT) | instid1(VALU_DEP_3)
	v_dual_cndmask_b32 v55, v32, v44 :: v_dual_add_nc_u32 v62, s28, v53
	v_lshlrev_b64 v[51:52], 1, v[53:54]
	v_add_co_u32 v46, vcc_lo, s12, v47
	v_add_co_ci_u32_e32 v47, vcc_lo, s13, v48, vcc_lo
	v_add_co_u32 v48, vcc_lo, s12, v49
	v_lshlrev_b64 v[56:57], 1, v[55:56]
	v_add_co_ci_u32_e32 v49, vcc_lo, s13, v50, vcc_lo
	v_add_co_u32 v60, vcc_lo, s12, v51
	v_lshlrev_b64 v[50:51], 1, v[58:59]
	v_add_nc_u32_e32 v58, s28, v45
	v_add_co_ci_u32_e32 v61, vcc_lo, s13, v52, vcc_lo
	v_add_co_u32 v56, vcc_lo, s12, v56
	v_add_co_ci_u32_e32 v57, vcc_lo, s13, v57, vcc_lo
	s_delay_alu instid0(VALU_DEP_4)
	v_lshlrev_b64 v[58:59], 1, v[58:59]
	v_add_co_u32 v64, vcc_lo, s12, v50
	v_add_co_ci_u32_e32 v65, vcc_lo, s13, v51, vcc_lo
	v_lshlrev_b64 v[50:51], 1, v[62:63]
	v_add_nc_u32_e32 v62, s28, v55
	v_add_co_u32 v58, vcc_lo, s12, v58
	v_add_co_ci_u32_e32 v59, vcc_lo, s13, v59, vcc_lo
	s_delay_alu instid0(VALU_DEP_4)
	v_add_co_u32 v66, vcc_lo, s12, v50
	v_add_co_ci_u32_e32 v67, vcc_lo, s13, v51, vcc_lo
	v_mov_b32_e32 v51, v71
	v_lshlrev_b64 v[62:63], 1, v[62:63]
	v_add_nc_u32_e32 v50, s29, v70
	v_add_nc_u32_e32 v70, s30, v70
	s_delay_alu instid0(VALU_DEP_3) | instskip(NEXT) | instid1(VALU_DEP_3)
	v_add_co_u32 v62, vcc_lo, s12, v62
	v_lshlrev_b64 v[76:77], 1, v[50:51]
	v_add_co_ci_u32_e32 v63, vcc_lo, s13, v63, vcc_lo
	s_clause 0x7
	global_load_u16 v52, v[46:47], off
	global_load_u16 v51, v[48:49], off
	;; [unrolled: 1-line block ×8, first 2 shown]
	v_dual_mov_b32 v63, v71 :: v_dual_add_nc_u32 v58, s29, v53
	v_mov_b32_e32 v59, v71
	v_lshlrev_b64 v[56:57], 1, v[78:79]
	v_add_nc_u32_e32 v62, s29, v55
	v_add_co_u32 v60, vcc_lo, s12, v76
	s_delay_alu instid0(VALU_DEP_4)
	v_lshlrev_b64 v[58:59], 1, v[58:59]
	v_add_co_ci_u32_e32 v61, vcc_lo, s13, v77, vcc_lo
	v_add_co_u32 v56, vcc_lo, s12, v56
	v_lshlrev_b64 v[62:63], 1, v[62:63]
	v_lshlrev_b64 v[64:65], 1, v[70:71]
	v_add_nc_u32_e32 v70, s30, v45
	v_add_co_ci_u32_e32 v57, vcc_lo, s13, v57, vcc_lo
	v_add_co_u32 v58, vcc_lo, s12, v58
	v_add_co_ci_u32_e32 v59, vcc_lo, s13, v59, vcc_lo
	v_add_co_u32 v62, vcc_lo, s12, v62
	v_lshlrev_b64 v[66:67], 1, v[70:71]
	v_add_nc_u32_e32 v70, s30, v53
	v_add_co_ci_u32_e32 v63, vcc_lo, s13, v63, vcc_lo
	v_add_co_u32 v53, vcc_lo, s12, v64
	v_add_co_ci_u32_e32 v54, vcc_lo, s13, v65, vcc_lo
	s_delay_alu instid0(VALU_DEP_4) | instskip(SKIP_3) | instid1(VALU_DEP_3)
	v_lshlrev_b64 v[64:65], 1, v[70:71]
	v_add_nc_u32_e32 v70, s30, v55
	v_add_co_u32 v66, vcc_lo, s12, v66
	v_add_co_ci_u32_e32 v67, vcc_lo, s13, v67, vcc_lo
	v_lshlrev_b64 v[76:77], 1, v[70:71]
	v_add_co_u32 v64, vcc_lo, s12, v64
	v_add_co_ci_u32_e32 v65, vcc_lo, s13, v65, vcc_lo
	s_delay_alu instid0(VALU_DEP_3) | instskip(NEXT) | instid1(VALU_DEP_4)
	v_add_co_u32 v76, vcc_lo, s12, v76
	v_add_co_ci_u32_e32 v77, vcc_lo, s13, v77, vcc_lo
	s_clause 0x7
	global_load_u16 v45, v[60:61], off
	global_load_u16 v41, v[56:57], off
	;; [unrolled: 1-line block ×8, first 2 shown]
.LBB261_61:                             ;   in Loop: Header=BB261_19 Depth=1
	v_cmp_ne_u32_e32 vcc_lo, 0, v1
	s_and_saveexec_b32 s2, vcc_lo
	s_cbranch_execnz .LBB261_77
; %bb.62:                               ;   in Loop: Header=BB261_19 Depth=1
	s_or_b32 exec_lo, exec_lo, s2
	v_cmp_ne_u32_e64 s1, 0, v2
	s_delay_alu instid0(VALU_DEP_1)
	s_and_saveexec_b32 s3, s1
	s_cbranch_execnz .LBB261_82
.LBB261_63:                             ;   in Loop: Header=BB261_19 Depth=1
	s_or_b32 exec_lo, exec_lo, s3
	v_cmp_ne_u32_e64 s2, 0, v3
	s_delay_alu instid0(VALU_DEP_1)
	s_and_saveexec_b32 s4, s2
	s_cbranch_execnz .LBB261_87
.LBB261_64:                             ;   in Loop: Header=BB261_19 Depth=1
	s_or_b32 exec_lo, exec_lo, s4
	v_cmp_ne_u32_e64 s3, 0, v4
	s_delay_alu instid0(VALU_DEP_1)
	s_and_saveexec_b32 s31, s3
	s_cbranch_execnz .LBB261_92
.LBB261_65:                             ;   in Loop: Header=BB261_19 Depth=1
	s_or_b32 exec_lo, exec_lo, s31
	v_add_nc_u32_e32 v70, s11, v69
	s_and_saveexec_b32 s31, vcc_lo
	s_cbranch_execnz .LBB261_97
.LBB261_66:                             ;   in Loop: Header=BB261_19 Depth=1
	s_or_b32 exec_lo, exec_lo, s31
	s_and_saveexec_b32 s31, s1
	s_cbranch_execnz .LBB261_102
.LBB261_67:                             ;   in Loop: Header=BB261_19 Depth=1
	s_or_b32 exec_lo, exec_lo, s31
	s_and_saveexec_b32 s31, s2
	s_cbranch_execnz .LBB261_107
.LBB261_68:                             ;   in Loop: Header=BB261_19 Depth=1
	s_or_b32 exec_lo, exec_lo, s31
	s_and_saveexec_b32 s31, s3
	s_cbranch_execnz .LBB261_112
.LBB261_69:                             ;   in Loop: Header=BB261_19 Depth=1
	s_or_b32 exec_lo, exec_lo, s31
	v_add_nc_u32_e32 v70, s11, v70
	s_and_saveexec_b32 s31, vcc_lo
	s_cbranch_execnz .LBB261_117
.LBB261_70:                             ;   in Loop: Header=BB261_19 Depth=1
	s_or_b32 exec_lo, exec_lo, s31
	s_and_saveexec_b32 s31, s1
	s_cbranch_execnz .LBB261_122
.LBB261_71:                             ;   in Loop: Header=BB261_19 Depth=1
	s_or_b32 exec_lo, exec_lo, s31
	s_and_saveexec_b32 s31, s2
	s_cbranch_execnz .LBB261_127
.LBB261_72:                             ;   in Loop: Header=BB261_19 Depth=1
	s_or_b32 exec_lo, exec_lo, s31
	s_and_saveexec_b32 s31, s3
	s_cbranch_execnz .LBB261_132
.LBB261_73:                             ;   in Loop: Header=BB261_19 Depth=1
	s_or_b32 exec_lo, exec_lo, s31
	v_add_nc_u32_e32 v70, s11, v70
	s_and_saveexec_b32 s4, vcc_lo
	s_cbranch_execnz .LBB261_137
.LBB261_74:                             ;   in Loop: Header=BB261_19 Depth=1
	s_or_b32 exec_lo, exec_lo, s4
	s_and_saveexec_b32 s4, s1
	s_cbranch_execnz .LBB261_142
.LBB261_75:                             ;   in Loop: Header=BB261_19 Depth=1
	s_or_b32 exec_lo, exec_lo, s4
	s_and_saveexec_b32 s1, s2
	s_cbranch_execnz .LBB261_147
.LBB261_76:                             ;   in Loop: Header=BB261_19 Depth=1
	s_or_b32 exec_lo, exec_lo, s1
	s_delay_alu instid0(SALU_CYCLE_1)
	s_and_b32 exec_lo, exec_lo, s3
	s_cbranch_execnz .LBB261_152
	s_branch .LBB261_157
.LBB261_77:                             ;   in Loop: Header=BB261_19 Depth=1
	s_waitcnt vmcnt(15) lgkmcnt(15)
	v_dual_add_f32 v42, v42, v43 :: v_dual_lshlrev_b32 v43, 16, v52
	s_delay_alu instid0(VALU_DEP_1) | instskip(NEXT) | instid1(VALU_DEP_1)
	v_add_f32_e32 v43, v42, v43
	v_and_b32_e32 v42, 0x7f800000, v43
	s_delay_alu instid0(VALU_DEP_1) | instskip(NEXT) | instid1(VALU_DEP_1)
	v_cmp_ne_u32_e64 s1, 0x7f800000, v42
                                        ; implicit-def: $vgpr42
	s_and_saveexec_b32 s3, s1
	s_delay_alu instid0(SALU_CYCLE_1)
	s_xor_b32 s1, exec_lo, s3
; %bb.78:                               ;   in Loop: Header=BB261_19 Depth=1
	v_bfe_u32 v42, v43, 16, 1
	s_delay_alu instid0(VALU_DEP_1)
	v_add3_u32 v42, v43, v42, 0x7fff
                                        ; implicit-def: $vgpr43
; %bb.79:                               ;   in Loop: Header=BB261_19 Depth=1
	s_and_not1_saveexec_b32 s3, s1
; %bb.80:                               ;   in Loop: Header=BB261_19 Depth=1
	v_and_b32_e32 v42, 0xffff, v43
	v_or_b32_e32 v52, 0x10000, v43
	s_delay_alu instid0(VALU_DEP_2) | instskip(NEXT) | instid1(VALU_DEP_1)
	v_cmp_eq_u32_e64 s1, 0, v42
	v_cndmask_b32_e64 v42, v52, v43, s1
; %bb.81:                               ;   in Loop: Header=BB261_19 Depth=1
	s_or_b32 exec_lo, exec_lo, s3
	v_mov_b32_e32 v70, v71
	s_delay_alu instid0(VALU_DEP_1) | instskip(NEXT) | instid1(VALU_DEP_1)
	v_lshlrev_b64 v[52:53], 1, v[69:70]
	v_add_co_u32 v52, s1, s14, v52
	s_delay_alu instid0(VALU_DEP_1) | instskip(SKIP_3) | instid1(VALU_DEP_1)
	v_add_co_ci_u32_e64 v53, s1, s15, v53, s1
	global_store_d16_hi_b16 v[52:53], v42, off
	s_or_b32 exec_lo, exec_lo, s2
	v_cmp_ne_u32_e64 s1, 0, v2
	s_and_saveexec_b32 s3, s1
	s_cbranch_execz .LBB261_63
.LBB261_82:                             ;   in Loop: Header=BB261_19 Depth=1
	s_waitcnt vmcnt(14) lgkmcnt(13)
	v_dual_add_f32 v39, v39, v40 :: v_dual_lshlrev_b32 v40, 16, v51
	s_delay_alu instid0(VALU_DEP_1) | instskip(NEXT) | instid1(VALU_DEP_1)
	v_add_f32_e32 v40, v39, v40
	v_and_b32_e32 v39, 0x7f800000, v40
	s_delay_alu instid0(VALU_DEP_1) | instskip(NEXT) | instid1(VALU_DEP_1)
	v_cmp_ne_u32_e64 s2, 0x7f800000, v39
                                        ; implicit-def: $vgpr39
	s_and_saveexec_b32 s4, s2
	s_delay_alu instid0(SALU_CYCLE_1)
	s_xor_b32 s2, exec_lo, s4
; %bb.83:                               ;   in Loop: Header=BB261_19 Depth=1
	v_bfe_u32 v39, v40, 16, 1
	s_delay_alu instid0(VALU_DEP_1)
	v_add3_u32 v39, v40, v39, 0x7fff
                                        ; implicit-def: $vgpr40
; %bb.84:                               ;   in Loop: Header=BB261_19 Depth=1
	s_and_not1_saveexec_b32 s4, s2
; %bb.85:                               ;   in Loop: Header=BB261_19 Depth=1
	v_and_b32_e32 v39, 0xffff, v40
	v_or_b32_e32 v42, 0x10000, v40
	s_delay_alu instid0(VALU_DEP_2) | instskip(NEXT) | instid1(VALU_DEP_1)
	v_cmp_eq_u32_e64 s2, 0, v39
	v_cndmask_b32_e64 v39, v42, v40, s2
; %bb.86:                               ;   in Loop: Header=BB261_19 Depth=1
	s_or_b32 exec_lo, exec_lo, s4
	v_mov_b32_e32 v76, v71
	s_delay_alu instid0(VALU_DEP_1) | instskip(NEXT) | instid1(VALU_DEP_1)
	v_lshlrev_b64 v[42:43], 1, v[75:76]
	v_add_co_u32 v42, s2, s14, v42
	s_delay_alu instid0(VALU_DEP_1) | instskip(SKIP_3) | instid1(VALU_DEP_1)
	v_add_co_ci_u32_e64 v43, s2, s15, v43, s2
	global_store_d16_hi_b16 v[42:43], v39, off
	s_or_b32 exec_lo, exec_lo, s3
	v_cmp_ne_u32_e64 s2, 0, v3
	s_and_saveexec_b32 s4, s2
	s_cbranch_execz .LBB261_64
.LBB261_87:                             ;   in Loop: Header=BB261_19 Depth=1
	s_waitcnt vmcnt(13) lgkmcnt(14)
	v_dual_add_f32 v36, v36, v37 :: v_dual_lshlrev_b32 v37, 16, v50
	s_delay_alu instid0(VALU_DEP_1) | instskip(NEXT) | instid1(VALU_DEP_1)
	v_add_f32_e32 v37, v36, v37
	v_and_b32_e32 v36, 0x7f800000, v37
	s_delay_alu instid0(VALU_DEP_1) | instskip(NEXT) | instid1(VALU_DEP_1)
	v_cmp_ne_u32_e64 s3, 0x7f800000, v36
                                        ; implicit-def: $vgpr36
	s_and_saveexec_b32 s31, s3
	s_delay_alu instid0(SALU_CYCLE_1)
	s_xor_b32 s3, exec_lo, s31
; %bb.88:                               ;   in Loop: Header=BB261_19 Depth=1
	v_bfe_u32 v36, v37, 16, 1
	s_delay_alu instid0(VALU_DEP_1)
	v_add3_u32 v36, v37, v36, 0x7fff
                                        ; implicit-def: $vgpr37
; %bb.89:                               ;   in Loop: Header=BB261_19 Depth=1
	s_and_not1_saveexec_b32 s31, s3
; %bb.90:                               ;   in Loop: Header=BB261_19 Depth=1
	v_and_b32_e32 v36, 0xffff, v37
	v_or_b32_e32 v39, 0x10000, v37
	s_delay_alu instid0(VALU_DEP_2) | instskip(NEXT) | instid1(VALU_DEP_1)
	v_cmp_eq_u32_e64 s3, 0, v36
	v_cndmask_b32_e64 v36, v39, v37, s3
; %bb.91:                               ;   in Loop: Header=BB261_19 Depth=1
	s_or_b32 exec_lo, exec_lo, s31
	v_mov_b32_e32 v75, v71
	s_waitcnt lgkmcnt(13)
	s_delay_alu instid0(VALU_DEP_1) | instskip(NEXT) | instid1(VALU_DEP_1)
	v_lshlrev_b64 v[39:40], 1, v[74:75]
	v_add_co_u32 v39, s3, s14, v39
	s_delay_alu instid0(VALU_DEP_1) | instskip(SKIP_3) | instid1(VALU_DEP_1)
	v_add_co_ci_u32_e64 v40, s3, s15, v40, s3
	global_store_d16_hi_b16 v[39:40], v36, off
	s_or_b32 exec_lo, exec_lo, s4
	v_cmp_ne_u32_e64 s3, 0, v4
	s_and_saveexec_b32 s31, s3
	s_cbranch_execz .LBB261_65
.LBB261_92:                             ;   in Loop: Header=BB261_19 Depth=1
	s_waitcnt vmcnt(12) lgkmcnt(11)
	v_dual_add_f32 v33, v33, v34 :: v_dual_lshlrev_b32 v34, 16, v49
	s_delay_alu instid0(VALU_DEP_1) | instskip(NEXT) | instid1(VALU_DEP_1)
	v_add_f32_e32 v34, v33, v34
	v_and_b32_e32 v33, 0x7f800000, v34
	s_delay_alu instid0(VALU_DEP_1) | instskip(NEXT) | instid1(VALU_DEP_1)
	v_cmp_ne_u32_e64 s4, 0x7f800000, v33
                                        ; implicit-def: $vgpr33
	s_and_saveexec_b32 s33, s4
	s_delay_alu instid0(SALU_CYCLE_1)
	s_xor_b32 s4, exec_lo, s33
; %bb.93:                               ;   in Loop: Header=BB261_19 Depth=1
	v_bfe_u32 v33, v34, 16, 1
	s_delay_alu instid0(VALU_DEP_1)
	v_add3_u32 v33, v34, v33, 0x7fff
                                        ; implicit-def: $vgpr34
; %bb.94:                               ;   in Loop: Header=BB261_19 Depth=1
	s_and_not1_saveexec_b32 s33, s4
; %bb.95:                               ;   in Loop: Header=BB261_19 Depth=1
	v_and_b32_e32 v33, 0xffff, v34
	v_or_b32_e32 v36, 0x10000, v34
	s_delay_alu instid0(VALU_DEP_2) | instskip(NEXT) | instid1(VALU_DEP_1)
	v_cmp_eq_u32_e64 s4, 0, v33
	v_cndmask_b32_e64 v33, v36, v34, s4
; %bb.96:                               ;   in Loop: Header=BB261_19 Depth=1
	s_or_b32 exec_lo, exec_lo, s33
	v_mov_b32_e32 v74, v71
	s_delay_alu instid0(VALU_DEP_1) | instskip(NEXT) | instid1(VALU_DEP_1)
	v_lshlrev_b64 v[36:37], 1, v[73:74]
	v_add_co_u32 v36, s4, s14, v36
	s_delay_alu instid0(VALU_DEP_1)
	v_add_co_ci_u32_e64 v37, s4, s15, v37, s4
	global_store_d16_hi_b16 v[36:37], v33, off
	s_or_b32 exec_lo, exec_lo, s31
	v_add_nc_u32_e32 v70, s11, v69
	s_and_saveexec_b32 s31, vcc_lo
	s_cbranch_execz .LBB261_66
.LBB261_97:                             ;   in Loop: Header=BB261_19 Depth=1
	s_waitcnt vmcnt(11) lgkmcnt(12)
	v_dual_add_f32 v30, v30, v31 :: v_dual_lshlrev_b32 v31, 16, v48
	s_delay_alu instid0(VALU_DEP_1) | instskip(NEXT) | instid1(VALU_DEP_1)
	v_add_f32_e32 v31, v30, v31
	v_and_b32_e32 v30, 0x7f800000, v31
	s_delay_alu instid0(VALU_DEP_1) | instskip(NEXT) | instid1(VALU_DEP_1)
	v_cmp_ne_u32_e64 s4, 0x7f800000, v30
                                        ; implicit-def: $vgpr30
	s_and_saveexec_b32 s33, s4
	s_delay_alu instid0(SALU_CYCLE_1)
	s_xor_b32 s4, exec_lo, s33
; %bb.98:                               ;   in Loop: Header=BB261_19 Depth=1
	v_bfe_u32 v30, v31, 16, 1
	s_delay_alu instid0(VALU_DEP_1)
	v_add3_u32 v30, v31, v30, 0x7fff
                                        ; implicit-def: $vgpr31
; %bb.99:                               ;   in Loop: Header=BB261_19 Depth=1
	s_and_not1_saveexec_b32 s33, s4
; %bb.100:                              ;   in Loop: Header=BB261_19 Depth=1
	v_and_b32_e32 v30, 0xffff, v31
	v_or_b32_e32 v33, 0x10000, v31
	s_delay_alu instid0(VALU_DEP_2) | instskip(NEXT) | instid1(VALU_DEP_1)
	v_cmp_eq_u32_e64 s4, 0, v30
	v_cndmask_b32_e64 v30, v33, v31, s4
; %bb.101:                              ;   in Loop: Header=BB261_19 Depth=1
	s_or_b32 exec_lo, exec_lo, s33
	s_waitcnt lgkmcnt(11)
	v_lshlrev_b64 v[33:34], 1, v[70:71]
	s_delay_alu instid0(VALU_DEP_1) | instskip(NEXT) | instid1(VALU_DEP_1)
	v_add_co_u32 v33, s4, s14, v33
	v_add_co_ci_u32_e64 v34, s4, s15, v34, s4
	global_store_d16_hi_b16 v[33:34], v30, off
	s_or_b32 exec_lo, exec_lo, s31
	s_and_saveexec_b32 s31, s1
	s_cbranch_execz .LBB261_67
.LBB261_102:                            ;   in Loop: Header=BB261_19 Depth=1
	s_waitcnt vmcnt(10) lgkmcnt(10)
	v_dual_add_f32 v25, v25, v26 :: v_dual_lshlrev_b32 v26, 16, v47
	s_delay_alu instid0(VALU_DEP_1) | instskip(NEXT) | instid1(VALU_DEP_1)
	v_add_f32_e32 v26, v25, v26
	v_and_b32_e32 v25, 0x7f800000, v26
	s_delay_alu instid0(VALU_DEP_1) | instskip(NEXT) | instid1(VALU_DEP_1)
	v_cmp_ne_u32_e64 s4, 0x7f800000, v25
                                        ; implicit-def: $vgpr25
	s_and_saveexec_b32 s33, s4
	s_delay_alu instid0(SALU_CYCLE_1)
	s_xor_b32 s4, exec_lo, s33
; %bb.103:                              ;   in Loop: Header=BB261_19 Depth=1
	v_bfe_u32 v25, v26, 16, 1
	s_delay_alu instid0(VALU_DEP_1)
	v_add3_u32 v25, v26, v25, 0x7fff
                                        ; implicit-def: $vgpr26
; %bb.104:                              ;   in Loop: Header=BB261_19 Depth=1
	s_and_not1_saveexec_b32 s33, s4
; %bb.105:                              ;   in Loop: Header=BB261_19 Depth=1
	v_and_b32_e32 v25, 0xffff, v26
	v_or_b32_e32 v30, 0x10000, v26
	s_delay_alu instid0(VALU_DEP_2) | instskip(NEXT) | instid1(VALU_DEP_1)
	v_cmp_eq_u32_e64 s4, 0, v25
	v_cndmask_b32_e64 v25, v30, v26, s4
; %bb.106:                              ;   in Loop: Header=BB261_19 Depth=1
	s_or_b32 exec_lo, exec_lo, s33
	v_dual_mov_b32 v31, v71 :: v_dual_add_nc_u32 v30, 1, v70
	s_delay_alu instid0(VALU_DEP_1) | instskip(NEXT) | instid1(VALU_DEP_1)
	v_lshlrev_b64 v[30:31], 1, v[30:31]
	v_add_co_u32 v30, s4, s14, v30
	s_delay_alu instid0(VALU_DEP_1)
	v_add_co_ci_u32_e64 v31, s4, s15, v31, s4
	global_store_d16_hi_b16 v[30:31], v25, off
	s_or_b32 exec_lo, exec_lo, s31
	s_and_saveexec_b32 s31, s2
	s_cbranch_execz .LBB261_68
.LBB261_107:                            ;   in Loop: Header=BB261_19 Depth=1
	s_waitcnt vmcnt(9) lgkmcnt(7)
	v_dual_add_f32 v25, v28, v29 :: v_dual_lshlrev_b32 v26, 16, v46
	s_delay_alu instid0(VALU_DEP_1) | instskip(NEXT) | instid1(VALU_DEP_1)
	v_add_f32_e32 v26, v25, v26
	v_and_b32_e32 v25, 0x7f800000, v26
	s_delay_alu instid0(VALU_DEP_1) | instskip(NEXT) | instid1(VALU_DEP_1)
	v_cmp_ne_u32_e64 s4, 0x7f800000, v25
                                        ; implicit-def: $vgpr25
	s_and_saveexec_b32 s33, s4
	s_delay_alu instid0(SALU_CYCLE_1)
	s_xor_b32 s4, exec_lo, s33
; %bb.108:                              ;   in Loop: Header=BB261_19 Depth=1
	v_bfe_u32 v25, v26, 16, 1
	s_delay_alu instid0(VALU_DEP_1)
	v_add3_u32 v25, v26, v25, 0x7fff
                                        ; implicit-def: $vgpr26
; %bb.109:                              ;   in Loop: Header=BB261_19 Depth=1
	s_and_not1_saveexec_b32 s33, s4
; %bb.110:                              ;   in Loop: Header=BB261_19 Depth=1
	v_and_b32_e32 v25, 0xffff, v26
	v_or_b32_e32 v28, 0x10000, v26
	s_delay_alu instid0(VALU_DEP_2) | instskip(NEXT) | instid1(VALU_DEP_1)
	v_cmp_eq_u32_e64 s4, 0, v25
	v_cndmask_b32_e64 v25, v28, v26, s4
; %bb.111:                              ;   in Loop: Header=BB261_19 Depth=1
	s_or_b32 exec_lo, exec_lo, s33
	v_dual_mov_b32 v29, v71 :: v_dual_add_nc_u32 v28, 2, v70
	s_delay_alu instid0(VALU_DEP_1) | instskip(NEXT) | instid1(VALU_DEP_1)
	v_lshlrev_b64 v[28:29], 1, v[28:29]
	v_add_co_u32 v28, s4, s14, v28
	s_delay_alu instid0(VALU_DEP_1)
	v_add_co_ci_u32_e64 v29, s4, s15, v29, s4
	global_store_d16_hi_b16 v[28:29], v25, off
	s_or_b32 exec_lo, exec_lo, s31
	s_and_saveexec_b32 s31, s3
	s_cbranch_execz .LBB261_69
.LBB261_112:                            ;   in Loop: Header=BB261_19 Depth=1
	s_waitcnt lgkmcnt(5)
	v_add_f32_e32 v23, v23, v24
	s_waitcnt vmcnt(8)
	v_lshlrev_b32_e32 v24, 16, v44
	s_delay_alu instid0(VALU_DEP_1) | instskip(NEXT) | instid1(VALU_DEP_1)
	v_add_f32_e32 v24, v23, v24
	v_and_b32_e32 v23, 0x7f800000, v24
	s_delay_alu instid0(VALU_DEP_1) | instskip(NEXT) | instid1(VALU_DEP_1)
	v_cmp_ne_u32_e64 s4, 0x7f800000, v23
                                        ; implicit-def: $vgpr23
	s_and_saveexec_b32 s33, s4
	s_delay_alu instid0(SALU_CYCLE_1)
	s_xor_b32 s4, exec_lo, s33
; %bb.113:                              ;   in Loop: Header=BB261_19 Depth=1
	v_bfe_u32 v23, v24, 16, 1
	s_delay_alu instid0(VALU_DEP_1)
	v_add3_u32 v23, v24, v23, 0x7fff
                                        ; implicit-def: $vgpr24
; %bb.114:                              ;   in Loop: Header=BB261_19 Depth=1
	s_and_not1_saveexec_b32 s33, s4
; %bb.115:                              ;   in Loop: Header=BB261_19 Depth=1
	v_and_b32_e32 v23, 0xffff, v24
	v_or_b32_e32 v25, 0x10000, v24
	s_delay_alu instid0(VALU_DEP_2) | instskip(NEXT) | instid1(VALU_DEP_1)
	v_cmp_eq_u32_e64 s4, 0, v23
	v_cndmask_b32_e64 v23, v25, v24, s4
; %bb.116:                              ;   in Loop: Header=BB261_19 Depth=1
	s_or_b32 exec_lo, exec_lo, s33
	v_dual_mov_b32 v25, v71 :: v_dual_add_nc_u32 v24, 3, v70
	s_delay_alu instid0(VALU_DEP_1) | instskip(NEXT) | instid1(VALU_DEP_1)
	v_lshlrev_b64 v[24:25], 1, v[24:25]
	v_add_co_u32 v24, s4, s14, v24
	s_delay_alu instid0(VALU_DEP_1)
	v_add_co_ci_u32_e64 v25, s4, s15, v25, s4
	global_store_d16_hi_b16 v[24:25], v23, off
	s_or_b32 exec_lo, exec_lo, s31
	v_add_nc_u32_e32 v70, s11, v70
	s_and_saveexec_b32 s31, vcc_lo
	s_cbranch_execz .LBB261_70
.LBB261_117:                            ;   in Loop: Header=BB261_19 Depth=1
	s_waitcnt lgkmcnt(9)
	v_add_f32_e32 v20, v20, v21
	s_waitcnt vmcnt(7)
	v_lshlrev_b32_e32 v21, 16, v45
	s_delay_alu instid0(VALU_DEP_1) | instskip(NEXT) | instid1(VALU_DEP_1)
	v_add_f32_e32 v21, v20, v21
	v_and_b32_e32 v20, 0x7f800000, v21
	s_delay_alu instid0(VALU_DEP_1) | instskip(NEXT) | instid1(VALU_DEP_1)
	v_cmp_ne_u32_e64 s4, 0x7f800000, v20
                                        ; implicit-def: $vgpr20
	s_and_saveexec_b32 s33, s4
	s_delay_alu instid0(SALU_CYCLE_1)
	s_xor_b32 s4, exec_lo, s33
; %bb.118:                              ;   in Loop: Header=BB261_19 Depth=1
	v_bfe_u32 v20, v21, 16, 1
	s_delay_alu instid0(VALU_DEP_1)
	v_add3_u32 v20, v21, v20, 0x7fff
                                        ; implicit-def: $vgpr21
; %bb.119:                              ;   in Loop: Header=BB261_19 Depth=1
	s_and_not1_saveexec_b32 s33, s4
; %bb.120:                              ;   in Loop: Header=BB261_19 Depth=1
	v_and_b32_e32 v20, 0xffff, v21
	v_or_b32_e32 v23, 0x10000, v21
	s_delay_alu instid0(VALU_DEP_2) | instskip(NEXT) | instid1(VALU_DEP_1)
	v_cmp_eq_u32_e64 s4, 0, v20
	v_cndmask_b32_e64 v20, v23, v21, s4
; %bb.121:                              ;   in Loop: Header=BB261_19 Depth=1
	s_or_b32 exec_lo, exec_lo, s33
	s_waitcnt lgkmcnt(5)
	v_lshlrev_b64 v[23:24], 1, v[70:71]
	s_delay_alu instid0(VALU_DEP_1) | instskip(NEXT) | instid1(VALU_DEP_1)
	v_add_co_u32 v23, s4, s14, v23
	v_add_co_ci_u32_e64 v24, s4, s15, v24, s4
	global_store_d16_hi_b16 v[23:24], v20, off
	s_or_b32 exec_lo, exec_lo, s31
	s_and_saveexec_b32 s31, s1
	s_cbranch_execz .LBB261_71
.LBB261_122:                            ;   in Loop: Header=BB261_19 Depth=1
	s_waitcnt vmcnt(6) lgkmcnt(8)
	v_dual_add_f32 v17, v17, v18 :: v_dual_lshlrev_b32 v18, 16, v41
	s_delay_alu instid0(VALU_DEP_1) | instskip(NEXT) | instid1(VALU_DEP_1)
	v_add_f32_e32 v18, v17, v18
	v_and_b32_e32 v17, 0x7f800000, v18
	s_delay_alu instid0(VALU_DEP_1) | instskip(NEXT) | instid1(VALU_DEP_1)
	v_cmp_ne_u32_e64 s4, 0x7f800000, v17
                                        ; implicit-def: $vgpr17
	s_and_saveexec_b32 s33, s4
	s_delay_alu instid0(SALU_CYCLE_1)
	s_xor_b32 s4, exec_lo, s33
; %bb.123:                              ;   in Loop: Header=BB261_19 Depth=1
	v_bfe_u32 v17, v18, 16, 1
	s_delay_alu instid0(VALU_DEP_1)
	v_add3_u32 v17, v18, v17, 0x7fff
                                        ; implicit-def: $vgpr18
; %bb.124:                              ;   in Loop: Header=BB261_19 Depth=1
	s_and_not1_saveexec_b32 s33, s4
; %bb.125:                              ;   in Loop: Header=BB261_19 Depth=1
	v_and_b32_e32 v17, 0xffff, v18
	v_or_b32_e32 v20, 0x10000, v18
	s_delay_alu instid0(VALU_DEP_2) | instskip(NEXT) | instid1(VALU_DEP_1)
	v_cmp_eq_u32_e64 s4, 0, v17
	v_cndmask_b32_e64 v17, v20, v18, s4
; %bb.126:                              ;   in Loop: Header=BB261_19 Depth=1
	s_or_b32 exec_lo, exec_lo, s33
	v_dual_mov_b32 v21, v71 :: v_dual_add_nc_u32 v20, 1, v70
	s_delay_alu instid0(VALU_DEP_1) | instskip(NEXT) | instid1(VALU_DEP_1)
	v_lshlrev_b64 v[20:21], 1, v[20:21]
	v_add_co_u32 v20, s4, s14, v20
	s_delay_alu instid0(VALU_DEP_1)
	v_add_co_ci_u32_e64 v21, s4, s15, v21, s4
	global_store_d16_hi_b16 v[20:21], v17, off
	s_or_b32 exec_lo, exec_lo, s31
	s_and_saveexec_b32 s31, s2
	s_cbranch_execz .LBB261_72
.LBB261_127:                            ;   in Loop: Header=BB261_19 Depth=1
	s_waitcnt lgkmcnt(6)
	v_add_f32_e32 v13, v13, v14
	s_waitcnt vmcnt(5)
	v_lshlrev_b32_e32 v14, 16, v38
	s_delay_alu instid0(VALU_DEP_1) | instskip(NEXT) | instid1(VALU_DEP_1)
	v_add_f32_e32 v14, v13, v14
	v_and_b32_e32 v13, 0x7f800000, v14
	s_delay_alu instid0(VALU_DEP_1) | instskip(NEXT) | instid1(VALU_DEP_1)
	v_cmp_ne_u32_e64 s4, 0x7f800000, v13
                                        ; implicit-def: $vgpr13
	s_and_saveexec_b32 s33, s4
	s_delay_alu instid0(SALU_CYCLE_1)
	s_xor_b32 s4, exec_lo, s33
; %bb.128:                              ;   in Loop: Header=BB261_19 Depth=1
	v_bfe_u32 v13, v14, 16, 1
	s_delay_alu instid0(VALU_DEP_1)
	v_add3_u32 v13, v14, v13, 0x7fff
                                        ; implicit-def: $vgpr14
; %bb.129:                              ;   in Loop: Header=BB261_19 Depth=1
	s_and_not1_saveexec_b32 s33, s4
; %bb.130:                              ;   in Loop: Header=BB261_19 Depth=1
	v_and_b32_e32 v13, 0xffff, v14
	v_or_b32_e32 v17, 0x10000, v14
	s_delay_alu instid0(VALU_DEP_2) | instskip(NEXT) | instid1(VALU_DEP_1)
	v_cmp_eq_u32_e64 s4, 0, v13
	v_cndmask_b32_e64 v13, v17, v14, s4
; %bb.131:                              ;   in Loop: Header=BB261_19 Depth=1
	s_or_b32 exec_lo, exec_lo, s33
	v_dual_mov_b32 v18, v71 :: v_dual_add_nc_u32 v17, 2, v70
	s_delay_alu instid0(VALU_DEP_1) | instskip(NEXT) | instid1(VALU_DEP_1)
	v_lshlrev_b64 v[17:18], 1, v[17:18]
	v_add_co_u32 v17, s4, s14, v17
	s_delay_alu instid0(VALU_DEP_1)
	v_add_co_ci_u32_e64 v18, s4, s15, v18, s4
	global_store_d16_hi_b16 v[17:18], v13, off
	s_or_b32 exec_lo, exec_lo, s31
	s_and_saveexec_b32 s31, s3
	s_cbranch_execz .LBB261_73
.LBB261_132:                            ;   in Loop: Header=BB261_19 Depth=1
	s_waitcnt vmcnt(4) lgkmcnt(3)
	v_dual_add_f32 v13, v15, v16 :: v_dual_lshlrev_b32 v14, 16, v35
	s_delay_alu instid0(VALU_DEP_1) | instskip(NEXT) | instid1(VALU_DEP_1)
	v_add_f32_e32 v14, v13, v14
	v_and_b32_e32 v13, 0x7f800000, v14
	s_delay_alu instid0(VALU_DEP_1) | instskip(NEXT) | instid1(VALU_DEP_1)
	v_cmp_ne_u32_e64 s4, 0x7f800000, v13
                                        ; implicit-def: $vgpr13
	s_and_saveexec_b32 s33, s4
	s_delay_alu instid0(SALU_CYCLE_1)
	s_xor_b32 s4, exec_lo, s33
; %bb.133:                              ;   in Loop: Header=BB261_19 Depth=1
	v_bfe_u32 v13, v14, 16, 1
	s_delay_alu instid0(VALU_DEP_1)
	v_add3_u32 v13, v14, v13, 0x7fff
                                        ; implicit-def: $vgpr14
; %bb.134:                              ;   in Loop: Header=BB261_19 Depth=1
	s_and_not1_saveexec_b32 s33, s4
; %bb.135:                              ;   in Loop: Header=BB261_19 Depth=1
	v_and_b32_e32 v13, 0xffff, v14
	v_or_b32_e32 v15, 0x10000, v14
	s_delay_alu instid0(VALU_DEP_2) | instskip(NEXT) | instid1(VALU_DEP_1)
	v_cmp_eq_u32_e64 s4, 0, v13
	v_cndmask_b32_e64 v13, v15, v14, s4
; %bb.136:                              ;   in Loop: Header=BB261_19 Depth=1
	s_or_b32 exec_lo, exec_lo, s33
	v_dual_mov_b32 v15, v71 :: v_dual_add_nc_u32 v14, 3, v70
	s_delay_alu instid0(VALU_DEP_1) | instskip(NEXT) | instid1(VALU_DEP_1)
	v_lshlrev_b64 v[14:15], 1, v[14:15]
	v_add_co_u32 v14, s4, s14, v14
	s_delay_alu instid0(VALU_DEP_1)
	v_add_co_ci_u32_e64 v15, s4, s15, v15, s4
	global_store_d16_hi_b16 v[14:15], v13, off
	s_or_b32 exec_lo, exec_lo, s31
	v_add_nc_u32_e32 v70, s11, v70
	s_and_saveexec_b32 s4, vcc_lo
	s_cbranch_execz .LBB261_74
.LBB261_137:                            ;   in Loop: Header=BB261_19 Depth=1
	s_waitcnt lgkmcnt(4)
	v_add_f32_e32 v11, v11, v12
	s_waitcnt vmcnt(3)
	v_lshlrev_b32_e32 v12, 16, v32
	s_delay_alu instid0(VALU_DEP_1) | instskip(NEXT) | instid1(VALU_DEP_1)
	v_add_f32_e32 v12, v11, v12
	v_and_b32_e32 v11, 0x7f800000, v12
	s_delay_alu instid0(VALU_DEP_1) | instskip(SKIP_1) | instid1(SALU_CYCLE_1)
	v_cmp_ne_u32_e32 vcc_lo, 0x7f800000, v11
                                        ; implicit-def: $vgpr11
	s_and_saveexec_b32 s31, vcc_lo
	s_xor_b32 s31, exec_lo, s31
; %bb.138:                              ;   in Loop: Header=BB261_19 Depth=1
	v_bfe_u32 v11, v12, 16, 1
	s_delay_alu instid0(VALU_DEP_1)
	v_add3_u32 v11, v12, v11, 0x7fff
                                        ; implicit-def: $vgpr12
; %bb.139:                              ;   in Loop: Header=BB261_19 Depth=1
	s_and_not1_saveexec_b32 s31, s31
; %bb.140:                              ;   in Loop: Header=BB261_19 Depth=1
	v_and_b32_e32 v11, 0xffff, v12
	v_or_b32_e32 v13, 0x10000, v12
	s_delay_alu instid0(VALU_DEP_2) | instskip(NEXT) | instid1(VALU_DEP_2)
	v_cmp_eq_u32_e32 vcc_lo, 0, v11
	v_cndmask_b32_e32 v11, v13, v12, vcc_lo
; %bb.141:                              ;   in Loop: Header=BB261_19 Depth=1
	s_or_b32 exec_lo, exec_lo, s31
	v_lshlrev_b64 v[12:13], 1, v[70:71]
	s_delay_alu instid0(VALU_DEP_1) | instskip(NEXT) | instid1(VALU_DEP_2)
	v_add_co_u32 v12, vcc_lo, s14, v12
	v_add_co_ci_u32_e32 v13, vcc_lo, s15, v13, vcc_lo
	global_store_d16_hi_b16 v[12:13], v11, off
	s_or_b32 exec_lo, exec_lo, s4
	s_and_saveexec_b32 s4, s1
	s_cbranch_execz .LBB261_75
.LBB261_142:                            ;   in Loop: Header=BB261_19 Depth=1
	s_waitcnt vmcnt(2) lgkmcnt(2)
	v_dual_add_f32 v9, v9, v10 :: v_dual_lshlrev_b32 v10, 16, v27
	s_delay_alu instid0(VALU_DEP_1) | instskip(NEXT) | instid1(VALU_DEP_1)
	v_add_f32_e32 v10, v9, v10
	v_and_b32_e32 v9, 0x7f800000, v10
	s_delay_alu instid0(VALU_DEP_1) | instskip(SKIP_1) | instid1(SALU_CYCLE_1)
	v_cmp_ne_u32_e32 vcc_lo, 0x7f800000, v9
                                        ; implicit-def: $vgpr9
	s_and_saveexec_b32 s1, vcc_lo
	s_xor_b32 s1, exec_lo, s1
; %bb.143:                              ;   in Loop: Header=BB261_19 Depth=1
	v_bfe_u32 v9, v10, 16, 1
	s_delay_alu instid0(VALU_DEP_1)
	v_add3_u32 v9, v10, v9, 0x7fff
                                        ; implicit-def: $vgpr10
; %bb.144:                              ;   in Loop: Header=BB261_19 Depth=1
	s_and_not1_saveexec_b32 s1, s1
; %bb.145:                              ;   in Loop: Header=BB261_19 Depth=1
	v_and_b32_e32 v9, 0xffff, v10
	v_or_b32_e32 v11, 0x10000, v10
	s_delay_alu instid0(VALU_DEP_2) | instskip(NEXT) | instid1(VALU_DEP_2)
	v_cmp_eq_u32_e32 vcc_lo, 0, v9
	v_cndmask_b32_e32 v9, v11, v10, vcc_lo
; %bb.146:                              ;   in Loop: Header=BB261_19 Depth=1
	s_or_b32 exec_lo, exec_lo, s1
	v_dual_mov_b32 v11, v71 :: v_dual_add_nc_u32 v10, 1, v70
	s_delay_alu instid0(VALU_DEP_1) | instskip(NEXT) | instid1(VALU_DEP_1)
	v_lshlrev_b64 v[10:11], 1, v[10:11]
	v_add_co_u32 v10, vcc_lo, s14, v10
	s_delay_alu instid0(VALU_DEP_2)
	v_add_co_ci_u32_e32 v11, vcc_lo, s15, v11, vcc_lo
	global_store_d16_hi_b16 v[10:11], v9, off
	s_or_b32 exec_lo, exec_lo, s4
	s_and_saveexec_b32 s1, s2
	s_cbranch_execz .LBB261_76
.LBB261_147:                            ;   in Loop: Header=BB261_19 Depth=1
	s_waitcnt vmcnt(1) lgkmcnt(1)
	v_dual_add_f32 v7, v7, v8 :: v_dual_lshlrev_b32 v8, 16, v22
	s_delay_alu instid0(VALU_DEP_1) | instskip(NEXT) | instid1(VALU_DEP_1)
	v_add_f32_e32 v8, v7, v8
	v_and_b32_e32 v7, 0x7f800000, v8
	s_delay_alu instid0(VALU_DEP_1) | instskip(SKIP_1) | instid1(SALU_CYCLE_1)
	v_cmp_ne_u32_e32 vcc_lo, 0x7f800000, v7
                                        ; implicit-def: $vgpr7
	s_and_saveexec_b32 s2, vcc_lo
	s_xor_b32 s2, exec_lo, s2
; %bb.148:                              ;   in Loop: Header=BB261_19 Depth=1
	v_bfe_u32 v7, v8, 16, 1
	s_delay_alu instid0(VALU_DEP_1)
	v_add3_u32 v7, v8, v7, 0x7fff
                                        ; implicit-def: $vgpr8
; %bb.149:                              ;   in Loop: Header=BB261_19 Depth=1
	s_and_not1_saveexec_b32 s2, s2
; %bb.150:                              ;   in Loop: Header=BB261_19 Depth=1
	v_and_b32_e32 v7, 0xffff, v8
	v_or_b32_e32 v9, 0x10000, v8
	s_delay_alu instid0(VALU_DEP_2) | instskip(NEXT) | instid1(VALU_DEP_2)
	v_cmp_eq_u32_e32 vcc_lo, 0, v7
	v_cndmask_b32_e32 v7, v9, v8, vcc_lo
; %bb.151:                              ;   in Loop: Header=BB261_19 Depth=1
	s_or_b32 exec_lo, exec_lo, s2
	v_dual_mov_b32 v9, v71 :: v_dual_add_nc_u32 v8, 2, v70
	s_delay_alu instid0(VALU_DEP_1) | instskip(NEXT) | instid1(VALU_DEP_1)
	v_lshlrev_b64 v[8:9], 1, v[8:9]
	v_add_co_u32 v8, vcc_lo, s14, v8
	s_delay_alu instid0(VALU_DEP_2) | instskip(SKIP_2) | instid1(SALU_CYCLE_1)
	v_add_co_ci_u32_e32 v9, vcc_lo, s15, v9, vcc_lo
	global_store_d16_hi_b16 v[8:9], v7, off
	s_or_b32 exec_lo, exec_lo, s1
	s_and_b32 exec_lo, exec_lo, s3
	s_cbranch_execz .LBB261_157
.LBB261_152:                            ;   in Loop: Header=BB261_19 Depth=1
	s_waitcnt vmcnt(0) lgkmcnt(0)
	v_dual_add_f32 v5, v5, v6 :: v_dual_lshlrev_b32 v6, 16, v19
	s_delay_alu instid0(VALU_DEP_1) | instskip(NEXT) | instid1(VALU_DEP_1)
	v_add_f32_e32 v6, v5, v6
	v_and_b32_e32 v5, 0x7f800000, v6
	s_delay_alu instid0(VALU_DEP_1) | instskip(SKIP_1) | instid1(SALU_CYCLE_1)
	v_cmp_ne_u32_e32 vcc_lo, 0x7f800000, v5
                                        ; implicit-def: $vgpr5
	s_and_saveexec_b32 s1, vcc_lo
	s_xor_b32 s1, exec_lo, s1
; %bb.153:                              ;   in Loop: Header=BB261_19 Depth=1
	v_bfe_u32 v5, v6, 16, 1
	s_delay_alu instid0(VALU_DEP_1)
	v_add3_u32 v5, v6, v5, 0x7fff
                                        ; implicit-def: $vgpr6
; %bb.154:                              ;   in Loop: Header=BB261_19 Depth=1
	s_and_not1_saveexec_b32 s1, s1
; %bb.155:                              ;   in Loop: Header=BB261_19 Depth=1
	v_and_b32_e32 v5, 0xffff, v6
	v_or_b32_e32 v7, 0x10000, v6
	s_delay_alu instid0(VALU_DEP_2) | instskip(NEXT) | instid1(VALU_DEP_2)
	v_cmp_eq_u32_e32 vcc_lo, 0, v5
	v_cndmask_b32_e32 v5, v7, v6, vcc_lo
; %bb.156:                              ;   in Loop: Header=BB261_19 Depth=1
	s_or_b32 exec_lo, exec_lo, s1
	v_add_nc_u32_e32 v70, 3, v70
	s_delay_alu instid0(VALU_DEP_1) | instskip(NEXT) | instid1(VALU_DEP_1)
	v_lshlrev_b64 v[6:7], 1, v[70:71]
	v_add_co_u32 v6, vcc_lo, s14, v6
	s_delay_alu instid0(VALU_DEP_2)
	v_add_co_ci_u32_e32 v7, vcc_lo, s15, v7, vcc_lo
	global_store_d16_hi_b16 v[6:7], v5, off
.LBB261_157:                            ;   in Loop: Header=BB261_19 Depth=1
	s_or_b32 exec_lo, exec_lo, s5
	v_add_nc_u32_e32 v69, s20, v69
	s_delay_alu instid0(VALU_DEP_1) | instskip(SKIP_1) | instid1(VALU_DEP_2)
	v_add_nc_u32_e32 v5, 4, v69
	v_cmp_gt_u32_e32 vcc_lo, s11, v69
	v_cmp_le_u32_e64 s1, s11, v5
	s_delay_alu instid0(VALU_DEP_1) | instskip(NEXT) | instid1(SALU_CYCLE_1)
	s_and_b32 s1, vcc_lo, s1
	s_and_saveexec_b32 s31, s1
	s_cbranch_execz .LBB261_18
; %bb.158:                              ;   in Loop: Header=BB261_19 Depth=1
	s_mov_b32 s33, exec_lo
	v_cmpx_ne_u32_e64 s21, v69
	s_cbranch_execz .LBB261_17
; %bb.159:                              ;   in Loop: Header=BB261_19 Depth=1
	v_subrev_nc_u32_e32 v5, s21, v69
	s_mov_b32 s34, 0
	s_mov_b64 s[4:5], 0
	s_delay_alu instid0(VALU_DEP_1)
	v_cmp_lt_u32_e32 vcc_lo, 1, v5
	v_cndmask_b32_e32 v5, 1, v5, vcc_lo
	.p2align	6
.LBB261_160:                            ;   Parent Loop BB261_19 Depth=1
                                        ; =>  This Inner Loop Header: Depth=2
	s_cmp_lg_u32 s4, 3
	s_cselect_b32 vcc_lo, -1, 0
	s_cmp_lg_u32 s4, 2
	v_cndmask_b32_e32 v4, 0, v4, vcc_lo
	s_cselect_b32 s1, -1, 0
	s_cmp_lg_u32 s4, 1
	v_cndmask_b32_e64 v3, 0, v3, s1
	s_cselect_b32 s2, -1, 0
	s_cmp_lg_u32 s4, 0
	v_cndmask_b32_e64 v2, 0, v2, s2
	s_cselect_b32 s3, -1, 0
	s_add_u32 s4, s4, 1
	v_cndmask_b32_e64 v1, 0, v1, s3
	v_cmp_eq_u32_e32 vcc_lo, s4, v5
	s_addc_u32 s5, s5, 0
	s_or_b32 s34, vcc_lo, s34
	s_delay_alu instid0(SALU_CYCLE_1)
	s_and_not1_b32 exec_lo, exec_lo, s34
	s_cbranch_execnz .LBB261_160
; %bb.161:                              ;   in Loop: Header=BB261_19 Depth=1
	s_or_b32 exec_lo, exec_lo, s34
	s_branch .LBB261_17
.LBB261_162:
	s_nop 0
	s_sendmsg sendmsg(MSG_DEALLOC_VGPRS)
	s_endpgm
	.section	.rodata,"a",@progbits
	.p2align	6, 0x0
	.amdhsa_kernel _Z12wvSplitK_hf_I14__hip_bfloat16Li32ELi4ELi16ELi8ELi2ELi4EEviiiiiiPKT_S3_S3_PS1_ii
		.amdhsa_group_segment_fixed_size 65536
		.amdhsa_private_segment_fixed_size 0
		.amdhsa_kernarg_size 64
		.amdhsa_user_sgpr_count 15
		.amdhsa_user_sgpr_dispatch_ptr 0
		.amdhsa_user_sgpr_queue_ptr 0
		.amdhsa_user_sgpr_kernarg_segment_ptr 1
		.amdhsa_user_sgpr_dispatch_id 0
		.amdhsa_user_sgpr_private_segment_size 0
		.amdhsa_wavefront_size32 1
		.amdhsa_uses_dynamic_stack 0
		.amdhsa_enable_private_segment 0
		.amdhsa_system_sgpr_workgroup_id_x 1
		.amdhsa_system_sgpr_workgroup_id_y 0
		.amdhsa_system_sgpr_workgroup_id_z 0
		.amdhsa_system_sgpr_workgroup_info 0
		.amdhsa_system_vgpr_workitem_id 1
		.amdhsa_next_free_vgpr 138
		.amdhsa_next_free_sgpr 35
		.amdhsa_reserve_vcc 1
		.amdhsa_float_round_mode_32 0
		.amdhsa_float_round_mode_16_64 0
		.amdhsa_float_denorm_mode_32 3
		.amdhsa_float_denorm_mode_16_64 3
		.amdhsa_dx10_clamp 1
		.amdhsa_ieee_mode 1
		.amdhsa_fp16_overflow 0
		.amdhsa_workgroup_processor_mode 1
		.amdhsa_memory_ordered 1
		.amdhsa_forward_progress 0
		.amdhsa_shared_vgpr_count 0
		.amdhsa_exception_fp_ieee_invalid_op 0
		.amdhsa_exception_fp_denorm_src 0
		.amdhsa_exception_fp_ieee_div_zero 0
		.amdhsa_exception_fp_ieee_overflow 0
		.amdhsa_exception_fp_ieee_underflow 0
		.amdhsa_exception_fp_ieee_inexact 0
		.amdhsa_exception_int_div_zero 0
	.end_amdhsa_kernel
	.section	.text._Z12wvSplitK_hf_I14__hip_bfloat16Li32ELi4ELi16ELi8ELi2ELi4EEviiiiiiPKT_S3_S3_PS1_ii,"axG",@progbits,_Z12wvSplitK_hf_I14__hip_bfloat16Li32ELi4ELi16ELi8ELi2ELi4EEviiiiiiPKT_S3_S3_PS1_ii,comdat
.Lfunc_end261:
	.size	_Z12wvSplitK_hf_I14__hip_bfloat16Li32ELi4ELi16ELi8ELi2ELi4EEviiiiiiPKT_S3_S3_PS1_ii, .Lfunc_end261-_Z12wvSplitK_hf_I14__hip_bfloat16Li32ELi4ELi16ELi8ELi2ELi4EEviiiiiiPKT_S3_S3_PS1_ii
                                        ; -- End function
	.section	.AMDGPU.csdata,"",@progbits
; Kernel info:
; codeLenInByte = 11004
; NumSgprs: 37
; NumVgprs: 138
; ScratchSize: 0
; MemoryBound: 0
; FloatMode: 240
; IeeeMode: 1
; LDSByteSize: 65536 bytes/workgroup (compile time only)
; SGPRBlocks: 4
; VGPRBlocks: 17
; NumSGPRsForWavesPerEU: 37
; NumVGPRsForWavesPerEU: 138
; Occupancy: 8
; WaveLimiterHint : 0
; COMPUTE_PGM_RSRC2:SCRATCH_EN: 0
; COMPUTE_PGM_RSRC2:USER_SGPR: 15
; COMPUTE_PGM_RSRC2:TRAP_HANDLER: 0
; COMPUTE_PGM_RSRC2:TGID_X_EN: 1
; COMPUTE_PGM_RSRC2:TGID_Y_EN: 0
; COMPUTE_PGM_RSRC2:TGID_Z_EN: 0
; COMPUTE_PGM_RSRC2:TIDIG_COMP_CNT: 1
	.section	.text._Z16wvSplitK_hf_big_I14__hip_bfloat16Li32ELi4ELi16ELi8ELi2ELi4EEviiiiiiPKT_S3_S3_PS1_ii,"axG",@progbits,_Z16wvSplitK_hf_big_I14__hip_bfloat16Li32ELi4ELi16ELi8ELi2ELi4EEviiiiiiPKT_S3_S3_PS1_ii,comdat
	.protected	_Z16wvSplitK_hf_big_I14__hip_bfloat16Li32ELi4ELi16ELi8ELi2ELi4EEviiiiiiPKT_S3_S3_PS1_ii ; -- Begin function _Z16wvSplitK_hf_big_I14__hip_bfloat16Li32ELi4ELi16ELi8ELi2ELi4EEviiiiiiPKT_S3_S3_PS1_ii
	.globl	_Z16wvSplitK_hf_big_I14__hip_bfloat16Li32ELi4ELi16ELi8ELi2ELi4EEviiiiiiPKT_S3_S3_PS1_ii
	.p2align	8
	.type	_Z16wvSplitK_hf_big_I14__hip_bfloat16Li32ELi4ELi16ELi8ELi2ELi4EEviiiiiiPKT_S3_S3_PS1_ii,@function
_Z16wvSplitK_hf_big_I14__hip_bfloat16Li32ELi4ELi16ELi8ELi2ELi4EEviiiiiiPKT_S3_S3_PS1_ii: ; @_Z16wvSplitK_hf_big_I14__hip_bfloat16Li32ELi4ELi16ELi8ELi2ELi4EEviiiiiiPKT_S3_S3_PS1_ii
; %bb.0:
	s_load_b64 s[20:21], s[0:1], 0x38
	v_bfe_u32 v5, v0, 10, 10
	s_mov_b32 s2, exec_lo
	s_waitcnt lgkmcnt(0)
	s_delay_alu instid0(VALU_DEP_1)
	v_cmpx_gt_u32_e64 s20, v5
	s_cbranch_execz .LBB262_136
; %bb.1:
	s_load_b128 s[16:19], s[0:1], 0x0
	s_mul_i32 s15, s15, s20
	s_mov_b32 s4, 1
	v_add_lshl_u32 v69, s15, v5, 2
	s_mov_b32 s5, s4
	s_mov_b32 s6, s4
	;; [unrolled: 1-line block ×3, first 2 shown]
	s_delay_alu instid0(VALU_DEP_1) | instskip(SKIP_2) | instid1(VALU_DEP_2)
	v_add_nc_u32_e32 v1, 4, v69
	s_waitcnt lgkmcnt(0)
	v_cmp_gt_u32_e32 vcc_lo, s19, v69
	v_cmp_le_u32_e64 s2, s19, v1
	v_dual_mov_b32 v1, s4 :: v_dual_mov_b32 v4, s7
	v_dual_mov_b32 v2, s5 :: v_dual_mov_b32 v3, s6
	s_delay_alu instid0(VALU_DEP_3) | instskip(NEXT) | instid1(SALU_CYCLE_1)
	s_and_b32 s2, vcc_lo, s2
	s_and_saveexec_b32 s8, s2
	s_cbranch_execz .LBB262_7
; %bb.2:
	v_dual_mov_b32 v1, s4 :: v_dual_mov_b32 v2, s5
	v_dual_mov_b32 v3, s6 :: v_dual_mov_b32 v4, s7
	s_add_i32 s9, s19, -4
	s_mov_b32 s10, exec_lo
	v_cmpx_ne_u32_e64 s9, v69
	s_cbranch_execz .LBB262_6
; %bb.3:
	v_subrev_nc_u32_e32 v1, s9, v69
	s_mov_b32 s11, 0
	s_mov_b64 s[2:3], 0
	s_mov_b32 s5, s4
	s_mov_b32 s6, s4
	v_cmp_lt_u32_e32 vcc_lo, 1, v1
	s_mov_b32 s7, s4
	v_cndmask_b32_e32 v6, 1, v1, vcc_lo
	.p2align	6
.LBB262_4:                              ; =>This Inner Loop Header: Depth=1
	s_cmp_lg_u32 s2, 3
	s_cselect_b32 s7, s7, 0
	s_cmp_lg_u32 s2, 2
	s_cselect_b32 s6, s6, 0
	;; [unrolled: 2-line block ×4, first 2 shown]
	s_add_u32 s2, s2, 1
	v_dual_mov_b32 v1, s4 :: v_dual_mov_b32 v2, s5
	v_cmp_eq_u32_e32 vcc_lo, s2, v6
	v_dual_mov_b32 v3, s6 :: v_dual_mov_b32 v4, s7
	s_addc_u32 s3, s3, 0
	s_or_b32 s11, vcc_lo, s11
	s_delay_alu instid0(SALU_CYCLE_1)
	s_and_not1_b32 exec_lo, exec_lo, s11
	s_cbranch_execnz .LBB262_4
; %bb.5:
	s_or_b32 exec_lo, exec_lo, s11
	v_mov_b32_e32 v69, s9
.LBB262_6:
	s_or_b32 exec_lo, exec_lo, s10
.LBB262_7:
	s_delay_alu instid0(SALU_CYCLE_1)
	s_or_b32 exec_lo, exec_lo, s8
	s_lshl_b32 s2, s20, 2
	s_abs_i32 s6, s19
	s_abs_i32 s3, s2
	s_mov_b32 s23, 0
	v_cvt_f32_u32_e32 v6, s3
	s_sub_i32 s5, 0, s3
	s_delay_alu instid0(VALU_DEP_1) | instskip(SKIP_2) | instid1(VALU_DEP_1)
	v_rcp_iflag_f32_e32 v6, v6
	s_waitcnt_depctr 0xfff
	v_mul_f32_e32 v6, 0x4f7ffffe, v6
	v_cvt_u32_f32_e32 v6, v6
	s_delay_alu instid0(VALU_DEP_1) | instskip(NEXT) | instid1(VALU_DEP_1)
	v_readfirstlane_b32 s4, v6
	s_mul_i32 s5, s5, s4
	s_delay_alu instid0(SALU_CYCLE_1) | instskip(NEXT) | instid1(SALU_CYCLE_1)
	s_mul_hi_u32 s5, s4, s5
	s_add_i32 s4, s4, s5
	s_ashr_i32 s5, s19, 31
	s_mul_hi_u32 s4, s6, s4
	s_delay_alu instid0(SALU_CYCLE_1) | instskip(NEXT) | instid1(SALU_CYCLE_1)
	s_mul_i32 s4, s4, s3
	s_sub_i32 s4, s6, s4
	s_delay_alu instid0(SALU_CYCLE_1) | instskip(SKIP_2) | instid1(SALU_CYCLE_1)
	s_sub_i32 s6, s4, s3
	s_cmp_ge_u32 s4, s3
	s_cselect_b32 s4, s6, s4
	s_sub_i32 s6, s4, s3
	s_cmp_ge_u32 s4, s3
	s_cselect_b32 s3, s6, s4
	s_add_i32 s2, s2, s19
	s_xor_b32 s3, s3, s5
	s_delay_alu instid0(SALU_CYCLE_1) | instskip(NEXT) | instid1(SALU_CYCLE_1)
	s_sub_i32 s3, s3, s5
	s_sub_i32 s2, s2, s3
	s_cmp_eq_u32 s3, 0
	s_cselect_b32 s22, s19, s2
	s_delay_alu instid0(SALU_CYCLE_1)
	v_cmp_gt_u32_e32 vcc_lo, s22, v69
	s_and_b32 exec_lo, exec_lo, vcc_lo
	s_cbranch_execz .LBB262_136
; %bb.8:
	s_load_b256 s[8:15], s[0:1], 0x10
	s_min_u32 s24, s18, 0x2000
	s_cmp_lg_u32 s16, 0
	s_mul_i32 s2, s21, s20
	s_cselect_b32 s25, -1, 0
	s_cmp_lg_u32 s18, 0
	s_load_b64 s[6:7], s[0:1], 0x30
	s_cselect_b32 s21, -1, 0
	s_lshl_b32 s26, s20, 8
	s_add_i32 s27, s16, -8
	s_add_i32 s28, s19, -1
	s_lshl_b32 s29, s2, 2
	v_and_b32_e32 v0, 0x3ff, v0
	v_mov_b32_e32 v72, 0
	v_mbcnt_lo_u32_b32 v82, -1, 0
	s_delay_alu instid0(VALU_DEP_3)
	v_lshlrev_b32_e32 v83, 3, v0
	v_cmp_eq_u32_e64 s0, 31, v0
	v_lshlrev_b32_e32 v0, 4, v0
	s_waitcnt lgkmcnt(0)
	s_cmp_lg_u64 s[14:15], 0
	v_cvt_f32_u32_e32 v7, s8
	s_cselect_b32 s30, -1, 0
	s_abs_i32 s2, s9
	s_add_i32 s31, s19, -4
	v_cvt_f32_u32_e32 v6, s2
	v_rcp_iflag_f32_e32 v7, v7
	s_sub_i32 s3, 0, s2
	s_sub_i32 s4, 0, s8
	;; [unrolled: 1-line block ×3, first 2 shown]
	v_rcp_iflag_f32_e32 v6, v6
	v_lshl_add_u32 v84, v5, 9, v0
	v_lshl_add_u32 v0, v5, 8, v83
	s_mul_i32 s9, s24, 6
	s_delay_alu instid0(VALU_DEP_1) | instskip(SKIP_4) | instid1(VALU_DEP_2)
	v_mad_u64_u32 v[73:74], null, s18, 3, v[0:1]
	v_lshl_add_u32 v85, s18, 1, v0
	s_waitcnt_depctr 0xfff
	v_mul_f32_e32 v6, 0x4f7ffffe, v6
	v_add_nc_u32_e32 v86, s18, v0
	v_cvt_u32_f32_e32 v6, v6
	s_delay_alu instid0(VALU_DEP_1) | instskip(SKIP_1) | instid1(VALU_DEP_2)
	v_readfirstlane_b32 s1, v6
	v_mul_f32_e32 v6, 0x4f7ffffe, v7
	s_mul_i32 s3, s3, s1
	s_delay_alu instid0(VALU_DEP_1) | instskip(SKIP_1) | instid1(SALU_CYCLE_1)
	v_cvt_u32_f32_e32 v6, v6
	s_mul_hi_u32 s3, s1, s3
	s_add_i32 s1, s1, s3
	s_cmp_lt_u32 s2, 2
	s_delay_alu instid0(VALU_DEP_1) | instskip(SKIP_1) | instid1(SALU_CYCLE_1)
	v_mul_lo_u32 v5, s4, v6
	s_cselect_b32 s3, s5, 1
	s_sub_i32 s5, s3, s2
	s_cmp_ge_u32 s3, s2
	s_cselect_b32 s33, s5, s3
	s_lshr_b32 s3, s1, 31
	s_mul_hi_u32 s1, s1, 3
	s_mul_i32 s3, s3, s2
	s_mul_i32 s1, s1, s2
	s_sub_i32 s3, 2, s3
	v_mul_hi_u32 v5, v6, v5
	s_sub_i32 s4, s3, s2
	s_cmp_ge_u32 s3, s2
	s_mul_i32 s33, s33, s8
	s_cselect_b32 s3, s4, s3
	s_delay_alu instid0(SALU_CYCLE_1) | instskip(SKIP_1) | instid1(VALU_DEP_1)
	s_sub_i32 s4, s3, s2
	s_cmp_ge_u32 s3, s2
	v_add_nc_u32_e32 v87, v6, v5
	s_cselect_b32 s34, s4, s3
	s_sub_i32 s1, 3, s1
	s_mul_i32 s34, s34, s8
	s_sub_i32 s3, s1, s2
	s_cmp_ge_u32 s1, s2
	s_cselect_b32 s1, s3, s1
	s_delay_alu instid0(SALU_CYCLE_1)
	s_sub_i32 s3, s1, s2
	s_cmp_ge_u32 s1, s2
	s_cselect_b32 s38, s3, s1
	s_add_u32 s35, s6, 2
	s_addc_u32 s36, s7, 0
	s_lshl_b32 s20, s20, 9
	s_lshl_b32 s37, s24, 2
	s_mul_i32 s38, s38, s8
	s_lshl_b32 s39, s24, 1
	s_branch .LBB262_12
.LBB262_9:                              ;   in Loop: Header=BB262_12 Depth=1
	s_or_b32 exec_lo, exec_lo, s42
	v_mov_b32_e32 v69, s31
.LBB262_10:                             ;   in Loop: Header=BB262_12 Depth=1
	s_or_b32 exec_lo, exec_lo, s41
.LBB262_11:                             ;   in Loop: Header=BB262_12 Depth=1
	s_delay_alu instid0(SALU_CYCLE_1) | instskip(NEXT) | instid1(VALU_DEP_1)
	s_or_b32 exec_lo, exec_lo, s40
	v_cmp_le_u32_e32 vcc_lo, s22, v69
	s_or_b32 s23, vcc_lo, s23
	s_delay_alu instid0(SALU_CYCLE_1)
	s_and_not1_b32 exec_lo, exec_lo, s23
	s_cbranch_execz .LBB262_136
.LBB262_12:                             ; =>This Loop Header: Depth=1
                                        ;     Child Loop BB262_17 Depth 2
                                        ;       Child Loop BB262_22 Depth 3
                                        ;     Child Loop BB262_134 Depth 2
	v_mov_b32_e32 v70, v72
	v_mov_b32_e32 v88, v72
	;; [unrolled: 1-line block ×16, first 2 shown]
	s_and_not1_b32 vcc_lo, exec_lo, s25
	s_mov_b32 s3, 0
	s_cbranch_vccnz .LBB262_29
; %bb.13:                               ;   in Loop: Header=BB262_12 Depth=1
	v_dual_mov_b32 v97, 0 :: v_dual_add_nc_u32 v6, 2, v69
	v_add_nc_u32_e32 v5, 1, v69
	v_add_nc_u32_e32 v7, 3, v69
	s_waitcnt lgkmcnt(1)
	v_min_u32_e32 v8, s28, v69
	v_min_u32_e32 v6, s28, v6
	s_waitcnt lgkmcnt(0)
	v_dual_mov_b32 v10, v72 :: v_dual_mov_b32 v101, 0
	v_cmp_gt_u32_e64 s1, s19, v69
	v_mul_lo_u32 v71, v8, s17
	v_mov_b32_e32 v8, v72
	v_min_u32_e32 v9, s28, v7
	v_mul_lo_u32 v7, v6, s17
	v_mov_b32_e32 v6, v72
	v_min_u32_e32 v5, s28, v5
	v_dual_mov_b32 v98, 0 :: v_dual_mov_b32 v99, 0
	v_mul_lo_u32 v9, v9, s17
	v_lshlrev_b64 v[74:75], 1, v[71:72]
	s_delay_alu instid0(VALU_DEP_4)
	v_mul_lo_u32 v5, v5, s17
	v_lshlrev_b64 v[78:79], 1, v[7:8]
	v_dual_mov_b32 v100, 0 :: v_dual_mov_b32 v95, 0
	v_dual_mov_b32 v102, 0 :: v_dual_mov_b32 v93, 0
	v_lshlrev_b64 v[80:81], 1, v[9:10]
	v_dual_mov_b32 v94, 0 :: v_dual_mov_b32 v91, 0
	v_lshlrev_b64 v[76:77], 1, v[5:6]
	v_dual_mov_b32 v96, 0 :: v_dual_mov_b32 v89, 0
	v_mov_b32_e32 v92, 0
	v_mov_b32_e32 v90, 0
	;; [unrolled: 1-line block ×4, first 2 shown]
	s_mov_b32 s4, 0
	s_branch .LBB262_17
.LBB262_14:                             ;   in Loop: Header=BB262_17 Depth=2
	s_or_b32 exec_lo, exec_lo, s40
.LBB262_15:                             ;   in Loop: Header=BB262_17 Depth=2
	s_delay_alu instid0(SALU_CYCLE_1)
	s_or_b32 exec_lo, exec_lo, s5
	s_waitcnt lgkmcnt(3)
	v_and_b32_e32 v108, 0xffff0000, v67
	s_waitcnt vmcnt(7)
	v_and_b32_e32 v109, 0xffff0000, v63
	v_and_b32_e32 v103, 0xffff0000, v61
	v_lshlrev_b32_e32 v67, 16, v67
	v_lshlrev_b32_e32 v63, 16, v63
	;; [unrolled: 1-line block ×3, first 2 shown]
	v_mul_f32_e32 v110, v108, v109
	v_and_b32_e32 v71, 0xffff0000, v65
	s_waitcnt vmcnt(6)
	v_and_b32_e32 v116, 0xffff0000, v60
	v_lshlrev_b32_e32 v60, 16, v60
	s_waitcnt vmcnt(5)
	v_and_b32_e32 v120, 0xffff0000, v56
	v_dual_fmac_f32 v110, v67, v63 :: v_dual_lshlrev_b32 v65, 16, v65
	v_dual_mul_f32 v106, v71, v103 :: v_dual_and_b32 v105, 0xffff0000, v62
	v_lshlrev_b32_e32 v56, 16, v56
	s_delay_alu instid0(VALU_DEP_2) | instskip(NEXT) | instid1(VALU_DEP_1)
	v_fmac_f32_e32 v106, v65, v61
	v_dual_add_f32 v97, v97, v106 :: v_dual_and_b32 v106, 0xffff0000, v57
	v_and_b32_e32 v104, 0xffff0000, v66
	v_lshlrev_b32_e32 v66, 16, v66
	v_lshlrev_b32_e32 v57, 16, v57
	s_delay_alu instid0(VALU_DEP_4) | instskip(NEXT) | instid1(VALU_DEP_4)
	v_mul_f32_e32 v111, v71, v106
	v_dual_mul_f32 v107, v104, v105 :: v_dual_lshlrev_b32 v62, 16, v62
	s_delay_alu instid0(VALU_DEP_2) | instskip(NEXT) | instid1(VALU_DEP_2)
	v_dual_fmac_f32 v111, v65, v57 :: v_dual_and_b32 v112, 0xffff0000, v58
	v_fmac_f32_e32 v107, v66, v62
	s_delay_alu instid0(VALU_DEP_2) | instskip(NEXT) | instid1(VALU_DEP_2)
	v_add_f32_e32 v101, v101, v111
	v_dual_add_f32 v97, v97, v107 :: v_dual_lshlrev_b32 v58, 16, v58
	s_delay_alu instid0(VALU_DEP_4) | instskip(SKIP_1) | instid1(VALU_DEP_3)
	v_dual_mul_f32 v113, v104, v112 :: v_dual_and_b32 v114, 0xffff0000, v59
	v_and_b32_e32 v107, 0xffff0000, v68
	v_dual_add_f32 v97, v97, v110 :: v_dual_and_b32 v110, 0xffff0000, v64
	s_delay_alu instid0(VALU_DEP_3) | instskip(SKIP_2) | instid1(VALU_DEP_4)
	v_fmac_f32_e32 v113, v66, v58
	v_lshlrev_b32_e32 v59, 16, v59
	v_dual_mul_f32 v111, v108, v114 :: v_dual_lshlrev_b32 v68, 16, v68
	v_dual_mul_f32 v115, v107, v110 :: v_dual_lshlrev_b32 v64, 16, v64
	s_delay_alu instid0(VALU_DEP_4)
	v_add_f32_e32 v101, v101, v113
	v_and_b32_e32 v113, 0xffff0000, v53
	v_lshlrev_b32_e32 v53, 16, v53
	v_fmac_f32_e32 v111, v67, v59
	v_fmac_f32_e32 v115, v68, v64
	v_mul_f32_e32 v117, v107, v116
	v_mul_f32_e32 v118, v71, v113
	s_delay_alu instid0(VALU_DEP_1) | instskip(NEXT) | instid1(VALU_DEP_1)
	v_fmac_f32_e32 v118, v65, v53
	v_add_f32_e32 v98, v98, v118
	s_waitcnt vmcnt(4)
	v_dual_add_f32 v101, v101, v111 :: v_dual_and_b32 v118, 0xffff0000, v45
	v_and_b32_e32 v111, 0xffff0000, v54
	v_dual_add_f32 v97, v97, v115 :: v_dual_lshlrev_b32 v54, 16, v54
	v_lshlrev_b32_e32 v45, 16, v45
	s_delay_alu instid0(VALU_DEP_4) | instskip(NEXT) | instid1(VALU_DEP_4)
	v_mul_f32_e32 v71, v71, v118
	v_mul_f32_e32 v115, v104, v111
	s_delay_alu instid0(VALU_DEP_2) | instskip(NEXT) | instid1(VALU_DEP_2)
	v_fmac_f32_e32 v71, v65, v45
	v_fmac_f32_e32 v115, v66, v54
	s_delay_alu instid0(VALU_DEP_2) | instskip(NEXT) | instid1(VALU_DEP_2)
	v_add_f32_e32 v71, v99, v71
	v_dual_add_f32 v98, v98, v115 :: v_dual_and_b32 v115, 0xffff0000, v46
	v_lshlrev_b32_e32 v46, 16, v46
	s_waitcnt lgkmcnt(2)
	v_and_b32_e32 v99, 0xffff0000, v49
	v_fmac_f32_e32 v117, v68, v60
	v_mul_f32_e32 v65, v104, v115
	v_and_b32_e32 v104, 0xffff0000, v47
	v_lshlrev_b32_e32 v49, 16, v49
	s_delay_alu instid0(VALU_DEP_4) | instskip(SKIP_1) | instid1(VALU_DEP_4)
	v_add_f32_e32 v101, v101, v117
	v_and_b32_e32 v117, 0xffff0000, v55
	v_dual_fmac_f32 v65, v66, v46 :: v_dual_mul_f32 v66, v108, v104
	s_delay_alu instid0(VALU_DEP_1) | instskip(SKIP_1) | instid1(VALU_DEP_1)
	v_add_f32_e32 v65, v71, v65
	v_mul_f32_e32 v71, v99, v103
	v_fmac_f32_e32 v71, v49, v61
	s_delay_alu instid0(VALU_DEP_1) | instskip(SKIP_3) | instid1(VALU_DEP_4)
	v_dual_add_f32 v71, v100, v71 :: v_dual_mul_f32 v100, v99, v106
	v_lshlrev_b32_e32 v47, 16, v47
	v_dual_mul_f32 v119, v108, v117 :: v_dual_and_b32 v108, 0xffff0000, v50
	v_lshlrev_b32_e32 v50, 16, v50
	v_fmac_f32_e32 v100, v49, v57
	s_delay_alu instid0(VALU_DEP_4) | instskip(NEXT) | instid1(VALU_DEP_1)
	v_fmac_f32_e32 v66, v67, v47
	v_dual_add_f32 v100, v102, v100 :: v_dual_add_f32 v65, v65, v66
	v_mul_f32_e32 v66, v108, v105
	s_delay_alu instid0(VALU_DEP_1) | instskip(NEXT) | instid1(VALU_DEP_1)
	v_dual_fmac_f32 v66, v50, v62 :: v_dual_lshlrev_b32 v55, 16, v55
	v_add_f32_e32 v66, v71, v66
	s_delay_alu instid0(VALU_DEP_2)
	v_fmac_f32_e32 v119, v67, v55
	v_and_b32_e32 v71, 0xffff0000, v52
	v_lshlrev_b32_e32 v52, 16, v52
	v_and_b32_e32 v67, 0xffff0000, v48
	v_lshlrev_b32_e32 v48, 16, v48
	v_dual_add_f32 v98, v98, v119 :: v_dual_mul_f32 v119, v108, v112
	s_delay_alu instid0(VALU_DEP_1) | instskip(SKIP_2) | instid1(VALU_DEP_3)
	v_fmac_f32_e32 v119, v50, v58
	v_mul_f32_e32 v121, v107, v120
	v_mul_f32_e32 v107, v107, v67
	v_add_f32_e32 v100, v100, v119
	s_delay_alu instid0(VALU_DEP_3) | instskip(NEXT) | instid1(VALU_DEP_3)
	v_fmac_f32_e32 v121, v68, v56
	v_fmac_f32_e32 v107, v68, v48
	s_delay_alu instid0(VALU_DEP_2) | instskip(SKIP_2) | instid1(VALU_DEP_4)
	v_dual_mul_f32 v119, v71, v116 :: v_dual_add_f32 v68, v98, v121
	v_and_b32_e32 v98, 0xffff0000, v51
	v_lshlrev_b32_e32 v51, 16, v51
	v_add_f32_e32 v65, v65, v107
	v_mul_f32_e32 v121, v71, v110
	s_delay_alu instid0(VALU_DEP_4) | instskip(SKIP_1) | instid1(VALU_DEP_2)
	v_dual_fmac_f32 v119, v52, v60 :: v_dual_mul_f32 v102, v98, v114
	v_mul_f32_e32 v107, v98, v109
	v_dual_fmac_f32 v121, v52, v64 :: v_dual_fmac_f32 v102, v51, v59
	s_delay_alu instid0(VALU_DEP_1) | instskip(NEXT) | instid1(VALU_DEP_1)
	v_dual_fmac_f32 v107, v51, v63 :: v_dual_add_f32 v100, v100, v102
	v_add_f32_e32 v66, v66, v107
	v_mul_f32_e32 v102, v98, v117
	s_delay_alu instid0(VALU_DEP_3) | instskip(NEXT) | instid1(VALU_DEP_3)
	v_dual_add_f32 v100, v100, v119 :: v_dual_mul_f32 v107, v99, v113
	v_dual_mul_f32 v99, v99, v118 :: v_dual_add_f32 v66, v66, v121
	v_mul_f32_e32 v121, v108, v111
	s_delay_alu instid0(VALU_DEP_3) | instskip(NEXT) | instid1(VALU_DEP_3)
	v_dual_fmac_f32 v102, v51, v55 :: v_dual_fmac_f32 v107, v49, v53
	v_fmac_f32_e32 v99, v49, v45
	v_mul_f32_e32 v49, v108, v115
	s_delay_alu instid0(VALU_DEP_4) | instskip(NEXT) | instid1(VALU_DEP_4)
	v_fmac_f32_e32 v121, v50, v54
	v_add_f32_e32 v95, v95, v107
	v_mul_f32_e32 v107, v71, v120
	s_delay_alu instid0(VALU_DEP_4) | instskip(SKIP_4) | instid1(VALU_DEP_3)
	v_fmac_f32_e32 v49, v50, v46
	v_mul_f32_e32 v50, v98, v104
	s_waitcnt lgkmcnt(1)
	v_and_b32_e32 v98, 0xffff0000, v41
	v_dual_add_f32 v95, v95, v121 :: v_dual_add_f32 v94, v94, v99
	v_dual_fmac_f32 v50, v51, v47 :: v_dual_lshlrev_b32 v41, 16, v41
	s_delay_alu instid0(VALU_DEP_3) | instskip(NEXT) | instid1(VALU_DEP_3)
	v_mul_f32_e32 v51, v98, v103
	v_add_f32_e32 v95, v95, v102
	v_fmac_f32_e32 v107, v52, v56
	v_add_f32_e32 v49, v94, v49
	v_mul_f32_e32 v71, v71, v67
	v_fmac_f32_e32 v51, v41, v61
	v_mul_f32_e32 v102, v98, v113
	v_dual_add_f32 v94, v95, v107 :: v_dual_and_b32 v95, 0xffff0000, v42
	v_add_f32_e32 v49, v49, v50
	v_fmac_f32_e32 v71, v52, v48
	v_dual_add_f32 v51, v96, v51 :: v_dual_mul_f32 v96, v98, v106
	v_lshlrev_b32_e32 v42, 16, v42
	v_mul_f32_e32 v50, v95, v105
	v_and_b32_e32 v52, 0xffff0000, v43
	v_add_f32_e32 v49, v49, v71
	v_dual_fmac_f32 v96, v41, v57 :: v_dual_mul_f32 v71, v95, v112
	s_delay_alu instid0(VALU_DEP_4) | instskip(NEXT) | instid1(VALU_DEP_2)
	v_dual_fmac_f32 v50, v42, v62 :: v_dual_lshlrev_b32 v43, 16, v43
	v_dual_mul_f32 v98, v98, v118 :: v_dual_add_f32 v93, v93, v96
	s_delay_alu instid0(VALU_DEP_3) | instskip(SKIP_1) | instid1(VALU_DEP_4)
	v_fmac_f32_e32 v71, v42, v58
	v_mul_f32_e32 v96, v52, v114
	v_dual_add_f32 v50, v51, v50 :: v_dual_and_b32 v51, 0xffff0000, v44
	s_delay_alu instid0(VALU_DEP_3) | instskip(NEXT) | instid1(VALU_DEP_3)
	v_dual_add_f32 v71, v93, v71 :: v_dual_lshlrev_b32 v44, 16, v44
	v_fmac_f32_e32 v96, v43, v59
	v_dual_fmac_f32 v102, v41, v53 :: v_dual_mul_f32 v93, v95, v111
	s_delay_alu instid0(VALU_DEP_4) | instskip(NEXT) | instid1(VALU_DEP_3)
	v_dual_fmac_f32 v98, v41, v45 :: v_dual_mul_f32 v107, v51, v110
	v_add_f32_e32 v71, v71, v96
	s_delay_alu instid0(VALU_DEP_3) | instskip(NEXT) | instid1(VALU_DEP_3)
	v_dual_mul_f32 v96, v51, v116 :: v_dual_fmac_f32 v93, v42, v54
	v_add_f32_e32 v91, v91, v98
	v_add_f32_e32 v92, v92, v102
	v_fmac_f32_e32 v107, v44, v64
	s_delay_alu instid0(VALU_DEP_4) | instskip(NEXT) | instid1(VALU_DEP_3)
	v_fmac_f32_e32 v96, v44, v60
	v_dual_add_f32 v92, v92, v93 :: v_dual_mul_f32 v93, v51, v120
	s_delay_alu instid0(VALU_DEP_2)
	v_add_f32_e32 v41, v71, v96
	v_mul_f32_e32 v71, v95, v115
	s_waitcnt lgkmcnt(0)
	v_and_b32_e32 v95, 0xffff0000, v37
	v_lshlrev_b32_e32 v37, 16, v37
	v_mul_f32_e32 v51, v51, v67
	v_fmac_f32_e32 v93, v44, v56
	v_dual_fmac_f32 v71, v42, v46 :: v_dual_mul_f32 v42, v52, v104
	s_delay_alu instid0(VALU_DEP_3) | instskip(NEXT) | instid1(VALU_DEP_2)
	v_fmac_f32_e32 v51, v44, v48
	v_dual_add_f32 v71, v91, v71 :: v_dual_and_b32 v44, 0xffff0000, v40
	s_delay_alu instid0(VALU_DEP_3) | instskip(SKIP_2) | instid1(VALU_DEP_3)
	v_dual_fmac_f32 v42, v43, v47 :: v_dual_and_b32 v91, 0xffff0000, v38
	v_lshlrev_b32_e32 v38, 16, v38
	v_lshlrev_b32_e32 v40, 16, v40
	v_dual_add_f32 v42, v71, v42 :: v_dual_and_b32 v71, 0xffff0000, v39
	v_lshlrev_b32_e32 v39, 16, v39
	s_delay_alu instid0(VALU_DEP_2) | instskip(SKIP_1) | instid1(VALU_DEP_2)
	v_dual_mul_f32 v99, v52, v109 :: v_dual_add_f32 v42, v42, v51
	v_mul_f32_e32 v51, v91, v112
	v_fmac_f32_e32 v99, v43, v63
	s_delay_alu instid0(VALU_DEP_1) | instskip(SKIP_1) | instid1(VALU_DEP_1)
	v_dual_add_f32 v50, v50, v99 :: v_dual_mul_f32 v99, v52, v117
	v_mul_f32_e32 v52, v95, v103
	v_fmac_f32_e32 v52, v37, v61
	s_delay_alu instid0(VALU_DEP_1) | instskip(NEXT) | instid1(VALU_DEP_1)
	v_dual_mul_f32 v61, v91, v105 :: v_dual_add_f32 v52, v90, v52
	v_dual_fmac_f32 v61, v38, v62 :: v_dual_mul_f32 v62, v71, v109
	s_delay_alu instid0(VALU_DEP_1) | instskip(NEXT) | instid1(VALU_DEP_2)
	v_dual_add_f32 v52, v52, v61 :: v_dual_mul_f32 v61, v95, v106
	v_dual_fmac_f32 v62, v39, v63 :: v_dual_mul_f32 v63, v44, v110
	s_delay_alu instid0(VALU_DEP_1)
	v_add_f32_e32 v52, v52, v62
	s_waitcnt vmcnt(2)
	v_and_b32_e32 v62, 0xffff0000, v28
	v_dual_fmac_f32 v61, v37, v57 :: v_dual_lshlrev_b32 v28, 16, v28
	v_fmac_f32_e32 v63, v40, v64
	s_waitcnt vmcnt(1)
	v_dual_mul_f32 v57, v95, v113 :: v_dual_and_b32 v64, 0xffff0000, v23
	v_fmac_f32_e32 v51, v38, v58
	v_lshlrev_b32_e32 v23, 16, v23
	v_add_f32_e32 v61, v89, v61
	s_delay_alu instid0(VALU_DEP_4) | instskip(SKIP_1) | instid1(VALU_DEP_3)
	v_fmac_f32_e32 v57, v37, v53
	v_mul_f32_e32 v53, v91, v111
	v_dual_mul_f32 v58, v71, v114 :: v_dual_add_f32 v51, v61, v51
	v_mul_f32_e32 v61, v95, v118
	s_delay_alu instid0(VALU_DEP_4) | instskip(NEXT) | instid1(VALU_DEP_4)
	v_add_f32_e32 v57, v88, v57
	v_dual_fmac_f32 v53, v38, v54 :: v_dual_mul_f32 v54, v71, v117
	s_delay_alu instid0(VALU_DEP_3) | instskip(SKIP_1) | instid1(VALU_DEP_3)
	v_dual_fmac_f32 v58, v39, v59 :: v_dual_fmac_f32 v61, v37, v45
	v_mul_f32_e32 v37, v91, v115
	v_dual_add_f32 v53, v57, v53 :: v_dual_fmac_f32 v54, v39, v55
	s_delay_alu instid0(VALU_DEP_2) | instskip(SKIP_2) | instid1(VALU_DEP_4)
	v_dual_fmac_f32 v37, v38, v46 :: v_dual_and_b32 v46, 0xffff0000, v33
	v_lshlrev_b32_e32 v33, 16, v33
	v_mul_f32_e32 v59, v44, v116
	v_dual_add_f32 v53, v53, v54 :: v_dual_add_f32 v54, v70, v61
	s_waitcnt vmcnt(0)
	v_and_b32_e32 v70, 0xffff0000, v14
	v_lshlrev_b32_e32 v14, 16, v14
	v_add_f32_e32 v51, v51, v58
	v_fmac_f32_e32 v59, v40, v60
	v_dual_mul_f32 v38, v71, v104 :: v_dual_add_f32 v37, v54, v37
	v_and_b32_e32 v54, 0xffff0000, v35
	v_lshlrev_b32_e32 v35, 16, v35
	s_delay_alu instid0(VALU_DEP_4) | instskip(SKIP_4) | instid1(VALU_DEP_4)
	v_add_f32_e32 v45, v51, v59
	v_mul_f32_e32 v51, v44, v120
	v_mul_f32_e32 v44, v44, v67
	v_fmac_f32_e32 v99, v43, v55
	v_dual_fmac_f32 v38, v39, v47 :: v_dual_and_b32 v55, 0xffff0000, v29
	v_fmac_f32_e32 v51, v40, v56
	v_lshlrev_b32_e32 v29, 16, v29
	v_and_b32_e32 v56, 0xffff0000, v31
	s_delay_alu instid0(VALU_DEP_4)
	v_mul_f32_e32 v39, v46, v55
	v_add_f32_e32 v37, v37, v38
	v_add_f32_e32 v47, v53, v51
	v_and_b32_e32 v51, 0xffff0000, v34
	v_and_b32_e32 v53, 0xffff0000, v30
	v_dual_fmac_f32 v39, v33, v29 :: v_dual_lshlrev_b32 v34, 16, v34
	v_lshlrev_b32_e32 v30, 16, v30
	s_delay_alu instid0(VALU_DEP_3) | instskip(NEXT) | instid1(VALU_DEP_3)
	v_dual_mul_f32 v38, v51, v53 :: v_dual_lshlrev_b32 v31, 16, v31
	v_add_f32_e32 v39, v97, v39
	v_mul_f32_e32 v57, v54, v56
	v_fmac_f32_e32 v44, v40, v48
	v_and_b32_e32 v40, 0xffff0000, v32
	v_fmac_f32_e32 v38, v34, v30
	s_delay_alu instid0(VALU_DEP_4) | instskip(SKIP_2) | instid1(VALU_DEP_4)
	v_dual_fmac_f32 v57, v35, v31 :: v_dual_and_b32 v48, 0xffff0000, v25
	v_lshlrev_b32_e32 v32, 16, v32
	v_add_f32_e32 v50, v50, v107
	v_dual_add_f32 v38, v39, v38 :: v_dual_and_b32 v39, 0xffff0000, v36
	v_lshlrev_b32_e32 v36, 16, v36
	v_dual_add_f32 v92, v92, v99 :: v_dual_lshlrev_b32 v25, 16, v25
	v_mul_f32_e32 v59, v46, v48
	s_delay_alu instid0(VALU_DEP_4) | instskip(SKIP_2) | instid1(VALU_DEP_3)
	v_mul_f32_e32 v58, v39, v40
	v_dual_add_f32 v38, v38, v57 :: v_dual_and_b32 v57, 0xffff0000, v26
	v_add_f32_e32 v37, v37, v44
	v_dual_fmac_f32 v59, v33, v25 :: v_dual_fmac_f32 v58, v36, v32
	v_dual_add_f32 v43, v92, v93 :: v_dual_lshlrev_b32 v26, 16, v26
	s_delay_alu instid0(VALU_DEP_4) | instskip(SKIP_1) | instid1(VALU_DEP_4)
	v_mul_f32_e32 v44, v51, v57
	v_mul_f32_e32 v67, v39, v62
	v_dual_add_f32 v97, v38, v58 :: v_dual_and_b32 v38, 0xffff0000, v27
	v_add_f32_e32 v58, v101, v59
	s_delay_alu instid0(VALU_DEP_4) | instskip(NEXT) | instid1(VALU_DEP_3)
	v_dual_fmac_f32 v44, v34, v26 :: v_dual_lshlrev_b32 v27, 16, v27
	v_dual_mul_f32 v60, v54, v38 :: v_dual_and_b32 v59, 0xffff0000, v21
	s_delay_alu instid0(VALU_DEP_2) | instskip(NEXT) | instid1(VALU_DEP_2)
	v_dual_add_f32 v44, v58, v44 :: v_dual_lshlrev_b32 v21, 16, v21
	v_dual_mul_f32 v61, v46, v59 :: v_dual_and_b32 v58, 0xffff0000, v22
	s_delay_alu instid0(VALU_DEP_3) | instskip(NEXT) | instid1(VALU_DEP_2)
	v_dual_fmac_f32 v60, v35, v27 :: v_dual_fmac_f32 v67, v36, v28
	v_dual_fmac_f32 v61, v33, v21 :: v_dual_lshlrev_b32 v22, 16, v22
	s_delay_alu instid0(VALU_DEP_2) | instskip(SKIP_3) | instid1(VALU_DEP_3)
	v_add_f32_e32 v44, v44, v60
	v_and_b32_e32 v60, 0xffff0000, v13
	v_dual_add_f32 v52, v52, v63 :: v_dual_lshlrev_b32 v13, 16, v13
	v_mul_f32_e32 v63, v51, v58
	v_dual_add_f32 v101, v44, v67 :: v_dual_mul_f32 v46, v46, v60
	v_dual_add_f32 v61, v68, v61 :: v_dual_mul_f32 v68, v54, v64
	s_delay_alu instid0(VALU_DEP_2) | instskip(SKIP_1) | instid1(VALU_DEP_3)
	v_dual_fmac_f32 v63, v34, v22 :: v_dual_fmac_f32 v46, v33, v13
	v_mul_f32_e32 v33, v51, v70
	v_fmac_f32_e32 v68, v35, v23
	s_delay_alu instid0(VALU_DEP_3) | instskip(NEXT) | instid1(VALU_DEP_4)
	v_add_f32_e32 v61, v61, v63
	v_dual_add_f32 v44, v65, v46 :: v_dual_and_b32 v63, 0xffff0000, v24
	v_and_b32_e32 v46, 0xffff0000, v15
	v_lshlrev_b32_e32 v15, 16, v15
	v_dual_fmac_f32 v33, v34, v14 :: v_dual_and_b32 v34, 0xffff0000, v17
	v_lshlrev_b32_e32 v17, 16, v17
	s_delay_alu instid0(VALU_DEP_4) | instskip(NEXT) | instid1(VALU_DEP_3)
	v_dual_mul_f32 v51, v54, v46 :: v_dual_lshlrev_b32 v24, 16, v24
	v_dual_add_f32 v33, v44, v33 :: v_dual_and_b32 v44, 0xffff0000, v16
	s_delay_alu instid0(VALU_DEP_4) | instskip(NEXT) | instid1(VALU_DEP_3)
	v_mul_f32_e32 v54, v34, v55
	v_fmac_f32_e32 v51, v35, v15
	v_dual_mul_f32 v71, v39, v63 :: v_dual_lshlrev_b32 v16, 16, v16
	s_delay_alu instid0(VALU_DEP_3) | instskip(NEXT) | instid1(VALU_DEP_3)
	v_dual_mul_f32 v39, v39, v44 :: v_dual_fmac_f32 v54, v17, v29
	v_add_f32_e32 v33, v33, v51
	v_and_b32_e32 v51, 0xffff0000, v19
	v_add_f32_e32 v61, v61, v68
	v_fmac_f32_e32 v71, v36, v24
	v_and_b32_e32 v35, 0xffff0000, v18
	v_dual_fmac_f32 v39, v36, v16 :: v_dual_add_f32 v36, v66, v54
	v_dual_mul_f32 v66, v51, v38 :: v_dual_lshlrev_b32 v19, 16, v19
	s_delay_alu instid0(VALU_DEP_4) | instskip(SKIP_1) | instid1(VALU_DEP_4)
	v_add_f32_e32 v98, v61, v71
	v_lshlrev_b32_e32 v18, 16, v18
	v_dual_mul_f32 v54, v51, v56 :: v_dual_add_f32 v99, v33, v39
	s_delay_alu instid0(VALU_DEP_4) | instskip(SKIP_2) | instid1(VALU_DEP_4)
	v_fmac_f32_e32 v66, v19, v27
	v_mul_f32_e32 v61, v35, v53
	v_and_b32_e32 v33, 0xffff0000, v20
	v_dual_mul_f32 v39, v34, v48 :: v_dual_fmac_f32 v54, v19, v31
	s_delay_alu instid0(VALU_DEP_3) | instskip(SKIP_1) | instid1(VALU_DEP_3)
	v_dual_fmac_f32 v61, v18, v30 :: v_dual_lshlrev_b32 v20, 16, v20
	v_mul_f32_e32 v65, v35, v57
	v_fmac_f32_e32 v39, v17, v25
	s_delay_alu instid0(VALU_DEP_3) | instskip(SKIP_1) | instid1(VALU_DEP_3)
	v_dual_mul_f32 v67, v35, v58 :: v_dual_add_f32 v36, v36, v61
	v_mul_f32_e32 v61, v33, v40
	v_add_f32_e32 v39, v100, v39
	v_fmac_f32_e32 v65, v18, v26
	s_delay_alu instid0(VALU_DEP_4) | instskip(SKIP_3) | instid1(VALU_DEP_2)
	v_fmac_f32_e32 v67, v18, v22
	v_add_f32_e32 v36, v36, v54
	v_dual_mul_f32 v54, v34, v59 :: v_dual_fmac_f32 v61, v20, v32
	v_mul_f32_e32 v34, v34, v60
	v_fmac_f32_e32 v54, v17, v21
	s_delay_alu instid0(VALU_DEP_3) | instskip(SKIP_1) | instid1(VALU_DEP_4)
	v_add_f32_e32 v100, v36, v61
	v_add_f32_e32 v36, v39, v65
	v_dual_fmac_f32 v34, v17, v13 :: v_dual_mul_f32 v17, v35, v70
	s_delay_alu instid0(VALU_DEP_4) | instskip(NEXT) | instid1(VALU_DEP_2)
	v_dual_add_f32 v39, v94, v54 :: v_dual_mul_f32 v54, v51, v64
	v_dual_add_f32 v34, v49, v34 :: v_dual_and_b32 v35, 0xffff0000, v9
	s_delay_alu instid0(VALU_DEP_3) | instskip(NEXT) | instid1(VALU_DEP_3)
	v_fmac_f32_e32 v17, v18, v14
	v_add_f32_e32 v39, v39, v67
	s_delay_alu instid0(VALU_DEP_4) | instskip(SKIP_3) | instid1(VALU_DEP_4)
	v_fmac_f32_e32 v54, v19, v23
	v_mul_f32_e32 v51, v51, v46
	v_mul_f32_e32 v61, v33, v62
	v_dual_mul_f32 v18, v35, v55 :: v_dual_lshlrev_b32 v9, 16, v9
	v_add_f32_e32 v39, v39, v54
	v_dual_mul_f32 v49, v33, v63 :: v_dual_and_b32 v54, 0xffff0000, v10
	v_add_f32_e32 v17, v34, v17
	v_fmac_f32_e32 v51, v19, v15
	v_mul_f32_e32 v33, v33, v44
	v_fmac_f32_e32 v18, v9, v29
	v_lshlrev_b32_e32 v10, 16, v10
	s_delay_alu instid0(VALU_DEP_4) | instskip(NEXT) | instid1(VALU_DEP_3)
	v_dual_mul_f32 v34, v54, v53 :: v_dual_add_f32 v17, v17, v51
	v_dual_fmac_f32 v33, v20, v16 :: v_dual_add_f32 v18, v50, v18
	s_delay_alu instid0(VALU_DEP_2) | instskip(SKIP_1) | instid1(VALU_DEP_3)
	v_dual_fmac_f32 v34, v10, v30 :: v_dual_and_b32 v19, 0xffff0000, v11
	v_add_f32_e32 v36, v36, v66
	v_dual_add_f32 v94, v17, v33 :: v_dual_mul_f32 v17, v35, v48
	s_delay_alu instid0(VALU_DEP_3) | instskip(SKIP_1) | instid1(VALU_DEP_3)
	v_dual_fmac_f32 v61, v20, v28 :: v_dual_add_f32 v18, v18, v34
	v_dual_mul_f32 v34, v54, v57 :: v_dual_lshlrev_b32 v11, 16, v11
	v_fmac_f32_e32 v17, v9, v25
	v_fmac_f32_e32 v49, v20, v24
	v_and_b32_e32 v20, 0xffff0000, v12
	s_delay_alu instid0(VALU_DEP_4) | instskip(NEXT) | instid1(VALU_DEP_4)
	v_fmac_f32_e32 v34, v10, v26
	v_dual_mul_f32 v50, v19, v56 :: v_dual_add_f32 v17, v41, v17
	v_dual_mul_f32 v41, v19, v38 :: v_dual_add_f32 v102, v36, v61
	v_dual_mul_f32 v33, v35, v59 :: v_dual_lshlrev_b32 v12, 16, v12
	s_delay_alu instid0(VALU_DEP_3) | instskip(NEXT) | instid1(VALU_DEP_3)
	v_add_f32_e32 v17, v17, v34
	v_dual_fmac_f32 v41, v11, v27 :: v_dual_mul_f32 v34, v20, v62
	v_fmac_f32_e32 v50, v11, v31
	v_dual_add_f32 v95, v39, v49 :: v_dual_mul_f32 v36, v20, v40
	v_fmac_f32_e32 v33, v9, v21
	v_mul_f32_e32 v39, v54, v58
	v_dual_add_f32 v17, v17, v41 :: v_dual_fmac_f32 v34, v12, v28
	s_delay_alu instid0(VALU_DEP_3) | instskip(NEXT) | instid1(VALU_DEP_3)
	v_dual_add_f32 v18, v18, v50 :: v_dual_add_f32 v33, v43, v33
	v_fmac_f32_e32 v39, v10, v22
	v_mul_f32_e32 v43, v19, v64
	s_delay_alu instid0(VALU_DEP_4) | instskip(SKIP_1) | instid1(VALU_DEP_4)
	v_dual_fmac_f32 v36, v12, v32 :: v_dual_add_f32 v93, v17, v34
	v_and_b32_e32 v17, 0xffff0000, v5
	v_add_f32_e32 v33, v33, v39
	s_delay_alu instid0(VALU_DEP_4)
	v_fmac_f32_e32 v43, v11, v23
	v_mul_f32_e32 v35, v35, v60
	v_add_f32_e32 v96, v18, v36
	v_mul_f32_e32 v18, v17, v55
	v_mul_f32_e32 v39, v20, v63
	v_add_f32_e32 v33, v33, v43
	v_fmac_f32_e32 v35, v9, v13
	v_mul_f32_e32 v9, v54, v70
	v_lshlrev_b32_e32 v5, 16, v5
	v_dual_fmac_f32 v39, v12, v24 :: v_dual_and_b32 v34, 0xffff0000, v6
	v_lshlrev_b32_e32 v6, 16, v6
	s_delay_alu instid0(VALU_DEP_4) | instskip(SKIP_1) | instid1(VALU_DEP_4)
	v_fmac_f32_e32 v9, v10, v14
	v_mul_f32_e32 v10, v19, v46
	v_add_f32_e32 v92, v33, v39
	v_dual_add_f32 v33, v42, v35 :: v_dual_fmac_f32 v18, v5, v29
	v_mul_f32_e32 v19, v34, v53
	s_delay_alu instid0(VALU_DEP_2) | instskip(SKIP_1) | instid1(VALU_DEP_3)
	v_dual_add_f32 v9, v33, v9 :: v_dual_add_f32 v18, v52, v18
	v_dual_fmac_f32 v10, v11, v15 :: v_dual_mul_f32 v11, v20, v44
	v_dual_fmac_f32 v19, v6, v30 :: v_dual_mul_f32 v20, v17, v48
	s_delay_alu instid0(VALU_DEP_2) | instskip(NEXT) | instid1(VALU_DEP_3)
	v_add_f32_e32 v9, v9, v10
	v_dual_fmac_f32 v11, v12, v16 :: v_dual_and_b32 v10, 0xffff0000, v7
	s_delay_alu instid0(VALU_DEP_3) | instskip(NEXT) | instid1(VALU_DEP_4)
	v_add_f32_e32 v12, v18, v19
	v_fmac_f32_e32 v20, v5, v25
	v_dual_mul_f32 v18, v34, v57 :: v_dual_lshlrev_b32 v7, 16, v7
	s_delay_alu instid0(VALU_DEP_4) | instskip(SKIP_1) | instid1(VALU_DEP_4)
	v_mul_f32_e32 v19, v10, v56
	v_and_b32_e32 v25, 0xffff0000, v8
	v_add_f32_e32 v20, v45, v20
	s_delay_alu instid0(VALU_DEP_4) | instskip(NEXT) | instid1(VALU_DEP_4)
	v_fmac_f32_e32 v18, v6, v26
	v_dual_mul_f32 v26, v10, v38 :: v_dual_fmac_f32 v19, v7, v31
	v_lshlrev_b32_e32 v8, 16, v8
	s_delay_alu instid0(VALU_DEP_3) | instskip(SKIP_1) | instid1(VALU_DEP_4)
	v_dual_mul_f32 v29, v25, v40 :: v_dual_add_f32 v18, v20, v18
	v_mul_f32_e32 v20, v17, v59
	v_dual_mul_f32 v17, v17, v60 :: v_dual_add_f32 v12, v12, v19
	v_dual_mul_f32 v19, v34, v58 :: v_dual_fmac_f32 v26, v7, v27
	s_delay_alu instid0(VALU_DEP_3) | instskip(NEXT) | instid1(VALU_DEP_3)
	v_fmac_f32_e32 v20, v5, v21
	v_fmac_f32_e32 v17, v5, v13
	v_mul_f32_e32 v5, v34, v70
	s_delay_alu instid0(VALU_DEP_4)
	v_fmac_f32_e32 v19, v6, v22
	v_mul_f32_e32 v21, v25, v62
	v_add_f32_e32 v13, v47, v20
	v_dual_mul_f32 v20, v10, v64 :: v_dual_add_f32 v17, v37, v17
	v_fmac_f32_e32 v5, v6, v14
	v_mul_f32_e32 v6, v10, v46
	s_delay_alu instid0(VALU_DEP_4) | instskip(NEXT) | instid1(VALU_DEP_4)
	v_add_f32_e32 v10, v13, v19
	v_fmac_f32_e32 v20, v7, v23
	v_mul_f32_e32 v13, v25, v63
	s_delay_alu instid0(VALU_DEP_4)
	v_dual_add_f32 v5, v17, v5 :: v_dual_fmac_f32 v6, v7, v15
	v_mul_f32_e32 v7, v25, v44
	v_dual_fmac_f32 v29, v8, v32 :: v_dual_add_f32 v18, v18, v26
	v_fmac_f32_e32 v21, v8, v28
	v_add_f32_e32 v10, v10, v20
	v_fmac_f32_e32 v13, v8, v24
	v_add_f32_e32 v5, v5, v6
	v_fmac_f32_e32 v7, v8, v16
	v_dual_add_f32 v91, v9, v11 :: v_dual_add_f32 v90, v12, v29
	s_delay_alu instid0(VALU_DEP_4) | instskip(NEXT) | instid1(VALU_DEP_3)
	v_add_f32_e32 v88, v10, v13
	v_dual_add_f32 v89, v18, v21 :: v_dual_add_f32 v70, v5, v7
.LBB262_16:                             ;   in Loop: Header=BB262_17 Depth=2
	s_or_b32 exec_lo, exec_lo, s2
	s_addk_i32 s4, 0x200
	s_delay_alu instid0(SALU_CYCLE_1)
	s_cmp_ge_u32 s4, s16
	s_cbranch_scc1 .LBB262_29
.LBB262_17:                             ;   Parent Loop BB262_12 Depth=1
                                        ; =>  This Loop Header: Depth=2
                                        ;       Child Loop BB262_22 Depth 3
	s_cmp_eq_u32 s4, 0
	s_cselect_b32 s5, -1, 0
	s_add_i32 s2, s3, s24
	s_delay_alu instid0(SALU_CYCLE_1) | instskip(SKIP_1) | instid1(SALU_CYCLE_1)
	s_cmp_eq_u32 s4, s2
	s_cselect_b32 s40, -1, 0
	s_or_b32 s40, s5, s40
	s_delay_alu instid0(SALU_CYCLE_1)
	s_and_not1_b32 vcc_lo, exec_lo, s40
	s_cbranch_vccz .LBB262_19
; %bb.18:                               ;   in Loop: Header=BB262_17 Depth=2
	s_and_saveexec_b32 s2, s1
	s_cbranch_execz .LBB262_16
	s_branch .LBB262_26
.LBB262_19:                             ;   in Loop: Header=BB262_17 Depth=2
	s_and_b32 s5, s5, exec_lo
	s_cselect_b32 s3, s3, s2
	s_and_not1_b32 vcc_lo, exec_lo, s21
	s_waitcnt vmcnt(0)
	s_waitcnt_vscnt null, 0x0
	s_barrier
	buffer_gl0_inv
	s_cbranch_vccnz .LBB262_25
; %bb.20:                               ;   in Loop: Header=BB262_17 Depth=2
	v_add_nc_u32_e32 v5, s3, v85
	v_dual_mov_b32 v9, v84 :: v_dual_add_nc_u32 v6, s3, v73
	v_add_nc_u32_e32 v7, s3, v86
	v_add_nc_u32_e32 v8, s3, v0
	s_mov_b32 s5, 0
	s_mov_b32 s40, 0
                                        ; implicit-def: $sgpr41
	s_branch .LBB262_22
.LBB262_21:                             ;   in Loop: Header=BB262_22 Depth=3
	s_or_b32 exec_lo, exec_lo, s2
	s_delay_alu instid0(SALU_CYCLE_1) | instskip(NEXT) | instid1(SALU_CYCLE_1)
	s_and_b32 s2, exec_lo, s41
	s_or_b32 s5, s2, s5
	s_delay_alu instid0(SALU_CYCLE_1)
	s_and_not1_b32 exec_lo, exec_lo, s5
	s_cbranch_execz .LBB262_24
.LBB262_22:                             ;   Parent Loop BB262_12 Depth=1
                                        ;     Parent Loop BB262_17 Depth=2
                                        ; =>    This Inner Loop Header: Depth=3
	s_delay_alu instid0(VALU_DEP_1) | instskip(SKIP_2) | instid1(VALU_DEP_2)
	v_add_nc_u32_e32 v71, s40, v8
	v_add_nc_u32_e32 v10, s40, v0
	s_or_b32 s41, s41, exec_lo
	v_cmp_gt_u32_e32 vcc_lo, s18, v71
	s_delay_alu instid0(VALU_DEP_2) | instskip(NEXT) | instid1(VALU_DEP_1)
	v_cmp_gt_u32_e64 s2, s24, v10
	s_and_b32 s42, s2, vcc_lo
	s_delay_alu instid0(SALU_CYCLE_1)
	s_and_saveexec_b32 s2, s42
	s_cbranch_execz .LBB262_21
; %bb.23:                               ;   in Loop: Header=BB262_22 Depth=3
	v_lshlrev_b64 v[10:11], 1, v[71:72]
	v_add_nc_u32_e32 v71, s40, v7
	v_add_nc_u32_e32 v26, s39, v9
	;; [unrolled: 1-line block ×3, first 2 shown]
	s_delay_alu instid0(VALU_DEP_3) | instskip(SKIP_3) | instid1(VALU_DEP_3)
	v_lshlrev_b64 v[12:13], 1, v[71:72]
	v_add_nc_u32_e32 v71, s40, v5
	v_add_co_u32 v10, vcc_lo, s12, v10
	v_add_co_ci_u32_e32 v11, vcc_lo, s13, v11, vcc_lo
	v_lshlrev_b64 v[18:19], 1, v[71:72]
	v_add_nc_u32_e32 v71, s40, v6
	v_add_co_u32 v14, vcc_lo, s12, v12
	v_add_co_ci_u32_e32 v15, vcc_lo, s13, v13, vcc_lo
	s_delay_alu instid0(VALU_DEP_3)
	v_lshlrev_b64 v[20:21], 1, v[71:72]
	v_add_co_u32 v18, vcc_lo, s12, v18
	v_add_co_ci_u32_e32 v19, vcc_lo, s13, v19, vcc_lo
	s_clause 0x1
	global_load_b128 v[10:13], v[10:11], off
	global_load_b128 v[14:17], v[14:15], off
	v_add_co_u32 v22, vcc_lo, s12, v20
	v_add_co_ci_u32_e32 v23, vcc_lo, s13, v21, vcc_lo
	s_clause 0x1
	global_load_b128 v[18:21], v[18:19], off
	global_load_b128 v[22:25], v[22:23], off
	s_add_i32 s40, s40, s26
	s_waitcnt vmcnt(3)
	ds_store_b128 v9, v[10:13]
	s_waitcnt vmcnt(2)
	ds_store_2addr_b64 v26, v[14:15], v[16:17] offset1:1
	s_cmp_ge_u32 s40, s24
	v_add_nc_u32_e32 v10, s9, v9
	s_cselect_b32 s42, -1, 0
	v_add_nc_u32_e32 v9, s20, v9
	s_and_not1_b32 s41, s41, exec_lo
	s_and_b32 s42, s42, exec_lo
	s_waitcnt vmcnt(1)
	ds_store_2addr_b32 v27, v18, v19 offset1:1
	ds_store_2addr_b32 v27, v20, v21 offset0:2 offset1:3
	s_or_b32 s41, s41, s42
	s_waitcnt vmcnt(0)
	ds_store_2addr_b64 v10, v[22:23], v[24:25] offset1:1
	s_branch .LBB262_21
.LBB262_24:                             ;   in Loop: Header=BB262_17 Depth=2
	s_or_b32 exec_lo, exec_lo, s5
.LBB262_25:                             ;   in Loop: Header=BB262_17 Depth=2
	s_waitcnt lgkmcnt(0)
	s_barrier
	buffer_gl0_inv
	s_and_saveexec_b32 s2, s1
	s_cbranch_execz .LBB262_16
.LBB262_26:                             ;   in Loop: Header=BB262_17 Depth=2
	v_dual_mov_b32 v20, 0 :: v_dual_add_nc_u32 v103, s4, v83
	v_dual_mov_b32 v19, 0 :: v_dual_mov_b32 v18, 0
	v_mov_b32_e32 v17, 0
	s_delay_alu instid0(VALU_DEP_3)
	v_min_u32_e32 v71, s27, v103
	v_add_nc_u32_e32 v104, 0x100, v103
	s_waitcnt vmcnt(4)
	v_dual_mov_b32 v36, 0 :: v_dual_mov_b32 v35, 0
	s_waitcnt vmcnt(3)
	v_dual_mov_b32 v34, 0 :: v_dual_mov_b32 v33, 0
	v_lshlrev_b64 v[5:6], 1, v[71:72]
	v_min_u32_e32 v71, s27, v104
	v_dual_mov_b32 v40, 0 :: v_dual_mov_b32 v39, 0
	v_dual_mov_b32 v38, 0 :: v_dual_mov_b32 v37, 0
	s_delay_alu instid0(VALU_DEP_4) | instskip(SKIP_2) | instid1(VALU_DEP_3)
	v_add_co_u32 v13, vcc_lo, s10, v5
	v_add_co_ci_u32_e32 v14, vcc_lo, s11, v6, vcc_lo
	v_lshlrev_b64 v[5:6], 1, v[71:72]
	v_add_co_u32 v7, vcc_lo, v13, v74
	s_delay_alu instid0(VALU_DEP_3)
	v_add_co_ci_u32_e32 v8, vcc_lo, v14, v75, vcc_lo
	v_add_co_u32 v9, vcc_lo, v13, v76
	v_add_co_ci_u32_e32 v10, vcc_lo, v14, v77, vcc_lo
	v_add_co_u32 v11, vcc_lo, v13, v78
	;; [unrolled: 2-line block ×4, first 2 shown]
	v_add_co_ci_u32_e32 v6, vcc_lo, v14, v81, vcc_lo
	s_clause 0x1
	global_load_b128 v[61:64], v[7:8], off slc dlc
	global_load_b128 v[57:60], v[9:10], off slc dlc
	v_add_co_u32 v7, vcc_lo, v15, v74
	v_add_co_ci_u32_e32 v8, vcc_lo, v16, v75, vcc_lo
	v_add_co_u32 v9, vcc_lo, v15, v76
	v_add_co_ci_u32_e32 v10, vcc_lo, v16, v77, vcc_lo
	v_add_co_u32 v13, vcc_lo, v15, v78
	v_add_co_ci_u32_e32 v14, vcc_lo, v16, v79, vcc_lo
	v_add_co_u32 v15, vcc_lo, v15, v80
	v_add_co_ci_u32_e32 v16, vcc_lo, v16, v81, vcc_lo
	s_clause 0x5
	global_load_b128 v[53:56], v[11:12], off slc dlc
	global_load_b128 v[45:48], v[5:6], off slc dlc
	;; [unrolled: 1-line block ×6, first 2 shown]
	v_mov_b32_e32 v8, 0
	v_cmp_gt_u32_e32 vcc_lo, s16, v103
	v_dual_mov_b32 v7, 0 :: v_dual_mov_b32 v6, 0
	v_dual_mov_b32 v5, 0 :: v_dual_mov_b32 v12, 0
	v_dual_mov_b32 v11, 0 :: v_dual_mov_b32 v10, 0
	v_dual_mov_b32 v9, 0 :: v_dual_mov_b32 v44, 0
	v_dual_mov_b32 v43, 0 :: v_dual_mov_b32 v42, 0
	v_dual_mov_b32 v41, 0 :: v_dual_mov_b32 v52, 0
	v_dual_mov_b32 v51, 0 :: v_dual_mov_b32 v50, 0
	v_dual_mov_b32 v49, 0 :: v_dual_mov_b32 v68, 0
	v_dual_mov_b32 v67, 0 :: v_dual_mov_b32 v66, 0
	v_mov_b32_e32 v65, 0
	s_and_saveexec_b32 s5, vcc_lo
	s_cbranch_execz .LBB262_15
; %bb.27:                               ;   in Loop: Header=BB262_17 Depth=2
	v_subrev_nc_u32_e32 v5, s3, v103
	v_cmp_gt_u32_e32 vcc_lo, s16, v104
	v_dual_mov_b32 v35, 0 :: v_dual_mov_b32 v20, 0
	v_dual_mov_b32 v17, 0 :: v_dual_mov_b32 v10, 0
	s_delay_alu instid0(VALU_DEP_4) | instskip(SKIP_1) | instid1(VALU_DEP_2)
	v_dual_mov_b32 v33, 0 :: v_dual_lshlrev_b32 v106, 1, v5
	v_dual_mov_b32 v19, 0 :: v_dual_mov_b32 v12, 0
	v_dual_mov_b32 v34, 0 :: v_dual_add_nc_u32 v105, s39, v106
	v_dual_mov_b32 v9, 0 :: v_dual_mov_b32 v6, 0
	v_dual_mov_b32 v11, 0 :: v_dual_mov_b32 v8, 0
	s_delay_alu instid0(VALU_DEP_3) | instskip(SKIP_2) | instid1(VALU_DEP_3)
	v_dual_mov_b32 v36, 0 :: v_dual_add_nc_u32 v103, s39, v105
	v_mov_b32_e32 v5, 0
	v_dual_mov_b32 v7, 0 :: v_dual_mov_b32 v18, 0
	v_add_nc_u32_e32 v71, s39, v103
	ds_load_b128 v[65:68], v106
	ds_load_b128 v[49:52], v105
	;; [unrolled: 1-line block ×4, first 2 shown]
	s_and_saveexec_b32 s40, vcc_lo
	s_cbranch_execz .LBB262_14
; %bb.28:                               ;   in Loop: Header=BB262_17 Depth=2
	ds_load_b128 v[33:36], v106 offset:512
	ds_load_b128 v[17:20], v105 offset:512
	;; [unrolled: 1-line block ×4, first 2 shown]
	s_branch .LBB262_14
.LBB262_29:                             ;   in Loop: Header=BB262_12 Depth=1
	s_mov_b32 s1, exec_lo
	v_cmpx_le_u32_e64 s19, v69
	s_xor_b32 s1, exec_lo, s1
; %bb.30:                               ;   in Loop: Header=BB262_12 Depth=1
	v_add_nc_u32_e32 v69, s29, v69
                                        ; implicit-def: $vgpr70
                                        ; implicit-def: $vgpr88
                                        ; implicit-def: $vgpr89
                                        ; implicit-def: $vgpr90
                                        ; implicit-def: $vgpr91
                                        ; implicit-def: $vgpr92
                                        ; implicit-def: $vgpr93
                                        ; implicit-def: $vgpr96
                                        ; implicit-def: $vgpr94
                                        ; implicit-def: $vgpr95
                                        ; implicit-def: $vgpr102
                                        ; implicit-def: $vgpr100
                                        ; implicit-def: $vgpr99
                                        ; implicit-def: $vgpr98
                                        ; implicit-def: $vgpr101
                                        ; implicit-def: $vgpr97
; %bb.31:                               ;   in Loop: Header=BB262_12 Depth=1
	s_and_not1_saveexec_b32 s40, s1
	s_cbranch_execz .LBB262_11
; %bb.32:                               ;   in Loop: Header=BB262_12 Depth=1
	v_cvt_i32_f32_e32 v5, v97
	v_xor_b32_e32 v6, 16, v82
	s_waitcnt lgkmcnt(0)
	v_cvt_i32_f32_e32 v10, v100
	v_cvt_i32_f32_e32 v11, v102
	;; [unrolled: 1-line block ×3, first 2 shown]
	v_cvt_f32_i32_dpp v5, v5 row_shr:8 row_mask:0xf bank_mask:0xf bound_ctrl:1
	v_cmp_gt_i32_e32 vcc_lo, 32, v6
	v_cvt_i32_f32_e32 v8, v98
	v_cvt_i32_f32_e32 v9, v99
	v_cvt_f32_i32_dpp v10, v10 row_shr:8 row_mask:0xf bank_mask:0xf bound_ctrl:1
	v_dual_add_f32 v5, v97, v5 :: v_dual_cndmask_b32 v6, v82, v6
	v_cvt_f32_i32_dpp v11, v11 row_shr:8 row_mask:0xf bank_mask:0xf bound_ctrl:1
	v_cvt_f32_i32_dpp v7, v7 row_shr:8 row_mask:0xf bank_mask:0xf bound_ctrl:1
	;; [unrolled: 1-line block ×4, first 2 shown]
	v_cvt_i32_f32_e32 v12, v5
	v_dual_add_f32 v10, v100, v10 :: v_dual_add_f32 v11, v102, v11
	s_waitcnt vmcnt(0)
	v_lshlrev_b32_e32 v22, 2, v6
	v_dual_add_f32 v6, v101, v7 :: v_dual_add_f32 v9, v99, v9
	v_add_f32_e32 v7, v98, v8
	v_cvt_f32_i32_dpp v8, v12 row_shr:4 row_mask:0xf bank_mask:0xf bound_ctrl:1
	v_cvt_i32_f32_e32 v15, v11
	v_cvt_i32_f32_e32 v14, v10
	;; [unrolled: 1-line block ×4, first 2 shown]
	s_delay_alu instid0(VALU_DEP_4)
	v_cvt_f32_i32_dpp v15, v15 row_shr:4 row_mask:0xf bank_mask:0xf bound_ctrl:1
	v_add_f32_e32 v5, v5, v8
	v_cvt_i32_f32_e32 v8, v7
	v_cvt_f32_i32_dpp v13, v13 row_shr:4 row_mask:0xf bank_mask:0xf bound_ctrl:1
	v_cvt_f32_i32_dpp v14, v14 row_shr:4 row_mask:0xf bank_mask:0xf bound_ctrl:1
	;; [unrolled: 1-line block ×3, first 2 shown]
	s_delay_alu instid0(VALU_DEP_4) | instskip(NEXT) | instid1(VALU_DEP_1)
	v_cvt_f32_i32_dpp v8, v8 row_shr:4 row_mask:0xf bank_mask:0xf bound_ctrl:1
	v_dual_add_f32 v7, v7, v8 :: v_dual_add_f32 v8, v9, v13
	s_delay_alu instid0(VALU_DEP_4) | instskip(SKIP_1) | instid1(VALU_DEP_3)
	v_dual_add_f32 v9, v10, v14 :: v_dual_add_f32 v10, v11, v15
	v_cvt_i32_f32_e32 v16, v5
	v_cvt_i32_f32_e32 v14, v8
	s_delay_alu instid0(VALU_DEP_2) | instskip(NEXT) | instid1(VALU_DEP_2)
	v_cvt_f32_i32_dpp v16, v16 row_shr:2 row_mask:0xf bank_mask:0xf bound_ctrl:1
	v_cvt_f32_i32_dpp v14, v14 row_shr:2 row_mask:0xf bank_mask:0xf bound_ctrl:1
	v_add_f32_e32 v6, v6, v12
	v_cvt_i32_f32_e32 v12, v7
	s_delay_alu instid0(VALU_DEP_4) | instskip(SKIP_1) | instid1(VALU_DEP_4)
	v_add_f32_e32 v5, v5, v16
	v_cvt_i32_f32_e32 v16, v10
	v_cvt_i32_f32_e32 v11, v6
	s_delay_alu instid0(VALU_DEP_4) | instskip(NEXT) | instid1(VALU_DEP_4)
	v_cvt_f32_i32_dpp v12, v12 row_shr:2 row_mask:0xf bank_mask:0xf bound_ctrl:1
	v_cvt_i32_f32_e32 v13, v5
	s_delay_alu instid0(VALU_DEP_4) | instskip(NEXT) | instid1(VALU_DEP_4)
	v_cvt_f32_i32_dpp v16, v16 row_shr:2 row_mask:0xf bank_mask:0xf bound_ctrl:1
	v_cvt_f32_i32_dpp v11, v11 row_shr:2 row_mask:0xf bank_mask:0xf bound_ctrl:1
	s_delay_alu instid0(VALU_DEP_3) | instskip(NEXT) | instid1(VALU_DEP_1)
	v_cvt_f32_i32_dpp v13, v13 row_shr:1 row_mask:0xf bank_mask:0xf bound_ctrl:1
	v_add_f32_e32 v42, v5, v13
	v_cvt_i32_f32_e32 v15, v9
	s_delay_alu instid0(VALU_DEP_4)
	v_dual_add_f32 v5, v6, v11 :: v_dual_add_f32 v6, v7, v12
	v_add_f32_e32 v7, v8, v14
	ds_bpermute_b32 v44, v22, v42
	v_cvt_f32_i32_dpp v15, v15 row_shr:2 row_mask:0xf bank_mask:0xf bound_ctrl:1
	v_cvt_i32_f32_e32 v11, v6
	v_cvt_i32_f32_e32 v12, v7
	s_delay_alu instid0(VALU_DEP_3) | instskip(SKIP_1) | instid1(VALU_DEP_4)
	v_dual_add_f32 v8, v9, v15 :: v_dual_add_f32 v9, v10, v16
	v_cvt_i32_f32_e32 v10, v5
	v_cvt_f32_i32_dpp v11, v11 row_shr:1 row_mask:0xf bank_mask:0xf bound_ctrl:1
	s_delay_alu instid0(VALU_DEP_4) | instskip(NEXT) | instid1(VALU_DEP_4)
	v_cvt_f32_i32_dpp v12, v12 row_shr:1 row_mask:0xf bank_mask:0xf bound_ctrl:1
	v_cvt_i32_f32_e32 v13, v8
	v_cvt_i32_f32_e32 v14, v9
	v_cvt_f32_i32_dpp v10, v10 row_shr:1 row_mask:0xf bank_mask:0xf bound_ctrl:1
	v_add_f32_e32 v37, v6, v11
	s_delay_alu instid0(VALU_DEP_4) | instskip(NEXT) | instid1(VALU_DEP_4)
	v_cvt_f32_i32_dpp v13, v13 row_shr:1 row_mask:0xf bank_mask:0xf bound_ctrl:1
	v_cvt_f32_i32_dpp v14, v14 row_shr:1 row_mask:0xf bank_mask:0xf bound_ctrl:1
	s_delay_alu instid0(VALU_DEP_4) | instskip(SKIP_2) | instid1(VALU_DEP_4)
	v_add_f32_e32 v40, v5, v10
	v_cvt_i32_f32_e32 v5, v95
	v_add_f32_e32 v6, v7, v12
	v_dual_add_f32 v32, v8, v13 :: v_dual_add_f32 v27, v9, v14
	v_cvt_i32_f32_e32 v8, v96
	v_cvt_i32_f32_e32 v7, v94
	;; [unrolled: 1-line block ×3, first 2 shown]
	v_cvt_f32_i32_dpp v5, v5 row_shr:8 row_mask:0xf bank_mask:0xf bound_ctrl:1
	v_cvt_i32_f32_e32 v9, v93
	v_cvt_f32_i32_dpp v8, v8 row_shr:8 row_mask:0xf bank_mask:0xf bound_ctrl:1
	v_cvt_f32_i32_dpp v7, v7 row_shr:8 row_mask:0xf bank_mask:0xf bound_ctrl:1
	;; [unrolled: 1-line block ×3, first 2 shown]
	v_add_f32_e32 v5, v95, v5
	v_cvt_f32_i32_dpp v9, v9 row_shr:8 row_mask:0xf bank_mask:0xf bound_ctrl:1
	s_delay_alu instid0(VALU_DEP_4) | instskip(NEXT) | instid1(VALU_DEP_4)
	v_dual_add_f32 v8, v96, v8 :: v_dual_add_f32 v7, v94, v7
	v_add_f32_e32 v10, v92, v10
	s_delay_alu instid0(VALU_DEP_4)
	v_cvt_i32_f32_e32 v11, v5
	ds_bpermute_b32 v41, v22, v40
	v_cvt_i32_f32_e32 v13, v8
	v_cvt_i32_f32_e32 v12, v7
	;; [unrolled: 1-line block ×3, first 2 shown]
	v_cvt_f32_i32_dpp v11, v11 row_shr:4 row_mask:0xf bank_mask:0xf bound_ctrl:1
	ds_bpermute_b32 v38, v22, v37
	v_cvt_f32_i32_dpp v13, v13 row_shr:4 row_mask:0xf bank_mask:0xf bound_ctrl:1
	v_cvt_f32_i32_dpp v12, v12 row_shr:4 row_mask:0xf bank_mask:0xf bound_ctrl:1
	v_cvt_f32_i32_dpp v15, v15 row_shr:4 row_mask:0xf bank_mask:0xf bound_ctrl:1
	v_add_f32_e32 v5, v5, v11
	v_add_f32_e32 v9, v93, v9
	;; [unrolled: 1-line block ×3, first 2 shown]
	ds_bpermute_b32 v35, v22, v6
	v_add_f32_e32 v10, v10, v15
	v_cvt_i32_f32_e32 v11, v5
	v_cvt_i32_f32_e32 v14, v9
	;; [unrolled: 1-line block ×3, first 2 shown]
	ds_bpermute_b32 v33, v22, v32
	v_cvt_i32_f32_e32 v15, v10
	v_cvt_f32_i32_dpp v11, v11 row_shr:2 row_mask:0xf bank_mask:0xf bound_ctrl:1
	v_cvt_f32_i32_dpp v14, v14 row_shr:4 row_mask:0xf bank_mask:0xf bound_ctrl:1
	v_cvt_f32_i32_dpp v13, v13 row_shr:2 row_mask:0xf bank_mask:0xf bound_ctrl:1
	v_add_f32_e32 v7, v7, v12
	v_cvt_f32_i32_dpp v15, v15 row_shr:2 row_mask:0xf bank_mask:0xf bound_ctrl:1
	ds_bpermute_b32 v28, v22, v27
	v_dual_add_f32 v9, v9, v14 :: v_dual_add_f32 v8, v8, v13
	v_cvt_i32_f32_e32 v12, v7
	v_add_f32_e32 v10, v10, v15
	s_delay_alu instid0(VALU_DEP_3) | instskip(NEXT) | instid1(VALU_DEP_4)
	v_cvt_i32_f32_e32 v14, v9
	v_cvt_i32_f32_e32 v13, v8
	s_delay_alu instid0(VALU_DEP_4) | instskip(NEXT) | instid1(VALU_DEP_4)
	v_cvt_f32_i32_dpp v12, v12 row_shr:2 row_mask:0xf bank_mask:0xf bound_ctrl:1
	v_cvt_i32_f32_e32 v15, v10
	s_delay_alu instid0(VALU_DEP_4) | instskip(NEXT) | instid1(VALU_DEP_4)
	v_cvt_f32_i32_dpp v14, v14 row_shr:2 row_mask:0xf bank_mask:0xf bound_ctrl:1
	v_cvt_f32_i32_dpp v13, v13 row_shr:1 row_mask:0xf bank_mask:0xf bound_ctrl:1
	s_delay_alu instid0(VALU_DEP_3) | instskip(NEXT) | instid1(VALU_DEP_2)
	v_cvt_f32_i32_dpp v15, v15 row_shr:1 row_mask:0xf bank_mask:0xf bound_ctrl:1
	v_add_f32_e32 v21, v8, v13
	v_cvt_i32_f32_e32 v8, v89
	s_delay_alu instid0(VALU_DEP_3) | instskip(SKIP_1) | instid1(VALU_DEP_3)
	v_add_f32_e32 v15, v10, v15
	v_cvt_i32_f32_e32 v10, v70
	v_cvt_f32_i32_dpp v8, v8 row_shr:8 row_mask:0xf bank_mask:0xf bound_ctrl:1
	ds_bpermute_b32 v16, v22, v15
	v_cvt_f32_i32_dpp v10, v10 row_shr:8 row_mask:0xf bank_mask:0xf bound_ctrl:1
	v_add_f32_e32 v5, v5, v11
	v_add_f32_e32 v8, v89, v8
	ds_bpermute_b32 v23, v22, v21
	v_add_f32_e32 v10, v70, v10
	v_cvt_i32_f32_e32 v11, v5
	v_cvt_i32_f32_e32 v13, v8
	s_delay_alu instid0(VALU_DEP_3) | instskip(NEXT) | instid1(VALU_DEP_3)
	v_cvt_i32_f32_e32 v17, v10
	v_cvt_f32_i32_dpp v11, v11 row_shr:1 row_mask:0xf bank_mask:0xf bound_ctrl:1
	v_add_f32_e32 v7, v7, v12
	s_delay_alu instid0(VALU_DEP_4)
	v_cvt_f32_i32_dpp v13, v13 row_shr:4 row_mask:0xf bank_mask:0xf bound_ctrl:1
	v_add_f32_e32 v9, v9, v14
	v_cvt_f32_i32_dpp v17, v17 row_shr:4 row_mask:0xf bank_mask:0xf bound_ctrl:1
	v_add_f32_e32 v30, v5, v11
	v_cvt_i32_f32_e32 v12, v7
	v_add_f32_e32 v8, v8, v13
	v_cvt_i32_f32_e32 v14, v9
	v_cvt_i32_f32_e32 v5, v91
	v_add_f32_e32 v10, v10, v17
	v_cvt_f32_i32_dpp v12, v12 row_shr:1 row_mask:0xf bank_mask:0xf bound_ctrl:1
	v_cvt_i32_f32_e32 v13, v8
	v_cvt_f32_i32_dpp v14, v14 row_shr:1 row_mask:0xf bank_mask:0xf bound_ctrl:1
	v_cvt_f32_i32_dpp v5, v5 row_shr:8 row_mask:0xf bank_mask:0xf bound_ctrl:1
	v_cvt_i32_f32_e32 v17, v10
	v_add_f32_e32 v25, v7, v12
	v_cvt_i32_f32_e32 v7, v90
	v_cvt_f32_i32_dpp v13, v13 row_shr:2 row_mask:0xf bank_mask:0xf bound_ctrl:1
	v_add_f32_e32 v19, v9, v14
	v_cvt_i32_f32_e32 v9, v88
	v_add_f32_e32 v5, v91, v5
	v_cvt_f32_i32_dpp v7, v7 row_shr:8 row_mask:0xf bank_mask:0xf bound_ctrl:1
	v_add_f32_e32 v8, v8, v13
	v_cvt_f32_i32_dpp v17, v17 row_shr:2 row_mask:0xf bank_mask:0xf bound_ctrl:1
	v_cvt_f32_i32_dpp v9, v9 row_shr:8 row_mask:0xf bank_mask:0xf bound_ctrl:1
	v_cvt_i32_f32_e32 v11, v5
	v_add_f32_e32 v7, v90, v7
	v_cvt_i32_f32_e32 v13, v8
	v_add_f32_e32 v10, v10, v17
	v_add_f32_e32 v9, v88, v9
	v_cvt_f32_i32_dpp v11, v11 row_shr:4 row_mask:0xf bank_mask:0xf bound_ctrl:1
	v_cvt_i32_f32_e32 v12, v7
	v_cvt_f32_i32_dpp v18, v13 row_shr:1 row_mask:0xf bank_mask:0xf bound_ctrl:1
	v_cvt_i32_f32_e32 v17, v10
	v_cvt_i32_f32_e32 v14, v9
	v_add_f32_e32 v5, v5, v11
	v_cvt_f32_i32_dpp v12, v12 row_shr:4 row_mask:0xf bank_mask:0xf bound_ctrl:1
	ds_bpermute_b32 v31, v22, v30
	v_cvt_f32_i32_dpp v24, v17 row_shr:1 row_mask:0xf bank_mask:0xf bound_ctrl:1
	v_cvt_f32_i32_dpp v14, v14 row_shr:4 row_mask:0xf bank_mask:0xf bound_ctrl:1
	v_cvt_i32_f32_e32 v11, v5
	v_add_f32_e32 v7, v7, v12
	ds_bpermute_b32 v26, v22, v25
	ds_bpermute_b32 v20, v22, v19
	v_add_f32_e32 v9, v9, v14
	v_cvt_f32_i32_dpp v11, v11 row_shr:2 row_mask:0xf bank_mask:0xf bound_ctrl:1
	v_cvt_i32_f32_e32 v12, v7
	s_delay_alu instid0(VALU_DEP_3) | instskip(NEXT) | instid1(VALU_DEP_3)
	v_cvt_i32_f32_e32 v14, v9
	v_add_f32_e32 v5, v5, v11
	s_delay_alu instid0(VALU_DEP_3) | instskip(NEXT) | instid1(VALU_DEP_3)
	v_cvt_f32_i32_dpp v12, v12 row_shr:2 row_mask:0xf bank_mask:0xf bound_ctrl:1
	v_cvt_f32_i32_dpp v14, v14 row_shr:2 row_mask:0xf bank_mask:0xf bound_ctrl:1
	s_delay_alu instid0(VALU_DEP_3) | instskip(NEXT) | instid1(VALU_DEP_3)
	v_cvt_i32_f32_e32 v11, v5
	v_add_f32_e32 v7, v7, v12
	s_delay_alu instid0(VALU_DEP_3) | instskip(NEXT) | instid1(VALU_DEP_3)
	v_add_f32_e32 v9, v9, v14
	v_cvt_f32_i32_dpp v11, v11 row_shr:1 row_mask:0xf bank_mask:0xf bound_ctrl:1
	s_delay_alu instid0(VALU_DEP_3) | instskip(NEXT) | instid1(VALU_DEP_3)
	v_cvt_i32_f32_e32 v12, v7
	v_cvt_i32_f32_e32 v14, v9
	s_delay_alu instid0(VALU_DEP_3) | instskip(NEXT) | instid1(VALU_DEP_3)
	v_add_f32_e32 v17, v5, v11
	v_cvt_f32_i32_dpp v12, v12 row_shr:1 row_mask:0xf bank_mask:0xf bound_ctrl:1
	v_add_f32_e32 v11, v8, v18
	s_delay_alu instid0(VALU_DEP_4)
	v_cvt_f32_i32_dpp v14, v14 row_shr:1 row_mask:0xf bank_mask:0xf bound_ctrl:1
	ds_bpermute_b32 v18, v22, v17
	v_add_f32_e32 v13, v7, v12
	v_add_f32_e32 v7, v10, v24
	ds_bpermute_b32 v12, v22, v11
	v_add_f32_e32 v9, v9, v14
	ds_bpermute_b32 v14, v22, v13
	ds_bpermute_b32 v8, v22, v7
	;; [unrolled: 1-line block ×3, first 2 shown]
	s_and_saveexec_b32 s5, s0
	s_cbranch_execz .LBB262_131
; %bb.33:                               ;   in Loop: Header=BB262_12 Depth=1
	v_dual_mov_b32 v53, 0 :: v_dual_mov_b32 v52, 0
	v_dual_mov_b32 v50, 0 :: v_dual_add_nc_u32 v71, 2, v69
	v_dual_mov_b32 v48, 0 :: v_dual_add_nc_u32 v5, 3, v69
	v_dual_mov_b32 v51, 0 :: v_dual_mov_b32 v46, 0
	v_dual_mov_b32 v49, 0 :: v_dual_mov_b32 v36, 0
	;; [unrolled: 1-line block ×5, first 2 shown]
	v_mov_b32_e32 v39, 0
	v_mov_b32_e32 v29, 0
	s_and_not1_b32 vcc_lo, exec_lo, s30
	s_cbranch_vccnz .LBB262_35
; %bb.34:                               ;   in Loop: Header=BB262_12 Depth=1
	v_mul_hi_u32 v22, v69, v87
	v_dual_mov_b32 v47, v72 :: v_dual_add_nc_u32 v24, 1, v69
	v_mul_hi_u32 v29, v71, v87
	v_mul_hi_u32 v34, v5, v87
	v_mov_b32_e32 v79, v72
	s_delay_alu instid0(VALU_DEP_4) | instskip(SKIP_3) | instid1(VALU_DEP_4)
	v_mul_hi_u32 v36, v24, v87
	v_mul_lo_u32 v22, v22, s8
	v_mul_lo_u32 v29, v29, s8
	v_mul_lo_u32 v34, v34, s8
	v_mul_lo_u32 v36, v36, s8
	s_delay_alu instid0(VALU_DEP_4) | instskip(NEXT) | instid1(VALU_DEP_4)
	v_sub_nc_u32_e32 v22, v69, v22
	v_sub_nc_u32_e32 v29, v71, v29
	s_delay_alu instid0(VALU_DEP_4) | instskip(NEXT) | instid1(VALU_DEP_3)
	v_sub_nc_u32_e32 v34, v5, v34
	v_subrev_nc_u32_e32 v39, s8, v22
	v_cmp_le_u32_e32 vcc_lo, s8, v22
	v_mov_b32_e32 v55, v72
	v_sub_nc_u32_e32 v24, v24, v36
	v_subrev_nc_u32_e32 v36, s8, v29
	v_subrev_nc_u32_e32 v43, s8, v34
	v_cndmask_b32_e32 v22, v22, v39, vcc_lo
	v_cmp_le_u32_e32 vcc_lo, s8, v29
	v_subrev_nc_u32_e32 v39, s8, v24
	v_cndmask_b32_e32 v29, v29, v36, vcc_lo
	v_cmp_le_u32_e32 vcc_lo, s8, v34
	v_mov_b32_e32 v57, v72
	v_subrev_nc_u32_e32 v36, s8, v22
	v_cndmask_b32_e32 v34, v34, v43, vcc_lo
	v_cmp_le_u32_e32 vcc_lo, s8, v24
	s_delay_alu instid0(VALU_DEP_2)
	v_subrev_nc_u32_e32 v43, s8, v34
	v_cndmask_b32_e32 v24, v24, v39, vcc_lo
	v_cmp_le_u32_e32 vcc_lo, s8, v22
	v_mov_b32_e32 v59, v72
	v_subrev_nc_u32_e32 v39, s8, v29
	v_cndmask_b32_e32 v46, v22, v36, vcc_lo
	v_cmp_le_u32_e32 vcc_lo, s8, v29
	v_subrev_nc_u32_e32 v22, s8, v24
	s_delay_alu instid0(VALU_DEP_3) | instskip(SKIP_4) | instid1(VALU_DEP_4)
	v_dual_mov_b32 v64, v72 :: v_dual_add_nc_u32 v61, s33, v46
	v_cndmask_b32_e32 v56, v29, v39, vcc_lo
	v_cmp_le_u32_e32 vcc_lo, s8, v34
	v_lshlrev_b64 v[47:48], 1, v[46:47]
	v_mov_b32_e32 v68, v72
	v_lshlrev_b64 v[49:50], 1, v[56:57]
	v_cndmask_b32_e32 v58, v34, v43, vcc_lo
	v_cmp_le_u32_e32 vcc_lo, s8, v24
	v_cndmask_b32_e32 v54, v24, v22, vcc_lo
	v_add_co_u32 v47, vcc_lo, s14, v47
	v_add_co_ci_u32_e32 v48, vcc_lo, s15, v48, vcc_lo
	s_delay_alu instid0(VALU_DEP_3) | instskip(SKIP_3) | instid1(VALU_DEP_2)
	v_add_nc_u32_e32 v63, s33, v54
	v_lshlrev_b64 v[51:52], 1, v[58:59]
	v_lshlrev_b64 v[59:60], 1, v[54:55]
	v_dual_mov_b32 v62, v72 :: v_dual_add_nc_u32 v67, s33, v58
	v_add_co_u32 v59, vcc_lo, s14, v59
	s_delay_alu instid0(VALU_DEP_3)
	v_add_co_ci_u32_e32 v60, vcc_lo, s15, v60, vcc_lo
	v_add_co_u32 v49, vcc_lo, s14, v49
	v_add_co_ci_u32_e32 v50, vcc_lo, s15, v50, vcc_lo
	v_lshlrev_b64 v[61:62], 1, v[61:62]
	v_add_co_u32 v65, vcc_lo, s14, v51
	v_add_co_ci_u32_e32 v66, vcc_lo, s15, v52, vcc_lo
	v_lshlrev_b64 v[51:52], 1, v[63:64]
	v_add_nc_u32_e32 v63, s33, v56
	v_add_co_u32 v61, vcc_lo, s14, v61
	v_add_co_ci_u32_e32 v62, vcc_lo, s15, v62, vcc_lo
	s_delay_alu instid0(VALU_DEP_4)
	v_add_co_u32 v74, vcc_lo, s14, v51
	v_add_co_ci_u32_e32 v75, vcc_lo, s15, v52, vcc_lo
	v_lshlrev_b64 v[51:52], 1, v[67:68]
	v_add_nc_u32_e32 v67, s34, v46
	v_lshlrev_b64 v[63:64], 1, v[63:64]
	v_add_nc_u32_e32 v78, s34, v54
	v_add_nc_u32_e32 v54, s38, v54
	s_delay_alu instid0(VALU_DEP_3) | instskip(NEXT) | instid1(VALU_DEP_4)
	v_add_co_u32 v63, vcc_lo, s14, v63
	v_add_co_ci_u32_e32 v64, vcc_lo, s15, v64, vcc_lo
	v_add_co_u32 v76, vcc_lo, s14, v51
	v_add_co_ci_u32_e32 v77, vcc_lo, s15, v52, vcc_lo
	s_clause 0x7
	global_load_u16 v53, v[47:48], off
	global_load_u16 v52, v[59:60], off
	;; [unrolled: 1-line block ×8, first 2 shown]
	v_mov_b32_e32 v75, v72
	v_add_nc_u32_e32 v61, s34, v56
	v_lshlrev_b64 v[67:68], 1, v[67:68]
	v_dual_mov_b32 v62, v72 :: v_dual_add_nc_u32 v65, s34, v58
	v_lshlrev_b64 v[59:60], 1, v[78:79]
	v_mov_b32_e32 v66, v72
	v_add_nc_u32_e32 v56, s38, v56
	v_add_co_u32 v63, vcc_lo, s14, v67
	v_add_nc_u32_e32 v67, s38, v46
	v_lshlrev_b64 v[61:62], 1, v[61:62]
	v_add_co_ci_u32_e32 v64, vcc_lo, s15, v68, vcc_lo
	v_mov_b32_e32 v68, v72
	v_add_co_u32 v59, vcc_lo, s14, v59
	v_lshlrev_b64 v[65:66], 1, v[65:66]
	v_add_co_ci_u32_e32 v60, vcc_lo, s15, v60, vcc_lo
	v_add_co_u32 v61, vcc_lo, s14, v61
	v_lshlrev_b64 v[67:68], 1, v[67:68]
	v_add_co_ci_u32_e32 v62, vcc_lo, s15, v62, vcc_lo
	v_add_co_u32 v65, vcc_lo, s14, v65
	v_lshlrev_b64 v[54:55], 1, v[54:55]
	v_add_nc_u32_e32 v74, s38, v58
	v_add_co_ci_u32_e32 v66, vcc_lo, s15, v66, vcc_lo
	v_add_co_u32 v67, vcc_lo, s14, v67
	v_lshlrev_b64 v[56:57], 1, v[56:57]
	v_add_co_ci_u32_e32 v68, vcc_lo, s15, v68, vcc_lo
	v_add_co_u32 v54, vcc_lo, s14, v54
	v_lshlrev_b64 v[74:75], 1, v[74:75]
	v_add_co_ci_u32_e32 v55, vcc_lo, s15, v55, vcc_lo
	v_add_co_u32 v56, vcc_lo, s14, v56
	v_add_co_ci_u32_e32 v57, vcc_lo, s15, v57, vcc_lo
	s_delay_alu instid0(VALU_DEP_4)
	v_add_co_u32 v74, vcc_lo, s14, v74
	v_add_co_ci_u32_e32 v75, vcc_lo, s15, v75, vcc_lo
	s_clause 0x7
	global_load_u16 v46, v[63:64], off
	global_load_u16 v43, v[59:60], off
	;; [unrolled: 1-line block ×8, first 2 shown]
.LBB262_35:                             ;   in Loop: Header=BB262_12 Depth=1
	v_cmp_ne_u32_e32 vcc_lo, 0, v1
	s_and_saveexec_b32 s2, vcc_lo
	s_cbranch_execnz .LBB262_51
; %bb.36:                               ;   in Loop: Header=BB262_12 Depth=1
	s_or_b32 exec_lo, exec_lo, s2
	v_cmp_ne_u32_e64 s1, 0, v2
	s_delay_alu instid0(VALU_DEP_1)
	s_and_saveexec_b32 s3, s1
	s_cbranch_execnz .LBB262_56
.LBB262_37:                             ;   in Loop: Header=BB262_12 Depth=1
	s_or_b32 exec_lo, exec_lo, s3
	v_cmp_ne_u32_e64 s2, 0, v3
	s_delay_alu instid0(VALU_DEP_1)
	s_and_saveexec_b32 s4, s2
	s_cbranch_execnz .LBB262_61
.LBB262_38:                             ;   in Loop: Header=BB262_12 Depth=1
	s_or_b32 exec_lo, exec_lo, s4
	v_cmp_ne_u32_e64 s3, 0, v4
	s_delay_alu instid0(VALU_DEP_1)
	s_and_saveexec_b32 s41, s3
	s_cbranch_execnz .LBB262_66
.LBB262_39:                             ;   in Loop: Header=BB262_12 Depth=1
	s_or_b32 exec_lo, exec_lo, s41
	v_add_nc_u32_e32 v71, s19, v69
	s_and_saveexec_b32 s41, vcc_lo
	s_cbranch_execnz .LBB262_71
.LBB262_40:                             ;   in Loop: Header=BB262_12 Depth=1
	s_or_b32 exec_lo, exec_lo, s41
	s_and_saveexec_b32 s41, s1
	s_cbranch_execnz .LBB262_76
.LBB262_41:                             ;   in Loop: Header=BB262_12 Depth=1
	s_or_b32 exec_lo, exec_lo, s41
	s_and_saveexec_b32 s41, s2
	s_cbranch_execnz .LBB262_81
.LBB262_42:                             ;   in Loop: Header=BB262_12 Depth=1
	s_or_b32 exec_lo, exec_lo, s41
	s_and_saveexec_b32 s41, s3
	s_cbranch_execnz .LBB262_86
.LBB262_43:                             ;   in Loop: Header=BB262_12 Depth=1
	s_or_b32 exec_lo, exec_lo, s41
	v_add_nc_u32_e32 v71, s19, v71
	s_and_saveexec_b32 s41, vcc_lo
	s_cbranch_execnz .LBB262_91
.LBB262_44:                             ;   in Loop: Header=BB262_12 Depth=1
	s_or_b32 exec_lo, exec_lo, s41
	s_and_saveexec_b32 s41, s1
	s_cbranch_execnz .LBB262_96
.LBB262_45:                             ;   in Loop: Header=BB262_12 Depth=1
	s_or_b32 exec_lo, exec_lo, s41
	s_and_saveexec_b32 s41, s2
	s_cbranch_execnz .LBB262_101
.LBB262_46:                             ;   in Loop: Header=BB262_12 Depth=1
	s_or_b32 exec_lo, exec_lo, s41
	s_and_saveexec_b32 s41, s3
	s_cbranch_execnz .LBB262_106
.LBB262_47:                             ;   in Loop: Header=BB262_12 Depth=1
	s_or_b32 exec_lo, exec_lo, s41
	v_add_nc_u32_e32 v71, s19, v71
	s_and_saveexec_b32 s4, vcc_lo
	s_cbranch_execnz .LBB262_111
.LBB262_48:                             ;   in Loop: Header=BB262_12 Depth=1
	s_or_b32 exec_lo, exec_lo, s4
	s_and_saveexec_b32 s4, s1
	s_cbranch_execnz .LBB262_116
.LBB262_49:                             ;   in Loop: Header=BB262_12 Depth=1
	s_or_b32 exec_lo, exec_lo, s4
	s_and_saveexec_b32 s1, s2
	s_cbranch_execnz .LBB262_121
.LBB262_50:                             ;   in Loop: Header=BB262_12 Depth=1
	s_or_b32 exec_lo, exec_lo, s1
	s_delay_alu instid0(SALU_CYCLE_1)
	s_and_b32 exec_lo, exec_lo, s3
	s_cbranch_execnz .LBB262_126
	s_branch .LBB262_131
.LBB262_51:                             ;   in Loop: Header=BB262_12 Depth=1
	s_waitcnt lgkmcnt(15)
	v_add_f32_e32 v42, v42, v44
	s_waitcnt vmcnt(15)
	v_lshlrev_b32_e32 v44, 16, v53
	s_delay_alu instid0(VALU_DEP_1) | instskip(NEXT) | instid1(VALU_DEP_1)
	v_add_f32_e32 v44, v42, v44
	v_and_b32_e32 v42, 0x7f800000, v44
	s_delay_alu instid0(VALU_DEP_1) | instskip(NEXT) | instid1(VALU_DEP_1)
	v_cmp_ne_u32_e64 s1, 0x7f800000, v42
                                        ; implicit-def: $vgpr42
	s_and_saveexec_b32 s3, s1
	s_delay_alu instid0(SALU_CYCLE_1)
	s_xor_b32 s1, exec_lo, s3
; %bb.52:                               ;   in Loop: Header=BB262_12 Depth=1
	v_bfe_u32 v42, v44, 16, 1
	s_delay_alu instid0(VALU_DEP_1)
	v_add3_u32 v42, v44, v42, 0x7fff
                                        ; implicit-def: $vgpr44
; %bb.53:                               ;   in Loop: Header=BB262_12 Depth=1
	s_and_not1_saveexec_b32 s3, s1
; %bb.54:                               ;   in Loop: Header=BB262_12 Depth=1
	v_and_b32_e32 v42, 0xffff, v44
	v_or_b32_e32 v53, 0x10000, v44
	s_delay_alu instid0(VALU_DEP_2) | instskip(NEXT) | instid1(VALU_DEP_1)
	v_cmp_eq_u32_e64 s1, 0, v42
	v_cndmask_b32_e64 v42, v53, v44, s1
; %bb.55:                               ;   in Loop: Header=BB262_12 Depth=1
	s_or_b32 exec_lo, exec_lo, s3
	v_mov_b32_e32 v70, v72
	s_delay_alu instid0(VALU_DEP_1) | instskip(NEXT) | instid1(VALU_DEP_1)
	v_lshlrev_b64 v[53:54], 1, v[69:70]
	v_add_co_u32 v53, s1, s6, v53
	s_delay_alu instid0(VALU_DEP_1) | instskip(SKIP_3) | instid1(VALU_DEP_1)
	v_add_co_ci_u32_e64 v54, s1, s7, v54, s1
	global_store_d16_hi_b16 v[53:54], v42, off
	s_or_b32 exec_lo, exec_lo, s2
	v_cmp_ne_u32_e64 s1, 0, v2
	s_and_saveexec_b32 s3, s1
	s_cbranch_execz .LBB262_37
.LBB262_56:                             ;   in Loop: Header=BB262_12 Depth=1
	s_waitcnt vmcnt(14) lgkmcnt(14)
	v_dual_add_f32 v40, v40, v41 :: v_dual_lshlrev_b32 v41, 16, v52
	s_delay_alu instid0(VALU_DEP_1) | instskip(NEXT) | instid1(VALU_DEP_1)
	v_add_f32_e32 v41, v40, v41
	v_and_b32_e32 v40, 0x7f800000, v41
	s_delay_alu instid0(VALU_DEP_1) | instskip(NEXT) | instid1(VALU_DEP_1)
	v_cmp_ne_u32_e64 s2, 0x7f800000, v40
                                        ; implicit-def: $vgpr40
	s_and_saveexec_b32 s4, s2
	s_delay_alu instid0(SALU_CYCLE_1)
	s_xor_b32 s2, exec_lo, s4
; %bb.57:                               ;   in Loop: Header=BB262_12 Depth=1
	v_bfe_u32 v40, v41, 16, 1
	s_delay_alu instid0(VALU_DEP_1)
	v_add3_u32 v40, v41, v40, 0x7fff
                                        ; implicit-def: $vgpr41
; %bb.58:                               ;   in Loop: Header=BB262_12 Depth=1
	s_and_not1_saveexec_b32 s4, s2
; %bb.59:                               ;   in Loop: Header=BB262_12 Depth=1
	v_and_b32_e32 v40, 0xffff, v41
	v_or_b32_e32 v42, 0x10000, v41
	s_delay_alu instid0(VALU_DEP_2) | instskip(NEXT) | instid1(VALU_DEP_1)
	v_cmp_eq_u32_e64 s2, 0, v40
	v_cndmask_b32_e64 v40, v42, v41, s2
; %bb.60:                               ;   in Loop: Header=BB262_12 Depth=1
	s_or_b32 exec_lo, exec_lo, s4
	v_mov_b32_e32 v70, v72
	s_delay_alu instid0(VALU_DEP_1) | instskip(NEXT) | instid1(VALU_DEP_1)
	v_lshlrev_b64 v[41:42], 1, v[69:70]
	v_add_co_u32 v41, s2, s35, v41
	s_delay_alu instid0(VALU_DEP_1) | instskip(SKIP_3) | instid1(VALU_DEP_1)
	v_add_co_ci_u32_e64 v42, s2, s36, v42, s2
	global_store_d16_hi_b16 v[41:42], v40, off
	s_or_b32 exec_lo, exec_lo, s3
	v_cmp_ne_u32_e64 s2, 0, v3
	s_and_saveexec_b32 s4, s2
	s_cbranch_execz .LBB262_38
.LBB262_61:                             ;   in Loop: Header=BB262_12 Depth=1
	s_waitcnt vmcnt(13) lgkmcnt(13)
	v_dual_add_f32 v37, v37, v38 :: v_dual_lshlrev_b32 v38, 16, v51
	s_delay_alu instid0(VALU_DEP_1) | instskip(NEXT) | instid1(VALU_DEP_1)
	v_add_f32_e32 v38, v37, v38
	v_and_b32_e32 v37, 0x7f800000, v38
	s_delay_alu instid0(VALU_DEP_1) | instskip(NEXT) | instid1(VALU_DEP_1)
	v_cmp_ne_u32_e64 s3, 0x7f800000, v37
                                        ; implicit-def: $vgpr37
	s_and_saveexec_b32 s41, s3
	s_delay_alu instid0(SALU_CYCLE_1)
	s_xor_b32 s3, exec_lo, s41
; %bb.62:                               ;   in Loop: Header=BB262_12 Depth=1
	v_bfe_u32 v37, v38, 16, 1
	s_delay_alu instid0(VALU_DEP_1)
	v_add3_u32 v37, v38, v37, 0x7fff
                                        ; implicit-def: $vgpr38
; %bb.63:                               ;   in Loop: Header=BB262_12 Depth=1
	s_and_not1_saveexec_b32 s41, s3
; %bb.64:                               ;   in Loop: Header=BB262_12 Depth=1
	v_and_b32_e32 v37, 0xffff, v38
	v_or_b32_e32 v40, 0x10000, v38
	s_delay_alu instid0(VALU_DEP_2) | instskip(NEXT) | instid1(VALU_DEP_1)
	v_cmp_eq_u32_e64 s3, 0, v37
	v_cndmask_b32_e64 v37, v40, v38, s3
; %bb.65:                               ;   in Loop: Header=BB262_12 Depth=1
	s_or_b32 exec_lo, exec_lo, s41
	v_lshlrev_b64 v[40:41], 1, v[71:72]
	s_delay_alu instid0(VALU_DEP_1) | instskip(NEXT) | instid1(VALU_DEP_1)
	v_add_co_u32 v40, s3, s6, v40
	v_add_co_ci_u32_e64 v41, s3, s7, v41, s3
	global_store_d16_hi_b16 v[40:41], v37, off
	s_or_b32 exec_lo, exec_lo, s4
	v_cmp_ne_u32_e64 s3, 0, v4
	s_delay_alu instid0(VALU_DEP_1)
	s_and_saveexec_b32 s41, s3
	s_cbranch_execz .LBB262_39
.LBB262_66:                             ;   in Loop: Header=BB262_12 Depth=1
	s_waitcnt vmcnt(12) lgkmcnt(12)
	v_dual_add_f32 v6, v6, v35 :: v_dual_lshlrev_b32 v35, 16, v50
	s_delay_alu instid0(VALU_DEP_1) | instskip(NEXT) | instid1(VALU_DEP_1)
	v_add_f32_e32 v6, v6, v35
	v_and_b32_e32 v35, 0x7f800000, v6
	s_delay_alu instid0(VALU_DEP_1) | instskip(NEXT) | instid1(VALU_DEP_1)
	v_cmp_ne_u32_e64 s4, 0x7f800000, v35
                                        ; implicit-def: $vgpr35
	s_and_saveexec_b32 s42, s4
	s_delay_alu instid0(SALU_CYCLE_1)
	s_xor_b32 s4, exec_lo, s42
; %bb.67:                               ;   in Loop: Header=BB262_12 Depth=1
	v_bfe_u32 v35, v6, 16, 1
	s_delay_alu instid0(VALU_DEP_1)
	v_add3_u32 v35, v6, v35, 0x7fff
                                        ; implicit-def: $vgpr6
; %bb.68:                               ;   in Loop: Header=BB262_12 Depth=1
	s_and_not1_saveexec_b32 s42, s4
; %bb.69:                               ;   in Loop: Header=BB262_12 Depth=1
	v_and_b32_e32 v35, 0xffff, v6
	v_or_b32_e32 v37, 0x10000, v6
	s_delay_alu instid0(VALU_DEP_2) | instskip(NEXT) | instid1(VALU_DEP_1)
	v_cmp_eq_u32_e64 s4, 0, v35
	v_cndmask_b32_e64 v35, v37, v6, s4
; %bb.70:                               ;   in Loop: Header=BB262_12 Depth=1
	s_or_b32 exec_lo, exec_lo, s42
	v_mov_b32_e32 v6, v72
	s_delay_alu instid0(VALU_DEP_1) | instskip(NEXT) | instid1(VALU_DEP_1)
	v_lshlrev_b64 v[5:6], 1, v[5:6]
	v_add_co_u32 v5, s4, s6, v5
	s_delay_alu instid0(VALU_DEP_1)
	v_add_co_ci_u32_e64 v6, s4, s7, v6, s4
	global_store_d16_hi_b16 v[5:6], v35, off
	s_or_b32 exec_lo, exec_lo, s41
	v_add_nc_u32_e32 v71, s19, v69
	s_and_saveexec_b32 s41, vcc_lo
	s_cbranch_execz .LBB262_40
.LBB262_71:                             ;   in Loop: Header=BB262_12 Depth=1
	s_waitcnt lgkmcnt(11)
	v_add_f32_e32 v5, v32, v33
	s_waitcnt vmcnt(11)
	v_lshlrev_b32_e32 v6, 16, v49
	s_delay_alu instid0(VALU_DEP_1) | instskip(NEXT) | instid1(VALU_DEP_1)
	v_add_f32_e32 v6, v5, v6
	v_and_b32_e32 v5, 0x7f800000, v6
	s_delay_alu instid0(VALU_DEP_1) | instskip(NEXT) | instid1(VALU_DEP_1)
	v_cmp_ne_u32_e64 s4, 0x7f800000, v5
                                        ; implicit-def: $vgpr5
	s_and_saveexec_b32 s42, s4
	s_delay_alu instid0(SALU_CYCLE_1)
	s_xor_b32 s4, exec_lo, s42
; %bb.72:                               ;   in Loop: Header=BB262_12 Depth=1
	v_bfe_u32 v5, v6, 16, 1
	s_delay_alu instid0(VALU_DEP_1)
	v_add3_u32 v5, v6, v5, 0x7fff
                                        ; implicit-def: $vgpr6
; %bb.73:                               ;   in Loop: Header=BB262_12 Depth=1
	s_and_not1_saveexec_b32 s42, s4
; %bb.74:                               ;   in Loop: Header=BB262_12 Depth=1
	v_and_b32_e32 v5, 0xffff, v6
	v_or_b32_e32 v32, 0x10000, v6
	s_delay_alu instid0(VALU_DEP_2) | instskip(NEXT) | instid1(VALU_DEP_1)
	v_cmp_eq_u32_e64 s4, 0, v5
	v_cndmask_b32_e64 v5, v32, v6, s4
; %bb.75:                               ;   in Loop: Header=BB262_12 Depth=1
	s_or_b32 exec_lo, exec_lo, s42
	v_lshlrev_b64 v[32:33], 1, v[71:72]
	s_delay_alu instid0(VALU_DEP_1) | instskip(NEXT) | instid1(VALU_DEP_1)
	v_add_co_u32 v32, s4, s6, v32
	v_add_co_ci_u32_e64 v33, s4, s7, v33, s4
	global_store_d16_hi_b16 v[32:33], v5, off
	s_or_b32 exec_lo, exec_lo, s41
	s_and_saveexec_b32 s41, s1
	s_cbranch_execz .LBB262_41
.LBB262_76:                             ;   in Loop: Header=BB262_12 Depth=1
	s_waitcnt lgkmcnt(10)
	v_add_f32_e32 v5, v27, v28
	s_waitcnt vmcnt(10)
	v_lshlrev_b32_e32 v6, 16, v48
	s_delay_alu instid0(VALU_DEP_1) | instskip(NEXT) | instid1(VALU_DEP_1)
	v_add_f32_e32 v6, v5, v6
	v_and_b32_e32 v5, 0x7f800000, v6
	s_delay_alu instid0(VALU_DEP_1) | instskip(NEXT) | instid1(VALU_DEP_1)
	v_cmp_ne_u32_e64 s4, 0x7f800000, v5
                                        ; implicit-def: $vgpr5
	s_and_saveexec_b32 s42, s4
	s_delay_alu instid0(SALU_CYCLE_1)
	s_xor_b32 s4, exec_lo, s42
; %bb.77:                               ;   in Loop: Header=BB262_12 Depth=1
	v_bfe_u32 v5, v6, 16, 1
	s_delay_alu instid0(VALU_DEP_1)
	v_add3_u32 v5, v6, v5, 0x7fff
                                        ; implicit-def: $vgpr6
; %bb.78:                               ;   in Loop: Header=BB262_12 Depth=1
	s_and_not1_saveexec_b32 s42, s4
; %bb.79:                               ;   in Loop: Header=BB262_12 Depth=1
	v_and_b32_e32 v5, 0xffff, v6
	v_or_b32_e32 v27, 0x10000, v6
	s_delay_alu instid0(VALU_DEP_2) | instskip(NEXT) | instid1(VALU_DEP_1)
	v_cmp_eq_u32_e64 s4, 0, v5
	v_cndmask_b32_e64 v5, v27, v6, s4
; %bb.80:                               ;   in Loop: Header=BB262_12 Depth=1
	s_or_b32 exec_lo, exec_lo, s42
	v_dual_mov_b32 v28, v72 :: v_dual_add_nc_u32 v27, 1, v71
	s_delay_alu instid0(VALU_DEP_1) | instskip(NEXT) | instid1(VALU_DEP_1)
	v_lshlrev_b64 v[27:28], 1, v[27:28]
	v_add_co_u32 v27, s4, s6, v27
	s_delay_alu instid0(VALU_DEP_1)
	v_add_co_ci_u32_e64 v28, s4, s7, v28, s4
	global_store_d16_hi_b16 v[27:28], v5, off
	s_or_b32 exec_lo, exec_lo, s41
	s_and_saveexec_b32 s41, s2
	s_cbranch_execz .LBB262_42
.LBB262_81:                             ;   in Loop: Header=BB262_12 Depth=1
	s_waitcnt lgkmcnt(7)
	v_add_f32_e32 v5, v30, v31
	s_waitcnt vmcnt(9)
	v_lshlrev_b32_e32 v6, 16, v47
	s_delay_alu instid0(VALU_DEP_1) | instskip(NEXT) | instid1(VALU_DEP_1)
	v_add_f32_e32 v6, v5, v6
	v_and_b32_e32 v5, 0x7f800000, v6
	s_delay_alu instid0(VALU_DEP_1) | instskip(NEXT) | instid1(VALU_DEP_1)
	v_cmp_ne_u32_e64 s4, 0x7f800000, v5
                                        ; implicit-def: $vgpr5
	s_and_saveexec_b32 s42, s4
	s_delay_alu instid0(SALU_CYCLE_1)
	s_xor_b32 s4, exec_lo, s42
; %bb.82:                               ;   in Loop: Header=BB262_12 Depth=1
	v_bfe_u32 v5, v6, 16, 1
	s_delay_alu instid0(VALU_DEP_1)
	v_add3_u32 v5, v6, v5, 0x7fff
                                        ; implicit-def: $vgpr6
; %bb.83:                               ;   in Loop: Header=BB262_12 Depth=1
	s_and_not1_saveexec_b32 s42, s4
; %bb.84:                               ;   in Loop: Header=BB262_12 Depth=1
	v_and_b32_e32 v5, 0xffff, v6
	v_or_b32_e32 v27, 0x10000, v6
	s_delay_alu instid0(VALU_DEP_2) | instskip(NEXT) | instid1(VALU_DEP_1)
	v_cmp_eq_u32_e64 s4, 0, v5
	v_cndmask_b32_e64 v5, v27, v6, s4
; %bb.85:                               ;   in Loop: Header=BB262_12 Depth=1
	s_or_b32 exec_lo, exec_lo, s42
	v_dual_mov_b32 v28, v72 :: v_dual_add_nc_u32 v27, 2, v71
	s_delay_alu instid0(VALU_DEP_1) | instskip(NEXT) | instid1(VALU_DEP_1)
	v_lshlrev_b64 v[27:28], 1, v[27:28]
	v_add_co_u32 v27, s4, s6, v27
	s_delay_alu instid0(VALU_DEP_1)
	v_add_co_ci_u32_e64 v28, s4, s7, v28, s4
	global_store_d16_hi_b16 v[27:28], v5, off
	s_or_b32 exec_lo, exec_lo, s41
	s_and_saveexec_b32 s41, s3
	s_cbranch_execz .LBB262_43
.LBB262_86:                             ;   in Loop: Header=BB262_12 Depth=1
	s_waitcnt vmcnt(8) lgkmcnt(6)
	v_dual_add_f32 v5, v25, v26 :: v_dual_lshlrev_b32 v6, 16, v45
	s_delay_alu instid0(VALU_DEP_1) | instskip(NEXT) | instid1(VALU_DEP_1)
	v_add_f32_e32 v6, v5, v6
	v_and_b32_e32 v5, 0x7f800000, v6
	s_delay_alu instid0(VALU_DEP_1) | instskip(NEXT) | instid1(VALU_DEP_1)
	v_cmp_ne_u32_e64 s4, 0x7f800000, v5
                                        ; implicit-def: $vgpr5
	s_and_saveexec_b32 s42, s4
	s_delay_alu instid0(SALU_CYCLE_1)
	s_xor_b32 s4, exec_lo, s42
; %bb.87:                               ;   in Loop: Header=BB262_12 Depth=1
	v_bfe_u32 v5, v6, 16, 1
	s_delay_alu instid0(VALU_DEP_1)
	v_add3_u32 v5, v6, v5, 0x7fff
                                        ; implicit-def: $vgpr6
; %bb.88:                               ;   in Loop: Header=BB262_12 Depth=1
	s_and_not1_saveexec_b32 s42, s4
; %bb.89:                               ;   in Loop: Header=BB262_12 Depth=1
	v_and_b32_e32 v5, 0xffff, v6
	v_or_b32_e32 v25, 0x10000, v6
	s_delay_alu instid0(VALU_DEP_2) | instskip(NEXT) | instid1(VALU_DEP_1)
	v_cmp_eq_u32_e64 s4, 0, v5
	v_cndmask_b32_e64 v5, v25, v6, s4
; %bb.90:                               ;   in Loop: Header=BB262_12 Depth=1
	s_or_b32 exec_lo, exec_lo, s42
	v_dual_mov_b32 v26, v72 :: v_dual_add_nc_u32 v25, 3, v71
	s_delay_alu instid0(VALU_DEP_1) | instskip(NEXT) | instid1(VALU_DEP_1)
	v_lshlrev_b64 v[25:26], 1, v[25:26]
	v_add_co_u32 v25, s4, s6, v25
	s_delay_alu instid0(VALU_DEP_1)
	v_add_co_ci_u32_e64 v26, s4, s7, v26, s4
	global_store_d16_hi_b16 v[25:26], v5, off
	s_or_b32 exec_lo, exec_lo, s41
	v_add_nc_u32_e32 v71, s19, v71
	s_and_saveexec_b32 s41, vcc_lo
	s_cbranch_execz .LBB262_44
.LBB262_91:                             ;   in Loop: Header=BB262_12 Depth=1
	s_waitcnt vmcnt(7) lgkmcnt(8)
	v_dual_add_f32 v5, v21, v23 :: v_dual_lshlrev_b32 v6, 16, v46
	s_delay_alu instid0(VALU_DEP_1) | instskip(NEXT) | instid1(VALU_DEP_1)
	v_add_f32_e32 v6, v5, v6
	v_and_b32_e32 v5, 0x7f800000, v6
	s_delay_alu instid0(VALU_DEP_1) | instskip(NEXT) | instid1(VALU_DEP_1)
	v_cmp_ne_u32_e64 s4, 0x7f800000, v5
                                        ; implicit-def: $vgpr5
	s_and_saveexec_b32 s42, s4
	s_delay_alu instid0(SALU_CYCLE_1)
	s_xor_b32 s4, exec_lo, s42
; %bb.92:                               ;   in Loop: Header=BB262_12 Depth=1
	v_bfe_u32 v5, v6, 16, 1
	s_delay_alu instid0(VALU_DEP_1)
	v_add3_u32 v5, v6, v5, 0x7fff
                                        ; implicit-def: $vgpr6
; %bb.93:                               ;   in Loop: Header=BB262_12 Depth=1
	s_and_not1_saveexec_b32 s42, s4
; %bb.94:                               ;   in Loop: Header=BB262_12 Depth=1
	v_and_b32_e32 v5, 0xffff, v6
	v_or_b32_e32 v21, 0x10000, v6
	s_delay_alu instid0(VALU_DEP_2) | instskip(NEXT) | instid1(VALU_DEP_1)
	v_cmp_eq_u32_e64 s4, 0, v5
	v_cndmask_b32_e64 v5, v21, v6, s4
; %bb.95:                               ;   in Loop: Header=BB262_12 Depth=1
	s_or_b32 exec_lo, exec_lo, s42
	s_waitcnt lgkmcnt(6)
	v_lshlrev_b64 v[25:26], 1, v[71:72]
	s_delay_alu instid0(VALU_DEP_1) | instskip(NEXT) | instid1(VALU_DEP_1)
	v_add_co_u32 v25, s4, s6, v25
	v_add_co_ci_u32_e64 v26, s4, s7, v26, s4
	global_store_d16_hi_b16 v[25:26], v5, off
	s_or_b32 exec_lo, exec_lo, s41
	s_and_saveexec_b32 s41, s1
	s_cbranch_execz .LBB262_45
.LBB262_96:                             ;   in Loop: Header=BB262_12 Depth=1
	s_waitcnt vmcnt(6) lgkmcnt(5)
	v_dual_add_f32 v5, v19, v20 :: v_dual_lshlrev_b32 v6, 16, v43
	s_delay_alu instid0(VALU_DEP_1) | instskip(NEXT) | instid1(VALU_DEP_1)
	v_add_f32_e32 v6, v5, v6
	v_and_b32_e32 v5, 0x7f800000, v6
	s_delay_alu instid0(VALU_DEP_1) | instskip(NEXT) | instid1(VALU_DEP_1)
	v_cmp_ne_u32_e64 s4, 0x7f800000, v5
                                        ; implicit-def: $vgpr5
	s_and_saveexec_b32 s42, s4
	s_delay_alu instid0(SALU_CYCLE_1)
	s_xor_b32 s4, exec_lo, s42
; %bb.97:                               ;   in Loop: Header=BB262_12 Depth=1
	v_bfe_u32 v5, v6, 16, 1
	s_delay_alu instid0(VALU_DEP_1)
	v_add3_u32 v5, v6, v5, 0x7fff
                                        ; implicit-def: $vgpr6
; %bb.98:                               ;   in Loop: Header=BB262_12 Depth=1
	s_and_not1_saveexec_b32 s42, s4
; %bb.99:                               ;   in Loop: Header=BB262_12 Depth=1
	v_and_b32_e32 v5, 0xffff, v6
	v_or_b32_e32 v19, 0x10000, v6
	s_delay_alu instid0(VALU_DEP_2) | instskip(NEXT) | instid1(VALU_DEP_1)
	v_cmp_eq_u32_e64 s4, 0, v5
	v_cndmask_b32_e64 v5, v19, v6, s4
; %bb.100:                              ;   in Loop: Header=BB262_12 Depth=1
	s_or_b32 exec_lo, exec_lo, s42
	v_dual_mov_b32 v20, v72 :: v_dual_add_nc_u32 v19, 1, v71
	s_delay_alu instid0(VALU_DEP_1) | instskip(NEXT) | instid1(VALU_DEP_1)
	v_lshlrev_b64 v[19:20], 1, v[19:20]
	v_add_co_u32 v19, s4, s6, v19
	s_delay_alu instid0(VALU_DEP_1)
	v_add_co_ci_u32_e64 v20, s4, s7, v20, s4
	global_store_d16_hi_b16 v[19:20], v5, off
	s_or_b32 exec_lo, exec_lo, s41
	s_and_saveexec_b32 s41, s2
	s_cbranch_execz .LBB262_46
.LBB262_101:                            ;   in Loop: Header=BB262_12 Depth=1
	s_waitcnt vmcnt(5) lgkmcnt(9)
	v_dual_add_f32 v5, v15, v16 :: v_dual_lshlrev_b32 v6, 16, v39
	s_delay_alu instid0(VALU_DEP_1) | instskip(NEXT) | instid1(VALU_DEP_1)
	v_add_f32_e32 v6, v5, v6
	v_and_b32_e32 v5, 0x7f800000, v6
	s_delay_alu instid0(VALU_DEP_1) | instskip(NEXT) | instid1(VALU_DEP_1)
	v_cmp_ne_u32_e64 s4, 0x7f800000, v5
                                        ; implicit-def: $vgpr5
	s_and_saveexec_b32 s42, s4
	s_delay_alu instid0(SALU_CYCLE_1)
	s_xor_b32 s4, exec_lo, s42
; %bb.102:                              ;   in Loop: Header=BB262_12 Depth=1
	v_bfe_u32 v5, v6, 16, 1
	s_delay_alu instid0(VALU_DEP_1)
	v_add3_u32 v5, v6, v5, 0x7fff
                                        ; implicit-def: $vgpr6
; %bb.103:                              ;   in Loop: Header=BB262_12 Depth=1
	s_and_not1_saveexec_b32 s42, s4
; %bb.104:                              ;   in Loop: Header=BB262_12 Depth=1
	v_and_b32_e32 v5, 0xffff, v6
	v_or_b32_e32 v15, 0x10000, v6
	s_delay_alu instid0(VALU_DEP_2) | instskip(NEXT) | instid1(VALU_DEP_1)
	v_cmp_eq_u32_e64 s4, 0, v5
	v_cndmask_b32_e64 v5, v15, v6, s4
; %bb.105:                              ;   in Loop: Header=BB262_12 Depth=1
	s_or_b32 exec_lo, exec_lo, s42
	v_dual_mov_b32 v16, v72 :: v_dual_add_nc_u32 v15, 2, v71
	s_delay_alu instid0(VALU_DEP_1) | instskip(NEXT) | instid1(VALU_DEP_1)
	v_lshlrev_b64 v[15:16], 1, v[15:16]
	v_add_co_u32 v15, s4, s6, v15
	s_delay_alu instid0(VALU_DEP_1)
	v_add_co_ci_u32_e64 v16, s4, s7, v16, s4
	global_store_d16_hi_b16 v[15:16], v5, off
	s_or_b32 exec_lo, exec_lo, s41
	s_and_saveexec_b32 s41, s3
	s_cbranch_execz .LBB262_47
.LBB262_106:                            ;   in Loop: Header=BB262_12 Depth=1
	s_waitcnt vmcnt(4) lgkmcnt(4)
	v_dual_add_f32 v5, v17, v18 :: v_dual_lshlrev_b32 v6, 16, v36
	s_delay_alu instid0(VALU_DEP_1) | instskip(NEXT) | instid1(VALU_DEP_1)
	v_add_f32_e32 v6, v5, v6
	v_and_b32_e32 v5, 0x7f800000, v6
	s_delay_alu instid0(VALU_DEP_1) | instskip(NEXT) | instid1(VALU_DEP_1)
	v_cmp_ne_u32_e64 s4, 0x7f800000, v5
                                        ; implicit-def: $vgpr5
	s_and_saveexec_b32 s42, s4
	s_delay_alu instid0(SALU_CYCLE_1)
	s_xor_b32 s4, exec_lo, s42
; %bb.107:                              ;   in Loop: Header=BB262_12 Depth=1
	v_bfe_u32 v5, v6, 16, 1
	s_delay_alu instid0(VALU_DEP_1)
	v_add3_u32 v5, v6, v5, 0x7fff
                                        ; implicit-def: $vgpr6
; %bb.108:                              ;   in Loop: Header=BB262_12 Depth=1
	s_and_not1_saveexec_b32 s42, s4
; %bb.109:                              ;   in Loop: Header=BB262_12 Depth=1
	v_and_b32_e32 v5, 0xffff, v6
	v_or_b32_e32 v15, 0x10000, v6
	s_delay_alu instid0(VALU_DEP_2) | instskip(NEXT) | instid1(VALU_DEP_1)
	v_cmp_eq_u32_e64 s4, 0, v5
	v_cndmask_b32_e64 v5, v15, v6, s4
; %bb.110:                              ;   in Loop: Header=BB262_12 Depth=1
	s_or_b32 exec_lo, exec_lo, s42
	v_dual_mov_b32 v16, v72 :: v_dual_add_nc_u32 v15, 3, v71
	s_delay_alu instid0(VALU_DEP_1) | instskip(NEXT) | instid1(VALU_DEP_1)
	v_lshlrev_b64 v[15:16], 1, v[15:16]
	v_add_co_u32 v15, s4, s6, v15
	s_delay_alu instid0(VALU_DEP_1)
	v_add_co_ci_u32_e64 v16, s4, s7, v16, s4
	global_store_d16_hi_b16 v[15:16], v5, off
	s_or_b32 exec_lo, exec_lo, s41
	v_add_nc_u32_e32 v71, s19, v71
	s_and_saveexec_b32 s4, vcc_lo
	s_cbranch_execz .LBB262_48
.LBB262_111:                            ;   in Loop: Header=BB262_12 Depth=1
	s_waitcnt lgkmcnt(2)
	v_add_f32_e32 v5, v13, v14
	s_waitcnt vmcnt(3)
	v_lshlrev_b32_e32 v6, 16, v34
	s_delay_alu instid0(VALU_DEP_1) | instskip(NEXT) | instid1(VALU_DEP_1)
	v_add_f32_e32 v6, v5, v6
	v_and_b32_e32 v5, 0x7f800000, v6
	s_delay_alu instid0(VALU_DEP_1) | instskip(SKIP_1) | instid1(SALU_CYCLE_1)
	v_cmp_ne_u32_e32 vcc_lo, 0x7f800000, v5
                                        ; implicit-def: $vgpr5
	s_and_saveexec_b32 s41, vcc_lo
	s_xor_b32 s41, exec_lo, s41
; %bb.112:                              ;   in Loop: Header=BB262_12 Depth=1
	v_bfe_u32 v5, v6, 16, 1
	s_delay_alu instid0(VALU_DEP_1)
	v_add3_u32 v5, v6, v5, 0x7fff
                                        ; implicit-def: $vgpr6
; %bb.113:                              ;   in Loop: Header=BB262_12 Depth=1
	s_and_not1_saveexec_b32 s41, s41
; %bb.114:                              ;   in Loop: Header=BB262_12 Depth=1
	v_and_b32_e32 v5, 0xffff, v6
	v_or_b32_e32 v13, 0x10000, v6
	s_delay_alu instid0(VALU_DEP_2) | instskip(NEXT) | instid1(VALU_DEP_2)
	v_cmp_eq_u32_e32 vcc_lo, 0, v5
	v_cndmask_b32_e32 v5, v13, v6, vcc_lo
; %bb.115:                              ;   in Loop: Header=BB262_12 Depth=1
	s_or_b32 exec_lo, exec_lo, s41
	v_lshlrev_b64 v[13:14], 1, v[71:72]
	s_delay_alu instid0(VALU_DEP_1) | instskip(NEXT) | instid1(VALU_DEP_2)
	v_add_co_u32 v13, vcc_lo, s6, v13
	v_add_co_ci_u32_e32 v14, vcc_lo, s7, v14, vcc_lo
	global_store_d16_hi_b16 v[13:14], v5, off
	s_or_b32 exec_lo, exec_lo, s4
	s_and_saveexec_b32 s4, s1
	s_cbranch_execz .LBB262_49
.LBB262_116:                            ;   in Loop: Header=BB262_12 Depth=1
	s_waitcnt vmcnt(2) lgkmcnt(3)
	v_dual_add_f32 v5, v11, v12 :: v_dual_lshlrev_b32 v6, 16, v29
	s_delay_alu instid0(VALU_DEP_1) | instskip(NEXT) | instid1(VALU_DEP_1)
	v_add_f32_e32 v6, v5, v6
	v_and_b32_e32 v5, 0x7f800000, v6
	s_delay_alu instid0(VALU_DEP_1) | instskip(SKIP_1) | instid1(SALU_CYCLE_1)
	v_cmp_ne_u32_e32 vcc_lo, 0x7f800000, v5
                                        ; implicit-def: $vgpr5
	s_and_saveexec_b32 s1, vcc_lo
	s_xor_b32 s1, exec_lo, s1
; %bb.117:                              ;   in Loop: Header=BB262_12 Depth=1
	v_bfe_u32 v5, v6, 16, 1
	s_delay_alu instid0(VALU_DEP_1)
	v_add3_u32 v5, v6, v5, 0x7fff
                                        ; implicit-def: $vgpr6
; %bb.118:                              ;   in Loop: Header=BB262_12 Depth=1
	s_and_not1_saveexec_b32 s1, s1
; %bb.119:                              ;   in Loop: Header=BB262_12 Depth=1
	v_and_b32_e32 v5, 0xffff, v6
	v_or_b32_e32 v11, 0x10000, v6
	s_delay_alu instid0(VALU_DEP_2) | instskip(NEXT) | instid1(VALU_DEP_2)
	v_cmp_eq_u32_e32 vcc_lo, 0, v5
	v_cndmask_b32_e32 v5, v11, v6, vcc_lo
; %bb.120:                              ;   in Loop: Header=BB262_12 Depth=1
	s_or_b32 exec_lo, exec_lo, s1
	v_dual_mov_b32 v12, v72 :: v_dual_add_nc_u32 v11, 1, v71
	s_delay_alu instid0(VALU_DEP_1) | instskip(NEXT) | instid1(VALU_DEP_1)
	v_lshlrev_b64 v[11:12], 1, v[11:12]
	v_add_co_u32 v11, vcc_lo, s6, v11
	s_delay_alu instid0(VALU_DEP_2)
	v_add_co_ci_u32_e32 v12, vcc_lo, s7, v12, vcc_lo
	global_store_d16_hi_b16 v[11:12], v5, off
	s_or_b32 exec_lo, exec_lo, s4
	s_and_saveexec_b32 s1, s2
	s_cbranch_execz .LBB262_50
.LBB262_121:                            ;   in Loop: Header=BB262_12 Depth=1
	s_waitcnt vmcnt(1) lgkmcnt(0)
	v_dual_add_f32 v5, v9, v10 :: v_dual_lshlrev_b32 v6, 16, v24
	s_delay_alu instid0(VALU_DEP_1) | instskip(NEXT) | instid1(VALU_DEP_1)
	v_add_f32_e32 v6, v5, v6
	v_and_b32_e32 v5, 0x7f800000, v6
	s_delay_alu instid0(VALU_DEP_1) | instskip(SKIP_1) | instid1(SALU_CYCLE_1)
	v_cmp_ne_u32_e32 vcc_lo, 0x7f800000, v5
                                        ; implicit-def: $vgpr5
	s_and_saveexec_b32 s2, vcc_lo
	s_xor_b32 s2, exec_lo, s2
; %bb.122:                              ;   in Loop: Header=BB262_12 Depth=1
	v_bfe_u32 v5, v6, 16, 1
	s_delay_alu instid0(VALU_DEP_1)
	v_add3_u32 v5, v6, v5, 0x7fff
                                        ; implicit-def: $vgpr6
; %bb.123:                              ;   in Loop: Header=BB262_12 Depth=1
	s_and_not1_saveexec_b32 s2, s2
; %bb.124:                              ;   in Loop: Header=BB262_12 Depth=1
	v_and_b32_e32 v5, 0xffff, v6
	v_or_b32_e32 v9, 0x10000, v6
	s_delay_alu instid0(VALU_DEP_2) | instskip(NEXT) | instid1(VALU_DEP_2)
	v_cmp_eq_u32_e32 vcc_lo, 0, v5
	v_cndmask_b32_e32 v5, v9, v6, vcc_lo
; %bb.125:                              ;   in Loop: Header=BB262_12 Depth=1
	s_or_b32 exec_lo, exec_lo, s2
	v_dual_mov_b32 v10, v72 :: v_dual_add_nc_u32 v9, 2, v71
	s_delay_alu instid0(VALU_DEP_1) | instskip(NEXT) | instid1(VALU_DEP_1)
	v_lshlrev_b64 v[9:10], 1, v[9:10]
	v_add_co_u32 v9, vcc_lo, s6, v9
	s_delay_alu instid0(VALU_DEP_2) | instskip(SKIP_2) | instid1(SALU_CYCLE_1)
	v_add_co_ci_u32_e32 v10, vcc_lo, s7, v10, vcc_lo
	global_store_d16_hi_b16 v[9:10], v5, off
	s_or_b32 exec_lo, exec_lo, s1
	s_and_b32 exec_lo, exec_lo, s3
	s_cbranch_execz .LBB262_131
.LBB262_126:                            ;   in Loop: Header=BB262_12 Depth=1
	s_waitcnt vmcnt(0) lgkmcnt(1)
	v_dual_add_f32 v5, v7, v8 :: v_dual_lshlrev_b32 v6, 16, v22
	s_delay_alu instid0(VALU_DEP_1) | instskip(NEXT) | instid1(VALU_DEP_1)
	v_add_f32_e32 v6, v5, v6
	v_and_b32_e32 v5, 0x7f800000, v6
	s_delay_alu instid0(VALU_DEP_1) | instskip(SKIP_1) | instid1(SALU_CYCLE_1)
	v_cmp_ne_u32_e32 vcc_lo, 0x7f800000, v5
                                        ; implicit-def: $vgpr5
	s_and_saveexec_b32 s1, vcc_lo
	s_xor_b32 s1, exec_lo, s1
; %bb.127:                              ;   in Loop: Header=BB262_12 Depth=1
	v_bfe_u32 v5, v6, 16, 1
	s_delay_alu instid0(VALU_DEP_1)
	v_add3_u32 v5, v6, v5, 0x7fff
                                        ; implicit-def: $vgpr6
; %bb.128:                              ;   in Loop: Header=BB262_12 Depth=1
	s_and_not1_saveexec_b32 s1, s1
; %bb.129:                              ;   in Loop: Header=BB262_12 Depth=1
	v_and_b32_e32 v5, 0xffff, v6
	v_or_b32_e32 v7, 0x10000, v6
	s_delay_alu instid0(VALU_DEP_2) | instskip(NEXT) | instid1(VALU_DEP_2)
	v_cmp_eq_u32_e32 vcc_lo, 0, v5
	v_cndmask_b32_e32 v5, v7, v6, vcc_lo
; %bb.130:                              ;   in Loop: Header=BB262_12 Depth=1
	s_or_b32 exec_lo, exec_lo, s1
	v_add_nc_u32_e32 v71, 3, v71
	s_delay_alu instid0(VALU_DEP_1) | instskip(NEXT) | instid1(VALU_DEP_1)
	v_lshlrev_b64 v[6:7], 1, v[71:72]
	v_add_co_u32 v6, vcc_lo, s6, v6
	s_delay_alu instid0(VALU_DEP_2)
	v_add_co_ci_u32_e32 v7, vcc_lo, s7, v7, vcc_lo
	global_store_d16_hi_b16 v[6:7], v5, off
.LBB262_131:                            ;   in Loop: Header=BB262_12 Depth=1
	s_or_b32 exec_lo, exec_lo, s5
	v_add_nc_u32_e32 v69, s29, v69
	s_delay_alu instid0(VALU_DEP_1) | instskip(SKIP_1) | instid1(VALU_DEP_2)
	v_add_nc_u32_e32 v5, 4, v69
	v_cmp_gt_u32_e32 vcc_lo, s19, v69
	v_cmp_le_u32_e64 s1, s19, v5
	s_delay_alu instid0(VALU_DEP_1) | instskip(NEXT) | instid1(SALU_CYCLE_1)
	s_and_b32 s1, vcc_lo, s1
	s_and_saveexec_b32 s41, s1
	s_cbranch_execz .LBB262_10
; %bb.132:                              ;   in Loop: Header=BB262_12 Depth=1
	s_mov_b32 s42, exec_lo
	v_cmpx_ne_u32_e64 s31, v69
	s_cbranch_execz .LBB262_9
; %bb.133:                              ;   in Loop: Header=BB262_12 Depth=1
	v_subrev_nc_u32_e32 v5, s31, v69
	s_mov_b32 s43, 0
	s_mov_b64 s[4:5], 0
	s_delay_alu instid0(VALU_DEP_1)
	v_cmp_lt_u32_e32 vcc_lo, 1, v5
	v_cndmask_b32_e32 v5, 1, v5, vcc_lo
	.p2align	6
.LBB262_134:                            ;   Parent Loop BB262_12 Depth=1
                                        ; =>  This Inner Loop Header: Depth=2
	s_cmp_lg_u32 s4, 3
	s_cselect_b32 vcc_lo, -1, 0
	s_cmp_lg_u32 s4, 2
	v_cndmask_b32_e32 v4, 0, v4, vcc_lo
	s_cselect_b32 s1, -1, 0
	s_cmp_lg_u32 s4, 1
	v_cndmask_b32_e64 v3, 0, v3, s1
	s_cselect_b32 s2, -1, 0
	s_cmp_lg_u32 s4, 0
	v_cndmask_b32_e64 v2, 0, v2, s2
	s_cselect_b32 s3, -1, 0
	s_add_u32 s4, s4, 1
	v_cndmask_b32_e64 v1, 0, v1, s3
	v_cmp_eq_u32_e32 vcc_lo, s4, v5
	s_addc_u32 s5, s5, 0
	s_or_b32 s43, vcc_lo, s43
	s_delay_alu instid0(SALU_CYCLE_1)
	s_and_not1_b32 exec_lo, exec_lo, s43
	s_cbranch_execnz .LBB262_134
; %bb.135:                              ;   in Loop: Header=BB262_12 Depth=1
	s_or_b32 exec_lo, exec_lo, s43
	s_branch .LBB262_9
.LBB262_136:
	s_nop 0
	s_sendmsg sendmsg(MSG_DEALLOC_VGPRS)
	s_endpgm
	.section	.rodata,"a",@progbits
	.p2align	6, 0x0
	.amdhsa_kernel _Z16wvSplitK_hf_big_I14__hip_bfloat16Li32ELi4ELi16ELi8ELi2ELi4EEviiiiiiPKT_S3_S3_PS1_ii
		.amdhsa_group_segment_fixed_size 65536
		.amdhsa_private_segment_fixed_size 0
		.amdhsa_kernarg_size 64
		.amdhsa_user_sgpr_count 15
		.amdhsa_user_sgpr_dispatch_ptr 0
		.amdhsa_user_sgpr_queue_ptr 0
		.amdhsa_user_sgpr_kernarg_segment_ptr 1
		.amdhsa_user_sgpr_dispatch_id 0
		.amdhsa_user_sgpr_private_segment_size 0
		.amdhsa_wavefront_size32 1
		.amdhsa_uses_dynamic_stack 0
		.amdhsa_enable_private_segment 0
		.amdhsa_system_sgpr_workgroup_id_x 1
		.amdhsa_system_sgpr_workgroup_id_y 0
		.amdhsa_system_sgpr_workgroup_id_z 0
		.amdhsa_system_sgpr_workgroup_info 0
		.amdhsa_system_vgpr_workitem_id 1
		.amdhsa_next_free_vgpr 122
		.amdhsa_next_free_sgpr 44
		.amdhsa_reserve_vcc 1
		.amdhsa_float_round_mode_32 0
		.amdhsa_float_round_mode_16_64 0
		.amdhsa_float_denorm_mode_32 3
		.amdhsa_float_denorm_mode_16_64 3
		.amdhsa_dx10_clamp 1
		.amdhsa_ieee_mode 1
		.amdhsa_fp16_overflow 0
		.amdhsa_workgroup_processor_mode 1
		.amdhsa_memory_ordered 1
		.amdhsa_forward_progress 0
		.amdhsa_shared_vgpr_count 0
		.amdhsa_exception_fp_ieee_invalid_op 0
		.amdhsa_exception_fp_denorm_src 0
		.amdhsa_exception_fp_ieee_div_zero 0
		.amdhsa_exception_fp_ieee_overflow 0
		.amdhsa_exception_fp_ieee_underflow 0
		.amdhsa_exception_fp_ieee_inexact 0
		.amdhsa_exception_int_div_zero 0
	.end_amdhsa_kernel
	.section	.text._Z16wvSplitK_hf_big_I14__hip_bfloat16Li32ELi4ELi16ELi8ELi2ELi4EEviiiiiiPKT_S3_S3_PS1_ii,"axG",@progbits,_Z16wvSplitK_hf_big_I14__hip_bfloat16Li32ELi4ELi16ELi8ELi2ELi4EEviiiiiiPKT_S3_S3_PS1_ii,comdat
.Lfunc_end262:
	.size	_Z16wvSplitK_hf_big_I14__hip_bfloat16Li32ELi4ELi16ELi8ELi2ELi4EEviiiiiiPKT_S3_S3_PS1_ii, .Lfunc_end262-_Z16wvSplitK_hf_big_I14__hip_bfloat16Li32ELi4ELi16ELi8ELi2ELi4EEviiiiiiPKT_S3_S3_PS1_ii
                                        ; -- End function
	.section	.AMDGPU.csdata,"",@progbits
; Kernel info:
; codeLenInByte = 10408
; NumSgprs: 46
; NumVgprs: 122
; ScratchSize: 0
; MemoryBound: 0
; FloatMode: 240
; IeeeMode: 1
; LDSByteSize: 65536 bytes/workgroup (compile time only)
; SGPRBlocks: 5
; VGPRBlocks: 15
; NumSGPRsForWavesPerEU: 46
; NumVGPRsForWavesPerEU: 122
; Occupancy: 8
; WaveLimiterHint : 0
; COMPUTE_PGM_RSRC2:SCRATCH_EN: 0
; COMPUTE_PGM_RSRC2:USER_SGPR: 15
; COMPUTE_PGM_RSRC2:TRAP_HANDLER: 0
; COMPUTE_PGM_RSRC2:TGID_X_EN: 1
; COMPUTE_PGM_RSRC2:TGID_Y_EN: 0
; COMPUTE_PGM_RSRC2:TGID_Z_EN: 0
; COMPUTE_PGM_RSRC2:TIDIG_COMP_CNT: 1
	.section	.text._Z16wvSplitK_hf_sml_I14__hip_bfloat16Li64ELi1ELi16ELi8ELi4ELi4EEviiiiiiPKT_S3_S3_PS1_ii,"axG",@progbits,_Z16wvSplitK_hf_sml_I14__hip_bfloat16Li64ELi1ELi16ELi8ELi4ELi4EEviiiiiiPKT_S3_S3_PS1_ii,comdat
	.protected	_Z16wvSplitK_hf_sml_I14__hip_bfloat16Li64ELi1ELi16ELi8ELi4ELi4EEviiiiiiPKT_S3_S3_PS1_ii ; -- Begin function _Z16wvSplitK_hf_sml_I14__hip_bfloat16Li64ELi1ELi16ELi8ELi4ELi4EEviiiiiiPKT_S3_S3_PS1_ii
	.globl	_Z16wvSplitK_hf_sml_I14__hip_bfloat16Li64ELi1ELi16ELi8ELi4ELi4EEviiiiiiPKT_S3_S3_PS1_ii
	.p2align	8
	.type	_Z16wvSplitK_hf_sml_I14__hip_bfloat16Li64ELi1ELi16ELi8ELi4ELi4EEviiiiiiPKT_S3_S3_PS1_ii,@function
_Z16wvSplitK_hf_sml_I14__hip_bfloat16Li64ELi1ELi16ELi8ELi4ELi4EEviiiiiiPKT_S3_S3_PS1_ii: ; @_Z16wvSplitK_hf_sml_I14__hip_bfloat16Li64ELi1ELi16ELi8ELi4ELi4EEviiiiiiPKT_S3_S3_PS1_ii
; %bb.0:
	s_clause 0x2
	s_load_b128 s[4:7], s[0:1], 0x0
	s_load_b64 s[8:9], s[0:1], 0x10
	s_load_b64 s[10:11], s[0:1], 0x28
	v_and_b32_e32 v3, 0x3ff, v0
	v_bfe_u32 v0, v0, 10, 10
	s_mov_b32 s12, exec_lo
	s_delay_alu instid0(VALU_DEP_2) | instskip(NEXT) | instid1(VALU_DEP_1)
	v_lshlrev_b32_e32 v83, 3, v3
	v_lshl_add_u32 v4, v0, 9, v83
	s_waitcnt lgkmcnt(0)
	s_lshl_b32 s14, s6, 2
	s_delay_alu instid0(SALU_CYCLE_1)
	s_min_u32 s3, s14, 0x8000
	s_delay_alu instid0(VALU_DEP_1) | instid1(SALU_CYCLE_1)
	v_cmpx_gt_u32_e64 s3, v4
	s_cbranch_execz .LBB263_3
; %bb.1:
	s_load_b64 s[16:17], s[0:1], 0x20
	v_lshlrev_b32_e32 v5, 10, v0
	v_lshlrev_b32_e32 v6, 4, v3
	s_mov_b32 s13, 0
	s_delay_alu instid0(VALU_DEP_1) | instskip(NEXT) | instid1(VALU_DEP_1)
	v_add_co_u32 v1, s2, v5, v6
	v_add_co_ci_u32_e64 v2, null, 0, 0, s2
	v_add_nc_u32_e32 v5, v5, v6
	s_waitcnt lgkmcnt(0)
	s_delay_alu instid0(VALU_DEP_3) | instskip(NEXT) | instid1(VALU_DEP_3)
	v_add_co_u32 v1, vcc_lo, s16, v1
	v_add_co_ci_u32_e32 v2, vcc_lo, s17, v2, vcc_lo
	.p2align	6
.LBB263_2:                              ; =>This Inner Loop Header: Depth=1
	global_load_b128 v[6:9], v[1:2], off
	v_add_nc_u32_e32 v4, 0x2000, v4
	v_add_co_u32 v1, vcc_lo, 0x4000, v1
	v_add_co_ci_u32_e32 v2, vcc_lo, 0, v2, vcc_lo
	s_delay_alu instid0(VALU_DEP_3) | instskip(NEXT) | instid1(VALU_DEP_1)
	v_cmp_le_u32_e64 s2, s3, v4
	s_or_b32 s13, s2, s13
	s_waitcnt vmcnt(0)
	ds_store_b128 v5, v[6:9]
	v_add_nc_u32_e32 v5, 0x4000, v5
	s_and_not1_b32 exec_lo, exec_lo, s13
	s_cbranch_execnz .LBB263_2
.LBB263_3:
	s_or_b32 exec_lo, exec_lo, s12
	s_load_b64 s[16:17], s[0:1], 0x38
	s_waitcnt lgkmcnt(0)
	s_barrier
	buffer_gl0_inv
	s_mov_b32 s2, exec_lo
	v_cmpx_gt_u32_e64 s16, v0
	s_cbranch_execz .LBB263_38
; %bb.4:
	v_mad_u64_u32 v[64:65], null, s15, s16, v[0:1]
	s_delay_alu instid0(VALU_DEP_1)
	v_cmp_gt_u32_e32 vcc_lo, s7, v64
	s_and_b32 exec_lo, exec_lo, vcc_lo
	s_cbranch_execz .LBB263_38
; %bb.5:
	s_cmp_lg_u32 s4, 0
	v_mbcnt_lo_u32_b32 v2, -1, 0
	s_cselect_b32 s15, -1, 0
	s_add_i32 s18, s4, -8
	s_add_i32 s19, s7, -1
	s_cmp_lg_u64 s[10:11], 0
	v_cvt_f32_u32_e32 v1, s8
	s_cselect_b32 s20, -1, 0
	s_abs_i32 s21, s9
	s_mul_i32 s9, s17, s16
	v_cvt_f32_u32_e32 v0, s21
	v_rcp_iflag_f32_e32 v1, v1
	s_sub_i32 s16, 0, s21
	s_sub_i32 s17, 0, s8
	;; [unrolled: 1-line block ×3, first 2 shown]
	v_rcp_iflag_f32_e32 v0, v0
	s_clause 0x1
	s_load_b64 s[2:3], s[0:1], 0x18
	s_load_b64 s[12:13], s[0:1], 0x30
	v_cmp_eq_u32_e64 s0, 63, v3
	v_lshlrev_b32_e32 v84, 4, v3
	s_mov_b32 s1, 0
	s_waitcnt_depctr 0xfff
	v_mul_f32_e32 v0, 0x4f7ffffe, v0
	s_delay_alu instid0(VALU_DEP_1) | instskip(NEXT) | instid1(VALU_DEP_1)
	v_cvt_u32_f32_e32 v0, v0
	v_readfirstlane_b32 s22, v0
	v_mul_f32_e32 v0, 0x4f7ffffe, v1
	v_xor_b32_e32 v1, 16, v2
	s_delay_alu instid0(VALU_DEP_3) | instskip(NEXT) | instid1(VALU_DEP_2)
	s_mul_i32 s16, s16, s22
	v_cvt_u32_f32_e32 v0, v0
	s_mul_hi_u32 s16, s22, s16
	s_delay_alu instid0(VALU_DEP_2)
	v_cmp_gt_i32_e32 vcc_lo, 32, v1
	s_add_i32 s22, s22, s16
	s_cmp_lt_u32 s21, 2
	v_mul_lo_u32 v4, s17, v0
	s_cselect_b32 s23, s23, 1
	v_cndmask_b32_e32 v1, v2, v1, vcc_lo
	s_sub_i32 s24, s23, s21
	s_cmp_ge_u32 s23, s21
	v_mov_b32_e32 v66, 0
	s_cselect_b32 s23, s24, s23
	v_lshlrev_b32_e32 v85, 2, v1
	s_lshr_b32 s24, s22, 31
	s_mul_hi_u32 s22, s22, 3
	s_mul_i32 s24, s24, s21
	s_mul_i32 s22, s22, s21
	s_sub_i32 s17, 2, s24
	v_mul_hi_u32 v2, v0, v4
	s_sub_i32 s24, s17, s21
	s_cmp_ge_u32 s17, s21
	s_mul_i32 s16, s6, 6
	s_cselect_b32 s17, s24, s17
	s_delay_alu instid0(SALU_CYCLE_1) | instskip(SKIP_1) | instid1(VALU_DEP_1)
	s_sub_i32 s24, s17, s21
	s_cmp_ge_u32 s17, s21
	v_add_nc_u32_e32 v86, v0, v2
	s_cselect_b32 s24, s24, s17
	s_sub_i32 s17, 3, s22
	s_delay_alu instid0(SALU_CYCLE_1)
	s_sub_i32 s22, s17, s21
	s_cmp_ge_u32 s17, s21
	s_cselect_b32 s22, s22, s17
	s_mul_i32 s17, s23, s8
	s_sub_i32 s25, s22, s21
	s_cmp_ge_u32 s22, s21
	s_mul_i32 s21, s24, s8
	s_cselect_b32 s22, s25, s22
	s_lshl_b32 s6, s6, 1
	s_mul_i32 s22, s22, s8
	s_branch .LBB263_8
.LBB263_6:                              ;   in Loop: Header=BB263_8 Depth=1
	s_or_b32 exec_lo, exec_lo, s24
	v_add_nc_u32_e32 v65, s7, v65
	s_delay_alu instid0(VALU_DEP_1) | instskip(NEXT) | instid1(VALU_DEP_1)
	v_lshlrev_b64 v[1:2], 1, v[65:66]
	v_add_co_u32 v1, vcc_lo, s12, v1
	s_delay_alu instid0(VALU_DEP_2)
	v_add_co_ci_u32_e32 v2, vcc_lo, s13, v2, vcc_lo
	global_store_d16_hi_b16 v[1:2], v0, off
.LBB263_7:                              ;   in Loop: Header=BB263_8 Depth=1
	s_or_b32 exec_lo, exec_lo, s23
	v_add_nc_u32_e32 v64, s9, v64
	s_delay_alu instid0(VALU_DEP_1) | instskip(SKIP_1) | instid1(SALU_CYCLE_1)
	v_cmp_le_u32_e32 vcc_lo, s7, v64
	s_or_b32 s1, vcc_lo, s1
	s_and_not1_b32 exec_lo, exec_lo, s1
	s_cbranch_execz .LBB263_38
.LBB263_8:                              ; =>This Loop Header: Depth=1
                                        ;     Child Loop BB263_14 Depth 2
	v_mov_b32_e32 v90, v66
	v_mov_b32_e32 v91, v66
	;; [unrolled: 1-line block ×4, first 2 shown]
	s_and_not1_b32 vcc_lo, exec_lo, s15
	s_cbranch_vccnz .LBB263_19
; %bb.9:                                ;   in Loop: Header=BB263_8 Depth=1
	v_min_u32_e32 v0, s19, v64
	v_dual_mov_b32 v93, 0 :: v_dual_mov_b32 v92, 0
	v_dual_mov_b32 v87, v84 :: v_dual_mov_b32 v90, 0
	s_delay_alu instid0(VALU_DEP_3) | instskip(SKIP_3) | instid1(VALU_DEP_2)
	v_mul_lo_u32 v65, v0, s5
	v_mov_b32_e32 v91, 0
	s_mov_b32 s23, 0
	s_waitcnt lgkmcnt(0)
	v_lshlrev_b64 v[0:1], 1, v[65:66]
	s_waitcnt lgkmcnt(0)
	s_delay_alu instid0(VALU_DEP_1) | instskip(NEXT) | instid1(VALU_DEP_2)
	v_add_co_u32 v88, vcc_lo, s2, v0
	v_add_co_ci_u32_e32 v89, vcc_lo, s3, v1, vcc_lo
	s_branch .LBB263_14
.LBB263_10:                             ;   in Loop: Header=BB263_14 Depth=2
	s_or_b32 exec_lo, exec_lo, s27
.LBB263_11:                             ;   in Loop: Header=BB263_14 Depth=2
	s_delay_alu instid0(SALU_CYCLE_1)
	s_or_b32 exec_lo, exec_lo, s26
.LBB263_12:                             ;   in Loop: Header=BB263_14 Depth=2
	s_delay_alu instid0(SALU_CYCLE_1)
	s_or_b32 exec_lo, exec_lo, s25
.LBB263_13:                             ;   in Loop: Header=BB263_14 Depth=2
	s_delay_alu instid0(SALU_CYCLE_1)
	s_or_b32 exec_lo, exec_lo, s24
	s_waitcnt vmcnt(3)
	v_and_b32_e32 v96, 0xffff0000, v53
	v_and_b32_e32 v97, 0xffff0000, v54
	v_lshlrev_b32_e32 v54, 16, v54
	s_waitcnt lgkmcnt(4)
	v_and_b32_e32 v95, 0xffff0000, v61
	v_and_b32_e32 v65, 0xffff0000, v60
	v_lshlrev_b32_e32 v61, 16, v61
	v_lshlrev_b32_e32 v53, 16, v53
	s_addk_i32 s23, 0x800
	v_mul_f32_e32 v95, v95, v96
	v_and_b32_e32 v94, 0xffff0000, v52
	v_lshlrev_b32_e32 v52, 16, v52
	s_cmp_ge_u32 s23, s4
	v_add_nc_u32_e32 v87, 0x1000, v87
	v_dual_fmac_f32 v95, v61, v53 :: v_dual_lshlrev_b32 v60, 16, v60
	v_mul_f32_e32 v65, v65, v94
	s_delay_alu instid0(VALU_DEP_1) | instskip(NEXT) | instid1(VALU_DEP_1)
	v_dual_fmac_f32 v65, v60, v52 :: v_dual_and_b32 v60, 0xffff0000, v62
	v_dual_add_f32 v61, v93, v65 :: v_dual_lshlrev_b32 v62, 16, v62
	s_delay_alu instid0(VALU_DEP_2) | instskip(SKIP_1) | instid1(VALU_DEP_3)
	v_dual_mul_f32 v60, v60, v97 :: v_dual_and_b32 v65, 0xffff0000, v63
	v_and_b32_e32 v93, 0xffff0000, v55
	v_add_f32_e32 v61, v61, v95
	v_lshlrev_b32_e32 v63, 16, v63
	s_delay_alu instid0(VALU_DEP_3) | instskip(SKIP_3) | instid1(VALU_DEP_2)
	v_dual_mul_f32 v65, v65, v93 :: v_dual_fmac_f32 v60, v62, v54
	v_lshlrev_b32_e32 v55, 16, v55
	s_waitcnt lgkmcnt(3)
	v_and_b32_e32 v62, 0xffff0000, v56
	v_dual_add_f32 v60, v61, v60 :: v_dual_fmac_f32 v65, v63, v55
	s_delay_alu instid0(VALU_DEP_2) | instskip(SKIP_3) | instid1(VALU_DEP_2)
	v_dual_mul_f32 v62, v62, v94 :: v_dual_and_b32 v61, 0xffff0000, v57
	s_waitcnt lgkmcnt(2)
	v_and_b32_e32 v63, 0xffff0000, v81
	v_lshlrev_b32_e32 v56, 16, v56
	v_dual_add_f32 v60, v60, v65 :: v_dual_mul_f32 v63, v63, v94
	s_delay_alu instid0(VALU_DEP_2) | instskip(SKIP_2) | instid1(VALU_DEP_3)
	v_fmac_f32_e32 v62, v56, v52
	v_dual_mul_f32 v57, v61, v96 :: v_dual_lshlrev_b32 v56, 16, v57
	v_and_b32_e32 v61, 0xffff0000, v58
	v_add_f32_e32 v62, v92, v62
	s_delay_alu instid0(VALU_DEP_3) | instskip(NEXT) | instid1(VALU_DEP_3)
	v_dual_fmac_f32 v57, v56, v53 :: v_dual_lshlrev_b32 v56, 16, v58
	v_mul_f32_e32 v58, v61, v97
	s_delay_alu instid0(VALU_DEP_2) | instskip(NEXT) | instid1(VALU_DEP_2)
	v_dual_add_f32 v57, v62, v57 :: v_dual_and_b32 v62, 0xffff0000, v82
	v_fmac_f32_e32 v58, v56, v54
	s_delay_alu instid0(VALU_DEP_1) | instskip(SKIP_4) | instid1(VALU_DEP_3)
	v_dual_mul_f32 v62, v62, v96 :: v_dual_add_f32 v57, v57, v58
	s_waitcnt lgkmcnt(0)
	v_and_b32_e32 v58, 0xffff0000, v48
	v_lshlrev_b32_e32 v61, 16, v81
	v_lshlrev_b32_e32 v48, 16, v48
	v_mul_f32_e32 v58, v58, v94
	s_delay_alu instid0(VALU_DEP_3) | instskip(SKIP_1) | instid1(VALU_DEP_3)
	v_dual_fmac_f32 v63, v61, v52 :: v_dual_and_b32 v56, 0xffff0000, v59
	v_lshlrev_b32_e32 v59, 16, v59
	v_dual_fmac_f32 v58, v48, v52 :: v_dual_and_b32 v65, 0xffff0000, v79
	s_delay_alu instid0(VALU_DEP_3) | instskip(SKIP_1) | instid1(VALU_DEP_3)
	v_dual_mul_f32 v56, v56, v93 :: v_dual_add_f32 v63, v91, v63
	v_lshlrev_b32_e32 v48, 16, v49
	v_dual_mul_f32 v65, v65, v97 :: v_dual_lshlrev_b32 v52, 16, v80
	s_delay_alu instid0(VALU_DEP_3) | instskip(SKIP_1) | instid1(VALU_DEP_2)
	v_dual_fmac_f32 v56, v59, v55 :: v_dual_lshlrev_b32 v61, 16, v82
	v_add_f32_e32 v58, v90, v58
	v_add_f32_e32 v56, v57, v56
	s_delay_alu instid0(VALU_DEP_3) | instskip(SKIP_2) | instid1(VALU_DEP_3)
	v_fmac_f32_e32 v62, v61, v53
	v_and_b32_e32 v57, 0xffff0000, v49
	v_lshlrev_b32_e32 v61, 16, v79
	v_add_f32_e32 v59, v63, v62
	s_delay_alu instid0(VALU_DEP_3) | instskip(NEXT) | instid1(VALU_DEP_3)
	v_mul_f32_e32 v49, v57, v96
	v_fmac_f32_e32 v65, v61, v54
	s_delay_alu instid0(VALU_DEP_2)
	v_fmac_f32_e32 v49, v48, v53
	s_waitcnt vmcnt(2)
	v_and_b32_e32 v53, 0xffff0000, v36
	v_lshlrev_b32_e32 v36, 16, v36
	v_and_b32_e32 v57, 0xffff0000, v50
	v_and_b32_e32 v61, 0xffff0000, v80
	v_dual_add_f32 v49, v58, v49 :: v_dual_lshlrev_b32 v48, 16, v50
	s_delay_alu instid0(VALU_DEP_3) | instskip(NEXT) | instid1(VALU_DEP_1)
	v_mul_f32_e32 v50, v57, v97
	v_dual_mul_f32 v61, v61, v93 :: v_dual_fmac_f32 v50, v48, v54
	s_delay_alu instid0(VALU_DEP_1) | instskip(SKIP_2) | instid1(VALU_DEP_2)
	v_dual_fmac_f32 v61, v52, v55 :: v_dual_and_b32 v54, 0xffff0000, v45
	v_dual_add_f32 v59, v59, v65 :: v_dual_and_b32 v52, 0xffff0000, v44
	v_lshlrev_b32_e32 v44, 16, v44
	v_mul_f32_e32 v48, v52, v53
	v_dual_add_f32 v49, v49, v50 :: v_dual_and_b32 v52, 0xffff0000, v51
	s_delay_alu instid0(VALU_DEP_2) | instskip(SKIP_1) | instid1(VALU_DEP_3)
	v_dual_fmac_f32 v48, v44, v36 :: v_dual_and_b32 v57, 0xffff0000, v37
	v_lshlrev_b32_e32 v44, 16, v45
	v_mul_f32_e32 v52, v52, v93
	s_delay_alu instid0(VALU_DEP_3) | instskip(SKIP_4) | instid1(VALU_DEP_1)
	v_dual_add_f32 v48, v60, v48 :: v_dual_mul_f32 v45, v54, v57
	v_and_b32_e32 v54, 0xffff0000, v46
	v_and_b32_e32 v58, 0xffff0000, v38
	v_lshlrev_b32_e32 v51, 16, v51
	v_lshlrev_b32_e32 v37, 16, v37
	v_dual_fmac_f32 v45, v44, v37 :: v_dual_lshlrev_b32 v44, 16, v46
	s_delay_alu instid0(VALU_DEP_4) | instskip(NEXT) | instid1(VALU_DEP_4)
	v_mul_f32_e32 v46, v54, v58
	v_fmac_f32_e32 v52, v51, v55
	v_and_b32_e32 v50, 0xffff0000, v39
	v_and_b32_e32 v51, 0xffff0000, v41
	v_dual_add_f32 v45, v48, v45 :: v_dual_lshlrev_b32 v38, 16, v38
	v_dual_add_f32 v54, v59, v61 :: v_dual_lshlrev_b32 v39, 16, v39
	s_delay_alu instid0(VALU_DEP_2) | instskip(SKIP_1) | instid1(VALU_DEP_2)
	v_fmac_f32_e32 v46, v44, v38
	v_and_b32_e32 v44, 0xffff0000, v40
	v_dual_add_f32 v45, v45, v46 :: v_dual_lshlrev_b32 v40, 16, v40
	s_delay_alu instid0(VALU_DEP_2) | instskip(SKIP_1) | instid1(VALU_DEP_2)
	v_mul_f32_e32 v44, v44, v53
	v_dual_add_f32 v46, v49, v52 :: v_dual_and_b32 v49, 0xffff0000, v33
	v_fmac_f32_e32 v44, v40, v36
	v_lshlrev_b32_e32 v40, 16, v41
	v_dual_mul_f32 v41, v51, v57 :: v_dual_and_b32 v48, 0xffff0000, v47
	v_lshlrev_b32_e32 v47, 16, v47
	s_delay_alu instid0(VALU_DEP_2) | instskip(NEXT) | instid1(VALU_DEP_3)
	v_fmac_f32_e32 v41, v40, v37
	v_mul_f32_e32 v48, v48, v50
	s_delay_alu instid0(VALU_DEP_1) | instskip(NEXT) | instid1(VALU_DEP_1)
	v_dual_fmac_f32 v48, v47, v39 :: v_dual_and_b32 v47, 0xffff0000, v42
	v_dual_add_f32 v40, v45, v48 :: v_dual_and_b32 v45, 0xffff0000, v77
	s_delay_alu instid0(VALU_DEP_2) | instskip(NEXT) | instid1(VALU_DEP_2)
	v_dual_mul_f32 v47, v47, v58 :: v_dual_lshlrev_b32 v48, 16, v77
	v_dual_mul_f32 v45, v45, v53 :: v_dual_lshlrev_b32 v42, 16, v42
	s_delay_alu instid0(VALU_DEP_1) | instskip(NEXT) | instid1(VALU_DEP_2)
	v_fmac_f32_e32 v45, v48, v36
	v_dual_fmac_f32 v47, v42, v38 :: v_dual_add_f32 v44, v56, v44
	s_delay_alu instid0(VALU_DEP_2) | instskip(NEXT) | instid1(VALU_DEP_2)
	v_dual_add_f32 v45, v54, v45 :: v_dual_lshlrev_b32 v48, 16, v78
	v_dual_add_f32 v41, v44, v41 :: v_dual_and_b32 v44, 0xffff0000, v43
	v_lshlrev_b32_e32 v43, 16, v43
	s_delay_alu instid0(VALU_DEP_2) | instskip(SKIP_1) | instid1(VALU_DEP_2)
	v_dual_add_f32 v41, v41, v47 :: v_dual_mul_f32 v44, v44, v50
	v_and_b32_e32 v47, 0xffff0000, v75
	v_dual_fmac_f32 v44, v43, v39 :: v_dual_and_b32 v43, 0xffff0000, v32
	s_delay_alu instid0(VALU_DEP_2) | instskip(NEXT) | instid1(VALU_DEP_2)
	v_dual_mul_f32 v47, v47, v58 :: v_dual_lshlrev_b32 v32, 16, v32
	v_add_f32_e32 v41, v41, v44
	s_delay_alu instid0(VALU_DEP_3) | instskip(NEXT) | instid1(VALU_DEP_1)
	v_dual_mul_f32 v43, v43, v53 :: v_dual_and_b32 v42, 0xffff0000, v78
	v_dual_fmac_f32 v43, v32, v36 :: v_dual_mul_f32 v42, v42, v57
	v_lshlrev_b32_e32 v32, 16, v33
	v_dual_mul_f32 v33, v49, v57 :: v_dual_and_b32 v36, 0xffff0000, v34
	s_delay_alu instid0(VALU_DEP_3) | instskip(NEXT) | instid1(VALU_DEP_2)
	v_dual_add_f32 v43, v46, v43 :: v_dual_fmac_f32 v42, v48, v37
	v_dual_fmac_f32 v33, v32, v37 :: v_dual_lshlrev_b32 v48, 16, v75
	v_lshlrev_b32_e32 v32, 16, v34
	s_delay_alu instid0(VALU_DEP_4) | instskip(NEXT) | instid1(VALU_DEP_4)
	v_mul_f32_e32 v34, v36, v58
	v_dual_add_f32 v42, v45, v42 :: v_dual_and_b32 v45, 0xffff0000, v76
	s_delay_alu instid0(VALU_DEP_4) | instskip(NEXT) | instid1(VALU_DEP_3)
	v_fmac_f32_e32 v47, v48, v38
	v_dual_add_f32 v33, v43, v33 :: v_dual_fmac_f32 v34, v32, v38
	s_waitcnt vmcnt(1)
	v_and_b32_e32 v43, 0xffff0000, v21
	v_dual_mul_f32 v37, v45, v50 :: v_dual_lshlrev_b32 v36, 16, v76
	v_dual_add_f32 v32, v42, v47 :: v_dual_lshlrev_b32 v21, 16, v21
	v_dual_add_f32 v33, v33, v34 :: v_dual_and_b32 v42, 0xffff0000, v29
	s_delay_alu instid0(VALU_DEP_3) | instskip(SKIP_3) | instid1(VALU_DEP_4)
	v_dual_fmac_f32 v37, v36, v39 :: v_dual_and_b32 v36, 0xffff0000, v28
	v_and_b32_e32 v38, 0xffff0000, v20
	v_lshlrev_b32_e32 v28, 16, v28
	v_lshlrev_b32_e32 v20, 16, v20
	v_add_f32_e32 v32, v32, v37
	s_delay_alu instid0(VALU_DEP_4) | instskip(NEXT) | instid1(VALU_DEP_1)
	v_mul_f32_e32 v36, v36, v38
	v_fmac_f32_e32 v36, v28, v20
	v_dual_mul_f32 v29, v42, v43 :: v_dual_lshlrev_b32 v28, 16, v29
	v_and_b32_e32 v34, 0xffff0000, v35
	v_lshlrev_b32_e32 v35, 16, v35
	s_delay_alu instid0(VALU_DEP_2) | instskip(SKIP_1) | instid1(VALU_DEP_2)
	v_dual_fmac_f32 v29, v28, v21 :: v_dual_mul_f32 v34, v34, v50
	v_lshlrev_b32_e32 v28, 16, v30
	v_dual_fmac_f32 v34, v35, v39 :: v_dual_and_b32 v39, 0xffff0000, v22
	v_and_b32_e32 v35, 0xffff0000, v30
	v_lshlrev_b32_e32 v22, 16, v22
	s_delay_alu instid0(VALU_DEP_3) | instskip(SKIP_1) | instid1(VALU_DEP_4)
	v_dual_add_f32 v36, v40, v36 :: v_dual_add_f32 v33, v33, v34
	v_and_b32_e32 v34, 0xffff0000, v31
	v_dual_mul_f32 v30, v35, v39 :: v_dual_and_b32 v35, 0xffff0000, v24
	v_lshlrev_b32_e32 v24, 16, v24
	v_lshlrev_b32_e32 v31, 16, v31
	v_add_f32_e32 v29, v36, v29
	s_delay_alu instid0(VALU_DEP_4) | instskip(SKIP_1) | instid1(VALU_DEP_1)
	v_fmac_f32_e32 v30, v28, v22
	v_dual_mul_f32 v28, v35, v38 :: v_dual_and_b32 v35, 0xffff0000, v25
	v_fmac_f32_e32 v28, v24, v20
	s_delay_alu instid0(VALU_DEP_2) | instskip(NEXT) | instid1(VALU_DEP_2)
	v_dual_mul_f32 v25, v35, v43 :: v_dual_lshlrev_b32 v24, 16, v25
	v_dual_add_f32 v28, v41, v28 :: v_dual_and_b32 v35, 0xffff0000, v26
	s_delay_alu instid0(VALU_DEP_2) | instskip(NEXT) | instid1(VALU_DEP_1)
	v_dual_fmac_f32 v25, v24, v21 :: v_dual_lshlrev_b32 v24, 16, v26
	v_dual_mul_f32 v26, v35, v39 :: v_dual_add_f32 v25, v28, v25
	v_lshlrev_b32_e32 v28, 16, v73
	s_delay_alu instid0(VALU_DEP_2)
	v_fmac_f32_e32 v26, v24, v22
	v_and_b32_e32 v24, 0xffff0000, v27
	v_lshlrev_b32_e32 v27, 16, v27
	v_dual_add_f32 v29, v29, v30 :: v_dual_and_b32 v36, 0xffff0000, v23
	v_lshlrev_b32_e32 v23, 16, v23
	v_dual_add_f32 v25, v25, v26 :: v_dual_and_b32 v30, 0xffff0000, v73
	v_lshlrev_b32_e32 v26, 16, v74
	s_delay_alu instid0(VALU_DEP_4) | instskip(NEXT) | instid1(VALU_DEP_3)
	v_mul_f32_e32 v34, v34, v36
	v_mul_f32_e32 v30, v30, v38
	s_delay_alu instid0(VALU_DEP_2) | instskip(NEXT) | instid1(VALU_DEP_2)
	v_dual_fmac_f32 v34, v31, v23 :: v_dual_and_b32 v31, 0xffff0000, v74
	v_fmac_f32_e32 v30, v28, v20
	s_delay_alu instid0(VALU_DEP_2) | instskip(NEXT) | instid1(VALU_DEP_1)
	v_dual_mul_f32 v28, v31, v43 :: v_dual_lshlrev_b32 v31, 16, v72
	v_fmac_f32_e32 v28, v26, v21
	v_and_b32_e32 v26, 0xffff0000, v16
	v_lshlrev_b32_e32 v16, 16, v16
	s_delay_alu instid0(VALU_DEP_2) | instskip(NEXT) | instid1(VALU_DEP_1)
	v_mul_f32_e32 v26, v26, v38
	v_fmac_f32_e32 v26, v16, v20
	v_lshlrev_b32_e32 v16, 16, v17
	s_delay_alu instid0(VALU_DEP_2) | instskip(SKIP_1) | instid1(VALU_DEP_1)
	v_add_f32_e32 v26, v33, v26
	v_mul_f32_e32 v24, v24, v36
	v_dual_fmac_f32 v24, v27, v23 :: v_dual_add_f32 v27, v29, v34
	v_dual_add_f32 v29, v32, v30 :: v_dual_and_b32 v30, 0xffff0000, v71
	s_delay_alu instid0(VALU_DEP_2) | instskip(NEXT) | instid1(VALU_DEP_2)
	v_dual_add_f32 v24, v25, v24 :: v_dual_lshlrev_b32 v25, 16, v71
	v_mul_f32_e32 v30, v30, v39
	s_delay_alu instid0(VALU_DEP_1) | instskip(NEXT) | instid1(VALU_DEP_1)
	v_dual_fmac_f32 v30, v25, v22 :: v_dual_and_b32 v25, 0xffff0000, v17
	v_mul_f32_e32 v17, v25, v43
	v_and_b32_e32 v25, 0xffff0000, v18
	s_delay_alu instid0(VALU_DEP_2) | instskip(SKIP_1) | instid1(VALU_DEP_2)
	v_fmac_f32_e32 v17, v16, v21
	v_and_b32_e32 v21, 0xffff0000, v12
	v_add_f32_e32 v17, v26, v17
	s_waitcnt vmcnt(0)
	v_and_b32_e32 v26, 0xffff0000, v1
	v_lshlrev_b32_e32 v1, 16, v1
	v_lshlrev_b32_e32 v16, 16, v18
	v_dual_mul_f32 v18, v25, v39 :: v_dual_and_b32 v25, 0xffff0000, v0
	v_lshlrev_b32_e32 v12, 16, v12
	v_lshlrev_b32_e32 v0, 16, v0
	s_delay_alu instid0(VALU_DEP_3) | instskip(NEXT) | instid1(VALU_DEP_4)
	v_fmac_f32_e32 v18, v16, v22
	v_dual_mul_f32 v16, v21, v25 :: v_dual_and_b32 v21, 0xffff0000, v19
	v_and_b32_e32 v22, 0xffff0000, v13
	v_dual_add_f32 v28, v29, v28 :: v_dual_lshlrev_b32 v19, 16, v19
	s_delay_alu instid0(VALU_DEP_3) | instskip(NEXT) | instid1(VALU_DEP_3)
	v_fmac_f32_e32 v16, v12, v0
	v_dual_mul_f32 v13, v22, v26 :: v_dual_lshlrev_b32 v12, 16, v13
	s_delay_alu instid0(VALU_DEP_3) | instskip(SKIP_1) | instid1(VALU_DEP_3)
	v_dual_mul_f32 v21, v21, v36 :: v_dual_add_f32 v20, v28, v30
	v_and_b32_e32 v22, 0xffff0000, v14
	v_dual_fmac_f32 v13, v12, v1 :: v_dual_and_b32 v28, 0xffff0000, v2
	v_lshlrev_b32_e32 v12, 16, v14
	s_delay_alu instid0(VALU_DEP_4) | instskip(NEXT) | instid1(VALU_DEP_3)
	v_dual_fmac_f32 v21, v19, v23 :: v_dual_lshlrev_b32 v2, 16, v2
	v_dual_mul_f32 v14, v22, v28 :: v_dual_lshlrev_b32 v19, 16, v67
	v_dual_add_f32 v16, v27, v16 :: v_dual_add_f32 v17, v17, v18
	s_delay_alu instid0(VALU_DEP_2) | instskip(NEXT) | instid1(VALU_DEP_2)
	v_dual_fmac_f32 v14, v12, v2 :: v_dual_and_b32 v29, 0xffff0000, v72
	v_add_f32_e32 v13, v16, v13
	s_delay_alu instid0(VALU_DEP_3) | instskip(SKIP_1) | instid1(VALU_DEP_4)
	v_add_f32_e32 v16, v17, v21
	v_and_b32_e32 v17, 0xffff0000, v9
	v_mul_f32_e32 v29, v29, v36
	s_delay_alu instid0(VALU_DEP_4) | instskip(NEXT) | instid1(VALU_DEP_2)
	v_dual_add_f32 v13, v13, v14 :: v_dual_and_b32 v18, 0xffff0000, v8
	v_dual_fmac_f32 v29, v31, v23 :: v_dual_lshlrev_b32 v8, 16, v8
	v_and_b32_e32 v14, 0xffff0000, v15
	s_delay_alu instid0(VALU_DEP_3) | instskip(SKIP_1) | instid1(VALU_DEP_2)
	v_dual_mul_f32 v12, v18, v25 :: v_dual_lshlrev_b32 v15, 16, v15
	v_and_b32_e32 v18, 0xffff0000, v3
	v_dual_fmac_f32 v12, v8, v0 :: v_dual_lshlrev_b32 v3, 16, v3
	v_dual_mul_f32 v9, v17, v26 :: v_dual_lshlrev_b32 v8, 16, v9
	v_and_b32_e32 v17, 0xffff0000, v10
	s_delay_alu instid0(VALU_DEP_4) | instskip(NEXT) | instid1(VALU_DEP_4)
	v_mul_f32_e32 v14, v14, v18
	v_add_f32_e32 v12, v24, v12
	s_delay_alu instid0(VALU_DEP_4) | instskip(NEXT) | instid1(VALU_DEP_4)
	v_dual_fmac_f32 v9, v8, v1 :: v_dual_lshlrev_b32 v8, 16, v10
	v_dual_mul_f32 v10, v17, v28 :: v_dual_and_b32 v17, 0xffff0000, v69
	s_delay_alu instid0(VALU_DEP_2) | instskip(SKIP_1) | instid1(VALU_DEP_3)
	v_dual_fmac_f32 v14, v15, v3 :: v_dual_add_f32 v9, v12, v9
	v_and_b32_e32 v15, 0xffff0000, v70
	v_fmac_f32_e32 v10, v8, v2
	v_lshlrev_b32_e32 v8, 16, v69
	v_dual_mul_f32 v12, v17, v25 :: v_dual_and_b32 v17, 0xffff0000, v4
	s_delay_alu instid0(VALU_DEP_3) | instskip(SKIP_1) | instid1(VALU_DEP_3)
	v_dual_add_f32 v20, v20, v29 :: v_dual_add_f32 v9, v9, v10
	v_dual_mul_f32 v15, v15, v26 :: v_dual_lshlrev_b32 v4, 16, v4
	v_dual_mul_f32 v17, v17, v25 :: v_dual_fmac_f32 v12, v8, v0
	v_lshlrev_b32_e32 v8, 16, v70
	v_and_b32_e32 v10, 0xffff0000, v11
	v_lshlrev_b32_e32 v11, 16, v11
	s_delay_alu instid0(VALU_DEP_4)
	v_fmac_f32_e32 v17, v4, v0
	v_add_f32_e32 v12, v20, v12
	v_and_b32_e32 v20, 0xffff0000, v5
	v_lshlrev_b32_e32 v0, 16, v5
	v_and_b32_e32 v5, 0xffff0000, v6
	v_fmac_f32_e32 v15, v8, v1
	v_add_f32_e32 v16, v16, v17
	v_mul_f32_e32 v4, v20, v26
	v_and_b32_e32 v8, 0xffff0000, v67
	v_mul_f32_e32 v10, v10, v18
	v_dual_add_f32 v12, v12, v15 :: v_dual_and_b32 v15, 0xffff0000, v68
	s_delay_alu instid0(VALU_DEP_4) | instskip(SKIP_3) | instid1(VALU_DEP_4)
	v_fmac_f32_e32 v4, v0, v1
	v_dual_mul_f32 v1, v5, v28 :: v_dual_lshlrev_b32 v0, 16, v6
	v_and_b32_e32 v6, 0xffff0000, v7
	v_lshlrev_b32_e32 v5, 16, v68
	v_dual_add_f32 v4, v16, v4 :: v_dual_mul_f32 v15, v15, v18
	s_delay_alu instid0(VALU_DEP_4) | instskip(SKIP_1) | instid1(VALU_DEP_3)
	v_dual_fmac_f32 v1, v0, v2 :: v_dual_lshlrev_b32 v0, 16, v7
	v_dual_fmac_f32 v10, v11, v3 :: v_dual_add_f32 v93, v13, v14
	v_fmac_f32_e32 v15, v5, v3
	s_delay_alu instid0(VALU_DEP_3) | instskip(SKIP_1) | instid1(VALU_DEP_4)
	v_add_f32_e32 v1, v4, v1
	v_mul_f32_e32 v8, v8, v28
	v_add_f32_e32 v92, v9, v10
	s_delay_alu instid0(VALU_DEP_2) | instskip(SKIP_1) | instid1(VALU_DEP_2)
	v_fmac_f32_e32 v8, v19, v2
	v_mul_f32_e32 v2, v6, v18
	v_add_f32_e32 v6, v12, v8
	s_delay_alu instid0(VALU_DEP_2) | instskip(NEXT) | instid1(VALU_DEP_1)
	v_fmac_f32_e32 v2, v0, v3
	v_dual_add_f32 v91, v6, v15 :: v_dual_add_f32 v90, v1, v2
	s_cbranch_scc1 .LBB263_19
.LBB263_14:                             ;   Parent Loop BB263_8 Depth=1
                                        ; =>  This Inner Loop Header: Depth=2
	v_add_nc_u32_e32 v8, s23, v83
	v_dual_mov_b32 v68, 0 :: v_dual_mov_b32 v11, 0
	v_dual_mov_b32 v70, 0 :: v_dual_mov_b32 v9, 0
	s_delay_alu instid0(VALU_DEP_3) | instskip(SKIP_3) | instid1(VALU_DEP_4)
	v_min_u32_e32 v65, s18, v8
	v_add_nc_u32_e32 v98, 0x200, v8
	v_add_nc_u32_e32 v95, 0x400, v8
	v_dual_mov_b32 v67, 0 :: v_dual_add_nc_u32 v94, 0x600, v8
	v_lshlrev_b64 v[0:1], 1, v[65:66]
	s_delay_alu instid0(VALU_DEP_4) | instskip(SKIP_2) | instid1(VALU_DEP_3)
	v_min_u32_e32 v65, s18, v98
	v_dual_mov_b32 v10, 0 :: v_dual_mov_b32 v15, 0
	v_dual_mov_b32 v14, 0 :: v_dual_mov_b32 v19, 0
	v_lshlrev_b64 v[2:3], 1, v[65:66]
	v_min_u32_e32 v65, s18, v95
	v_add_co_u32 v0, vcc_lo, v88, v0
	v_add_co_ci_u32_e32 v1, vcc_lo, v89, v1, vcc_lo
	s_delay_alu instid0(VALU_DEP_3) | instskip(SKIP_3) | instid1(VALU_DEP_3)
	v_lshlrev_b64 v[4:5], 1, v[65:66]
	v_min_u32_e32 v65, s18, v94
	v_add_co_u32 v2, vcc_lo, v88, v2
	v_add_co_ci_u32_e32 v3, vcc_lo, v89, v3, vcc_lo
	v_lshlrev_b64 v[6:7], 1, v[65:66]
	v_add_co_u32 v4, vcc_lo, v88, v4
	v_add_co_ci_u32_e32 v5, vcc_lo, v89, v5, vcc_lo
	v_dual_mov_b32 v12, 0 :: v_dual_mov_b32 v17, 0
	s_delay_alu instid0(VALU_DEP_4)
	v_add_co_u32 v6, vcc_lo, v88, v6
	v_add_co_ci_u32_e32 v7, vcc_lo, v89, v7, vcc_lo
	s_clause 0x3
	global_load_b128 v[52:55], v[0:1], off slc dlc
	global_load_b128 v[36:39], v[2:3], off slc dlc
	;; [unrolled: 1-line block ×4, first 2 shown]
	v_mov_b32_e32 v7, 0
	v_cmp_gt_u32_e32 vcc_lo, s4, v8
	v_dual_mov_b32 v6, 0 :: v_dual_mov_b32 v5, 0
	v_dual_mov_b32 v4, 0 :: v_dual_mov_b32 v69, 0
	;; [unrolled: 1-line block ×25, first 2 shown]
	v_mov_b32_e32 v62, 0
	v_mov_b32_e32 v60, 0
	s_and_saveexec_b32 s24, vcc_lo
	s_cbranch_execz .LBB263_13
; %bb.15:                               ;   in Loop: Header=BB263_14 Depth=2
	v_dual_mov_b32 v44, 0 :: v_dual_add_nc_u32 v65, s6, v87
	v_dual_mov_b32 v46, 0 :: v_dual_add_nc_u32 v97, s14, v87
	;; [unrolled: 1-line block ×3, first 2 shown]
	ds_load_b128 v[60:63], v87
	ds_load_b128 v[56:59], v65
	ds_load_2addr_b32 v[81:82], v97 offset1:1
	ds_load_2addr_b32 v[79:80], v97 offset0:2 offset1:3
	ds_load_b128 v[48:51], v96
	v_cmp_gt_u32_e32 vcc_lo, s4, v98
	v_dual_mov_b32 v47, 0 :: v_dual_mov_b32 v40, 0
	v_dual_mov_b32 v41, 0 :: v_dual_mov_b32 v42, 0
	;; [unrolled: 1-line block ×22, first 2 shown]
	v_mov_b32_e32 v7, 0
	s_and_saveexec_b32 s25, vcc_lo
	s_cbranch_execz .LBB263_12
; %bb.16:                               ;   in Loop: Header=BB263_14 Depth=2
	v_dual_mov_b32 v29, 0 :: v_dual_add_nc_u32 v4, 0x400, v97
	v_dual_mov_b32 v28, 0 :: v_dual_add_nc_u32 v5, 0x408, v97
	ds_load_b128 v[44:47], v87 offset:1024
	ds_load_2addr_b32 v[77:78], v4 offset1:1
	ds_load_2addr_b32 v[75:76], v5 offset1:1
	ds_load_b128 v[40:43], v65 offset:1024
	ds_load_b128 v[32:35], v96 offset:1024
	v_cmp_gt_u32_e32 vcc_lo, s4, v95
	v_dual_mov_b32 v30, 0 :: v_dual_mov_b32 v31, 0
	v_dual_mov_b32 v24, 0 :: v_dual_mov_b32 v25, 0
	v_dual_mov_b32 v26, 0 :: v_dual_mov_b32 v27, 0
	v_dual_mov_b32 v73, 0 :: v_dual_mov_b32 v74, 0
	v_dual_mov_b32 v71, 0 :: v_dual_mov_b32 v72, 0
	v_dual_mov_b32 v16, 0 :: v_dual_mov_b32 v17, 0
	v_dual_mov_b32 v18, 0 :: v_dual_mov_b32 v19, 0
	v_dual_mov_b32 v12, 0 :: v_dual_mov_b32 v13, 0
	v_dual_mov_b32 v14, 0 :: v_dual_mov_b32 v15, 0
	v_dual_mov_b32 v8, 0 :: v_dual_mov_b32 v9, 0
	v_dual_mov_b32 v10, 0 :: v_dual_mov_b32 v11, 0
	v_dual_mov_b32 v69, 0 :: v_dual_mov_b32 v70, 0
	v_dual_mov_b32 v67, 0 :: v_dual_mov_b32 v68, 0
	v_dual_mov_b32 v4, 0 :: v_dual_mov_b32 v5, 0
	v_dual_mov_b32 v6, 0 :: v_dual_mov_b32 v7, 0
	s_and_saveexec_b32 s26, vcc_lo
	s_cbranch_execz .LBB263_11
; %bb.17:                               ;   in Loop: Header=BB263_14 Depth=2
	v_dual_mov_b32 v13, 0 :: v_dual_add_nc_u32 v4, 0x800, v97
	v_dual_mov_b32 v12, 0 :: v_dual_add_nc_u32 v5, 0x808, v97
	ds_load_b128 v[28:31], v87 offset:2048
	ds_load_2addr_b32 v[73:74], v4 offset1:1
	ds_load_2addr_b32 v[71:72], v5 offset1:1
	ds_load_b128 v[24:27], v65 offset:2048
	ds_load_b128 v[16:19], v96 offset:2048
	v_dual_mov_b32 v14, 0 :: v_dual_mov_b32 v15, 0
	v_dual_mov_b32 v8, 0 :: v_dual_mov_b32 v9, 0
	;; [unrolled: 1-line block ×7, first 2 shown]
	s_mov_b32 s27, exec_lo
	v_cmpx_gt_u32_e64 s4, v94
	s_cbranch_execz .LBB263_10
; %bb.18:                               ;   in Loop: Header=BB263_14 Depth=2
	v_add_nc_u32_e32 v4, 0xc00, v97
	v_add_nc_u32_e32 v5, 0xc08, v97
	ds_load_b128 v[12:15], v87 offset:3072
	ds_load_2addr_b32 v[69:70], v4 offset1:1
	ds_load_2addr_b32 v[67:68], v5 offset1:1
	ds_load_b128 v[8:11], v65 offset:3072
	ds_load_b128 v[4:7], v96 offset:3072
	s_branch .LBB263_10
.LBB263_19:                             ;   in Loop: Header=BB263_8 Depth=1
	; sched_barrier mask(0x00000000)
	s_delay_alu instid0(VALU_DEP_1)
	v_cvt_i32_f32_e32 v0, v93
	s_waitcnt lgkmcnt(0)
	v_cvt_i32_f32_e32 v1, v92
	v_cvt_i32_f32_e32 v2, v91
	;; [unrolled: 1-line block ×3, first 2 shown]
	v_cvt_f32_i32_dpp v0, v0 row_shr:8 row_mask:0xf bank_mask:0xf bound_ctrl:1
	s_delay_alu instid0(VALU_DEP_4) | instskip(NEXT) | instid1(VALU_DEP_4)
	v_cvt_f32_i32_dpp v1, v1 row_shr:8 row_mask:0xf bank_mask:0xf bound_ctrl:1
	v_cvt_f32_i32_dpp v2, v2 row_shr:8 row_mask:0xf bank_mask:0xf bound_ctrl:1
	s_delay_alu instid0(VALU_DEP_4) | instskip(NEXT) | instid1(VALU_DEP_3)
	v_cvt_f32_i32_dpp v3, v3 row_shr:8 row_mask:0xf bank_mask:0xf bound_ctrl:1
	v_dual_add_f32 v0, v93, v0 :: v_dual_add_f32 v1, v92, v1
	s_delay_alu instid0(VALU_DEP_2) | instskip(NEXT) | instid1(VALU_DEP_2)
	v_dual_add_f32 v2, v91, v2 :: v_dual_add_f32 v3, v90, v3
	v_cvt_i32_f32_e32 v4, v0
	s_delay_alu instid0(VALU_DEP_3) | instskip(NEXT) | instid1(VALU_DEP_3)
	v_cvt_i32_f32_e32 v5, v1
	v_cvt_i32_f32_e32 v6, v2
	s_delay_alu instid0(VALU_DEP_4) | instskip(NEXT) | instid1(VALU_DEP_4)
	v_cvt_i32_f32_e32 v7, v3
	v_cvt_f32_i32_dpp v4, v4 row_shr:4 row_mask:0xf bank_mask:0xf bound_ctrl:1
	s_delay_alu instid0(VALU_DEP_4) | instskip(NEXT) | instid1(VALU_DEP_4)
	v_cvt_f32_i32_dpp v5, v5 row_shr:4 row_mask:0xf bank_mask:0xf bound_ctrl:1
	v_cvt_f32_i32_dpp v6, v6 row_shr:4 row_mask:0xf bank_mask:0xf bound_ctrl:1
	s_delay_alu instid0(VALU_DEP_4) | instskip(NEXT) | instid1(VALU_DEP_3)
	v_cvt_f32_i32_dpp v7, v7 row_shr:4 row_mask:0xf bank_mask:0xf bound_ctrl:1
	v_dual_add_f32 v0, v0, v4 :: v_dual_add_f32 v1, v1, v5
	s_delay_alu instid0(VALU_DEP_2) | instskip(NEXT) | instid1(VALU_DEP_2)
	v_dual_add_f32 v2, v2, v6 :: v_dual_add_f32 v3, v3, v7
	v_cvt_i32_f32_e32 v4, v0
	s_delay_alu instid0(VALU_DEP_3) | instskip(NEXT) | instid1(VALU_DEP_3)
	v_cvt_i32_f32_e32 v5, v1
	v_cvt_i32_f32_e32 v6, v2
	s_delay_alu instid0(VALU_DEP_4) | instskip(NEXT) | instid1(VALU_DEP_4)
	v_cvt_i32_f32_e32 v7, v3
	;; [unrolled: 15-line block ×3, first 2 shown]
	v_cvt_f32_i32_dpp v4, v4 row_shr:1 row_mask:0xf bank_mask:0xf bound_ctrl:1
	s_delay_alu instid0(VALU_DEP_4) | instskip(NEXT) | instid1(VALU_DEP_4)
	v_cvt_f32_i32_dpp v5, v5 row_shr:1 row_mask:0xf bank_mask:0xf bound_ctrl:1
	v_cvt_f32_i32_dpp v6, v6 row_shr:1 row_mask:0xf bank_mask:0xf bound_ctrl:1
	s_delay_alu instid0(VALU_DEP_4) | instskip(NEXT) | instid1(VALU_DEP_3)
	v_cvt_f32_i32_dpp v7, v7 row_shr:1 row_mask:0xf bank_mask:0xf bound_ctrl:1
	v_dual_add_f32 v8, v0, v4 :: v_dual_add_f32 v5, v1, v5
	s_delay_alu instid0(VALU_DEP_3) | instskip(NEXT) | instid1(VALU_DEP_3)
	v_add_f32_e32 v2, v2, v6
	v_add_f32_e32 v0, v3, v7
	ds_bpermute_b32 v9, v85, v8
	ds_bpermute_b32 v6, v85, v5
	;; [unrolled: 1-line block ×4, first 2 shown]
	s_and_saveexec_b32 s23, s0
	s_cbranch_execz .LBB263_7
; %bb.20:                               ;   in Loop: Header=BB263_8 Depth=1
	v_dual_mov_b32 v4, 0 :: v_dual_mov_b32 v7, 0
	v_dual_mov_b32 v10, 0 :: v_dual_mov_b32 v11, 0
	s_and_not1_b32 vcc_lo, exec_lo, s20
	s_cbranch_vccnz .LBB263_22
; %bb.21:                               ;   in Loop: Header=BB263_8 Depth=1
	v_mul_hi_u32 v4, v64, v86
	v_mov_b32_e32 v11, v66
	s_delay_alu instid0(VALU_DEP_2) | instskip(NEXT) | instid1(VALU_DEP_1)
	v_mul_lo_u32 v4, v4, s8
	v_sub_nc_u32_e32 v4, v64, v4
	s_delay_alu instid0(VALU_DEP_1) | instskip(SKIP_1) | instid1(VALU_DEP_2)
	v_subrev_nc_u32_e32 v7, s8, v4
	v_cmp_le_u32_e32 vcc_lo, s8, v4
	v_cndmask_b32_e32 v4, v4, v7, vcc_lo
	s_delay_alu instid0(VALU_DEP_1) | instskip(SKIP_1) | instid1(VALU_DEP_2)
	v_subrev_nc_u32_e32 v7, s8, v4
	v_cmp_le_u32_e32 vcc_lo, s8, v4
	v_cndmask_b32_e32 v65, v4, v7, vcc_lo
	s_delay_alu instid0(VALU_DEP_1) | instskip(SKIP_3) | instid1(VALU_DEP_4)
	v_dual_mov_b32 v13, v66 :: v_dual_add_nc_u32 v10, s17, v65
	v_lshlrev_b64 v[14:15], 1, v[65:66]
	v_add_nc_u32_e32 v12, s21, v65
	v_add_nc_u32_e32 v65, s22, v65
	v_lshlrev_b64 v[10:11], 1, v[10:11]
	s_delay_alu instid0(VALU_DEP_3)
	v_lshlrev_b64 v[12:13], 1, v[12:13]
	v_add_co_u32 v14, vcc_lo, s10, v14
	v_add_co_ci_u32_e32 v15, vcc_lo, s11, v15, vcc_lo
	v_lshlrev_b64 v[16:17], 1, v[65:66]
	v_add_co_u32 v18, vcc_lo, s10, v10
	v_add_co_ci_u32_e32 v19, vcc_lo, s11, v11, vcc_lo
	v_add_co_u32 v12, vcc_lo, s10, v12
	v_add_co_ci_u32_e32 v13, vcc_lo, s11, v13, vcc_lo
	;; [unrolled: 2-line block ×3, first 2 shown]
	s_clause 0x3
	global_load_u16 v11, v[14:15], off
	global_load_u16 v10, v[18:19], off
	;; [unrolled: 1-line block ×4, first 2 shown]
.LBB263_22:                             ;   in Loop: Header=BB263_8 Depth=1
	s_waitcnt vmcnt(3) lgkmcnt(0)
	s_delay_alu instid0(VALU_DEP_1) | instskip(NEXT) | instid1(VALU_DEP_1)
	v_dual_add_f32 v8, v8, v9 :: v_dual_lshlrev_b32 v9, 16, v11
	v_add_f32_e32 v9, v8, v9
	s_delay_alu instid0(VALU_DEP_1) | instskip(NEXT) | instid1(VALU_DEP_1)
	v_and_b32_e32 v8, 0x7f800000, v9
	v_cmp_ne_u32_e32 vcc_lo, 0x7f800000, v8
                                        ; implicit-def: $vgpr8
	s_and_saveexec_b32 s24, vcc_lo
	s_delay_alu instid0(SALU_CYCLE_1)
	s_xor_b32 s24, exec_lo, s24
; %bb.23:                               ;   in Loop: Header=BB263_8 Depth=1
	v_bfe_u32 v8, v9, 16, 1
	s_delay_alu instid0(VALU_DEP_1)
	v_add3_u32 v8, v9, v8, 0x7fff
                                        ; implicit-def: $vgpr9
; %bb.24:                               ;   in Loop: Header=BB263_8 Depth=1
	s_and_not1_saveexec_b32 s24, s24
; %bb.25:                               ;   in Loop: Header=BB263_8 Depth=1
	v_and_b32_e32 v8, 0xffff, v9
	v_or_b32_e32 v11, 0x10000, v9
	s_delay_alu instid0(VALU_DEP_2) | instskip(NEXT) | instid1(VALU_DEP_2)
	v_cmp_eq_u32_e32 vcc_lo, 0, v8
	v_cndmask_b32_e32 v8, v11, v9, vcc_lo
; %bb.26:                               ;   in Loop: Header=BB263_8 Depth=1
	s_or_b32 exec_lo, exec_lo, s24
	v_add_f32_e32 v5, v5, v6
	s_waitcnt vmcnt(2)
	v_dual_mov_b32 v65, v66 :: v_dual_lshlrev_b32 v6, 16, v10
	s_delay_alu instid0(VALU_DEP_1) | instskip(NEXT) | instid1(VALU_DEP_2)
	v_add_f32_e32 v6, v5, v6
	v_lshlrev_b64 v[9:10], 1, v[64:65]
	s_delay_alu instid0(VALU_DEP_2) | instskip(NEXT) | instid1(VALU_DEP_2)
	v_and_b32_e32 v5, 0x7f800000, v6
	v_add_co_u32 v9, vcc_lo, s12, v9
	s_delay_alu instid0(VALU_DEP_3) | instskip(NEXT) | instid1(VALU_DEP_3)
	v_add_co_ci_u32_e32 v10, vcc_lo, s13, v10, vcc_lo
	v_cmp_ne_u32_e32 vcc_lo, 0x7f800000, v5
                                        ; implicit-def: $vgpr5
	global_store_d16_hi_b16 v[9:10], v8, off
	s_and_saveexec_b32 s24, vcc_lo
	s_delay_alu instid0(SALU_CYCLE_1)
	s_xor_b32 s24, exec_lo, s24
; %bb.27:                               ;   in Loop: Header=BB263_8 Depth=1
	v_bfe_u32 v5, v6, 16, 1
	s_delay_alu instid0(VALU_DEP_1)
	v_add3_u32 v5, v6, v5, 0x7fff
                                        ; implicit-def: $vgpr6
; %bb.28:                               ;   in Loop: Header=BB263_8 Depth=1
	s_and_not1_saveexec_b32 s24, s24
; %bb.29:                               ;   in Loop: Header=BB263_8 Depth=1
	v_and_b32_e32 v5, 0xffff, v6
	v_or_b32_e32 v8, 0x10000, v6
	s_delay_alu instid0(VALU_DEP_2) | instskip(NEXT) | instid1(VALU_DEP_2)
	v_cmp_eq_u32_e32 vcc_lo, 0, v5
	v_cndmask_b32_e32 v5, v8, v6, vcc_lo
; %bb.30:                               ;   in Loop: Header=BB263_8 Depth=1
	s_or_b32 exec_lo, exec_lo, s24
	v_dual_add_f32 v2, v2, v3 :: v_dual_add_nc_u32 v65, s7, v64
	s_waitcnt vmcnt(1)
	v_lshlrev_b32_e32 v3, 16, v7
	s_delay_alu instid0(VALU_DEP_2) | instskip(NEXT) | instid1(VALU_DEP_2)
	v_lshlrev_b64 v[6:7], 1, v[65:66]
	v_add_f32_e32 v3, v2, v3
	s_delay_alu instid0(VALU_DEP_1) | instskip(NEXT) | instid1(VALU_DEP_3)
	v_and_b32_e32 v2, 0x7f800000, v3
	v_add_co_u32 v6, vcc_lo, s12, v6
	s_delay_alu instid0(VALU_DEP_4) | instskip(NEXT) | instid1(VALU_DEP_3)
	v_add_co_ci_u32_e32 v7, vcc_lo, s13, v7, vcc_lo
	v_cmp_ne_u32_e32 vcc_lo, 0x7f800000, v2
                                        ; implicit-def: $vgpr2
	global_store_d16_hi_b16 v[6:7], v5, off
	s_and_saveexec_b32 s24, vcc_lo
	s_delay_alu instid0(SALU_CYCLE_1)
	s_xor_b32 s24, exec_lo, s24
; %bb.31:                               ;   in Loop: Header=BB263_8 Depth=1
	v_bfe_u32 v2, v3, 16, 1
	s_delay_alu instid0(VALU_DEP_1)
	v_add3_u32 v2, v3, v2, 0x7fff
                                        ; implicit-def: $vgpr3
; %bb.32:                               ;   in Loop: Header=BB263_8 Depth=1
	s_and_not1_saveexec_b32 s24, s24
; %bb.33:                               ;   in Loop: Header=BB263_8 Depth=1
	v_and_b32_e32 v2, 0xffff, v3
	v_or_b32_e32 v5, 0x10000, v3
	s_delay_alu instid0(VALU_DEP_2) | instskip(NEXT) | instid1(VALU_DEP_2)
	v_cmp_eq_u32_e32 vcc_lo, 0, v2
	v_cndmask_b32_e32 v2, v5, v3, vcc_lo
; %bb.34:                               ;   in Loop: Header=BB263_8 Depth=1
	s_or_b32 exec_lo, exec_lo, s24
	s_waitcnt vmcnt(0)
	v_dual_add_f32 v0, v0, v1 :: v_dual_lshlrev_b32 v1, 16, v4
	v_add_nc_u32_e32 v65, s7, v65
	s_delay_alu instid0(VALU_DEP_2) | instskip(NEXT) | instid1(VALU_DEP_2)
	v_add_f32_e32 v1, v0, v1
	v_lshlrev_b64 v[3:4], 1, v[65:66]
	s_delay_alu instid0(VALU_DEP_2) | instskip(NEXT) | instid1(VALU_DEP_2)
	v_and_b32_e32 v0, 0x7f800000, v1
	v_add_co_u32 v3, vcc_lo, s12, v3
	s_delay_alu instid0(VALU_DEP_3) | instskip(NEXT) | instid1(VALU_DEP_3)
	v_add_co_ci_u32_e32 v4, vcc_lo, s13, v4, vcc_lo
	v_cmp_ne_u32_e32 vcc_lo, 0x7f800000, v0
                                        ; implicit-def: $vgpr0
	global_store_d16_hi_b16 v[3:4], v2, off
	s_and_saveexec_b32 s24, vcc_lo
	s_delay_alu instid0(SALU_CYCLE_1)
	s_xor_b32 s24, exec_lo, s24
; %bb.35:                               ;   in Loop: Header=BB263_8 Depth=1
	v_bfe_u32 v0, v1, 16, 1
	s_delay_alu instid0(VALU_DEP_1)
	v_add3_u32 v0, v1, v0, 0x7fff
                                        ; implicit-def: $vgpr1
; %bb.36:                               ;   in Loop: Header=BB263_8 Depth=1
	s_and_not1_saveexec_b32 s24, s24
	s_cbranch_execz .LBB263_6
; %bb.37:                               ;   in Loop: Header=BB263_8 Depth=1
	v_and_b32_e32 v0, 0xffff, v1
	v_or_b32_e32 v2, 0x10000, v1
	s_delay_alu instid0(VALU_DEP_2) | instskip(NEXT) | instid1(VALU_DEP_2)
	v_cmp_eq_u32_e32 vcc_lo, 0, v0
	v_cndmask_b32_e32 v0, v2, v1, vcc_lo
	s_branch .LBB263_6
.LBB263_38:
	s_nop 0
	s_sendmsg sendmsg(MSG_DEALLOC_VGPRS)
	s_endpgm
	.section	.rodata,"a",@progbits
	.p2align	6, 0x0
	.amdhsa_kernel _Z16wvSplitK_hf_sml_I14__hip_bfloat16Li64ELi1ELi16ELi8ELi4ELi4EEviiiiiiPKT_S3_S3_PS1_ii
		.amdhsa_group_segment_fixed_size 65536
		.amdhsa_private_segment_fixed_size 0
		.amdhsa_kernarg_size 64
		.amdhsa_user_sgpr_count 15
		.amdhsa_user_sgpr_dispatch_ptr 0
		.amdhsa_user_sgpr_queue_ptr 0
		.amdhsa_user_sgpr_kernarg_segment_ptr 1
		.amdhsa_user_sgpr_dispatch_id 0
		.amdhsa_user_sgpr_private_segment_size 0
		.amdhsa_wavefront_size32 1
		.amdhsa_uses_dynamic_stack 0
		.amdhsa_enable_private_segment 0
		.amdhsa_system_sgpr_workgroup_id_x 1
		.amdhsa_system_sgpr_workgroup_id_y 0
		.amdhsa_system_sgpr_workgroup_id_z 0
		.amdhsa_system_sgpr_workgroup_info 0
		.amdhsa_system_vgpr_workitem_id 1
		.amdhsa_next_free_vgpr 99
		.amdhsa_next_free_sgpr 28
		.amdhsa_reserve_vcc 1
		.amdhsa_float_round_mode_32 0
		.amdhsa_float_round_mode_16_64 0
		.amdhsa_float_denorm_mode_32 3
		.amdhsa_float_denorm_mode_16_64 3
		.amdhsa_dx10_clamp 1
		.amdhsa_ieee_mode 1
		.amdhsa_fp16_overflow 0
		.amdhsa_workgroup_processor_mode 1
		.amdhsa_memory_ordered 1
		.amdhsa_forward_progress 0
		.amdhsa_shared_vgpr_count 0
		.amdhsa_exception_fp_ieee_invalid_op 0
		.amdhsa_exception_fp_denorm_src 0
		.amdhsa_exception_fp_ieee_div_zero 0
		.amdhsa_exception_fp_ieee_overflow 0
		.amdhsa_exception_fp_ieee_underflow 0
		.amdhsa_exception_fp_ieee_inexact 0
		.amdhsa_exception_int_div_zero 0
	.end_amdhsa_kernel
	.section	.text._Z16wvSplitK_hf_sml_I14__hip_bfloat16Li64ELi1ELi16ELi8ELi4ELi4EEviiiiiiPKT_S3_S3_PS1_ii,"axG",@progbits,_Z16wvSplitK_hf_sml_I14__hip_bfloat16Li64ELi1ELi16ELi8ELi4ELi4EEviiiiiiPKT_S3_S3_PS1_ii,comdat
.Lfunc_end263:
	.size	_Z16wvSplitK_hf_sml_I14__hip_bfloat16Li64ELi1ELi16ELi8ELi4ELi4EEviiiiiiPKT_S3_S3_PS1_ii, .Lfunc_end263-_Z16wvSplitK_hf_sml_I14__hip_bfloat16Li64ELi1ELi16ELi8ELi4ELi4EEviiiiiiPKT_S3_S3_PS1_ii
                                        ; -- End function
	.section	.AMDGPU.csdata,"",@progbits
; Kernel info:
; codeLenInByte = 5140
; NumSgprs: 30
; NumVgprs: 99
; ScratchSize: 0
; MemoryBound: 0
; FloatMode: 240
; IeeeMode: 1
; LDSByteSize: 65536 bytes/workgroup (compile time only)
; SGPRBlocks: 3
; VGPRBlocks: 12
; NumSGPRsForWavesPerEU: 30
; NumVGPRsForWavesPerEU: 99
; Occupancy: 12
; WaveLimiterHint : 0
; COMPUTE_PGM_RSRC2:SCRATCH_EN: 0
; COMPUTE_PGM_RSRC2:USER_SGPR: 15
; COMPUTE_PGM_RSRC2:TRAP_HANDLER: 0
; COMPUTE_PGM_RSRC2:TGID_X_EN: 1
; COMPUTE_PGM_RSRC2:TGID_Y_EN: 0
; COMPUTE_PGM_RSRC2:TGID_Z_EN: 0
; COMPUTE_PGM_RSRC2:TIDIG_COMP_CNT: 1
	.section	.text._Z12wvSplitK_hf_I14__hip_bfloat16Li64ELi1ELi16ELi8ELi4ELi4EEviiiiiiPKT_S3_S3_PS1_ii,"axG",@progbits,_Z12wvSplitK_hf_I14__hip_bfloat16Li64ELi1ELi16ELi8ELi4ELi4EEviiiiiiPKT_S3_S3_PS1_ii,comdat
	.protected	_Z12wvSplitK_hf_I14__hip_bfloat16Li64ELi1ELi16ELi8ELi4ELi4EEviiiiiiPKT_S3_S3_PS1_ii ; -- Begin function _Z12wvSplitK_hf_I14__hip_bfloat16Li64ELi1ELi16ELi8ELi4ELi4EEviiiiiiPKT_S3_S3_PS1_ii
	.globl	_Z12wvSplitK_hf_I14__hip_bfloat16Li64ELi1ELi16ELi8ELi4ELi4EEviiiiiiPKT_S3_S3_PS1_ii
	.p2align	8
	.type	_Z12wvSplitK_hf_I14__hip_bfloat16Li64ELi1ELi16ELi8ELi4ELi4EEviiiiiiPKT_S3_S3_PS1_ii,@function
_Z12wvSplitK_hf_I14__hip_bfloat16Li64ELi1ELi16ELi8ELi4ELi4EEviiiiiiPKT_S3_S3_PS1_ii: ; @_Z12wvSplitK_hf_I14__hip_bfloat16Li64ELi1ELi16ELi8ELi4ELi4EEviiiiiiPKT_S3_S3_PS1_ii
; %bb.0:
	s_clause 0x1
	s_load_b64 s[18:19], s[0:1], 0x38
	s_load_b128 s[4:7], s[0:1], 0x0
	v_bfe_u32 v1, v0, 10, 10
	s_clause 0x1
	s_load_b64 s[8:9], s[0:1], 0x20
	s_load_b64 s[10:11], s[0:1], 0x10
	v_mov_b32_e32 v95, 1
	s_waitcnt lgkmcnt(0)
	v_mad_u64_u32 v[80:81], null, s15, s18, v[1:2]
	s_delay_alu instid0(VALU_DEP_1) | instskip(SKIP_1) | instid1(VALU_DEP_2)
	v_add_nc_u32_e32 v2, 1, v80
	v_cmp_gt_u32_e32 vcc_lo, s7, v80
	v_cmp_le_u32_e64 s2, s7, v2
	s_delay_alu instid0(VALU_DEP_1) | instskip(NEXT) | instid1(SALU_CYCLE_1)
	s_and_b32 s3, vcc_lo, s2
	s_and_saveexec_b32 s2, s3
; %bb.1:
	v_subrev_nc_u32_e32 v2, s7, v80
	s_add_i32 s3, s7, -1
	s_delay_alu instid0(SALU_CYCLE_1) | instskip(NEXT) | instid1(VALU_DEP_2)
	v_mov_b32_e32 v80, s3
	v_cmp_eq_u32_e32 vcc_lo, -1, v2
	v_cndmask_b32_e64 v95, 0, 1, vcc_lo
; %bb.2:
	s_or_b32 exec_lo, exec_lo, s2
	s_load_b64 s[12:13], s[0:1], 0x28
	v_and_b32_e32 v0, 0x3ff, v0
	s_lshl_b32 s3, s6, 2
	s_mov_b32 s15, exec_lo
	s_min_u32 s14, s3, 0x8000
	s_delay_alu instid0(VALU_DEP_1) | instskip(NEXT) | instid1(VALU_DEP_1)
	v_lshlrev_b32_e32 v82, 3, v0
	v_lshl_add_u32 v4, v1, 9, v82
	s_delay_alu instid0(VALU_DEP_1)
	v_cmpx_gt_u32_e64 s14, v4
	s_cbranch_execz .LBB264_5
; %bb.3:
	v_lshlrev_b32_e32 v5, 10, v1
	v_lshlrev_b32_e32 v6, 4, v0
	s_mov_b32 s16, 0
	s_delay_alu instid0(VALU_DEP_1) | instskip(NEXT) | instid1(VALU_DEP_1)
	v_add_co_u32 v2, s2, v5, v6
	v_add_co_ci_u32_e64 v3, null, 0, 0, s2
	v_add_nc_u32_e32 v5, v5, v6
	s_delay_alu instid0(VALU_DEP_3) | instskip(NEXT) | instid1(VALU_DEP_3)
	v_add_co_u32 v2, vcc_lo, s8, v2
	v_add_co_ci_u32_e32 v3, vcc_lo, s9, v3, vcc_lo
	.p2align	6
.LBB264_4:                              ; =>This Inner Loop Header: Depth=1
	global_load_b128 v[6:9], v[2:3], off
	v_add_nc_u32_e32 v4, 0x2000, v4
	v_add_co_u32 v2, vcc_lo, 0x4000, v2
	v_add_co_ci_u32_e32 v3, vcc_lo, 0, v3, vcc_lo
	s_delay_alu instid0(VALU_DEP_3) | instskip(NEXT) | instid1(VALU_DEP_1)
	v_cmp_le_u32_e64 s2, s14, v4
	s_or_b32 s16, s2, s16
	s_waitcnt vmcnt(0)
	ds_store_b128 v5, v[6:9]
	v_add_nc_u32_e32 v5, 0x4000, v5
	s_and_not1_b32 exec_lo, exec_lo, s16
	s_cbranch_execnz .LBB264_4
.LBB264_5:
	s_or_b32 exec_lo, exec_lo, s15
	v_cmp_gt_u32_e32 vcc_lo, s18, v1
	v_cmp_gt_u32_e64 s2, s7, v80
	s_waitcnt lgkmcnt(0)
	s_barrier
	buffer_gl0_inv
	s_and_b32 s2, vcc_lo, s2
	s_delay_alu instid0(SALU_CYCLE_1)
	s_and_saveexec_b32 s14, s2
	s_cbranch_execz .LBB264_104
; %bb.6:
	s_cmp_lg_u32 s4, 0
	s_clause 0x1
	s_load_b64 s[14:15], s[0:1], 0x18
	s_load_b64 s[16:17], s[0:1], 0x30
	s_cselect_b32 s20, -1, 0
	s_add_i32 s21, s4, -8
	s_add_i32 s22, s7, -1
	s_cmp_lg_u64 s[12:13], 0
	v_mbcnt_lo_u32_b32 v2, -1, 0
	s_cselect_b32 s23, -1, 0
	s_abs_i32 s2, s11
	v_cmp_eq_u32_e64 s0, 63, v0
	v_cvt_f32_u32_e32 v1, s2
	v_lshlrev_b32_e32 v96, 4, v0
	v_cvt_f32_u32_e32 v3, s10
	s_sub_i32 s26, 0, s2
	s_mul_i32 s18, s19, s18
	v_rcp_iflag_f32_e32 v1, v1
	s_sub_i32 s24, s18, s7
	s_lshl_b32 s19, s6, 1
	s_sub_i32 s25, 0, s10
	s_add_i32 s24, s24, 2
	s_sub_i32 s27, 1, s2
	v_mad_u64_u32 v[85:86], null, s6, 3, v[82:83]
	v_mov_b32_e32 v84, 0
	s_waitcnt_depctr 0xfff
	v_dual_mul_f32 v1, 0x4f7ffffe, v1 :: v_dual_add_nc_u32 v98, s19, v82
	s_mov_b32 s11, 0
	v_add_nc_u32_e32 v97, s6, v82
	s_mul_i32 s6, s6, 6
	s_delay_alu instid0(VALU_DEP_2) | instskip(SKIP_1) | instid1(VALU_DEP_1)
	v_cvt_u32_f32_e32 v0, v1
	v_rcp_iflag_f32_e32 v1, v3
	v_readfirstlane_b32 s1, v0
	s_delay_alu instid0(VALU_DEP_1)
	s_mul_i32 s26, s26, s1
	s_waitcnt_depctr 0xfff
	v_mul_f32_e32 v0, 0x4f7ffffe, v1
	s_mul_hi_u32 s26, s1, s26
	v_xor_b32_e32 v1, 16, v2
	s_add_i32 s1, s1, s26
	s_cmp_lt_u32 s2, 2
	v_cvt_u32_f32_e32 v0, v0
	s_cselect_b32 s26, s27, 1
	v_cmp_gt_i32_e32 vcc_lo, 32, v1
	s_sub_i32 s27, s26, s2
	s_cmp_ge_u32 s26, s2
	v_mul_lo_u32 v3, s25, v0
	s_cselect_b32 s26, s27, s26
	s_lshr_b32 s27, s1, 31
	s_mul_hi_u32 s1, s1, 3
	s_mul_i32 s27, s27, s2
	s_mul_i32 s1, s1, s2
	s_sub_i32 s25, 2, s27
	v_cndmask_b32_e32 v1, v2, v1, vcc_lo
	s_sub_i32 s27, s25, s2
	s_cmp_ge_u32 s25, s2
	v_mul_hi_u32 v2, v0, v3
	s_cselect_b32 s25, s27, s25
	v_lshlrev_b32_e32 v99, 2, v1
	s_sub_i32 s27, s25, s2
	s_cmp_ge_u32 s25, s2
	s_cselect_b32 s27, s27, s25
	s_sub_i32 s1, 3, s1
	s_delay_alu instid0(VALU_DEP_2)
	v_add_nc_u32_e32 v100, v0, v2
	s_sub_i32 s25, s1, s2
	s_cmp_ge_u32 s1, s2
	s_cselect_b32 s1, s25, s1
	s_mul_i32 s25, s26, s10
	s_sub_i32 s28, s1, s2
	s_cmp_ge_u32 s1, s2
	s_mul_i32 s26, s27, s10
	s_cselect_b32 s1, s28, s1
	s_delay_alu instid0(SALU_CYCLE_1)
	s_mul_i32 s27, s1, s10
	s_branch .LBB264_9
.LBB264_7:                              ;   in Loop: Header=BB264_9 Depth=1
	s_or_b32 exec_lo, exec_lo, s2
	v_add_nc_u32_e32 v83, s7, v83
	s_delay_alu instid0(VALU_DEP_1) | instskip(NEXT) | instid1(VALU_DEP_1)
	v_lshlrev_b64 v[1:2], 1, v[83:84]
	v_add_co_u32 v1, vcc_lo, s16, v1
	s_delay_alu instid0(VALU_DEP_2)
	v_add_co_ci_u32_e32 v2, vcc_lo, s17, v2, vcc_lo
	global_store_d16_hi_b16 v[1:2], v0, off
.LBB264_8:                              ;   in Loop: Header=BB264_9 Depth=1
	s_or_b32 exec_lo, exec_lo, s1
	v_add_nc_u32_e32 v0, s18, v80
	s_waitcnt lgkmcnt(0)
	s_delay_alu instid0(VALU_DEP_1) | instskip(SKIP_1) | instid1(VALU_DEP_2)
	v_add_nc_u32_e32 v1, 1, v0
	v_cmp_le_u32_e32 vcc_lo, s7, v0
	v_cmp_gt_u32_e64 s1, s7, v1
	v_add_nc_u32_e32 v1, s24, v80
	s_delay_alu instid0(VALU_DEP_2) | instskip(NEXT) | instid1(VALU_DEP_1)
	s_or_b32 vcc_lo, vcc_lo, s1
	v_cmp_eq_u32_e64 s1, 1, v1
	v_cndmask_b32_e32 v80, s22, v0, vcc_lo
	s_delay_alu instid0(VALU_DEP_2) | instskip(NEXT) | instid1(VALU_DEP_1)
	s_or_b32 vcc_lo, vcc_lo, s1
	v_cmp_le_u32_e64 s2, s7, v80
	v_cndmask_b32_e32 v95, 0, v95, vcc_lo
	s_delay_alu instid0(VALU_DEP_2) | instskip(NEXT) | instid1(SALU_CYCLE_1)
	s_or_b32 s11, s2, s11
	s_and_not1_b32 exec_lo, exec_lo, s11
	s_cbranch_execz .LBB264_104
.LBB264_9:                              ; =>This Loop Header: Depth=1
                                        ;     Child Loop BB264_16 Depth 2
	v_mov_b32_e32 v103, v84
	v_mov_b32_e32 v104, v84
	;; [unrolled: 1-line block ×4, first 2 shown]
	s_and_not1_b32 vcc_lo, exec_lo, s20
	s_cbranch_vccnz .LBB264_84
; %bb.10:                               ;   in Loop: Header=BB264_9 Depth=1
	v_min_u32_e32 v0, s22, v80
	v_dual_mov_b32 v106, 0 :: v_dual_mov_b32 v81, v96
	v_dual_mov_b32 v105, 0 :: v_dual_mov_b32 v104, 0
	s_delay_alu instid0(VALU_DEP_3) | instskip(SKIP_2) | instid1(VALU_DEP_2)
	v_mul_lo_u32 v83, v0, s5
	v_mov_b32_e32 v103, 0
	s_mov_b32 s1, 0
	v_lshlrev_b64 v[0:1], 1, v[83:84]
	s_waitcnt lgkmcnt(0)
	s_delay_alu instid0(VALU_DEP_1) | instskip(NEXT) | instid1(VALU_DEP_2)
	v_add_co_u32 v101, vcc_lo, s14, v0
	v_add_co_ci_u32_e32 v102, vcc_lo, s15, v1, vcc_lo
	s_branch .LBB264_16
.LBB264_11:                             ;   in Loop: Header=BB264_16 Depth=2
	s_or_b32 exec_lo, exec_lo, s31
.LBB264_12:                             ;   in Loop: Header=BB264_16 Depth=2
	s_delay_alu instid0(SALU_CYCLE_1)
	s_or_b32 exec_lo, exec_lo, s30
.LBB264_13:                             ;   in Loop: Header=BB264_16 Depth=2
	s_delay_alu instid0(SALU_CYCLE_1)
	s_or_b32 exec_lo, exec_lo, s29
.LBB264_14:                             ;   in Loop: Header=BB264_16 Depth=2
	s_delay_alu instid0(SALU_CYCLE_1)
	s_or_b32 exec_lo, exec_lo, s28
.LBB264_15:                             ;   in Loop: Header=BB264_16 Depth=2
	s_delay_alu instid0(SALU_CYCLE_1)
	s_or_b32 exec_lo, exec_lo, s2
	s_waitcnt vmcnt(0) lgkmcnt(0)
	v_and_b32_e32 v88, 0xffff0000, v33
	v_lshlrev_b32_e32 v89, 16, v33
	v_and_b32_e32 v33, 0xffff0000, v26
	v_and_b32_e32 v86, 0xffff0000, v32
	v_lshlrev_b32_e32 v87, 16, v32
	v_and_b32_e32 v32, 0xffff0000, v25
	v_lshlrev_b32_e32 v25, 16, v25
	v_lshlrev_b32_e32 v90, 16, v34
	;; [unrolled: 1-line block ×3, first 2 shown]
	s_addk_i32 s1, 0x800
	v_mul_f32_e32 v88, v88, v32
	v_and_b32_e32 v83, 0xffff0000, v24
	v_lshlrev_b32_e32 v24, 16, v24
	s_cmp_ge_u32 s1, s4
	v_add_nc_u32_e32 v81, 0x1000, v81
	v_fmac_f32_e32 v88, v89, v25
	v_mul_f32_e32 v86, v86, v83
	s_delay_alu instid0(VALU_DEP_1) | instskip(NEXT) | instid1(VALU_DEP_1)
	v_dual_fmac_f32 v86, v87, v24 :: v_dual_and_b32 v89, 0xffff0000, v35
	v_add_f32_e32 v86, v106, v86
	v_and_b32_e32 v87, 0xffff0000, v34
	v_and_b32_e32 v34, 0xffff0000, v27
	s_delay_alu instid0(VALU_DEP_2) | instskip(NEXT) | instid1(VALU_DEP_2)
	v_dual_add_f32 v86, v86, v88 :: v_dual_mul_f32 v87, v87, v33
	v_dual_mul_f32 v89, v89, v34 :: v_dual_lshlrev_b32 v88, 16, v35
	v_and_b32_e32 v35, 0xffff0000, v16
	s_delay_alu instid0(VALU_DEP_3) | instskip(SKIP_1) | instid1(VALU_DEP_2)
	v_dual_fmac_f32 v87, v90, v26 :: v_dual_lshlrev_b32 v16, 16, v16
	v_and_b32_e32 v90, 0xffff0000, v52
	v_add_f32_e32 v86, v86, v87
	v_lshlrev_b32_e32 v27, 16, v27
	v_lshlrev_b32_e32 v87, 16, v52
	s_delay_alu instid0(VALU_DEP_2) | instskip(SKIP_2) | instid1(VALU_DEP_3)
	v_dual_fmac_f32 v89, v88, v27 :: v_dual_and_b32 v52, 0xffff0000, v17
	v_mul_f32_e32 v88, v90, v35
	v_and_b32_e32 v90, 0xffff0000, v53
	v_add_f32_e32 v86, v86, v89
	s_delay_alu instid0(VALU_DEP_3) | instskip(SKIP_1) | instid1(VALU_DEP_4)
	v_dual_fmac_f32 v88, v87, v16 :: v_dual_lshlrev_b32 v87, 16, v53
	v_lshlrev_b32_e32 v17, 16, v17
	v_dual_mul_f32 v89, v90, v52 :: v_dual_and_b32 v90, 0xffff0000, v54
	s_delay_alu instid0(VALU_DEP_1) | instskip(SKIP_2) | instid1(VALU_DEP_3)
	v_dual_add_f32 v86, v86, v88 :: v_dual_fmac_f32 v89, v87, v17
	v_and_b32_e32 v53, 0xffff0000, v18
	v_lshlrev_b32_e32 v18, 16, v18
	v_dual_add_f32 v86, v86, v89 :: v_dual_lshlrev_b32 v87, 16, v54
	s_delay_alu instid0(VALU_DEP_3) | instskip(SKIP_2) | instid1(VALU_DEP_3)
	v_mul_f32_e32 v88, v90, v53
	v_and_b32_e32 v90, 0xffff0000, v55
	v_and_b32_e32 v54, 0xffff0000, v19
	v_dual_fmac_f32 v88, v87, v18 :: v_dual_lshlrev_b32 v87, 16, v55
	s_delay_alu instid0(VALU_DEP_2) | instskip(SKIP_1) | instid1(VALU_DEP_3)
	v_dual_mul_f32 v89, v90, v54 :: v_dual_and_b32 v90, 0xffff0000, v72
	v_and_b32_e32 v55, 0xffff0000, v12
	v_dual_add_f32 v86, v86, v88 :: v_dual_lshlrev_b32 v19, 16, v19
	v_lshlrev_b32_e32 v12, 16, v12
	s_delay_alu instid0(VALU_DEP_3) | instskip(NEXT) | instid1(VALU_DEP_3)
	v_mul_f32_e32 v88, v90, v55
	v_dual_fmac_f32 v89, v87, v19 :: v_dual_and_b32 v90, 0xffff0000, v73
	v_lshlrev_b32_e32 v87, 16, v72
	v_and_b32_e32 v72, 0xffff0000, v13
	s_delay_alu instid0(VALU_DEP_3) | instskip(NEXT) | instid1(VALU_DEP_3)
	v_add_f32_e32 v86, v86, v89
	v_dual_fmac_f32 v88, v87, v12 :: v_dual_lshlrev_b32 v87, 16, v73
	v_lshlrev_b32_e32 v13, 16, v13
	s_delay_alu instid0(VALU_DEP_4) | instskip(NEXT) | instid1(VALU_DEP_1)
	v_dual_mul_f32 v89, v90, v72 :: v_dual_and_b32 v90, 0xffff0000, v74
	v_dual_add_f32 v86, v86, v88 :: v_dual_fmac_f32 v89, v87, v13
	v_and_b32_e32 v73, 0xffff0000, v14
	v_lshlrev_b32_e32 v14, 16, v14
	s_delay_alu instid0(VALU_DEP_3) | instskip(NEXT) | instid1(VALU_DEP_3)
	v_dual_add_f32 v86, v86, v89 :: v_dual_lshlrev_b32 v87, 16, v74
	v_mul_f32_e32 v88, v90, v73
	v_and_b32_e32 v90, 0xffff0000, v75
	v_and_b32_e32 v74, 0xffff0000, v15
	s_delay_alu instid0(VALU_DEP_3) | instskip(NEXT) | instid1(VALU_DEP_2)
	v_dual_fmac_f32 v88, v87, v14 :: v_dual_lshlrev_b32 v87, 16, v75
	v_mul_f32_e32 v89, v90, v74
	v_and_b32_e32 v75, 0xffff0000, v0
	v_lshlrev_b32_e32 v0, 16, v0
	s_delay_alu instid0(VALU_DEP_4) | instskip(SKIP_1) | instid1(VALU_DEP_2)
	v_dual_add_f32 v86, v86, v88 :: v_dual_lshlrev_b32 v15, 16, v15
	v_and_b32_e32 v88, 0xffff0000, v76
	v_dual_fmac_f32 v89, v87, v15 :: v_dual_lshlrev_b32 v76, 16, v76
	s_delay_alu instid0(VALU_DEP_2) | instskip(SKIP_1) | instid1(VALU_DEP_2)
	v_dual_mul_f32 v88, v88, v75 :: v_dual_and_b32 v87, 0xffff0000, v20
	v_lshlrev_b32_e32 v20, 16, v20
	v_dual_add_f32 v86, v86, v89 :: v_dual_mul_f32 v87, v87, v83
	s_delay_alu instid0(VALU_DEP_3) | instskip(NEXT) | instid1(VALU_DEP_2)
	v_dual_fmac_f32 v88, v76, v0 :: v_dual_and_b32 v89, 0xffff0000, v21
	v_dual_fmac_f32 v87, v20, v24 :: v_dual_lshlrev_b32 v20, 16, v21
	s_delay_alu instid0(VALU_DEP_2) | instskip(NEXT) | instid1(VALU_DEP_3)
	v_mul_f32_e32 v21, v89, v32
	v_add_f32_e32 v76, v86, v88
	s_delay_alu instid0(VALU_DEP_3) | instskip(SKIP_1) | instid1(VALU_DEP_4)
	v_dual_add_f32 v87, v105, v87 :: v_dual_and_b32 v88, 0xffff0000, v77
	v_lshlrev_b32_e32 v77, 16, v77
	v_dual_fmac_f32 v21, v20, v25 :: v_dual_lshlrev_b32 v20, 16, v22
	v_and_b32_e32 v89, 0xffff0000, v1
	v_lshlrev_b32_e32 v1, 16, v1
	s_delay_alu instid0(VALU_DEP_3) | instskip(NEXT) | instid1(VALU_DEP_3)
	v_add_f32_e32 v21, v87, v21
	v_mul_f32_e32 v87, v88, v89
	s_delay_alu instid0(VALU_DEP_1) | instskip(NEXT) | instid1(VALU_DEP_1)
	v_dual_fmac_f32 v87, v77, v1 :: v_dual_and_b32 v86, 0xffff0000, v22
	v_mul_f32_e32 v22, v86, v33
	s_delay_alu instid0(VALU_DEP_1) | instskip(NEXT) | instid1(VALU_DEP_1)
	v_fmac_f32_e32 v22, v20, v26
	v_dual_add_f32 v21, v21, v22 :: v_dual_lshlrev_b32 v20, 16, v23
	v_and_b32_e32 v86, 0xffff0000, v23
	s_delay_alu instid0(VALU_DEP_1) | instskip(NEXT) | instid1(VALU_DEP_1)
	v_dual_mul_f32 v23, v86, v34 :: v_dual_and_b32 v86, 0xffff0000, v40
	v_dual_fmac_f32 v23, v20, v27 :: v_dual_lshlrev_b32 v20, 16, v40
	s_delay_alu instid0(VALU_DEP_2) | instskip(SKIP_2) | instid1(VALU_DEP_3)
	v_mul_f32_e32 v22, v86, v35
	v_and_b32_e32 v40, 0xffff0000, v41
	v_and_b32_e32 v77, 0xffff0000, v78
	v_dual_add_f32 v21, v21, v23 :: v_dual_fmac_f32 v22, v20, v16
	s_delay_alu instid0(VALU_DEP_3) | instskip(SKIP_1) | instid1(VALU_DEP_3)
	v_dual_mul_f32 v23, v40, v52 :: v_dual_lshlrev_b32 v20, 16, v41
	v_and_b32_e32 v41, 0xffff0000, v42
	v_add_f32_e32 v21, v21, v22
	s_delay_alu instid0(VALU_DEP_3) | instskip(NEXT) | instid1(VALU_DEP_3)
	v_dual_fmac_f32 v23, v20, v17 :: v_dual_lshlrev_b32 v20, 16, v42
	v_dual_mul_f32 v22, v41, v53 :: v_dual_and_b32 v41, 0xffff0000, v43
	s_delay_alu instid0(VALU_DEP_1) | instskip(NEXT) | instid1(VALU_DEP_2)
	v_dual_add_f32 v21, v21, v23 :: v_dual_fmac_f32 v22, v20, v18
	v_dual_mul_f32 v23, v41, v54 :: v_dual_lshlrev_b32 v20, 16, v43
	v_and_b32_e32 v43, 0xffff0000, v64
	v_add_f32_e32 v41, v76, v87
	s_delay_alu instid0(VALU_DEP_4) | instskip(NEXT) | instid1(VALU_DEP_4)
	v_add_f32_e32 v21, v21, v22
	v_dual_fmac_f32 v23, v20, v19 :: v_dual_lshlrev_b32 v20, 16, v64
	s_delay_alu instid0(VALU_DEP_4) | instskip(NEXT) | instid1(VALU_DEP_1)
	v_dual_mul_f32 v22, v43, v55 :: v_dual_and_b32 v43, 0xffff0000, v65
	v_dual_add_f32 v21, v21, v23 :: v_dual_fmac_f32 v22, v20, v12
	s_delay_alu instid0(VALU_DEP_2) | instskip(SKIP_2) | instid1(VALU_DEP_4)
	v_dual_mul_f32 v23, v43, v72 :: v_dual_lshlrev_b32 v20, 16, v65
	v_lshlrev_b32_e32 v40, 16, v78
	v_and_b32_e32 v65, 0xffff0000, v66
	v_add_f32_e32 v21, v21, v22
	v_and_b32_e32 v43, 0xffff0000, v3
	v_dual_fmac_f32 v23, v20, v13 :: v_dual_lshlrev_b32 v20, 16, v66
	s_delay_alu instid0(VALU_DEP_4) | instskip(NEXT) | instid1(VALU_DEP_2)
	v_dual_mul_f32 v22, v65, v73 :: v_dual_lshlrev_b32 v3, 16, v3
	v_add_f32_e32 v21, v21, v23
	s_delay_alu instid0(VALU_DEP_2) | instskip(NEXT) | instid1(VALU_DEP_1)
	v_dual_fmac_f32 v22, v20, v14 :: v_dual_and_b32 v23, 0xffff0000, v67
	v_dual_mul_f32 v23, v23, v74 :: v_dual_lshlrev_b32 v20, 16, v67
	v_and_b32_e32 v78, 0xffff0000, v2
	s_delay_alu instid0(VALU_DEP_3) | instskip(NEXT) | instid1(VALU_DEP_2)
	v_add_f32_e32 v21, v21, v22
	v_dual_fmac_f32 v23, v20, v15 :: v_dual_mul_f32 v42, v77, v78
	v_and_b32_e32 v20, 0xffff0000, v9
	v_lshlrev_b32_e32 v2, 16, v2
	s_delay_alu instid0(VALU_DEP_1) | instskip(NEXT) | instid1(VALU_DEP_1)
	v_fmac_f32_e32 v42, v40, v2
	v_dual_add_f32 v41, v41, v42 :: v_dual_and_b32 v42, 0xffff0000, v8
	v_lshlrev_b32_e32 v8, 16, v8
	s_delay_alu instid0(VALU_DEP_2) | instskip(NEXT) | instid1(VALU_DEP_1)
	v_mul_f32_e32 v42, v42, v83
	v_fmac_f32_e32 v42, v8, v24
	v_dual_mul_f32 v9, v20, v32 :: v_dual_lshlrev_b32 v8, 16, v9
	v_dual_add_f32 v20, v21, v23 :: v_dual_and_b32 v21, 0xffff0000, v10
	s_delay_alu instid0(VALU_DEP_3) | instskip(NEXT) | instid1(VALU_DEP_3)
	v_add_f32_e32 v23, v104, v42
	v_dual_fmac_f32 v9, v8, v25 :: v_dual_lshlrev_b32 v8, 16, v10
	s_delay_alu instid0(VALU_DEP_3) | instskip(NEXT) | instid1(VALU_DEP_2)
	v_dual_mul_f32 v10, v21, v33 :: v_dual_and_b32 v21, 0xffff0000, v11
	v_dual_add_f32 v9, v23, v9 :: v_dual_and_b32 v40, 0xffff0000, v79
	v_lshlrev_b32_e32 v64, 16, v79
	s_delay_alu instid0(VALU_DEP_3) | instskip(NEXT) | instid1(VALU_DEP_4)
	v_fmac_f32_e32 v10, v8, v26
	v_dual_mul_f32 v11, v21, v34 :: v_dual_lshlrev_b32 v8, 16, v11
	s_delay_alu instid0(VALU_DEP_4) | instskip(NEXT) | instid1(VALU_DEP_3)
	v_dual_mul_f32 v40, v40, v43 :: v_dual_and_b32 v23, 0xffff0000, v36
	v_add_f32_e32 v9, v9, v10
	v_lshlrev_b32_e32 v21, 16, v69
	s_delay_alu instid0(VALU_DEP_4) | instskip(NEXT) | instid1(VALU_DEP_4)
	v_dual_fmac_f32 v11, v8, v27 :: v_dual_lshlrev_b32 v8, 16, v36
	v_dual_mul_f32 v10, v23, v35 :: v_dual_and_b32 v23, 0xffff0000, v70
	v_and_b32_e32 v22, 0xffff0000, v68
	v_fmac_f32_e32 v40, v64, v3
	s_delay_alu instid0(VALU_DEP_3) | instskip(SKIP_2) | instid1(VALU_DEP_3)
	v_dual_add_f32 v9, v9, v11 :: v_dual_fmac_f32 v10, v8, v16
	v_lshlrev_b32_e32 v8, 16, v37
	v_dual_mul_f32 v23, v23, v78 :: v_dual_lshlrev_b32 v64, 16, v68
	v_dual_mul_f32 v22, v22, v75 :: v_dual_add_f32 v9, v9, v10
	v_add_f32_e32 v106, v41, v40
	s_delay_alu instid0(VALU_DEP_2) | instskip(NEXT) | instid1(VALU_DEP_1)
	v_fmac_f32_e32 v22, v64, v0
	v_add_f32_e32 v20, v20, v22
	v_and_b32_e32 v22, 0xffff0000, v69
	s_delay_alu instid0(VALU_DEP_1) | instskip(NEXT) | instid1(VALU_DEP_1)
	v_mul_f32_e32 v22, v22, v89
	v_fmac_f32_e32 v22, v21, v1
	v_and_b32_e32 v21, 0xffff0000, v37
	s_delay_alu instid0(VALU_DEP_1) | instskip(SKIP_1) | instid1(VALU_DEP_2)
	v_mul_f32_e32 v11, v21, v52
	v_lshlrev_b32_e32 v21, 16, v70
	v_fmac_f32_e32 v11, v8, v17
	s_delay_alu instid0(VALU_DEP_2) | instskip(SKIP_4) | instid1(VALU_DEP_4)
	v_fmac_f32_e32 v23, v21, v2
	v_dual_add_f32 v20, v20, v22 :: v_dual_and_b32 v21, 0xffff0000, v48
	v_lshlrev_b32_e32 v8, 16, v38
	v_and_b32_e32 v22, 0xffff0000, v39
	v_add_f32_e32 v9, v9, v11
	v_dual_add_f32 v20, v20, v23 :: v_dual_and_b32 v23, 0xffff0000, v49
	s_delay_alu instid0(VALU_DEP_3) | instskip(NEXT) | instid1(VALU_DEP_2)
	v_mul_f32_e32 v11, v22, v54
	v_dual_mul_f32 v23, v23, v72 :: v_dual_and_b32 v36, 0xffff0000, v38
	s_delay_alu instid0(VALU_DEP_1) | instskip(NEXT) | instid1(VALU_DEP_1)
	v_mul_f32_e32 v10, v36, v53
	v_fmac_f32_e32 v10, v8, v18
	s_delay_alu instid0(VALU_DEP_1) | instskip(NEXT) | instid1(VALU_DEP_1)
	v_dual_add_f32 v9, v9, v10 :: v_dual_lshlrev_b32 v8, 16, v39
	v_dual_fmac_f32 v11, v8, v19 :: v_dual_lshlrev_b32 v8, 16, v48
	v_mul_f32_e32 v10, v21, v55
	v_lshlrev_b32_e32 v21, 16, v71
	s_delay_alu instid0(VALU_DEP_3) | instskip(SKIP_1) | instid1(VALU_DEP_4)
	v_add_f32_e32 v9, v9, v11
	v_and_b32_e32 v11, 0xffff0000, v4
	v_fmac_f32_e32 v10, v8, v12
	s_delay_alu instid0(VALU_DEP_2) | instskip(NEXT) | instid1(VALU_DEP_2)
	v_dual_mul_f32 v11, v11, v83 :: v_dual_lshlrev_b32 v4, 16, v4
	v_dual_add_f32 v9, v9, v10 :: v_dual_and_b32 v10, 0xffff0000, v5
	s_delay_alu instid0(VALU_DEP_2) | instskip(NEXT) | instid1(VALU_DEP_2)
	v_dual_fmac_f32 v11, v4, v24 :: v_dual_lshlrev_b32 v4, 16, v5
	v_dual_mul_f32 v5, v10, v32 :: v_dual_and_b32 v10, 0xffff0000, v6
	s_delay_alu instid0(VALU_DEP_2) | instskip(NEXT) | instid1(VALU_DEP_2)
	v_add_f32_e32 v11, v103, v11
	v_dual_fmac_f32 v5, v4, v25 :: v_dual_lshlrev_b32 v4, 16, v6
	s_delay_alu instid0(VALU_DEP_3) | instskip(NEXT) | instid1(VALU_DEP_2)
	v_mul_f32_e32 v6, v10, v33
	v_dual_add_f32 v5, v11, v5 :: v_dual_lshlrev_b32 v10, 16, v50
	v_and_b32_e32 v11, 0xffff0000, v51
	v_lshlrev_b32_e32 v8, 16, v49
	s_delay_alu instid0(VALU_DEP_4) | instskip(SKIP_1) | instid1(VALU_DEP_4)
	v_fmac_f32_e32 v6, v4, v26
	v_and_b32_e32 v22, 0xffff0000, v71
	v_dual_mul_f32 v11, v11, v74 :: v_dual_lshlrev_b32 v4, 16, v7
	s_delay_alu instid0(VALU_DEP_4) | instskip(NEXT) | instid1(VALU_DEP_4)
	v_fmac_f32_e32 v23, v8, v13
	v_add_f32_e32 v5, v5, v6
	s_delay_alu instid0(VALU_DEP_2) | instskip(SKIP_3) | instid1(VALU_DEP_3)
	v_add_f32_e32 v9, v9, v23
	v_and_b32_e32 v23, 0xffff0000, v7
	v_mul_f32_e32 v8, v22, v43
	v_and_b32_e32 v22, 0xffff0000, v50
	v_mul_f32_e32 v7, v23, v34
	v_and_b32_e32 v23, 0xffff0000, v29
	s_delay_alu instid0(VALU_DEP_2) | instskip(NEXT) | instid1(VALU_DEP_1)
	v_dual_fmac_f32 v7, v4, v27 :: v_dual_lshlrev_b32 v4, 16, v28
	v_dual_add_f32 v5, v5, v7 :: v_dual_mul_f32 v22, v22, v73
	s_delay_alu instid0(VALU_DEP_1) | instskip(SKIP_1) | instid1(VALU_DEP_1)
	v_dual_mul_f32 v7, v23, v52 :: v_dual_fmac_f32 v22, v10, v14
	v_and_b32_e32 v10, 0xffff0000, v28
	v_mul_f32_e32 v6, v10, v35
	v_lshlrev_b32_e32 v10, 16, v51
	s_delay_alu instid0(VALU_DEP_2) | instskip(SKIP_1) | instid1(VALU_DEP_3)
	v_fmac_f32_e32 v6, v4, v16
	v_lshlrev_b32_e32 v4, 16, v29
	v_dual_fmac_f32 v11, v10, v15 :: v_dual_and_b32 v16, 0xffff0000, v30
	s_delay_alu instid0(VALU_DEP_3) | instskip(NEXT) | instid1(VALU_DEP_3)
	v_dual_add_f32 v5, v5, v6 :: v_dual_and_b32 v10, 0xffff0000, v31
	v_dual_fmac_f32 v7, v4, v17 :: v_dual_lshlrev_b32 v4, 16, v30
	s_delay_alu instid0(VALU_DEP_3) | instskip(NEXT) | instid1(VALU_DEP_2)
	v_mul_f32_e32 v6, v16, v53
	v_dual_add_f32 v5, v5, v7 :: v_dual_and_b32 v16, 0xffff0000, v44
	s_delay_alu instid0(VALU_DEP_4) | instskip(NEXT) | instid1(VALU_DEP_3)
	v_mul_f32_e32 v7, v10, v54
	v_fmac_f32_e32 v6, v4, v18
	v_lshlrev_b32_e32 v4, 16, v31
	s_delay_alu instid0(VALU_DEP_2) | instskip(NEXT) | instid1(VALU_DEP_2)
	v_dual_add_f32 v5, v5, v6 :: v_dual_lshlrev_b32 v10, 16, v56
	v_fmac_f32_e32 v7, v4, v19
	v_dual_add_f32 v9, v9, v22 :: v_dual_lshlrev_b32 v4, 16, v44
	v_mul_f32_e32 v6, v16, v55
	v_fmac_f32_e32 v8, v21, v3
	s_delay_alu instid0(VALU_DEP_4) | instskip(NEXT) | instid1(VALU_DEP_4)
	v_add_f32_e32 v5, v5, v7
	v_add_f32_e32 v9, v9, v11
	v_and_b32_e32 v11, 0xffff0000, v56
	v_fmac_f32_e32 v6, v4, v12
	v_lshlrev_b32_e32 v4, 16, v45
	v_dual_add_f32 v105, v20, v8 :: v_dual_and_b32 v12, 0xffff0000, v46
	s_delay_alu instid0(VALU_DEP_4) | instskip(NEXT) | instid1(VALU_DEP_2)
	v_mul_f32_e32 v11, v11, v75
	v_dual_add_f32 v5, v5, v6 :: v_dual_mul_f32 v6, v12, v73
	s_delay_alu instid0(VALU_DEP_2) | instskip(NEXT) | instid1(VALU_DEP_1)
	v_dual_fmac_f32 v11, v10, v0 :: v_dual_and_b32 v12, 0xffff0000, v61
	v_dual_add_f32 v9, v9, v11 :: v_dual_and_b32 v10, 0xffff0000, v45
	s_delay_alu instid0(VALU_DEP_1) | instskip(SKIP_2) | instid1(VALU_DEP_3)
	v_mul_f32_e32 v7, v10, v72
	v_and_b32_e32 v11, 0xffff0000, v47
	v_lshlrev_b32_e32 v10, 16, v57
	v_dual_fmac_f32 v7, v4, v13 :: v_dual_lshlrev_b32 v4, 16, v46
	s_delay_alu instid0(VALU_DEP_1) | instskip(NEXT) | instid1(VALU_DEP_4)
	v_dual_add_f32 v5, v5, v7 :: v_dual_fmac_f32 v6, v4, v14
	v_dual_mul_f32 v7, v11, v74 :: v_dual_lshlrev_b32 v4, 16, v47
	v_and_b32_e32 v11, 0xffff0000, v58
	s_delay_alu instid0(VALU_DEP_3) | instskip(NEXT) | instid1(VALU_DEP_3)
	v_add_f32_e32 v5, v5, v6
	v_dual_fmac_f32 v7, v4, v15 :: v_dual_lshlrev_b32 v4, 16, v60
	s_delay_alu instid0(VALU_DEP_3) | instskip(NEXT) | instid1(VALU_DEP_2)
	v_mul_f32_e32 v11, v11, v78
	v_add_f32_e32 v5, v5, v7
	v_and_b32_e32 v7, 0xffff0000, v62
	v_and_b32_e32 v16, 0xffff0000, v57
	s_delay_alu instid0(VALU_DEP_1) | instskip(NEXT) | instid1(VALU_DEP_1)
	v_mul_f32_e32 v16, v16, v89
	v_fmac_f32_e32 v16, v10, v1
	v_and_b32_e32 v10, 0xffff0000, v60
	s_delay_alu instid0(VALU_DEP_1) | instskip(SKIP_1) | instid1(VALU_DEP_2)
	v_dual_add_f32 v9, v9, v16 :: v_dual_mul_f32 v6, v10, v75
	v_lshlrev_b32_e32 v10, 16, v58
	v_fmac_f32_e32 v6, v4, v0
	v_lshlrev_b32_e32 v0, 16, v61
	s_delay_alu instid0(VALU_DEP_3) | instskip(NEXT) | instid1(VALU_DEP_3)
	v_dual_mul_f32 v4, v12, v89 :: v_dual_fmac_f32 v11, v10, v2
	v_dual_add_f32 v5, v5, v6 :: v_dual_and_b32 v10, 0xffff0000, v59
	v_lshlrev_b32_e32 v6, 16, v59
	s_delay_alu instid0(VALU_DEP_3)
	v_fmac_f32_e32 v4, v0, v1
	v_lshlrev_b32_e32 v0, 16, v62
	v_mul_f32_e32 v1, v7, v78
	v_and_b32_e32 v7, 0xffff0000, v63
	v_mul_f32_e32 v10, v10, v43
	v_add_f32_e32 v4, v5, v4
	v_add_f32_e32 v5, v9, v11
	v_dual_fmac_f32 v1, v0, v2 :: v_dual_lshlrev_b32 v0, 16, v63
	v_mul_f32_e32 v2, v7, v43
	s_delay_alu instid0(VALU_DEP_2) | instskip(NEXT) | instid1(VALU_DEP_2)
	v_dual_fmac_f32 v10, v6, v3 :: v_dual_add_f32 v1, v4, v1
	v_fmac_f32_e32 v2, v0, v3
	s_delay_alu instid0(VALU_DEP_2) | instskip(NEXT) | instid1(VALU_DEP_2)
	v_add_f32_e32 v104, v5, v10
	v_add_f32_e32 v103, v1, v2
	s_cbranch_scc1 .LBB264_84
.LBB264_16:                             ;   Parent Loop BB264_9 Depth=1
                                        ; =>  This Inner Loop Header: Depth=2
	v_dual_mov_b32 v62, 0 :: v_dual_add_nc_u32 v87, s1, v82
	v_dual_mov_b32 v59, 0 :: v_dual_mov_b32 v58, 0
	v_dual_mov_b32 v57, 0 :: v_dual_mov_b32 v56, 0
	s_delay_alu instid0(VALU_DEP_3) | instskip(SKIP_2) | instid1(VALU_DEP_3)
	v_min_u32_e32 v83, s21, v87
	v_dual_mov_b32 v60, 0 :: v_dual_add_nc_u32 v93, 0x200, v87
	v_dual_mov_b32 v63, 0 :: v_dual_add_nc_u32 v92, 0x400, v87
	v_lshlrev_b64 v[0:1], 1, v[83:84]
	s_delay_alu instid0(VALU_DEP_3) | instskip(SKIP_2) | instid1(VALU_DEP_3)
	v_min_u32_e32 v83, s21, v93
	v_dual_mov_b32 v61, 0 :: v_dual_add_nc_u32 v86, 0x600, v87
	v_dual_mov_b32 v71, 0 :: v_dual_mov_b32 v70, 0
	v_lshlrev_b64 v[2:3], 1, v[83:84]
	v_min_u32_e32 v83, s21, v92
	v_add_co_u32 v0, vcc_lo, v101, v0
	v_add_co_ci_u32_e32 v1, vcc_lo, v102, v1, vcc_lo
	s_waitcnt vmcnt(0)
	s_delay_alu instid0(VALU_DEP_3) | instskip(SKIP_3) | instid1(VALU_DEP_3)
	v_lshlrev_b64 v[4:5], 1, v[83:84]
	v_min_u32_e32 v83, s21, v86
	v_add_co_u32 v2, vcc_lo, v101, v2
	v_add_co_ci_u32_e32 v3, vcc_lo, v102, v3, vcc_lo
	v_lshlrev_b64 v[6:7], 1, v[83:84]
	v_add_co_u32 v4, vcc_lo, v101, v4
	v_add_co_ci_u32_e32 v5, vcc_lo, v102, v5, vcc_lo
	v_dual_mov_b32 v69, 0 :: v_dual_mov_b32 v68, 0
	s_delay_alu instid0(VALU_DEP_4)
	v_add_co_u32 v6, vcc_lo, v101, v6
	v_add_co_ci_u32_e32 v7, vcc_lo, v102, v7, vcc_lo
	s_clause 0x3
	global_load_b128 v[24:27], v[0:1], off slc dlc
	global_load_b128 v[16:19], v[2:3], off slc dlc
	global_load_b128 v[12:15], v[4:5], off slc dlc
	global_load_b128 v[0:3], v[6:7], off slc dlc
	v_cmp_gt_u32_e32 vcc_lo, s4, v87
	v_dual_mov_b32 v79, 0 :: v_dual_mov_b32 v78, 0
	v_dual_mov_b32 v77, 0 :: v_dual_mov_b32 v76, 0
	;; [unrolled: 1-line block ×26, first 2 shown]
	s_and_saveexec_b32 s2, vcc_lo
	s_cbranch_execz .LBB264_15
; %bb.17:                               ;   in Loop: Header=BB264_16 Depth=2
	s_mov_b32 s28, exec_lo
                                        ; implicit-def: $vgpr35
	v_cmpx_lt_u32_e32 0x7fff, v87
	s_xor_b32 s28, exec_lo, s28
	s_cbranch_execz .LBB264_19
; %bb.18:                               ;   in Loop: Header=BB264_16 Depth=2
	v_mov_b32_e32 v88, v84
	s_delay_alu instid0(VALU_DEP_1) | instskip(NEXT) | instid1(VALU_DEP_1)
	v_lshlrev_b64 v[4:5], 1, v[87:88]
	v_add_co_u32 v4, vcc_lo, s8, v4
	s_delay_alu instid0(VALU_DEP_2)
	v_add_co_ci_u32_e32 v5, vcc_lo, s9, v5, vcc_lo
	global_load_b128 v[32:35], v[4:5], off
.LBB264_19:                             ;   in Loop: Header=BB264_16 Depth=2
	s_and_not1_saveexec_b32 s28, s28
	s_cbranch_execz .LBB264_21
; %bb.20:                               ;   in Loop: Header=BB264_16 Depth=2
	s_waitcnt vmcnt(0)
	ds_load_b128 v[32:35], v81
.LBB264_21:                             ;   in Loop: Header=BB264_16 Depth=2
	s_or_b32 exec_lo, exec_lo, s28
	v_add_nc_u32_e32 v83, s1, v97
	s_mov_b32 s28, exec_lo
                                        ; implicit-def: $vgpr23
	s_delay_alu instid0(VALU_DEP_1)
	v_cmpx_lt_u32_e32 0x7fff, v83
	s_xor_b32 s28, exec_lo, s28
	s_cbranch_execz .LBB264_23
; %bb.22:                               ;   in Loop: Header=BB264_16 Depth=2
	v_lshlrev_b64 v[4:5], 1, v[83:84]
	s_delay_alu instid0(VALU_DEP_1) | instskip(NEXT) | instid1(VALU_DEP_2)
	v_add_co_u32 v4, vcc_lo, s8, v4
	v_add_co_ci_u32_e32 v5, vcc_lo, s9, v5, vcc_lo
	global_load_b128 v[20:23], v[4:5], off
.LBB264_23:                             ;   in Loop: Header=BB264_16 Depth=2
	s_and_not1_saveexec_b32 s28, s28
	s_cbranch_execz .LBB264_25
; %bb.24:                               ;   in Loop: Header=BB264_16 Depth=2
	v_add_nc_u32_e32 v4, s19, v81
	s_waitcnt vmcnt(0)
	ds_load_b128 v[20:23], v4
.LBB264_25:                             ;   in Loop: Header=BB264_16 Depth=2
	s_or_b32 exec_lo, exec_lo, s28
	v_add_nc_u32_e32 v90, s1, v98
	s_mov_b32 s28, exec_lo
                                        ; implicit-def: $vgpr11
	s_delay_alu instid0(VALU_DEP_1)
	v_cmpx_lt_u32_e32 0x7fff, v90
	s_xor_b32 s28, exec_lo, s28
	s_cbranch_execz .LBB264_27
; %bb.26:                               ;   in Loop: Header=BB264_16 Depth=2
	v_mov_b32_e32 v91, v84
	s_delay_alu instid0(VALU_DEP_1) | instskip(NEXT) | instid1(VALU_DEP_1)
	v_lshlrev_b64 v[4:5], 1, v[90:91]
	v_add_co_u32 v4, vcc_lo, s8, v4
	s_delay_alu instid0(VALU_DEP_2)
	v_add_co_ci_u32_e32 v5, vcc_lo, s9, v5, vcc_lo
	global_load_b128 v[8:11], v[4:5], off
.LBB264_27:                             ;   in Loop: Header=BB264_16 Depth=2
	s_and_not1_saveexec_b32 s28, s28
	s_cbranch_execz .LBB264_29
; %bb.28:                               ;   in Loop: Header=BB264_16 Depth=2
	v_add_nc_u32_e32 v4, s3, v81
	s_waitcnt vmcnt(0)
	ds_load_2addr_b32 v[8:9], v4 offset1:1
	ds_load_2addr_b32 v[10:11], v4 offset0:2 offset1:3
.LBB264_29:                             ;   in Loop: Header=BB264_16 Depth=2
	s_or_b32 exec_lo, exec_lo, s28
	v_add_nc_u32_e32 v88, s1, v85
	s_mov_b32 s28, exec_lo
                                        ; implicit-def: $vgpr7
	s_delay_alu instid0(VALU_DEP_1)
	v_cmpx_lt_u32_e32 0x7fff, v88
	s_xor_b32 s28, exec_lo, s28
	s_cbranch_execz .LBB264_31
; %bb.30:                               ;   in Loop: Header=BB264_16 Depth=2
	v_mov_b32_e32 v89, v84
	s_delay_alu instid0(VALU_DEP_1) | instskip(NEXT) | instid1(VALU_DEP_1)
	v_lshlrev_b64 v[4:5], 1, v[88:89]
	v_add_co_u32 v4, vcc_lo, s8, v4
	s_delay_alu instid0(VALU_DEP_2)
	v_add_co_ci_u32_e32 v5, vcc_lo, s9, v5, vcc_lo
	global_load_b128 v[4:7], v[4:5], off
.LBB264_31:                             ;   in Loop: Header=BB264_16 Depth=2
	s_and_not1_saveexec_b32 s28, s28
	s_cbranch_execz .LBB264_33
; %bb.32:                               ;   in Loop: Header=BB264_16 Depth=2
	s_waitcnt vmcnt(0)
	v_add_nc_u32_e32 v4, s6, v81
	ds_load_b128 v[4:7], v4
.LBB264_33:                             ;   in Loop: Header=BB264_16 Depth=2
	s_or_b32 exec_lo, exec_lo, s28
	v_cmp_gt_u32_e32 vcc_lo, s4, v93
	v_dual_mov_b32 v63, 0 :: v_dual_mov_b32 v62, 0
	v_dual_mov_b32 v61, 0 :: v_dual_mov_b32 v60, 0
	;; [unrolled: 1-line block ×24, first 2 shown]
	s_and_saveexec_b32 s28, vcc_lo
	s_cbranch_execz .LBB264_14
; %bb.34:                               ;   in Loop: Header=BB264_16 Depth=2
	s_mov_b32 s29, exec_lo
                                        ; implicit-def: $vgpr55
	v_cmpx_lt_u32_e32 0x7fff, v93
	s_xor_b32 s29, exec_lo, s29
	s_cbranch_execz .LBB264_36
; %bb.35:                               ;   in Loop: Header=BB264_16 Depth=2
	v_mov_b32_e32 v94, v84
	s_delay_alu instid0(VALU_DEP_1) | instskip(NEXT) | instid1(VALU_DEP_1)
	v_lshlrev_b64 v[28:29], 1, v[93:94]
	v_add_co_u32 v28, vcc_lo, s8, v28
	s_delay_alu instid0(VALU_DEP_2)
	v_add_co_ci_u32_e32 v29, vcc_lo, s9, v29, vcc_lo
	global_load_b128 v[52:55], v[28:29], off
.LBB264_36:                             ;   in Loop: Header=BB264_16 Depth=2
	s_and_not1_saveexec_b32 s29, s29
	s_cbranch_execz .LBB264_38
; %bb.37:                               ;   in Loop: Header=BB264_16 Depth=2
	s_waitcnt vmcnt(0)
	ds_load_b128 v[52:55], v81 offset:1024
.LBB264_38:                             ;   in Loop: Header=BB264_16 Depth=2
	s_or_b32 exec_lo, exec_lo, s29
	v_add_nc_u32_e32 v28, 0x200, v83
	s_mov_b32 s29, exec_lo
                                        ; implicit-def: $vgpr43
	s_delay_alu instid0(VALU_DEP_1)
	v_cmpx_lt_u32_e32 0x7fff, v28
	s_xor_b32 s29, exec_lo, s29
	s_cbranch_execz .LBB264_40
; %bb.39:                               ;   in Loop: Header=BB264_16 Depth=2
	v_mov_b32_e32 v29, v84
	s_delay_alu instid0(VALU_DEP_1) | instskip(NEXT) | instid1(VALU_DEP_1)
	v_lshlrev_b64 v[28:29], 1, v[28:29]
	v_add_co_u32 v28, vcc_lo, s8, v28
	s_delay_alu instid0(VALU_DEP_2)
	v_add_co_ci_u32_e32 v29, vcc_lo, s9, v29, vcc_lo
	global_load_b128 v[40:43], v[28:29], off
.LBB264_40:                             ;   in Loop: Header=BB264_16 Depth=2
	s_and_not1_saveexec_b32 s29, s29
	s_cbranch_execz .LBB264_42
; %bb.41:                               ;   in Loop: Header=BB264_16 Depth=2
	v_add_nc_u32_e32 v28, s19, v81
	s_waitcnt vmcnt(0)
	ds_load_b128 v[40:43], v28 offset:1024
.LBB264_42:                             ;   in Loop: Header=BB264_16 Depth=2
	s_or_b32 exec_lo, exec_lo, s29
	v_add_nc_u32_e32 v28, 0x200, v90
	s_mov_b32 s29, exec_lo
                                        ; implicit-def: $vgpr39
	s_delay_alu instid0(VALU_DEP_1)
	v_cmpx_lt_u32_e32 0x7fff, v28
	s_xor_b32 s29, exec_lo, s29
	s_cbranch_execz .LBB264_44
; %bb.43:                               ;   in Loop: Header=BB264_16 Depth=2
	v_mov_b32_e32 v29, v84
	s_delay_alu instid0(VALU_DEP_1) | instskip(NEXT) | instid1(VALU_DEP_1)
	v_lshlrev_b64 v[28:29], 1, v[28:29]
	v_add_co_u32 v28, vcc_lo, s8, v28
	s_delay_alu instid0(VALU_DEP_2)
	v_add_co_ci_u32_e32 v29, vcc_lo, s9, v29, vcc_lo
	global_load_b128 v[36:39], v[28:29], off
.LBB264_44:                             ;   in Loop: Header=BB264_16 Depth=2
	s_and_not1_saveexec_b32 s29, s29
	s_cbranch_execz .LBB264_46
; %bb.45:                               ;   in Loop: Header=BB264_16 Depth=2
	v_add_nc_u32_e32 v28, s3, v81
	s_delay_alu instid0(VALU_DEP_1)
	v_add_nc_u32_e32 v29, 0x400, v28
	v_add_nc_u32_e32 v28, 0x408, v28
	s_waitcnt vmcnt(0)
	ds_load_2addr_b32 v[36:37], v29 offset1:1
	ds_load_2addr_b32 v[38:39], v28 offset1:1
.LBB264_46:                             ;   in Loop: Header=BB264_16 Depth=2
	s_or_b32 exec_lo, exec_lo, s29
	v_add_nc_u32_e32 v28, 0x200, v88
	s_mov_b32 s29, exec_lo
                                        ; implicit-def: $vgpr31
	s_delay_alu instid0(VALU_DEP_1)
	v_cmpx_lt_u32_e32 0x7fff, v28
	s_xor_b32 s29, exec_lo, s29
	s_cbranch_execz .LBB264_48
; %bb.47:                               ;   in Loop: Header=BB264_16 Depth=2
	v_mov_b32_e32 v29, v84
	s_delay_alu instid0(VALU_DEP_1) | instskip(NEXT) | instid1(VALU_DEP_1)
	v_lshlrev_b64 v[28:29], 1, v[28:29]
	v_add_co_u32 v28, vcc_lo, s8, v28
	s_delay_alu instid0(VALU_DEP_2)
	v_add_co_ci_u32_e32 v29, vcc_lo, s9, v29, vcc_lo
	global_load_b128 v[28:31], v[28:29], off
.LBB264_48:                             ;   in Loop: Header=BB264_16 Depth=2
	s_and_not1_saveexec_b32 s29, s29
	s_cbranch_execz .LBB264_50
; %bb.49:                               ;   in Loop: Header=BB264_16 Depth=2
	s_waitcnt vmcnt(0)
	v_add_nc_u32_e32 v28, s6, v81
	ds_load_b128 v[28:31], v28 offset:1024
.LBB264_50:                             ;   in Loop: Header=BB264_16 Depth=2
	s_or_b32 exec_lo, exec_lo, s29
	v_cmp_gt_u32_e32 vcc_lo, s4, v92
	v_dual_mov_b32 v63, 0 :: v_dual_mov_b32 v62, 0
	v_dual_mov_b32 v61, 0 :: v_dual_mov_b32 v60, 0
	;; [unrolled: 1-line block ×16, first 2 shown]
	s_and_saveexec_b32 s29, vcc_lo
	s_cbranch_execz .LBB264_13
; %bb.51:                               ;   in Loop: Header=BB264_16 Depth=2
	s_mov_b32 s30, exec_lo
                                        ; implicit-def: $vgpr75
	v_cmpx_lt_u32_e32 0x7fff, v92
	s_xor_b32 s30, exec_lo, s30
	s_cbranch_execz .LBB264_53
; %bb.52:                               ;   in Loop: Header=BB264_16 Depth=2
	v_mov_b32_e32 v93, v84
	s_delay_alu instid0(VALU_DEP_1) | instskip(NEXT) | instid1(VALU_DEP_1)
	v_lshlrev_b64 v[44:45], 1, v[92:93]
	v_add_co_u32 v44, vcc_lo, s8, v44
	s_delay_alu instid0(VALU_DEP_2)
	v_add_co_ci_u32_e32 v45, vcc_lo, s9, v45, vcc_lo
	global_load_b128 v[72:75], v[44:45], off
.LBB264_53:                             ;   in Loop: Header=BB264_16 Depth=2
	s_and_not1_saveexec_b32 s30, s30
	s_cbranch_execz .LBB264_55
; %bb.54:                               ;   in Loop: Header=BB264_16 Depth=2
	s_waitcnt vmcnt(0)
	ds_load_b128 v[72:75], v81 offset:2048
.LBB264_55:                             ;   in Loop: Header=BB264_16 Depth=2
	s_or_b32 exec_lo, exec_lo, s30
	v_add_nc_u32_e32 v44, 0x400, v83
	s_mov_b32 s30, exec_lo
                                        ; implicit-def: $vgpr67
	s_delay_alu instid0(VALU_DEP_1)
	v_cmpx_lt_u32_e32 0x7fff, v44
	s_xor_b32 s30, exec_lo, s30
	s_cbranch_execz .LBB264_57
; %bb.56:                               ;   in Loop: Header=BB264_16 Depth=2
	v_mov_b32_e32 v45, v84
	s_delay_alu instid0(VALU_DEP_1) | instskip(NEXT) | instid1(VALU_DEP_1)
	v_lshlrev_b64 v[44:45], 1, v[44:45]
	v_add_co_u32 v44, vcc_lo, s8, v44
	s_delay_alu instid0(VALU_DEP_2)
	v_add_co_ci_u32_e32 v45, vcc_lo, s9, v45, vcc_lo
	global_load_b128 v[64:67], v[44:45], off
.LBB264_57:                             ;   in Loop: Header=BB264_16 Depth=2
	s_and_not1_saveexec_b32 s30, s30
	s_cbranch_execz .LBB264_59
; %bb.58:                               ;   in Loop: Header=BB264_16 Depth=2
	v_add_nc_u32_e32 v44, s19, v81
	s_waitcnt vmcnt(0)
	ds_load_b128 v[64:67], v44 offset:2048
.LBB264_59:                             ;   in Loop: Header=BB264_16 Depth=2
	s_or_b32 exec_lo, exec_lo, s30
	v_add_nc_u32_e32 v44, 0x400, v90
	s_mov_b32 s30, exec_lo
                                        ; implicit-def: $vgpr51
	s_delay_alu instid0(VALU_DEP_1)
	v_cmpx_lt_u32_e32 0x7fff, v44
	s_xor_b32 s30, exec_lo, s30
	s_cbranch_execz .LBB264_61
; %bb.60:                               ;   in Loop: Header=BB264_16 Depth=2
	v_mov_b32_e32 v45, v84
	s_delay_alu instid0(VALU_DEP_1) | instskip(NEXT) | instid1(VALU_DEP_1)
	v_lshlrev_b64 v[44:45], 1, v[44:45]
	v_add_co_u32 v44, vcc_lo, s8, v44
	s_delay_alu instid0(VALU_DEP_2)
	v_add_co_ci_u32_e32 v45, vcc_lo, s9, v45, vcc_lo
	global_load_b128 v[48:51], v[44:45], off
.LBB264_61:                             ;   in Loop: Header=BB264_16 Depth=2
	s_and_not1_saveexec_b32 s30, s30
	s_cbranch_execz .LBB264_63
; %bb.62:                               ;   in Loop: Header=BB264_16 Depth=2
	v_add_nc_u32_e32 v44, s3, v81
	s_delay_alu instid0(VALU_DEP_1)
	v_add_nc_u32_e32 v45, 0x800, v44
	v_add_nc_u32_e32 v44, 0x808, v44
	s_waitcnt vmcnt(0)
	ds_load_2addr_b32 v[48:49], v45 offset1:1
	ds_load_2addr_b32 v[50:51], v44 offset1:1
.LBB264_63:                             ;   in Loop: Header=BB264_16 Depth=2
	s_or_b32 exec_lo, exec_lo, s30
	v_add_nc_u32_e32 v44, 0x400, v88
	s_mov_b32 s30, exec_lo
                                        ; implicit-def: $vgpr47
	s_delay_alu instid0(VALU_DEP_1)
	v_cmpx_lt_u32_e32 0x7fff, v44
	s_xor_b32 s30, exec_lo, s30
	s_cbranch_execz .LBB264_65
; %bb.64:                               ;   in Loop: Header=BB264_16 Depth=2
	v_mov_b32_e32 v45, v84
	s_delay_alu instid0(VALU_DEP_1) | instskip(NEXT) | instid1(VALU_DEP_1)
	v_lshlrev_b64 v[44:45], 1, v[44:45]
	v_add_co_u32 v44, vcc_lo, s8, v44
	s_delay_alu instid0(VALU_DEP_2)
	v_add_co_ci_u32_e32 v45, vcc_lo, s9, v45, vcc_lo
	global_load_b128 v[44:47], v[44:45], off
.LBB264_65:                             ;   in Loop: Header=BB264_16 Depth=2
	s_and_not1_saveexec_b32 s30, s30
	s_cbranch_execz .LBB264_67
; %bb.66:                               ;   in Loop: Header=BB264_16 Depth=2
	s_waitcnt vmcnt(0)
	v_add_nc_u32_e32 v44, s6, v81
	ds_load_b128 v[44:47], v44 offset:2048
.LBB264_67:                             ;   in Loop: Header=BB264_16 Depth=2
	s_or_b32 exec_lo, exec_lo, s30
	v_dual_mov_b32 v63, 0 :: v_dual_mov_b32 v62, 0
	v_dual_mov_b32 v61, 0 :: v_dual_mov_b32 v60, 0
	;; [unrolled: 1-line block ×8, first 2 shown]
	s_mov_b32 s30, exec_lo
	v_cmpx_gt_u32_e64 s4, v86
	s_cbranch_execz .LBB264_12
; %bb.68:                               ;   in Loop: Header=BB264_16 Depth=2
	s_mov_b32 s31, exec_lo
                                        ; implicit-def: $vgpr79
	v_cmpx_lt_u32_e32 0x7fff, v86
	s_xor_b32 s31, exec_lo, s31
	s_cbranch_execz .LBB264_70
; %bb.69:                               ;   in Loop: Header=BB264_16 Depth=2
	v_mov_b32_e32 v87, v84
	s_delay_alu instid0(VALU_DEP_1) | instskip(NEXT) | instid1(VALU_DEP_1)
	v_lshlrev_b64 v[56:57], 1, v[86:87]
	v_add_co_u32 v56, vcc_lo, s8, v56
	s_delay_alu instid0(VALU_DEP_2)
	v_add_co_ci_u32_e32 v57, vcc_lo, s9, v57, vcc_lo
	global_load_b128 v[76:79], v[56:57], off
.LBB264_70:                             ;   in Loop: Header=BB264_16 Depth=2
	s_and_not1_saveexec_b32 s31, s31
	s_cbranch_execz .LBB264_72
; %bb.71:                               ;   in Loop: Header=BB264_16 Depth=2
	s_waitcnt vmcnt(0)
	ds_load_b128 v[76:79], v81 offset:3072
.LBB264_72:                             ;   in Loop: Header=BB264_16 Depth=2
	s_or_b32 exec_lo, exec_lo, s31
	v_add_nc_u32_e32 v83, 0x600, v83
	s_mov_b32 s31, exec_lo
                                        ; implicit-def: $vgpr71
	s_delay_alu instid0(VALU_DEP_1)
	v_cmpx_lt_u32_e32 0x7fff, v83
	s_xor_b32 s31, exec_lo, s31
	s_cbranch_execz .LBB264_74
; %bb.73:                               ;   in Loop: Header=BB264_16 Depth=2
	v_lshlrev_b64 v[56:57], 1, v[83:84]
	s_delay_alu instid0(VALU_DEP_1) | instskip(NEXT) | instid1(VALU_DEP_2)
	v_add_co_u32 v56, vcc_lo, s8, v56
	v_add_co_ci_u32_e32 v57, vcc_lo, s9, v57, vcc_lo
	global_load_b128 v[68:71], v[56:57], off
.LBB264_74:                             ;   in Loop: Header=BB264_16 Depth=2
	s_and_not1_saveexec_b32 s31, s31
	s_cbranch_execz .LBB264_76
; %bb.75:                               ;   in Loop: Header=BB264_16 Depth=2
	v_add_nc_u32_e32 v56, s19, v81
	s_waitcnt vmcnt(0)
	ds_load_b128 v[68:71], v56 offset:3072
.LBB264_76:                             ;   in Loop: Header=BB264_16 Depth=2
	s_or_b32 exec_lo, exec_lo, s31
	v_add_nc_u32_e32 v83, 0x600, v90
	s_mov_b32 s31, exec_lo
                                        ; implicit-def: $vgpr59
	s_delay_alu instid0(VALU_DEP_1)
	v_cmpx_lt_u32_e32 0x7fff, v83
	s_xor_b32 s31, exec_lo, s31
	s_cbranch_execz .LBB264_78
; %bb.77:                               ;   in Loop: Header=BB264_16 Depth=2
	v_lshlrev_b64 v[56:57], 1, v[83:84]
	s_delay_alu instid0(VALU_DEP_1) | instskip(NEXT) | instid1(VALU_DEP_2)
	v_add_co_u32 v56, vcc_lo, s8, v56
	v_add_co_ci_u32_e32 v57, vcc_lo, s9, v57, vcc_lo
	global_load_b128 v[56:59], v[56:57], off
.LBB264_78:                             ;   in Loop: Header=BB264_16 Depth=2
	s_and_not1_saveexec_b32 s31, s31
	s_cbranch_execz .LBB264_80
; %bb.79:                               ;   in Loop: Header=BB264_16 Depth=2
	s_waitcnt vmcnt(0)
	v_add_nc_u32_e32 v56, s3, v81
	s_delay_alu instid0(VALU_DEP_1)
	v_add_nc_u32_e32 v57, 0xc00, v56
	v_add_nc_u32_e32 v58, 0xc08, v56
	ds_load_2addr_b32 v[56:57], v57 offset1:1
	ds_load_2addr_b32 v[58:59], v58 offset1:1
.LBB264_80:                             ;   in Loop: Header=BB264_16 Depth=2
	s_or_b32 exec_lo, exec_lo, s31
	v_add_nc_u32_e32 v83, 0x600, v88
	s_mov_b32 s31, exec_lo
                                        ; implicit-def: $vgpr63
	s_delay_alu instid0(VALU_DEP_1)
	v_cmpx_lt_u32_e32 0x7fff, v83
	s_xor_b32 s31, exec_lo, s31
	s_cbranch_execz .LBB264_82
; %bb.81:                               ;   in Loop: Header=BB264_16 Depth=2
	v_lshlrev_b64 v[60:61], 1, v[83:84]
	s_delay_alu instid0(VALU_DEP_1) | instskip(NEXT) | instid1(VALU_DEP_2)
	v_add_co_u32 v60, vcc_lo, s8, v60
	v_add_co_ci_u32_e32 v61, vcc_lo, s9, v61, vcc_lo
	global_load_b128 v[60:63], v[60:61], off
.LBB264_82:                             ;   in Loop: Header=BB264_16 Depth=2
	s_and_not1_saveexec_b32 s31, s31
	s_cbranch_execz .LBB264_11
; %bb.83:                               ;   in Loop: Header=BB264_16 Depth=2
	s_waitcnt vmcnt(0)
	v_add_nc_u32_e32 v60, s6, v81
	ds_load_b128 v[60:63], v60 offset:3072
	s_branch .LBB264_11
.LBB264_84:                             ;   in Loop: Header=BB264_9 Depth=1
	s_delay_alu instid0(VALU_DEP_1) | instskip(SKIP_3) | instid1(VALU_DEP_4)
	v_cvt_i32_f32_e32 v0, v106
	v_cvt_i32_f32_e32 v1, v105
	;; [unrolled: 1-line block ×4, first 2 shown]
	v_cvt_f32_i32_dpp v0, v0 row_shr:8 row_mask:0xf bank_mask:0xf bound_ctrl:1
	s_delay_alu instid0(VALU_DEP_4) | instskip(NEXT) | instid1(VALU_DEP_4)
	v_cvt_f32_i32_dpp v1, v1 row_shr:8 row_mask:0xf bank_mask:0xf bound_ctrl:1
	v_cvt_f32_i32_dpp v2, v2 row_shr:8 row_mask:0xf bank_mask:0xf bound_ctrl:1
	s_delay_alu instid0(VALU_DEP_4) | instskip(NEXT) | instid1(VALU_DEP_3)
	v_cvt_f32_i32_dpp v3, v3 row_shr:8 row_mask:0xf bank_mask:0xf bound_ctrl:1
	v_dual_add_f32 v0, v106, v0 :: v_dual_add_f32 v1, v105, v1
	s_delay_alu instid0(VALU_DEP_2) | instskip(SKIP_1) | instid1(VALU_DEP_2)
	v_dual_add_f32 v2, v104, v2 :: v_dual_add_f32 v3, v103, v3
	s_waitcnt vmcnt(0)
	v_cvt_i32_f32_e32 v4, v0
	s_delay_alu instid0(VALU_DEP_3) | instskip(NEXT) | instid1(VALU_DEP_3)
	v_cvt_i32_f32_e32 v5, v1
	v_cvt_i32_f32_e32 v6, v2
	;; [unrolled: 1-line block ×3, first 2 shown]
	s_delay_alu instid0(VALU_DEP_4) | instskip(NEXT) | instid1(VALU_DEP_4)
	v_cvt_f32_i32_dpp v4, v4 row_shr:4 row_mask:0xf bank_mask:0xf bound_ctrl:1
	v_cvt_f32_i32_dpp v5, v5 row_shr:4 row_mask:0xf bank_mask:0xf bound_ctrl:1
	s_delay_alu instid0(VALU_DEP_4) | instskip(NEXT) | instid1(VALU_DEP_4)
	v_cvt_f32_i32_dpp v6, v6 row_shr:4 row_mask:0xf bank_mask:0xf bound_ctrl:1
	v_cvt_f32_i32_dpp v7, v7 row_shr:4 row_mask:0xf bank_mask:0xf bound_ctrl:1
	s_delay_alu instid0(VALU_DEP_3) | instskip(NEXT) | instid1(VALU_DEP_2)
	v_dual_add_f32 v0, v0, v4 :: v_dual_add_f32 v1, v1, v5
	v_dual_add_f32 v2, v2, v6 :: v_dual_add_f32 v3, v3, v7
	s_delay_alu instid0(VALU_DEP_2) | instskip(NEXT) | instid1(VALU_DEP_3)
	v_cvt_i32_f32_e32 v4, v0
	v_cvt_i32_f32_e32 v5, v1
	s_delay_alu instid0(VALU_DEP_3) | instskip(NEXT) | instid1(VALU_DEP_4)
	v_cvt_i32_f32_e32 v6, v2
	v_cvt_i32_f32_e32 v7, v3
	s_delay_alu instid0(VALU_DEP_4) | instskip(NEXT) | instid1(VALU_DEP_4)
	v_cvt_f32_i32_dpp v4, v4 row_shr:2 row_mask:0xf bank_mask:0xf bound_ctrl:1
	v_cvt_f32_i32_dpp v5, v5 row_shr:2 row_mask:0xf bank_mask:0xf bound_ctrl:1
	s_delay_alu instid0(VALU_DEP_4) | instskip(NEXT) | instid1(VALU_DEP_4)
	v_cvt_f32_i32_dpp v6, v6 row_shr:2 row_mask:0xf bank_mask:0xf bound_ctrl:1
	v_cvt_f32_i32_dpp v7, v7 row_shr:2 row_mask:0xf bank_mask:0xf bound_ctrl:1
	s_delay_alu instid0(VALU_DEP_3) | instskip(NEXT) | instid1(VALU_DEP_2)
	v_dual_add_f32 v0, v0, v4 :: v_dual_add_f32 v1, v1, v5
	v_dual_add_f32 v2, v2, v6 :: v_dual_add_f32 v3, v3, v7
	s_delay_alu instid0(VALU_DEP_2) | instskip(NEXT) | instid1(VALU_DEP_3)
	v_cvt_i32_f32_e32 v4, v0
	v_cvt_i32_f32_e32 v5, v1
	s_delay_alu instid0(VALU_DEP_3) | instskip(NEXT) | instid1(VALU_DEP_4)
	v_cvt_i32_f32_e32 v6, v2
	v_cvt_i32_f32_e32 v7, v3
	s_delay_alu instid0(VALU_DEP_4) | instskip(NEXT) | instid1(VALU_DEP_4)
	v_cvt_f32_i32_dpp v4, v4 row_shr:1 row_mask:0xf bank_mask:0xf bound_ctrl:1
	v_cvt_f32_i32_dpp v5, v5 row_shr:1 row_mask:0xf bank_mask:0xf bound_ctrl:1
	s_delay_alu instid0(VALU_DEP_4) | instskip(NEXT) | instid1(VALU_DEP_4)
	v_cvt_f32_i32_dpp v6, v6 row_shr:1 row_mask:0xf bank_mask:0xf bound_ctrl:1
	v_cvt_f32_i32_dpp v7, v7 row_shr:1 row_mask:0xf bank_mask:0xf bound_ctrl:1
	s_delay_alu instid0(VALU_DEP_3) | instskip(NEXT) | instid1(VALU_DEP_3)
	v_dual_add_f32 v8, v0, v4 :: v_dual_add_f32 v5, v1, v5
	v_add_f32_e32 v2, v2, v6
	s_delay_alu instid0(VALU_DEP_3)
	v_add_f32_e32 v0, v3, v7
	ds_bpermute_b32 v9, v99, v8
	ds_bpermute_b32 v6, v99, v5
	;; [unrolled: 1-line block ×4, first 2 shown]
	s_and_saveexec_b32 s1, s0
	s_cbranch_execz .LBB264_8
; %bb.85:                               ;   in Loop: Header=BB264_9 Depth=1
	v_dual_mov_b32 v4, 0 :: v_dual_mov_b32 v7, 0
	v_dual_mov_b32 v10, 0 :: v_dual_mov_b32 v11, 0
	s_and_not1_b32 vcc_lo, exec_lo, s23
	s_cbranch_vccnz .LBB264_87
; %bb.86:                               ;   in Loop: Header=BB264_9 Depth=1
	v_mul_hi_u32 v4, v80, v100
	s_delay_alu instid0(VALU_DEP_1) | instskip(NEXT) | instid1(VALU_DEP_1)
	v_mul_lo_u32 v4, v4, s10
	v_sub_nc_u32_e32 v4, v80, v4
	s_delay_alu instid0(VALU_DEP_1) | instskip(SKIP_1) | instid1(VALU_DEP_2)
	v_subrev_nc_u32_e32 v7, s10, v4
	v_cmp_le_u32_e32 vcc_lo, s10, v4
	v_cndmask_b32_e32 v4, v4, v7, vcc_lo
	s_delay_alu instid0(VALU_DEP_1) | instskip(SKIP_1) | instid1(VALU_DEP_2)
	v_subrev_nc_u32_e32 v7, s10, v4
	v_cmp_le_u32_e32 vcc_lo, s10, v4
	v_cndmask_b32_e32 v83, v4, v7, vcc_lo
	v_mov_b32_e32 v11, v84
	s_delay_alu instid0(VALU_DEP_2) | instskip(SKIP_3) | instid1(VALU_DEP_4)
	v_dual_mov_b32 v13, v84 :: v_dual_add_nc_u32 v12, s26, v83
	v_add_nc_u32_e32 v10, s25, v83
	v_lshlrev_b64 v[14:15], 1, v[83:84]
	v_add_nc_u32_e32 v83, s27, v83
	v_lshlrev_b64 v[12:13], 1, v[12:13]
	s_delay_alu instid0(VALU_DEP_4) | instskip(NEXT) | instid1(VALU_DEP_4)
	v_lshlrev_b64 v[10:11], 1, v[10:11]
	v_add_co_u32 v14, vcc_lo, s12, v14
	v_add_co_ci_u32_e32 v15, vcc_lo, s13, v15, vcc_lo
	v_lshlrev_b64 v[16:17], 1, v[83:84]
	s_delay_alu instid0(VALU_DEP_4)
	v_add_co_u32 v18, vcc_lo, s12, v10
	v_add_co_ci_u32_e32 v19, vcc_lo, s13, v11, vcc_lo
	v_add_co_u32 v12, vcc_lo, s12, v12
	v_add_co_ci_u32_e32 v13, vcc_lo, s13, v13, vcc_lo
	;; [unrolled: 2-line block ×3, first 2 shown]
	s_clause 0x3
	global_load_u16 v11, v[14:15], off
	global_load_u16 v10, v[18:19], off
	;; [unrolled: 1-line block ×4, first 2 shown]
.LBB264_87:                             ;   in Loop: Header=BB264_9 Depth=1
	v_cmp_ne_u32_e32 vcc_lo, 0, v95
	s_and_b32 exec_lo, exec_lo, vcc_lo
	s_cbranch_execz .LBB264_8
; %bb.88:                               ;   in Loop: Header=BB264_9 Depth=1
	s_waitcnt vmcnt(3) lgkmcnt(0)
	v_dual_add_f32 v8, v8, v9 :: v_dual_lshlrev_b32 v9, 16, v11
	s_delay_alu instid0(VALU_DEP_1) | instskip(NEXT) | instid1(VALU_DEP_1)
	v_add_f32_e32 v9, v8, v9
	v_and_b32_e32 v8, 0x7f800000, v9
	s_delay_alu instid0(VALU_DEP_1) | instskip(SKIP_1) | instid1(SALU_CYCLE_1)
	v_cmp_ne_u32_e32 vcc_lo, 0x7f800000, v8
                                        ; implicit-def: $vgpr8
	s_and_saveexec_b32 s2, vcc_lo
	s_xor_b32 s2, exec_lo, s2
; %bb.89:                               ;   in Loop: Header=BB264_9 Depth=1
	v_bfe_u32 v8, v9, 16, 1
	s_delay_alu instid0(VALU_DEP_1)
	v_add3_u32 v8, v9, v8, 0x7fff
                                        ; implicit-def: $vgpr9
; %bb.90:                               ;   in Loop: Header=BB264_9 Depth=1
	s_and_not1_saveexec_b32 s2, s2
; %bb.91:                               ;   in Loop: Header=BB264_9 Depth=1
	v_and_b32_e32 v8, 0xffff, v9
	v_or_b32_e32 v11, 0x10000, v9
	s_delay_alu instid0(VALU_DEP_2) | instskip(NEXT) | instid1(VALU_DEP_2)
	v_cmp_eq_u32_e32 vcc_lo, 0, v8
	v_cndmask_b32_e32 v8, v11, v9, vcc_lo
; %bb.92:                               ;   in Loop: Header=BB264_9 Depth=1
	s_or_b32 exec_lo, exec_lo, s2
	v_add_f32_e32 v5, v5, v6
	s_waitcnt vmcnt(2)
	v_dual_mov_b32 v81, v84 :: v_dual_lshlrev_b32 v6, 16, v10
	s_delay_alu instid0(VALU_DEP_1) | instskip(NEXT) | instid1(VALU_DEP_2)
	v_add_f32_e32 v6, v5, v6
	v_lshlrev_b64 v[9:10], 1, v[80:81]
	s_delay_alu instid0(VALU_DEP_2) | instskip(NEXT) | instid1(VALU_DEP_2)
	v_and_b32_e32 v5, 0x7f800000, v6
	v_add_co_u32 v9, vcc_lo, s16, v9
	s_delay_alu instid0(VALU_DEP_3) | instskip(NEXT) | instid1(VALU_DEP_3)
	v_add_co_ci_u32_e32 v10, vcc_lo, s17, v10, vcc_lo
	v_cmp_ne_u32_e32 vcc_lo, 0x7f800000, v5
                                        ; implicit-def: $vgpr5
	global_store_d16_hi_b16 v[9:10], v8, off
	s_and_saveexec_b32 s2, vcc_lo
	s_delay_alu instid0(SALU_CYCLE_1)
	s_xor_b32 s2, exec_lo, s2
; %bb.93:                               ;   in Loop: Header=BB264_9 Depth=1
	v_bfe_u32 v5, v6, 16, 1
	s_delay_alu instid0(VALU_DEP_1)
	v_add3_u32 v5, v6, v5, 0x7fff
                                        ; implicit-def: $vgpr6
; %bb.94:                               ;   in Loop: Header=BB264_9 Depth=1
	s_and_not1_saveexec_b32 s2, s2
; %bb.95:                               ;   in Loop: Header=BB264_9 Depth=1
	v_and_b32_e32 v5, 0xffff, v6
	v_or_b32_e32 v8, 0x10000, v6
	s_delay_alu instid0(VALU_DEP_2) | instskip(NEXT) | instid1(VALU_DEP_2)
	v_cmp_eq_u32_e32 vcc_lo, 0, v5
	v_cndmask_b32_e32 v5, v8, v6, vcc_lo
; %bb.96:                               ;   in Loop: Header=BB264_9 Depth=1
	s_or_b32 exec_lo, exec_lo, s2
	v_dual_add_f32 v2, v2, v3 :: v_dual_add_nc_u32 v83, s7, v80
	s_waitcnt vmcnt(1)
	v_lshlrev_b32_e32 v3, 16, v7
	s_delay_alu instid0(VALU_DEP_2) | instskip(NEXT) | instid1(VALU_DEP_2)
	v_lshlrev_b64 v[6:7], 1, v[83:84]
	v_add_f32_e32 v3, v2, v3
	s_delay_alu instid0(VALU_DEP_1) | instskip(NEXT) | instid1(VALU_DEP_3)
	v_and_b32_e32 v2, 0x7f800000, v3
	v_add_co_u32 v6, vcc_lo, s16, v6
	s_delay_alu instid0(VALU_DEP_4) | instskip(NEXT) | instid1(VALU_DEP_3)
	v_add_co_ci_u32_e32 v7, vcc_lo, s17, v7, vcc_lo
	v_cmp_ne_u32_e32 vcc_lo, 0x7f800000, v2
                                        ; implicit-def: $vgpr2
	global_store_d16_hi_b16 v[6:7], v5, off
	s_and_saveexec_b32 s2, vcc_lo
	s_delay_alu instid0(SALU_CYCLE_1)
	s_xor_b32 s2, exec_lo, s2
; %bb.97:                               ;   in Loop: Header=BB264_9 Depth=1
	v_bfe_u32 v2, v3, 16, 1
	s_delay_alu instid0(VALU_DEP_1)
	v_add3_u32 v2, v3, v2, 0x7fff
                                        ; implicit-def: $vgpr3
; %bb.98:                               ;   in Loop: Header=BB264_9 Depth=1
	s_and_not1_saveexec_b32 s2, s2
; %bb.99:                               ;   in Loop: Header=BB264_9 Depth=1
	v_and_b32_e32 v2, 0xffff, v3
	v_or_b32_e32 v5, 0x10000, v3
	s_delay_alu instid0(VALU_DEP_2) | instskip(NEXT) | instid1(VALU_DEP_2)
	v_cmp_eq_u32_e32 vcc_lo, 0, v2
	v_cndmask_b32_e32 v2, v5, v3, vcc_lo
; %bb.100:                              ;   in Loop: Header=BB264_9 Depth=1
	s_or_b32 exec_lo, exec_lo, s2
	s_waitcnt vmcnt(0)
	v_dual_add_f32 v0, v0, v1 :: v_dual_lshlrev_b32 v1, 16, v4
	v_add_nc_u32_e32 v83, s7, v83
	s_delay_alu instid0(VALU_DEP_2) | instskip(NEXT) | instid1(VALU_DEP_2)
	v_add_f32_e32 v1, v0, v1
	v_lshlrev_b64 v[3:4], 1, v[83:84]
	s_delay_alu instid0(VALU_DEP_2) | instskip(NEXT) | instid1(VALU_DEP_2)
	v_and_b32_e32 v0, 0x7f800000, v1
	v_add_co_u32 v3, vcc_lo, s16, v3
	s_delay_alu instid0(VALU_DEP_3) | instskip(NEXT) | instid1(VALU_DEP_3)
	v_add_co_ci_u32_e32 v4, vcc_lo, s17, v4, vcc_lo
	v_cmp_ne_u32_e32 vcc_lo, 0x7f800000, v0
                                        ; implicit-def: $vgpr0
	global_store_d16_hi_b16 v[3:4], v2, off
	s_and_saveexec_b32 s2, vcc_lo
	s_delay_alu instid0(SALU_CYCLE_1)
	s_xor_b32 s2, exec_lo, s2
; %bb.101:                              ;   in Loop: Header=BB264_9 Depth=1
	v_bfe_u32 v0, v1, 16, 1
	s_delay_alu instid0(VALU_DEP_1)
	v_add3_u32 v0, v1, v0, 0x7fff
                                        ; implicit-def: $vgpr1
; %bb.102:                              ;   in Loop: Header=BB264_9 Depth=1
	s_and_not1_saveexec_b32 s2, s2
	s_cbranch_execz .LBB264_7
; %bb.103:                              ;   in Loop: Header=BB264_9 Depth=1
	v_and_b32_e32 v0, 0xffff, v1
	v_or_b32_e32 v2, 0x10000, v1
	s_delay_alu instid0(VALU_DEP_2) | instskip(NEXT) | instid1(VALU_DEP_2)
	v_cmp_eq_u32_e32 vcc_lo, 0, v0
	v_cndmask_b32_e32 v0, v2, v1, vcc_lo
	s_branch .LBB264_7
.LBB264_104:
	s_nop 0
	s_sendmsg sendmsg(MSG_DEALLOC_VGPRS)
	s_endpgm
	.section	.rodata,"a",@progbits
	.p2align	6, 0x0
	.amdhsa_kernel _Z12wvSplitK_hf_I14__hip_bfloat16Li64ELi1ELi16ELi8ELi4ELi4EEviiiiiiPKT_S3_S3_PS1_ii
		.amdhsa_group_segment_fixed_size 65536
		.amdhsa_private_segment_fixed_size 0
		.amdhsa_kernarg_size 64
		.amdhsa_user_sgpr_count 15
		.amdhsa_user_sgpr_dispatch_ptr 0
		.amdhsa_user_sgpr_queue_ptr 0
		.amdhsa_user_sgpr_kernarg_segment_ptr 1
		.amdhsa_user_sgpr_dispatch_id 0
		.amdhsa_user_sgpr_private_segment_size 0
		.amdhsa_wavefront_size32 1
		.amdhsa_uses_dynamic_stack 0
		.amdhsa_enable_private_segment 0
		.amdhsa_system_sgpr_workgroup_id_x 1
		.amdhsa_system_sgpr_workgroup_id_y 0
		.amdhsa_system_sgpr_workgroup_id_z 0
		.amdhsa_system_sgpr_workgroup_info 0
		.amdhsa_system_vgpr_workitem_id 1
		.amdhsa_next_free_vgpr 107
		.amdhsa_next_free_sgpr 32
		.amdhsa_reserve_vcc 1
		.amdhsa_float_round_mode_32 0
		.amdhsa_float_round_mode_16_64 0
		.amdhsa_float_denorm_mode_32 3
		.amdhsa_float_denorm_mode_16_64 3
		.amdhsa_dx10_clamp 1
		.amdhsa_ieee_mode 1
		.amdhsa_fp16_overflow 0
		.amdhsa_workgroup_processor_mode 1
		.amdhsa_memory_ordered 1
		.amdhsa_forward_progress 0
		.amdhsa_shared_vgpr_count 0
		.amdhsa_exception_fp_ieee_invalid_op 0
		.amdhsa_exception_fp_denorm_src 0
		.amdhsa_exception_fp_ieee_div_zero 0
		.amdhsa_exception_fp_ieee_overflow 0
		.amdhsa_exception_fp_ieee_underflow 0
		.amdhsa_exception_fp_ieee_inexact 0
		.amdhsa_exception_int_div_zero 0
	.end_amdhsa_kernel
	.section	.text._Z12wvSplitK_hf_I14__hip_bfloat16Li64ELi1ELi16ELi8ELi4ELi4EEviiiiiiPKT_S3_S3_PS1_ii,"axG",@progbits,_Z12wvSplitK_hf_I14__hip_bfloat16Li64ELi1ELi16ELi8ELi4ELi4EEviiiiiiPKT_S3_S3_PS1_ii,comdat
.Lfunc_end264:
	.size	_Z12wvSplitK_hf_I14__hip_bfloat16Li64ELi1ELi16ELi8ELi4ELi4EEviiiiiiPKT_S3_S3_PS1_ii, .Lfunc_end264-_Z12wvSplitK_hf_I14__hip_bfloat16Li64ELi1ELi16ELi8ELi4ELi4EEviiiiiiPKT_S3_S3_PS1_ii
                                        ; -- End function
	.section	.AMDGPU.csdata,"",@progbits
; Kernel info:
; codeLenInByte = 6676
; NumSgprs: 34
; NumVgprs: 107
; ScratchSize: 0
; MemoryBound: 0
; FloatMode: 240
; IeeeMode: 1
; LDSByteSize: 65536 bytes/workgroup (compile time only)
; SGPRBlocks: 4
; VGPRBlocks: 13
; NumSGPRsForWavesPerEU: 34
; NumVGPRsForWavesPerEU: 107
; Occupancy: 12
; WaveLimiterHint : 0
; COMPUTE_PGM_RSRC2:SCRATCH_EN: 0
; COMPUTE_PGM_RSRC2:USER_SGPR: 15
; COMPUTE_PGM_RSRC2:TRAP_HANDLER: 0
; COMPUTE_PGM_RSRC2:TGID_X_EN: 1
; COMPUTE_PGM_RSRC2:TGID_Y_EN: 0
; COMPUTE_PGM_RSRC2:TGID_Z_EN: 0
; COMPUTE_PGM_RSRC2:TIDIG_COMP_CNT: 1
	.section	.text._Z16wvSplitK_hf_big_I14__hip_bfloat16Li64ELi1ELi16ELi8ELi4ELi4EEviiiiiiPKT_S3_S3_PS1_ii,"axG",@progbits,_Z16wvSplitK_hf_big_I14__hip_bfloat16Li64ELi1ELi16ELi8ELi4ELi4EEviiiiiiPKT_S3_S3_PS1_ii,comdat
	.protected	_Z16wvSplitK_hf_big_I14__hip_bfloat16Li64ELi1ELi16ELi8ELi4ELi4EEviiiiiiPKT_S3_S3_PS1_ii ; -- Begin function _Z16wvSplitK_hf_big_I14__hip_bfloat16Li64ELi1ELi16ELi8ELi4ELi4EEviiiiiiPKT_S3_S3_PS1_ii
	.globl	_Z16wvSplitK_hf_big_I14__hip_bfloat16Li64ELi1ELi16ELi8ELi4ELi4EEviiiiiiPKT_S3_S3_PS1_ii
	.p2align	8
	.type	_Z16wvSplitK_hf_big_I14__hip_bfloat16Li64ELi1ELi16ELi8ELi4ELi4EEviiiiiiPKT_S3_S3_PS1_ii,@function
_Z16wvSplitK_hf_big_I14__hip_bfloat16Li64ELi1ELi16ELi8ELi4ELi4EEviiiiiiPKT_S3_S3_PS1_ii: ; @_Z16wvSplitK_hf_big_I14__hip_bfloat16Li64ELi1ELi16ELi8ELi4ELi4EEviiiiiiPKT_S3_S3_PS1_ii
; %bb.0:
	s_load_b64 s[20:21], s[0:1], 0x38
	v_bfe_u32 v1, v0, 10, 10
	s_mov_b32 s2, exec_lo
	s_waitcnt lgkmcnt(0)
	s_delay_alu instid0(VALU_DEP_1)
	v_cmpx_gt_u32_e64 s20, v1
	s_cbranch_execz .LBB265_54
; %bb.1:
	s_load_b128 s[16:19], s[0:1], 0x0
	v_mad_u64_u32 v[80:81], null, s15, s20, v[1:2]
	v_mov_b32_e32 v86, 1
	s_delay_alu instid0(VALU_DEP_2) | instskip(SKIP_2) | instid1(VALU_DEP_2)
	v_add_nc_u32_e32 v2, 1, v80
	s_waitcnt lgkmcnt(0)
	v_cmp_gt_u32_e32 vcc_lo, s19, v80
	v_cmp_le_u32_e64 s2, s19, v2
	s_delay_alu instid0(VALU_DEP_1) | instskip(NEXT) | instid1(SALU_CYCLE_1)
	s_and_b32 s3, vcc_lo, s2
	s_and_saveexec_b32 s2, s3
; %bb.2:
	v_subrev_nc_u32_e32 v2, s19, v80
	s_add_i32 s3, s19, -1
	s_delay_alu instid0(SALU_CYCLE_1) | instskip(NEXT) | instid1(VALU_DEP_2)
	v_mov_b32_e32 v80, s3
	v_cmp_eq_u32_e32 vcc_lo, -1, v2
	v_cndmask_b32_e64 v86, 0, 1, vcc_lo
; %bb.3:
	s_or_b32 exec_lo, exec_lo, s2
	s_abs_i32 s2, s20
	s_abs_i32 s5, s19
	v_cvt_f32_u32_e32 v2, s2
	s_sub_i32 s4, 0, s2
	s_mov_b32 s14, 0
	s_delay_alu instid0(VALU_DEP_1) | instskip(SKIP_2) | instid1(VALU_DEP_1)
	v_rcp_iflag_f32_e32 v2, v2
	s_waitcnt_depctr 0xfff
	v_mul_f32_e32 v2, 0x4f7ffffe, v2
	v_cvt_u32_f32_e32 v2, v2
	s_delay_alu instid0(VALU_DEP_1) | instskip(NEXT) | instid1(VALU_DEP_1)
	v_readfirstlane_b32 s3, v2
	s_mul_i32 s4, s4, s3
	s_delay_alu instid0(SALU_CYCLE_1) | instskip(NEXT) | instid1(SALU_CYCLE_1)
	s_mul_hi_u32 s4, s3, s4
	s_add_i32 s3, s3, s4
	s_ashr_i32 s4, s19, 31
	s_mul_hi_u32 s3, s5, s3
	s_delay_alu instid0(SALU_CYCLE_1) | instskip(NEXT) | instid1(SALU_CYCLE_1)
	s_mul_i32 s3, s3, s2
	s_sub_i32 s3, s5, s3
	s_delay_alu instid0(SALU_CYCLE_1) | instskip(SKIP_2) | instid1(SALU_CYCLE_1)
	s_sub_i32 s5, s3, s2
	s_cmp_ge_u32 s3, s2
	s_cselect_b32 s3, s5, s3
	s_sub_i32 s5, s3, s2
	s_cmp_ge_u32 s3, s2
	s_cselect_b32 s2, s5, s3
	s_add_i32 s3, s20, s19
	s_xor_b32 s2, s2, s4
	s_delay_alu instid0(SALU_CYCLE_1) | instskip(NEXT) | instid1(SALU_CYCLE_1)
	s_sub_i32 s2, s2, s4
	s_sub_i32 s3, s3, s2
	s_cmp_eq_u32 s2, 0
	s_cselect_b32 s3, s19, s3
	s_delay_alu instid0(SALU_CYCLE_1)
	v_cmp_gt_u32_e32 vcc_lo, s3, v80
	s_and_b32 exec_lo, exec_lo, vcc_lo
	s_cbranch_execz .LBB265_54
; %bb.4:
	s_load_b256 s[4:11], s[0:1], 0x10
	s_min_u32 s15, s18, 0x2000
	s_cmp_lg_u32 s16, 0
	s_load_b64 s[12:13], s[0:1], 0x30
	s_cselect_b32 s22, -1, 0
	s_cmp_lg_u32 s18, 0
	v_and_b32_e32 v0, 0x3ff, v0
	s_cselect_b32 s23, -1, 0
	s_lshl_b32 s24, s20, 9
	s_add_i32 s25, s16, -8
	s_add_i32 s26, s19, -1
	v_lshlrev_b32_e32 v88, 3, v0
	v_cmp_eq_u32_e64 s0, 63, v0
	v_lshlrev_b32_e32 v0, 4, v0
	v_mbcnt_lo_u32_b32 v87, -1, 0
	s_delay_alu instid0(VALU_DEP_4) | instskip(SKIP_1) | instid1(VALU_DEP_4)
	v_lshl_add_u32 v83, v1, 9, v88
	v_mov_b32_e32 v82, 0
	v_lshl_add_u32 v89, v1, 10, v0
	s_waitcnt lgkmcnt(0)
	s_cmp_lg_u64 s[10:11], 0
	v_cvt_f32_u32_e32 v3, s4
	s_cselect_b32 s27, -1, 0
	s_abs_i32 s2, s5
	s_mul_i32 s5, s21, s20
	v_cvt_f32_u32_e32 v2, s2
	v_rcp_iflag_f32_e32 v3, v3
	s_sub_i32 s30, 0, s2
	s_sub_i32 s28, s5, s19
	;; [unrolled: 1-line block ×3, first 2 shown]
	v_rcp_iflag_f32_e32 v2, v2
	s_add_i32 s28, s28, 2
	s_sub_i32 s31, 1, s2
	v_mad_u64_u32 v[84:85], null, s18, 3, v[83:84]
	v_add_nc_u32_e32 v85, s18, v83
	v_lshl_add_u32 v90, s18, 1, v83
	s_mul_i32 s21, s15, 6
	s_waitcnt_depctr 0xfff
	v_mul_f32_e32 v2, 0x4f7ffffe, v2
	s_delay_alu instid0(VALU_DEP_1) | instskip(NEXT) | instid1(VALU_DEP_1)
	v_cvt_u32_f32_e32 v2, v2
	v_readfirstlane_b32 s1, v2
	v_mul_f32_e32 v2, 0x4f7ffffe, v3
	s_delay_alu instid0(VALU_DEP_2) | instskip(NEXT) | instid1(VALU_DEP_1)
	s_mul_i32 s30, s30, s1
	v_cvt_u32_f32_e32 v0, v2
	s_mul_hi_u32 s30, s1, s30
	s_delay_alu instid0(SALU_CYCLE_1) | instskip(SKIP_1) | instid1(VALU_DEP_1)
	s_add_i32 s1, s1, s30
	s_cmp_lt_u32 s2, 2
	v_mul_lo_u32 v1, s29, v0
	s_cselect_b32 s30, s31, 1
	s_delay_alu instid0(SALU_CYCLE_1)
	s_sub_i32 s31, s30, s2
	s_cmp_ge_u32 s30, s2
	s_cselect_b32 s30, s31, s30
	s_lshr_b32 s31, s1, 31
	s_mul_hi_u32 s1, s1, 3
	s_mul_i32 s31, s31, s2
	s_mul_i32 s1, s1, s2
	s_sub_i32 s29, 2, s31
	v_mul_hi_u32 v1, v0, v1
	s_sub_i32 s31, s29, s2
	s_cmp_ge_u32 s29, s2
	s_cselect_b32 s29, s31, s29
	s_delay_alu instid0(SALU_CYCLE_1) | instskip(SKIP_1) | instid1(VALU_DEP_1)
	s_sub_i32 s31, s29, s2
	s_cmp_ge_u32 s29, s2
	v_add_nc_u32_e32 v91, v0, v1
	s_cselect_b32 s31, s31, s29
	s_sub_i32 s1, 3, s1
	s_delay_alu instid0(SALU_CYCLE_1)
	s_sub_i32 s29, s1, s2
	s_cmp_ge_u32 s1, s2
	s_cselect_b32 s1, s29, s1
	s_mul_i32 s29, s30, s4
	s_sub_i32 s33, s1, s2
	s_cmp_ge_u32 s1, s2
	s_mul_i32 s30, s31, s4
	s_cselect_b32 s33, s33, s1
	s_lshl_b32 s20, s20, 10
	s_lshl_b32 s31, s15, 2
	s_mul_i32 s33, s33, s4
	s_lshl_b32 s34, s15, 1
	s_branch .LBB265_7
.LBB265_5:                              ;   in Loop: Header=BB265_7 Depth=1
	s_or_b32 exec_lo, exec_lo, s1
.LBB265_6:                              ;   in Loop: Header=BB265_7 Depth=1
	s_delay_alu instid0(SALU_CYCLE_1) | instskip(NEXT) | instid1(VALU_DEP_1)
	s_or_b32 exec_lo, exec_lo, s2
	v_cmp_le_u32_e32 vcc_lo, s3, v0
	v_mov_b32_e32 v80, v0
	s_or_b32 s14, vcc_lo, s14
	s_delay_alu instid0(SALU_CYCLE_1)
	s_and_not1_b32 exec_lo, exec_lo, s14
	s_cbranch_execz .LBB265_54
.LBB265_7:                              ; =>This Loop Header: Depth=1
                                        ;     Child Loop BB265_14 Depth 2
                                        ;       Child Loop BB265_19 Depth 3
	v_mov_b32_e32 v94, v82
	v_mov_b32_e32 v95, v82
	v_mov_b32_e32 v96, v82
	v_mov_b32_e32 v97, v82
	s_and_not1_b32 vcc_lo, exec_lo, s22
	s_mov_b32 s35, 0
	s_cbranch_vccnz .LBB265_28
; %bb.8:                                ;   in Loop: Header=BB265_7 Depth=1
	v_min_u32_e32 v0, s26, v80
	v_cmp_gt_u32_e64 s1, s19, v80
	v_dual_mov_b32 v97, 0 :: v_dual_mov_b32 v96, 0
	v_dual_mov_b32 v95, 0 :: v_dual_mov_b32 v94, 0
	s_delay_alu instid0(VALU_DEP_4) | instskip(SKIP_1) | instid1(VALU_DEP_1)
	v_mul_lo_u32 v81, v0, s17
	s_mov_b32 s36, 0
	v_lshlrev_b64 v[0:1], 1, v[81:82]
	s_delay_alu instid0(VALU_DEP_1) | instskip(NEXT) | instid1(VALU_DEP_2)
	v_add_co_u32 v92, vcc_lo, s6, v0
	v_add_co_ci_u32_e32 v93, vcc_lo, s7, v1, vcc_lo
	s_branch .LBB265_14
.LBB265_9:                              ;   in Loop: Header=BB265_14 Depth=2
	s_or_b32 exec_lo, exec_lo, s40
.LBB265_10:                             ;   in Loop: Header=BB265_14 Depth=2
	s_delay_alu instid0(SALU_CYCLE_1)
	s_or_b32 exec_lo, exec_lo, s39
.LBB265_11:                             ;   in Loop: Header=BB265_14 Depth=2
	s_delay_alu instid0(SALU_CYCLE_1)
	s_or_b32 exec_lo, exec_lo, s38
.LBB265_12:                             ;   in Loop: Header=BB265_14 Depth=2
	s_delay_alu instid0(SALU_CYCLE_1)
	s_or_b32 exec_lo, exec_lo, s37
	s_waitcnt vmcnt(3)
	v_and_b32_e32 v100, 0xffff0000, v65
	v_and_b32_e32 v101, 0xffff0000, v66
	v_lshlrev_b32_e32 v66, 16, v66
	s_waitcnt lgkmcnt(3)
	v_and_b32_e32 v99, 0xffff0000, v77
	v_and_b32_e32 v81, 0xffff0000, v76
	v_lshlrev_b32_e32 v77, 16, v77
	v_lshlrev_b32_e32 v65, 16, v65
	s_delay_alu instid0(VALU_DEP_4) | instskip(SKIP_1) | instid1(VALU_DEP_2)
	v_mul_f32_e32 v99, v99, v100
	v_and_b32_e32 v98, 0xffff0000, v64
	v_dual_fmac_f32 v99, v77, v65 :: v_dual_lshlrev_b32 v64, 16, v64
	s_delay_alu instid0(VALU_DEP_2) | instskip(NEXT) | instid1(VALU_DEP_1)
	v_dual_mul_f32 v81, v81, v98 :: v_dual_lshlrev_b32 v76, 16, v76
	v_dual_fmac_f32 v81, v76, v64 :: v_dual_and_b32 v76, 0xffff0000, v78
	s_delay_alu instid0(VALU_DEP_1) | instskip(NEXT) | instid1(VALU_DEP_2)
	v_dual_add_f32 v77, v97, v81 :: v_dual_lshlrev_b32 v78, 16, v78
	v_dual_mul_f32 v76, v76, v101 :: v_dual_and_b32 v81, 0xffff0000, v79
	v_and_b32_e32 v97, 0xffff0000, v67
	s_delay_alu instid0(VALU_DEP_3) | instskip(SKIP_1) | instid1(VALU_DEP_3)
	v_add_f32_e32 v77, v77, v99
	v_lshlrev_b32_e32 v79, 16, v79
	v_dual_mul_f32 v81, v81, v97 :: v_dual_fmac_f32 v76, v78, v66
	v_lshlrev_b32_e32 v67, 16, v67
	s_waitcnt lgkmcnt(2)
	v_and_b32_e32 v78, 0xffff0000, v72
	s_delay_alu instid0(VALU_DEP_2) | instskip(NEXT) | instid1(VALU_DEP_2)
	v_dual_add_f32 v76, v77, v76 :: v_dual_fmac_f32 v81, v79, v67
	v_dual_mul_f32 v78, v78, v98 :: v_dual_and_b32 v77, 0xffff0000, v73
	s_waitcnt lgkmcnt(1)
	v_and_b32_e32 v79, 0xffff0000, v68
	v_lshlrev_b32_e32 v72, 16, v72
	v_add_f32_e32 v76, v76, v81
	s_delay_alu instid0(VALU_DEP_2) | instskip(SKIP_2) | instid1(VALU_DEP_3)
	v_fmac_f32_e32 v78, v72, v64
	v_dual_mul_f32 v73, v77, v100 :: v_dual_lshlrev_b32 v72, 16, v73
	v_and_b32_e32 v77, 0xffff0000, v74
	v_add_f32_e32 v78, v96, v78
	s_delay_alu instid0(VALU_DEP_3) | instskip(NEXT) | instid1(VALU_DEP_3)
	v_dual_fmac_f32 v73, v72, v65 :: v_dual_lshlrev_b32 v72, 16, v74
	v_mul_f32_e32 v74, v77, v101
	v_dual_mul_f32 v77, v79, v98 :: v_dual_lshlrev_b32 v68, 16, v68
	s_delay_alu instid0(VALU_DEP_3) | instskip(SKIP_1) | instid1(VALU_DEP_4)
	v_add_f32_e32 v73, v78, v73
	v_and_b32_e32 v78, 0xffff0000, v69
	v_fmac_f32_e32 v74, v72, v66
	s_delay_alu instid0(VALU_DEP_4) | instskip(NEXT) | instid1(VALU_DEP_2)
	v_dual_fmac_f32 v77, v68, v64 :: v_dual_and_b32 v72, 0xffff0000, v75
	v_dual_add_f32 v73, v73, v74 :: v_dual_lshlrev_b32 v68, 16, v69
	s_delay_alu instid0(VALU_DEP_4) | instskip(NEXT) | instid1(VALU_DEP_3)
	v_dual_mul_f32 v69, v78, v100 :: v_dual_and_b32 v78, 0xffff0000, v70
	v_add_f32_e32 v77, v95, v77
	s_delay_alu instid0(VALU_DEP_4) | instskip(NEXT) | instid1(VALU_DEP_3)
	v_mul_f32_e32 v72, v72, v97
	v_dual_fmac_f32 v69, v68, v65 :: v_dual_lshlrev_b32 v68, 16, v70
	s_delay_alu instid0(VALU_DEP_4) | instskip(SKIP_1) | instid1(VALU_DEP_2)
	v_dual_mul_f32 v70, v78, v101 :: v_dual_lshlrev_b32 v75, 16, v75
	s_waitcnt lgkmcnt(0)
	v_dual_add_f32 v69, v77, v69 :: v_dual_and_b32 v74, 0xffff0000, v60
	s_delay_alu instid0(VALU_DEP_2) | instskip(NEXT) | instid1(VALU_DEP_3)
	v_fmac_f32_e32 v70, v68, v66
	v_fmac_f32_e32 v72, v75, v67
	v_lshlrev_b32_e32 v60, 16, v60
	s_delay_alu instid0(VALU_DEP_4) | instskip(NEXT) | instid1(VALU_DEP_4)
	v_mul_f32_e32 v68, v74, v98
	v_add_f32_e32 v69, v69, v70
	s_delay_alu instid0(VALU_DEP_4) | instskip(SKIP_1) | instid1(VALU_DEP_4)
	v_dual_add_f32 v72, v73, v72 :: v_dual_and_b32 v73, 0xffff0000, v61
	v_and_b32_e32 v70, 0xffff0000, v71
	v_fmac_f32_e32 v68, v60, v64
	s_delay_alu instid0(VALU_DEP_3) | instskip(SKIP_1) | instid1(VALU_DEP_4)
	v_dual_mul_f32 v61, v73, v100 :: v_dual_lshlrev_b32 v60, 16, v61
	v_lshlrev_b32_e32 v64, 16, v71
	v_dual_mul_f32 v70, v70, v97 :: v_dual_and_b32 v71, 0xffff0000, v62
	s_delay_alu instid0(VALU_DEP_3)
	v_fmac_f32_e32 v61, v60, v65
	s_waitcnt vmcnt(2)
	v_and_b32_e32 v65, 0xffff0000, v48
	v_lshlrev_b32_e32 v60, 16, v62
	v_dual_mul_f32 v62, v71, v101 :: v_dual_and_b32 v71, 0xffff0000, v50
	v_lshlrev_b32_e32 v48, 16, v48
	v_lshlrev_b32_e32 v50, 16, v50
	s_delay_alu instid0(VALU_DEP_3) | instskip(SKIP_4) | instid1(VALU_DEP_3)
	v_fmac_f32_e32 v62, v60, v66
	v_fmac_f32_e32 v70, v64, v67
	v_and_b32_e32 v64, 0xffff0000, v56
	v_lshlrev_b32_e32 v56, 16, v56
	v_and_b32_e32 v66, 0xffff0000, v57
	v_mul_f32_e32 v60, v64, v65
	v_and_b32_e32 v64, 0xffff0000, v63
	v_dual_add_f32 v68, v94, v68 :: v_dual_lshlrev_b32 v63, 16, v63
	s_delay_alu instid0(VALU_DEP_3) | instskip(SKIP_1) | instid1(VALU_DEP_4)
	v_fmac_f32_e32 v60, v56, v48
	v_lshlrev_b32_e32 v56, 16, v57
	v_mul_f32_e32 v64, v64, v97
	s_delay_alu instid0(VALU_DEP_4) | instskip(SKIP_1) | instid1(VALU_DEP_3)
	v_add_f32_e32 v61, v68, v61
	v_and_b32_e32 v68, 0xffff0000, v49
	v_dual_fmac_f32 v64, v63, v67 :: v_dual_lshlrev_b32 v49, 16, v49
	v_and_b32_e32 v63, 0xffff0000, v53
	s_delay_alu instid0(VALU_DEP_3) | instskip(SKIP_1) | instid1(VALU_DEP_2)
	v_mul_f32_e32 v57, v66, v68
	v_add_f32_e32 v60, v76, v60
	v_dual_fmac_f32 v57, v56, v49 :: v_dual_and_b32 v66, 0xffff0000, v58
	s_delay_alu instid0(VALU_DEP_1) | instskip(SKIP_2) | instid1(VALU_DEP_1)
	v_dual_add_f32 v57, v60, v57 :: v_dual_and_b32 v60, 0xffff0000, v59
	v_lshlrev_b32_e32 v59, 16, v59
	v_dual_add_f32 v61, v61, v62 :: v_dual_and_b32 v62, 0xffff0000, v51
	v_dual_mul_f32 v60, v60, v62 :: v_dual_lshlrev_b32 v51, 16, v51
	s_delay_alu instid0(VALU_DEP_1) | instskip(NEXT) | instid1(VALU_DEP_1)
	v_dual_fmac_f32 v60, v59, v51 :: v_dual_and_b32 v59, 0xffff0000, v54
	v_dual_mul_f32 v59, v59, v71 :: v_dual_lshlrev_b32 v54, 16, v54
	s_delay_alu instid0(VALU_DEP_1) | instskip(SKIP_3) | instid1(VALU_DEP_2)
	v_dual_fmac_f32 v59, v54, v50 :: v_dual_and_b32 v54, 0xffff0000, v45
	v_lshlrev_b32_e32 v56, 16, v58
	v_mul_f32_e32 v58, v66, v71
	v_add_f32_e32 v66, v69, v70
	v_fmac_f32_e32 v58, v56, v50
	v_and_b32_e32 v56, 0xffff0000, v52
	s_delay_alu instid0(VALU_DEP_2) | instskip(NEXT) | instid1(VALU_DEP_2)
	v_dual_add_f32 v57, v57, v58 :: v_dual_lshlrev_b32 v52, 16, v52
	v_mul_f32_e32 v56, v56, v65
	s_delay_alu instid0(VALU_DEP_1) | instskip(SKIP_1) | instid1(VALU_DEP_2)
	v_fmac_f32_e32 v56, v52, v48
	v_dual_mul_f32 v53, v63, v68 :: v_dual_lshlrev_b32 v52, 16, v53
	v_add_f32_e32 v56, v72, v56
	s_delay_alu instid0(VALU_DEP_2) | instskip(SKIP_1) | instid1(VALU_DEP_2)
	v_dual_fmac_f32 v53, v52, v49 :: v_dual_add_f32 v52, v57, v60
	v_and_b32_e32 v57, 0xffff0000, v44
	v_dual_add_f32 v53, v56, v53 :: v_dual_lshlrev_b32 v44, 16, v44
	s_delay_alu instid0(VALU_DEP_2) | instskip(SKIP_1) | instid1(VALU_DEP_2)
	v_dual_mul_f32 v57, v57, v65 :: v_dual_and_b32 v56, 0xffff0000, v55
	v_lshlrev_b32_e32 v55, 16, v55
	v_dual_add_f32 v53, v53, v59 :: v_dual_mul_f32 v56, v56, v62
	s_delay_alu instid0(VALU_DEP_3) | instskip(SKIP_2) | instid1(VALU_DEP_3)
	v_dual_fmac_f32 v57, v44, v48 :: v_dual_lshlrev_b32 v44, 16, v45
	v_mul_f32_e32 v45, v54, v68
	v_and_b32_e32 v54, 0xffff0000, v40
	v_dual_fmac_f32 v56, v55, v51 :: v_dual_add_f32 v55, v66, v57
	v_lshlrev_b32_e32 v40, 16, v40
	v_and_b32_e32 v57, 0xffff0000, v41
	s_delay_alu instid0(VALU_DEP_4) | instskip(SKIP_1) | instid1(VALU_DEP_2)
	v_mul_f32_e32 v54, v54, v65
	v_dual_fmac_f32 v45, v44, v49 :: v_dual_add_f32 v58, v61, v64
	v_fmac_f32_e32 v54, v40, v48
	s_delay_alu instid0(VALU_DEP_4) | instskip(NEXT) | instid1(VALU_DEP_3)
	v_dual_mul_f32 v41, v57, v68 :: v_dual_lshlrev_b32 v40, 16, v41
	v_dual_add_f32 v45, v55, v45 :: v_dual_and_b32 v48, 0xffff0000, v47
	s_delay_alu instid0(VALU_DEP_2)
	v_dual_add_f32 v54, v58, v54 :: v_dual_fmac_f32 v41, v40, v49
	s_waitcnt vmcnt(1)
	v_and_b32_e32 v49, 0xffff0000, v25
	v_and_b32_e32 v44, 0xffff0000, v46
	v_lshlrev_b32_e32 v46, 16, v46
	v_lshlrev_b32_e32 v25, 16, v25
	v_dual_add_f32 v41, v54, v41 :: v_dual_lshlrev_b32 v40, 16, v42
	s_delay_alu instid0(VALU_DEP_4) | instskip(NEXT) | instid1(VALU_DEP_1)
	v_mul_f32_e32 v44, v44, v71
	v_fmac_f32_e32 v44, v46, v50
	v_and_b32_e32 v46, 0xffff0000, v42
	s_delay_alu instid0(VALU_DEP_1) | instskip(SKIP_1) | instid1(VALU_DEP_2)
	v_mul_f32_e32 v42, v46, v71
	v_dual_mul_f32 v47, v48, v62 :: v_dual_lshlrev_b32 v46, 16, v47
	v_fmac_f32_e32 v42, v40, v50
	v_add_f32_e32 v40, v45, v44
	v_and_b32_e32 v44, 0xffff0000, v36
	v_and_b32_e32 v45, 0xffff0000, v24
	v_dual_fmac_f32 v47, v46, v51 :: v_dual_lshlrev_b32 v36, 16, v36
	v_lshlrev_b32_e32 v24, 16, v24
	v_and_b32_e32 v46, 0xffff0000, v37
	s_delay_alu instid0(VALU_DEP_4) | instskip(NEXT) | instid1(VALU_DEP_4)
	v_dual_mul_f32 v44, v44, v45 :: v_dual_add_f32 v41, v41, v42
	v_add_f32_e32 v40, v40, v47
	s_delay_alu instid0(VALU_DEP_2) | instskip(SKIP_3) | instid1(VALU_DEP_4)
	v_fmac_f32_e32 v44, v36, v24
	v_lshlrev_b32_e32 v36, 16, v37
	v_dual_mul_f32 v37, v46, v49 :: v_dual_and_b32 v46, 0xffff0000, v26
	v_lshlrev_b32_e32 v26, 16, v26
	v_add_f32_e32 v44, v52, v44
	s_delay_alu instid0(VALU_DEP_3) | instskip(NEXT) | instid1(VALU_DEP_1)
	v_fmac_f32_e32 v37, v36, v25
	v_dual_add_f32 v37, v44, v37 :: v_dual_and_b32 v44, 0xffff0000, v27
	v_and_b32_e32 v42, 0xffff0000, v43
	v_lshlrev_b32_e32 v43, 16, v43
	v_lshlrev_b32_e32 v27, 16, v27
	;; [unrolled: 1-line block ×3, first 2 shown]
	s_delay_alu instid0(VALU_DEP_4) | instskip(NEXT) | instid1(VALU_DEP_1)
	v_mul_f32_e32 v42, v42, v62
	v_dual_fmac_f32 v42, v43, v51 :: v_dual_and_b32 v43, 0xffff0000, v38
	v_add_f32_e32 v48, v53, v56
	s_delay_alu instid0(VALU_DEP_2) | instskip(SKIP_1) | instid1(VALU_DEP_2)
	v_dual_mul_f32 v38, v43, v46 :: v_dual_and_b32 v43, 0xffff0000, v32
	v_lshlrev_b32_e32 v32, 16, v32
	v_fmac_f32_e32 v38, v36, v26
	s_delay_alu instid0(VALU_DEP_3) | instskip(SKIP_1) | instid1(VALU_DEP_2)
	v_mul_f32_e32 v36, v43, v45
	v_and_b32_e32 v43, 0xffff0000, v33
	v_dual_add_f32 v37, v37, v38 :: v_dual_fmac_f32 v36, v32, v24
	v_lshlrev_b32_e32 v32, 16, v33
	s_delay_alu instid0(VALU_DEP_3) | instskip(SKIP_3) | instid1(VALU_DEP_4)
	v_mul_f32_e32 v33, v43, v49
	v_and_b32_e32 v43, 0xffff0000, v34
	v_and_b32_e32 v38, 0xffff0000, v28
	v_add_f32_e32 v36, v48, v36
	v_dual_fmac_f32 v33, v32, v25 :: v_dual_lshlrev_b32 v28, 16, v28
	v_lshlrev_b32_e32 v32, 16, v34
	s_delay_alu instid0(VALU_DEP_2) | instskip(SKIP_1) | instid1(VALU_DEP_2)
	v_dual_mul_f32 v34, v43, v46 :: v_dual_add_f32 v33, v36, v33
	v_mul_f32_e32 v36, v38, v45
	v_fmac_f32_e32 v34, v32, v26
	v_and_b32_e32 v32, 0xffff0000, v35
	v_lshlrev_b32_e32 v35, 16, v35
	v_and_b32_e32 v38, 0xffff0000, v29
	s_delay_alu instid0(VALU_DEP_4) | instskip(NEXT) | instid1(VALU_DEP_4)
	v_dual_fmac_f32 v36, v28, v24 :: v_dual_add_f32 v33, v33, v34
	v_mul_f32_e32 v32, v32, v44
	v_lshlrev_b32_e32 v28, 16, v29
	s_delay_alu instid0(VALU_DEP_2) | instskip(NEXT) | instid1(VALU_DEP_4)
	v_dual_mul_f32 v29, v38, v49 :: v_dual_fmac_f32 v32, v35, v27
	v_dual_add_f32 v35, v40, v36 :: v_dual_and_b32 v36, 0xffff0000, v30
	s_delay_alu instid0(VALU_DEP_2) | instskip(NEXT) | instid1(VALU_DEP_3)
	v_dual_fmac_f32 v29, v28, v25 :: v_dual_lshlrev_b32 v30, 16, v30
	v_add_f32_e32 v28, v33, v32
	s_delay_alu instid0(VALU_DEP_3) | instskip(NEXT) | instid1(VALU_DEP_3)
	v_dual_mul_f32 v33, v36, v46 :: v_dual_and_b32 v32, 0xffff0000, v20
	v_dual_add_f32 v29, v35, v29 :: v_dual_lshlrev_b32 v20, 16, v20
	s_delay_alu instid0(VALU_DEP_2) | instskip(NEXT) | instid1(VALU_DEP_3)
	v_dual_mul_f32 v32, v32, v45 :: v_dual_and_b32 v35, 0xffff0000, v31
	v_dual_fmac_f32 v33, v30, v26 :: v_dual_and_b32 v30, 0xffff0000, v21
	v_lshlrev_b32_e32 v31, 16, v31
	s_delay_alu instid0(VALU_DEP_3) | instskip(NEXT) | instid1(VALU_DEP_4)
	v_mul_f32_e32 v35, v35, v44
	v_fmac_f32_e32 v32, v20, v24
	v_lshlrev_b32_e32 v20, 16, v21
	v_mul_f32_e32 v21, v30, v49
	v_dual_add_f32 v24, v29, v33 :: v_dual_and_b32 v29, 0xffff0000, v22
	v_fmac_f32_e32 v35, v31, v27
	s_waitcnt vmcnt(0)
	v_and_b32_e32 v31, 0xffff0000, v2
	v_dual_fmac_f32 v21, v20, v25 :: v_dual_lshlrev_b32 v20, 16, v22
	v_dual_mul_f32 v22, v29, v46 :: v_dual_and_b32 v29, 0xffff0000, v0
	v_add_f32_e32 v41, v41, v42
	v_and_b32_e32 v25, 0xffff0000, v16
	v_lshlrev_b32_e32 v16, 16, v16
	s_delay_alu instid0(VALU_DEP_4)
	v_fmac_f32_e32 v22, v20, v26
	v_lshlrev_b32_e32 v0, 16, v0
	v_add_f32_e32 v30, v41, v32
	v_mul_f32_e32 v20, v25, v29
	v_and_b32_e32 v26, 0xffff0000, v17
	v_lshlrev_b32_e32 v2, 16, v2
	v_and_b32_e32 v25, 0xffff0000, v23
	v_add_f32_e32 v21, v30, v21
	v_and_b32_e32 v30, 0xffff0000, v1
	v_fmac_f32_e32 v20, v16, v0
	v_lshlrev_b32_e32 v16, 16, v17
	v_lshlrev_b32_e32 v1, 16, v1
	v_add_f32_e32 v21, v21, v22
	v_mul_f32_e32 v17, v26, v30
	v_and_b32_e32 v26, 0xffff0000, v18
	v_and_b32_e32 v22, 0xffff0000, v12
	v_lshlrev_b32_e32 v12, 16, v12
	v_lshlrev_b32_e32 v23, 16, v23
	v_dual_fmac_f32 v17, v16, v1 :: v_dual_lshlrev_b32 v16, 16, v18
	v_dual_mul_f32 v18, v26, v31 :: v_dual_mul_f32 v25, v25, v44
	v_add_f32_e32 v24, v24, v35
	s_delay_alu instid0(VALU_DEP_2) | instskip(SKIP_3) | instid1(VALU_DEP_3)
	v_fmac_f32_e32 v18, v16, v2
	v_and_b32_e32 v42, 0xffff0000, v39
	v_dual_mul_f32 v16, v22, v29 :: v_dual_lshlrev_b32 v39, 16, v39
	v_and_b32_e32 v22, 0xffff0000, v3
	v_dual_mul_f32 v42, v42, v44 :: v_dual_lshlrev_b32 v3, 16, v3
	s_delay_alu instid0(VALU_DEP_3) | instskip(SKIP_1) | instid1(VALU_DEP_2)
	v_dual_fmac_f32 v16, v12, v0 :: v_dual_fmac_f32 v25, v23, v27
	v_lshlrev_b32_e32 v12, 16, v13
	v_add_f32_e32 v16, v28, v16
	s_delay_alu instid0(VALU_DEP_4) | instskip(NEXT) | instid1(VALU_DEP_1)
	v_fmac_f32_e32 v42, v39, v27
	v_add_f32_e32 v34, v37, v42
	s_delay_alu instid0(VALU_DEP_1) | instskip(NEXT) | instid1(VALU_DEP_1)
	v_add_f32_e32 v20, v34, v20
	v_add_f32_e32 v17, v20, v17
	;; [unrolled: 1-line block ×3, first 2 shown]
	v_and_b32_e32 v21, 0xffff0000, v13
	s_delay_alu instid0(VALU_DEP_3) | instskip(NEXT) | instid1(VALU_DEP_2)
	v_dual_add_f32 v17, v17, v18 :: v_dual_and_b32 v18, 0xffff0000, v19
	v_mul_f32_e32 v13, v21, v30
	v_and_b32_e32 v21, 0xffff0000, v14
	s_delay_alu instid0(VALU_DEP_3) | instskip(NEXT) | instid1(VALU_DEP_3)
	v_dual_mul_f32 v18, v18, v22 :: v_dual_lshlrev_b32 v19, 16, v19
	v_dual_fmac_f32 v13, v12, v1 :: v_dual_lshlrev_b32 v12, 16, v14
	s_delay_alu instid0(VALU_DEP_3) | instskip(NEXT) | instid1(VALU_DEP_2)
	v_dual_mul_f32 v14, v21, v31 :: v_dual_and_b32 v21, 0xffff0000, v4
	v_dual_add_f32 v13, v16, v13 :: v_dual_lshlrev_b32 v4, 16, v4
	v_and_b32_e32 v16, 0xffff0000, v5
	s_delay_alu instid0(VALU_DEP_3) | instskip(NEXT) | instid1(VALU_DEP_4)
	v_fmac_f32_e32 v14, v12, v2
	v_mul_f32_e32 v12, v21, v29
	v_dual_fmac_f32 v18, v19, v3 :: v_dual_and_b32 v19, 0xffff0000, v9
	s_delay_alu instid0(VALU_DEP_2) | instskip(SKIP_3) | instid1(VALU_DEP_4)
	v_dual_add_f32 v13, v13, v14 :: v_dual_fmac_f32 v12, v4, v0
	v_dual_mul_f32 v5, v16, v30 :: v_dual_lshlrev_b32 v4, 16, v5
	v_and_b32_e32 v16, 0xffff0000, v8
	v_lshlrev_b32_e32 v8, 16, v8
	v_add_f32_e32 v12, v24, v12
	s_delay_alu instid0(VALU_DEP_4)
	v_dual_fmac_f32 v5, v4, v1 :: v_dual_and_b32 v14, 0xffff0000, v15
	v_and_b32_e32 v4, 0xffff0000, v6
	v_mul_f32_e32 v16, v16, v29
	v_lshlrev_b32_e32 v6, 16, v6
	v_lshlrev_b32_e32 v15, 16, v15
	v_add_f32_e32 v5, v12, v5
	v_mul_f32_e32 v4, v4, v31
	v_fmac_f32_e32 v16, v8, v0
	v_lshlrev_b32_e32 v0, 16, v9
	v_dual_mul_f32 v8, v19, v30 :: v_dual_and_b32 v9, 0xffff0000, v7
	s_delay_alu instid0(VALU_DEP_4) | instskip(SKIP_2) | instid1(VALU_DEP_4)
	v_fmac_f32_e32 v4, v6, v2
	v_and_b32_e32 v6, 0xffff0000, v10
	v_add_f32_e32 v12, v20, v16
	v_fmac_f32_e32 v8, v0, v1
	v_lshlrev_b32_e32 v0, 16, v10
	v_mul_f32_e32 v14, v14, v22
	v_mul_f32_e32 v1, v6, v31
	v_lshlrev_b32_e32 v6, 16, v7
	v_and_b32_e32 v7, 0xffff0000, v11
	v_dual_mul_f32 v9, v9, v22 :: v_dual_add_f32 v8, v12, v8
	s_delay_alu instid0(VALU_DEP_4) | instskip(NEXT) | instid1(VALU_DEP_2)
	v_dual_fmac_f32 v1, v0, v2 :: v_dual_lshlrev_b32 v0, 16, v11
	v_dual_mul_f32 v2, v7, v22 :: v_dual_fmac_f32 v9, v6, v3
	v_fmac_f32_e32 v14, v15, v3
	s_delay_alu instid0(VALU_DEP_3) | instskip(NEXT) | instid1(VALU_DEP_3)
	v_dual_add_f32 v4, v5, v4 :: v_dual_add_f32 v1, v8, v1
	v_dual_fmac_f32 v2, v0, v3 :: v_dual_add_f32 v97, v17, v18
	s_delay_alu instid0(VALU_DEP_2) | instskip(NEXT) | instid1(VALU_DEP_2)
	v_dual_add_f32 v96, v13, v14 :: v_dual_add_f32 v95, v4, v9
	v_add_f32_e32 v94, v1, v2
.LBB265_13:                             ;   in Loop: Header=BB265_14 Depth=2
	s_or_b32 exec_lo, exec_lo, s2
	s_addk_i32 s36, 0x800
	s_delay_alu instid0(SALU_CYCLE_1)
	s_cmp_ge_u32 s36, s16
	s_cbranch_scc1 .LBB265_28
.LBB265_14:                             ;   Parent Loop BB265_7 Depth=1
                                        ; =>  This Loop Header: Depth=2
                                        ;       Child Loop BB265_19 Depth 3
	s_cmp_eq_u32 s36, 0
	s_cselect_b32 s37, -1, 0
	s_add_i32 s2, s35, s15
	s_delay_alu instid0(SALU_CYCLE_1) | instskip(SKIP_1) | instid1(SALU_CYCLE_1)
	s_cmp_eq_u32 s36, s2
	s_cselect_b32 s38, -1, 0
	s_or_b32 s38, s37, s38
	s_delay_alu instid0(SALU_CYCLE_1)
	s_and_not1_b32 vcc_lo, exec_lo, s38
	s_cbranch_vccz .LBB265_16
; %bb.15:                               ;   in Loop: Header=BB265_14 Depth=2
	s_and_saveexec_b32 s2, s1
	s_cbranch_execz .LBB265_13
	s_branch .LBB265_23
.LBB265_16:                             ;   in Loop: Header=BB265_14 Depth=2
	s_and_b32 s37, s37, exec_lo
	s_cselect_b32 s35, s35, s2
	s_and_not1_b32 vcc_lo, exec_lo, s23
	s_waitcnt vmcnt(0)
	s_waitcnt_vscnt null, 0x0
	s_barrier
	buffer_gl0_inv
	s_cbranch_vccnz .LBB265_22
; %bb.17:                               ;   in Loop: Header=BB265_14 Depth=2
	v_add_nc_u32_e32 v0, s35, v90
	v_dual_mov_b32 v4, v89 :: v_dual_add_nc_u32 v1, s35, v84
	v_add_nc_u32_e32 v2, s35, v85
	v_add_nc_u32_e32 v3, s35, v83
	s_mov_b32 s37, 0
	s_mov_b32 s38, 0
                                        ; implicit-def: $sgpr39
	s_branch .LBB265_19
.LBB265_18:                             ;   in Loop: Header=BB265_19 Depth=3
	s_or_b32 exec_lo, exec_lo, s2
	s_delay_alu instid0(SALU_CYCLE_1) | instskip(NEXT) | instid1(SALU_CYCLE_1)
	s_and_b32 s2, exec_lo, s39
	s_or_b32 s37, s2, s37
	s_delay_alu instid0(SALU_CYCLE_1)
	s_and_not1_b32 exec_lo, exec_lo, s37
	s_cbranch_execz .LBB265_21
.LBB265_19:                             ;   Parent Loop BB265_7 Depth=1
                                        ;     Parent Loop BB265_14 Depth=2
                                        ; =>    This Inner Loop Header: Depth=3
	s_delay_alu instid0(VALU_DEP_1) | instskip(SKIP_2) | instid1(VALU_DEP_2)
	v_add_nc_u32_e32 v81, s38, v3
	v_add_nc_u32_e32 v5, s38, v83
	s_or_b32 s39, s39, exec_lo
	v_cmp_gt_u32_e32 vcc_lo, s18, v81
	s_delay_alu instid0(VALU_DEP_2) | instskip(NEXT) | instid1(VALU_DEP_1)
	v_cmp_gt_u32_e64 s2, s15, v5
	s_and_b32 s40, s2, vcc_lo
	s_delay_alu instid0(SALU_CYCLE_1)
	s_and_saveexec_b32 s2, s40
	s_cbranch_execz .LBB265_18
; %bb.20:                               ;   in Loop: Header=BB265_19 Depth=3
	v_lshlrev_b64 v[5:6], 1, v[81:82]
	v_add_nc_u32_e32 v81, s38, v2
	v_add_nc_u32_e32 v21, s34, v4
	;; [unrolled: 1-line block ×3, first 2 shown]
	s_delay_alu instid0(VALU_DEP_3) | instskip(SKIP_3) | instid1(VALU_DEP_3)
	v_lshlrev_b64 v[7:8], 1, v[81:82]
	v_add_nc_u32_e32 v81, s38, v0
	v_add_co_u32 v5, vcc_lo, s8, v5
	v_add_co_ci_u32_e32 v6, vcc_lo, s9, v6, vcc_lo
	v_lshlrev_b64 v[13:14], 1, v[81:82]
	v_add_nc_u32_e32 v81, s38, v1
	v_add_co_u32 v9, vcc_lo, s8, v7
	v_add_co_ci_u32_e32 v10, vcc_lo, s9, v8, vcc_lo
	s_delay_alu instid0(VALU_DEP_3)
	v_lshlrev_b64 v[15:16], 1, v[81:82]
	v_add_co_u32 v13, vcc_lo, s8, v13
	v_add_co_ci_u32_e32 v14, vcc_lo, s9, v14, vcc_lo
	s_clause 0x1
	global_load_b128 v[5:8], v[5:6], off
	global_load_b128 v[9:12], v[9:10], off
	v_add_co_u32 v17, vcc_lo, s8, v15
	v_add_co_ci_u32_e32 v18, vcc_lo, s9, v16, vcc_lo
	s_clause 0x1
	global_load_b128 v[13:16], v[13:14], off
	global_load_b128 v[17:20], v[17:18], off
	s_add_i32 s38, s38, s24
	s_waitcnt vmcnt(3)
	ds_store_b128 v4, v[5:8]
	s_waitcnt vmcnt(2)
	ds_store_2addr_b64 v21, v[9:10], v[11:12] offset1:1
	s_cmp_ge_u32 s38, s15
	v_add_nc_u32_e32 v5, s21, v4
	s_cselect_b32 s40, -1, 0
	v_add_nc_u32_e32 v4, s20, v4
	s_and_not1_b32 s39, s39, exec_lo
	s_and_b32 s40, s40, exec_lo
	s_waitcnt vmcnt(1)
	ds_store_2addr_b32 v22, v13, v14 offset1:1
	ds_store_2addr_b32 v22, v15, v16 offset0:2 offset1:3
	s_or_b32 s39, s39, s40
	s_waitcnt vmcnt(0)
	ds_store_2addr_b64 v5, v[17:18], v[19:20] offset1:1
	s_branch .LBB265_18
.LBB265_21:                             ;   in Loop: Header=BB265_14 Depth=2
	s_or_b32 exec_lo, exec_lo, s37
.LBB265_22:                             ;   in Loop: Header=BB265_14 Depth=2
	s_waitcnt lgkmcnt(0)
	s_barrier
	buffer_gl0_inv
	s_and_saveexec_b32 s2, s1
	s_cbranch_execz .LBB265_13
.LBB265_23:                             ;   in Loop: Header=BB265_14 Depth=2
	s_waitcnt vmcnt(3)
	v_dual_mov_b32 v11, 0 :: v_dual_add_nc_u32 v100, s36, v88
	v_dual_mov_b32 v15, 0 :: v_dual_mov_b32 v14, 0
	v_dual_mov_b32 v13, 0 :: v_dual_mov_b32 v12, 0
	s_delay_alu instid0(VALU_DEP_3) | instskip(SKIP_3) | instid1(VALU_DEP_3)
	v_min_u32_e32 v81, s25, v100
	s_waitcnt vmcnt(2)
	v_dual_mov_b32 v10, 0 :: v_dual_add_nc_u32 v101, 0x200, v100
	v_dual_mov_b32 v8, 0 :: v_dual_add_nc_u32 v99, 0x400, v100
	v_lshlrev_b64 v[0:1], 1, v[81:82]
	s_delay_alu instid0(VALU_DEP_3) | instskip(SKIP_2) | instid1(VALU_DEP_3)
	v_min_u32_e32 v81, s25, v101
	v_dual_mov_b32 v9, 0 :: v_dual_add_nc_u32 v98, 0x600, v100
	v_dual_mov_b32 v19, 0 :: v_dual_mov_b32 v18, 0
	v_lshlrev_b64 v[2:3], 1, v[81:82]
	v_min_u32_e32 v81, s25, v99
	v_add_co_u32 v0, vcc_lo, v92, v0
	v_add_co_ci_u32_e32 v1, vcc_lo, v93, v1, vcc_lo
	s_waitcnt vmcnt(0)
	s_delay_alu instid0(VALU_DEP_3) | instskip(SKIP_3) | instid1(VALU_DEP_3)
	v_lshlrev_b64 v[4:5], 1, v[81:82]
	v_min_u32_e32 v81, s25, v98
	v_add_co_u32 v2, vcc_lo, v92, v2
	v_add_co_ci_u32_e32 v3, vcc_lo, v93, v3, vcc_lo
	v_lshlrev_b64 v[6:7], 1, v[81:82]
	v_add_co_u32 v4, vcc_lo, v92, v4
	v_add_co_ci_u32_e32 v5, vcc_lo, v93, v5, vcc_lo
	v_dual_mov_b32 v17, 0 :: v_dual_mov_b32 v16, 0
	s_delay_alu instid0(VALU_DEP_4)
	v_add_co_u32 v6, vcc_lo, v92, v6
	v_add_co_ci_u32_e32 v7, vcc_lo, v93, v7, vcc_lo
	s_clause 0x3
	global_load_b128 v[64:67], v[0:1], off slc dlc
	global_load_b128 v[48:51], v[2:3], off slc dlc
	;; [unrolled: 1-line block ×4, first 2 shown]
	v_cmp_gt_u32_e32 vcc_lo, s16, v100
	v_dual_mov_b32 v7, 0 :: v_dual_mov_b32 v6, 0
	v_dual_mov_b32 v5, 0 :: v_dual_mov_b32 v4, 0
	;; [unrolled: 1-line block ×26, first 2 shown]
	s_and_saveexec_b32 s37, vcc_lo
	s_cbranch_execz .LBB265_12
; %bb.24:                               ;   in Loop: Header=BB265_14 Depth=2
	v_subrev_nc_u32_e32 v4, s35, v100
	v_mov_b32_e32 v58, 0
	v_cmp_gt_u32_e32 vcc_lo, s16, v101
	v_dual_mov_b32 v56, 0 :: v_dual_mov_b32 v57, 0
	s_delay_alu instid0(VALU_DEP_4) | instskip(SKIP_2) | instid1(VALU_DEP_3)
	v_lshlrev_b32_e32 v81, 1, v4
	v_dual_mov_b32 v59, 0 :: v_dual_mov_b32 v52, 0
	v_dual_mov_b32 v53, 0 :: v_dual_mov_b32 v54, 0
	v_dual_mov_b32 v55, 0 :: v_dual_add_nc_u32 v100, s34, v81
	v_mov_b32_e32 v46, 0
	v_dual_mov_b32 v44, 0 :: v_dual_mov_b32 v45, 0
	s_delay_alu instid0(VALU_DEP_3) | instskip(SKIP_2) | instid1(VALU_DEP_3)
	v_add_nc_u32_e32 v101, s34, v100
	v_dual_mov_b32 v47, 0 :: v_dual_mov_b32 v40, 0
	v_dual_mov_b32 v41, 0 :: v_dual_mov_b32 v42, 0
	v_dual_mov_b32 v43, 0 :: v_dual_add_nc_u32 v102, s34, v101
	ds_load_b128 v[76:79], v81
	ds_load_b128 v[72:75], v100
	;; [unrolled: 1-line block ×4, first 2 shown]
	v_dual_mov_b32 v36, 0 :: v_dual_mov_b32 v37, 0
	v_dual_mov_b32 v38, 0 :: v_dual_mov_b32 v39, 0
	;; [unrolled: 1-line block ×16, first 2 shown]
	s_and_saveexec_b32 s38, vcc_lo
	s_cbranch_execz .LBB265_11
; %bb.25:                               ;   in Loop: Header=BB265_14 Depth=2
	ds_load_b128 v[56:59], v81 offset:1024
	ds_load_b128 v[52:55], v100 offset:1024
	;; [unrolled: 1-line block ×4, first 2 shown]
	v_cmp_gt_u32_e32 vcc_lo, s16, v99
	v_dual_mov_b32 v36, 0 :: v_dual_mov_b32 v37, 0
	v_dual_mov_b32 v38, 0 :: v_dual_mov_b32 v39, 0
	;; [unrolled: 1-line block ×16, first 2 shown]
	s_and_saveexec_b32 s39, vcc_lo
	s_cbranch_execz .LBB265_10
; %bb.26:                               ;   in Loop: Header=BB265_14 Depth=2
	ds_load_b128 v[36:39], v81 offset:2048
	ds_load_b128 v[32:35], v100 offset:2048
	;; [unrolled: 1-line block ×4, first 2 shown]
	v_dual_mov_b32 v16, 0 :: v_dual_mov_b32 v17, 0
	v_dual_mov_b32 v18, 0 :: v_dual_mov_b32 v19, 0
	;; [unrolled: 1-line block ×8, first 2 shown]
	s_mov_b32 s40, exec_lo
	v_cmpx_gt_u32_e64 s16, v98
	s_cbranch_execz .LBB265_9
; %bb.27:                               ;   in Loop: Header=BB265_14 Depth=2
	ds_load_b128 v[16:19], v81 offset:3072
	ds_load_b128 v[12:15], v100 offset:3072
	;; [unrolled: 1-line block ×4, first 2 shown]
	s_branch .LBB265_9
.LBB265_28:                             ;   in Loop: Header=BB265_7 Depth=1
	s_mov_b32 s1, exec_lo
                                        ; implicit-def: $vgpr0
	v_cmpx_le_u32_e64 s19, v80
	s_xor_b32 s1, exec_lo, s1
; %bb.29:                               ;   in Loop: Header=BB265_7 Depth=1
	v_add_nc_u32_e32 v0, s5, v80
                                        ; implicit-def: $vgpr80
                                        ; implicit-def: $vgpr97
                                        ; implicit-def: $vgpr96
                                        ; implicit-def: $vgpr95
                                        ; implicit-def: $vgpr94
; %bb.30:                               ;   in Loop: Header=BB265_7 Depth=1
	s_and_not1_saveexec_b32 s2, s1
	s_cbranch_execz .LBB265_6
; %bb.31:                               ;   in Loop: Header=BB265_7 Depth=1
	v_cvt_i32_f32_e32 v0, v97
	v_cvt_i32_f32_e32 v1, v96
	;; [unrolled: 1-line block ×4, first 2 shown]
	s_delay_alu instid0(VALU_DEP_4) | instskip(NEXT) | instid1(VALU_DEP_4)
	v_cvt_f32_i32_dpp v0, v0 row_shr:8 row_mask:0xf bank_mask:0xf bound_ctrl:1
	v_cvt_f32_i32_dpp v1, v1 row_shr:8 row_mask:0xf bank_mask:0xf bound_ctrl:1
	s_delay_alu instid0(VALU_DEP_4) | instskip(NEXT) | instid1(VALU_DEP_4)
	v_cvt_f32_i32_dpp v2, v2 row_shr:8 row_mask:0xf bank_mask:0xf bound_ctrl:1
	v_cvt_f32_i32_dpp v3, v3 row_shr:8 row_mask:0xf bank_mask:0xf bound_ctrl:1
	s_delay_alu instid0(VALU_DEP_3) | instskip(NEXT) | instid1(VALU_DEP_2)
	v_dual_add_f32 v0, v97, v0 :: v_dual_add_f32 v1, v96, v1
	v_dual_add_f32 v2, v95, v2 :: v_dual_add_f32 v3, v94, v3
	s_waitcnt vmcnt(0)
	s_delay_alu instid0(VALU_DEP_2) | instskip(NEXT) | instid1(VALU_DEP_3)
	v_cvt_i32_f32_e32 v4, v0
	v_cvt_i32_f32_e32 v5, v1
	s_delay_alu instid0(VALU_DEP_3) | instskip(SKIP_1) | instid1(VALU_DEP_4)
	v_cvt_i32_f32_e32 v6, v2
	v_cvt_i32_f32_e32 v7, v3
	v_cvt_f32_i32_dpp v4, v4 row_shr:4 row_mask:0xf bank_mask:0xf bound_ctrl:1
	s_delay_alu instid0(VALU_DEP_4) | instskip(NEXT) | instid1(VALU_DEP_4)
	v_cvt_f32_i32_dpp v5, v5 row_shr:4 row_mask:0xf bank_mask:0xf bound_ctrl:1
	v_cvt_f32_i32_dpp v6, v6 row_shr:4 row_mask:0xf bank_mask:0xf bound_ctrl:1
	s_delay_alu instid0(VALU_DEP_4) | instskip(NEXT) | instid1(VALU_DEP_3)
	v_cvt_f32_i32_dpp v7, v7 row_shr:4 row_mask:0xf bank_mask:0xf bound_ctrl:1
	v_dual_add_f32 v0, v0, v4 :: v_dual_add_f32 v1, v1, v5
	s_delay_alu instid0(VALU_DEP_2) | instskip(NEXT) | instid1(VALU_DEP_2)
	v_dual_add_f32 v2, v2, v6 :: v_dual_add_f32 v3, v3, v7
	v_cvt_i32_f32_e32 v4, v0
	s_delay_alu instid0(VALU_DEP_3) | instskip(NEXT) | instid1(VALU_DEP_3)
	v_cvt_i32_f32_e32 v5, v1
	v_cvt_i32_f32_e32 v6, v2
	s_delay_alu instid0(VALU_DEP_4) | instskip(NEXT) | instid1(VALU_DEP_4)
	v_cvt_i32_f32_e32 v7, v3
	v_cvt_f32_i32_dpp v4, v4 row_shr:2 row_mask:0xf bank_mask:0xf bound_ctrl:1
	s_delay_alu instid0(VALU_DEP_4) | instskip(NEXT) | instid1(VALU_DEP_4)
	v_cvt_f32_i32_dpp v5, v5 row_shr:2 row_mask:0xf bank_mask:0xf bound_ctrl:1
	v_cvt_f32_i32_dpp v6, v6 row_shr:2 row_mask:0xf bank_mask:0xf bound_ctrl:1
	s_delay_alu instid0(VALU_DEP_4) | instskip(NEXT) | instid1(VALU_DEP_3)
	v_cvt_f32_i32_dpp v7, v7 row_shr:2 row_mask:0xf bank_mask:0xf bound_ctrl:1
	v_dual_add_f32 v0, v0, v4 :: v_dual_add_f32 v1, v1, v5
	s_delay_alu instid0(VALU_DEP_2) | instskip(SKIP_1) | instid1(VALU_DEP_3)
	v_dual_add_f32 v2, v2, v6 :: v_dual_add_f32 v3, v3, v7
	v_xor_b32_e32 v4, 16, v87
	v_cvt_i32_f32_e32 v5, v0
	s_delay_alu instid0(VALU_DEP_4) | instskip(NEXT) | instid1(VALU_DEP_4)
	v_cvt_i32_f32_e32 v6, v1
	v_cvt_i32_f32_e32 v7, v2
	;; [unrolled: 1-line block ×3, first 2 shown]
	v_cmp_gt_i32_e32 vcc_lo, 32, v4
	v_cvt_f32_i32_dpp v5, v5 row_shr:1 row_mask:0xf bank_mask:0xf bound_ctrl:1
	v_cvt_f32_i32_dpp v6, v6 row_shr:1 row_mask:0xf bank_mask:0xf bound_ctrl:1
	;; [unrolled: 1-line block ×4, first 2 shown]
	v_cndmask_b32_e32 v4, v87, v4, vcc_lo
	s_delay_alu instid0(VALU_DEP_4) | instskip(NEXT) | instid1(VALU_DEP_4)
	v_dual_add_f32 v8, v0, v5 :: v_dual_add_f32 v5, v1, v6
	v_add_f32_e32 v2, v2, v7
	s_delay_alu instid0(VALU_DEP_4) | instskip(NEXT) | instid1(VALU_DEP_4)
	v_add_f32_e32 v0, v3, v9
	v_lshlrev_b32_e32 v4, 2, v4
	ds_bpermute_b32 v9, v4, v8
	ds_bpermute_b32 v6, v4, v5
	;; [unrolled: 1-line block ×4, first 2 shown]
	s_and_saveexec_b32 s1, s0
	s_cbranch_execz .LBB265_52
; %bb.32:                               ;   in Loop: Header=BB265_7 Depth=1
	v_dual_mov_b32 v4, 0 :: v_dual_mov_b32 v7, 0
	v_dual_mov_b32 v10, 0 :: v_dual_mov_b32 v11, 0
	s_and_not1_b32 vcc_lo, exec_lo, s27
	s_cbranch_vccnz .LBB265_34
; %bb.33:                               ;   in Loop: Header=BB265_7 Depth=1
	v_mul_hi_u32 v4, v80, v91
	v_mov_b32_e32 v11, v82
	s_delay_alu instid0(VALU_DEP_2) | instskip(NEXT) | instid1(VALU_DEP_1)
	v_mul_lo_u32 v4, v4, s4
	v_sub_nc_u32_e32 v4, v80, v4
	s_delay_alu instid0(VALU_DEP_1) | instskip(SKIP_1) | instid1(VALU_DEP_2)
	v_subrev_nc_u32_e32 v7, s4, v4
	v_cmp_le_u32_e32 vcc_lo, s4, v4
	v_cndmask_b32_e32 v4, v4, v7, vcc_lo
	s_delay_alu instid0(VALU_DEP_1) | instskip(SKIP_1) | instid1(VALU_DEP_2)
	v_subrev_nc_u32_e32 v7, s4, v4
	v_cmp_le_u32_e32 vcc_lo, s4, v4
	v_cndmask_b32_e32 v81, v4, v7, vcc_lo
	s_delay_alu instid0(VALU_DEP_1) | instskip(SKIP_3) | instid1(VALU_DEP_4)
	v_dual_mov_b32 v13, v82 :: v_dual_add_nc_u32 v10, s29, v81
	v_lshlrev_b64 v[14:15], 1, v[81:82]
	v_add_nc_u32_e32 v12, s30, v81
	v_add_nc_u32_e32 v81, s33, v81
	v_lshlrev_b64 v[10:11], 1, v[10:11]
	s_delay_alu instid0(VALU_DEP_3)
	v_lshlrev_b64 v[12:13], 1, v[12:13]
	v_add_co_u32 v14, vcc_lo, s10, v14
	v_add_co_ci_u32_e32 v15, vcc_lo, s11, v15, vcc_lo
	v_lshlrev_b64 v[16:17], 1, v[81:82]
	v_add_co_u32 v18, vcc_lo, s10, v10
	v_add_co_ci_u32_e32 v19, vcc_lo, s11, v11, vcc_lo
	v_add_co_u32 v12, vcc_lo, s10, v12
	v_add_co_ci_u32_e32 v13, vcc_lo, s11, v13, vcc_lo
	;; [unrolled: 2-line block ×3, first 2 shown]
	s_clause 0x3
	global_load_u16 v11, v[14:15], off
	global_load_u16 v10, v[18:19], off
	;; [unrolled: 1-line block ×4, first 2 shown]
.LBB265_34:                             ;   in Loop: Header=BB265_7 Depth=1
	v_cmp_ne_u32_e32 vcc_lo, 0, v86
	s_and_b32 exec_lo, exec_lo, vcc_lo
	s_cbranch_execz .LBB265_52
; %bb.35:                               ;   in Loop: Header=BB265_7 Depth=1
	s_waitcnt vmcnt(3) lgkmcnt(3)
	v_dual_add_f32 v8, v8, v9 :: v_dual_lshlrev_b32 v9, 16, v11
	s_delay_alu instid0(VALU_DEP_1) | instskip(NEXT) | instid1(VALU_DEP_1)
	v_add_f32_e32 v9, v8, v9
	v_and_b32_e32 v8, 0x7f800000, v9
	s_delay_alu instid0(VALU_DEP_1) | instskip(SKIP_1) | instid1(SALU_CYCLE_1)
	v_cmp_ne_u32_e32 vcc_lo, 0x7f800000, v8
                                        ; implicit-def: $vgpr8
	s_and_saveexec_b32 s35, vcc_lo
	s_xor_b32 s35, exec_lo, s35
; %bb.36:                               ;   in Loop: Header=BB265_7 Depth=1
	v_bfe_u32 v8, v9, 16, 1
	s_delay_alu instid0(VALU_DEP_1)
	v_add3_u32 v8, v9, v8, 0x7fff
                                        ; implicit-def: $vgpr9
; %bb.37:                               ;   in Loop: Header=BB265_7 Depth=1
	s_and_not1_saveexec_b32 s35, s35
; %bb.38:                               ;   in Loop: Header=BB265_7 Depth=1
	v_and_b32_e32 v8, 0xffff, v9
	v_or_b32_e32 v11, 0x10000, v9
	s_delay_alu instid0(VALU_DEP_2) | instskip(NEXT) | instid1(VALU_DEP_2)
	v_cmp_eq_u32_e32 vcc_lo, 0, v8
	v_cndmask_b32_e32 v8, v11, v9, vcc_lo
; %bb.39:                               ;   in Loop: Header=BB265_7 Depth=1
	s_or_b32 exec_lo, exec_lo, s35
	s_waitcnt lgkmcnt(2)
	v_add_f32_e32 v5, v5, v6
	s_waitcnt vmcnt(2)
	v_dual_mov_b32 v81, v82 :: v_dual_lshlrev_b32 v6, 16, v10
	s_delay_alu instid0(VALU_DEP_1) | instskip(NEXT) | instid1(VALU_DEP_2)
	v_add_f32_e32 v6, v5, v6
	v_lshlrev_b64 v[9:10], 1, v[80:81]
	s_delay_alu instid0(VALU_DEP_2) | instskip(NEXT) | instid1(VALU_DEP_2)
	v_and_b32_e32 v5, 0x7f800000, v6
	v_add_co_u32 v9, vcc_lo, s12, v9
	s_delay_alu instid0(VALU_DEP_3) | instskip(NEXT) | instid1(VALU_DEP_3)
	v_add_co_ci_u32_e32 v10, vcc_lo, s13, v10, vcc_lo
	v_cmp_ne_u32_e32 vcc_lo, 0x7f800000, v5
                                        ; implicit-def: $vgpr5
	global_store_d16_hi_b16 v[9:10], v8, off
	s_and_saveexec_b32 s35, vcc_lo
	s_delay_alu instid0(SALU_CYCLE_1)
	s_xor_b32 s35, exec_lo, s35
; %bb.40:                               ;   in Loop: Header=BB265_7 Depth=1
	v_bfe_u32 v5, v6, 16, 1
	s_delay_alu instid0(VALU_DEP_1)
	v_add3_u32 v5, v6, v5, 0x7fff
                                        ; implicit-def: $vgpr6
; %bb.41:                               ;   in Loop: Header=BB265_7 Depth=1
	s_and_not1_saveexec_b32 s35, s35
; %bb.42:                               ;   in Loop: Header=BB265_7 Depth=1
	v_and_b32_e32 v5, 0xffff, v6
	v_or_b32_e32 v8, 0x10000, v6
	s_delay_alu instid0(VALU_DEP_2) | instskip(NEXT) | instid1(VALU_DEP_2)
	v_cmp_eq_u32_e32 vcc_lo, 0, v5
	v_cndmask_b32_e32 v5, v8, v6, vcc_lo
; %bb.43:                               ;   in Loop: Header=BB265_7 Depth=1
	s_or_b32 exec_lo, exec_lo, s35
	s_waitcnt lgkmcnt(1)
	v_dual_add_f32 v2, v2, v3 :: v_dual_add_nc_u32 v81, s19, v80
	s_waitcnt vmcnt(1)
	v_lshlrev_b32_e32 v3, 16, v7
	s_delay_alu instid0(VALU_DEP_2) | instskip(NEXT) | instid1(VALU_DEP_2)
	v_lshlrev_b64 v[6:7], 1, v[81:82]
	v_add_f32_e32 v3, v2, v3
	s_delay_alu instid0(VALU_DEP_1) | instskip(NEXT) | instid1(VALU_DEP_3)
	v_and_b32_e32 v2, 0x7f800000, v3
	v_add_co_u32 v6, vcc_lo, s12, v6
	s_delay_alu instid0(VALU_DEP_4) | instskip(NEXT) | instid1(VALU_DEP_3)
	v_add_co_ci_u32_e32 v7, vcc_lo, s13, v7, vcc_lo
	v_cmp_ne_u32_e32 vcc_lo, 0x7f800000, v2
                                        ; implicit-def: $vgpr2
	global_store_d16_hi_b16 v[6:7], v5, off
	s_and_saveexec_b32 s35, vcc_lo
	s_delay_alu instid0(SALU_CYCLE_1)
	s_xor_b32 s35, exec_lo, s35
; %bb.44:                               ;   in Loop: Header=BB265_7 Depth=1
	v_bfe_u32 v2, v3, 16, 1
	s_delay_alu instid0(VALU_DEP_1)
	v_add3_u32 v2, v3, v2, 0x7fff
                                        ; implicit-def: $vgpr3
; %bb.45:                               ;   in Loop: Header=BB265_7 Depth=1
	s_and_not1_saveexec_b32 s35, s35
; %bb.46:                               ;   in Loop: Header=BB265_7 Depth=1
	v_and_b32_e32 v2, 0xffff, v3
	v_or_b32_e32 v5, 0x10000, v3
	s_delay_alu instid0(VALU_DEP_2) | instskip(NEXT) | instid1(VALU_DEP_2)
	v_cmp_eq_u32_e32 vcc_lo, 0, v2
	v_cndmask_b32_e32 v2, v5, v3, vcc_lo
; %bb.47:                               ;   in Loop: Header=BB265_7 Depth=1
	s_or_b32 exec_lo, exec_lo, s35
	s_waitcnt vmcnt(0) lgkmcnt(0)
	v_dual_add_f32 v0, v0, v1 :: v_dual_lshlrev_b32 v1, 16, v4
	v_add_nc_u32_e32 v81, s19, v81
	s_delay_alu instid0(VALU_DEP_2) | instskip(NEXT) | instid1(VALU_DEP_2)
	v_add_f32_e32 v1, v0, v1
	v_lshlrev_b64 v[3:4], 1, v[81:82]
	s_delay_alu instid0(VALU_DEP_2) | instskip(NEXT) | instid1(VALU_DEP_2)
	v_and_b32_e32 v0, 0x7f800000, v1
	v_add_co_u32 v3, vcc_lo, s12, v3
	s_delay_alu instid0(VALU_DEP_3) | instskip(NEXT) | instid1(VALU_DEP_3)
	v_add_co_ci_u32_e32 v4, vcc_lo, s13, v4, vcc_lo
	v_cmp_ne_u32_e32 vcc_lo, 0x7f800000, v0
                                        ; implicit-def: $vgpr0
	global_store_d16_hi_b16 v[3:4], v2, off
	s_and_saveexec_b32 s35, vcc_lo
	s_delay_alu instid0(SALU_CYCLE_1)
	s_xor_b32 s35, exec_lo, s35
; %bb.48:                               ;   in Loop: Header=BB265_7 Depth=1
	v_bfe_u32 v0, v1, 16, 1
	s_delay_alu instid0(VALU_DEP_1)
	v_add3_u32 v0, v1, v0, 0x7fff
                                        ; implicit-def: $vgpr1
; %bb.49:                               ;   in Loop: Header=BB265_7 Depth=1
	s_and_not1_saveexec_b32 s35, s35
; %bb.50:                               ;   in Loop: Header=BB265_7 Depth=1
	v_and_b32_e32 v0, 0xffff, v1
	v_or_b32_e32 v2, 0x10000, v1
	s_delay_alu instid0(VALU_DEP_2) | instskip(NEXT) | instid1(VALU_DEP_2)
	v_cmp_eq_u32_e32 vcc_lo, 0, v0
	v_cndmask_b32_e32 v0, v2, v1, vcc_lo
; %bb.51:                               ;   in Loop: Header=BB265_7 Depth=1
	s_or_b32 exec_lo, exec_lo, s35
	v_add_nc_u32_e32 v81, s19, v81
	s_delay_alu instid0(VALU_DEP_1) | instskip(NEXT) | instid1(VALU_DEP_1)
	v_lshlrev_b64 v[1:2], 1, v[81:82]
	v_add_co_u32 v1, vcc_lo, s12, v1
	s_delay_alu instid0(VALU_DEP_2)
	v_add_co_ci_u32_e32 v2, vcc_lo, s13, v2, vcc_lo
	global_store_d16_hi_b16 v[1:2], v0, off
.LBB265_52:                             ;   in Loop: Header=BB265_7 Depth=1
	s_or_b32 exec_lo, exec_lo, s1
	v_add_nc_u32_e32 v0, s5, v80
	s_waitcnt lgkmcnt(0)
	s_delay_alu instid0(VALU_DEP_1) | instskip(SKIP_1) | instid1(VALU_DEP_2)
	v_add_nc_u32_e32 v1, 1, v0
	v_cmp_gt_u32_e32 vcc_lo, s19, v0
	v_cmp_le_u32_e64 s1, s19, v1
	s_delay_alu instid0(VALU_DEP_1) | instskip(NEXT) | instid1(SALU_CYCLE_1)
	s_and_b32 s35, vcc_lo, s1
	s_and_saveexec_b32 s1, s35
	s_cbranch_execz .LBB265_5
; %bb.53:                               ;   in Loop: Header=BB265_7 Depth=1
	v_add_nc_u32_e32 v0, s28, v80
	s_delay_alu instid0(VALU_DEP_1)
	v_cmp_eq_u32_e32 vcc_lo, 1, v0
	v_mov_b32_e32 v0, s26
	v_cndmask_b32_e32 v86, 0, v86, vcc_lo
	s_branch .LBB265_5
.LBB265_54:
	s_nop 0
	s_sendmsg sendmsg(MSG_DEALLOC_VGPRS)
	s_endpgm
	.section	.rodata,"a",@progbits
	.p2align	6, 0x0
	.amdhsa_kernel _Z16wvSplitK_hf_big_I14__hip_bfloat16Li64ELi1ELi16ELi8ELi4ELi4EEviiiiiiPKT_S3_S3_PS1_ii
		.amdhsa_group_segment_fixed_size 65536
		.amdhsa_private_segment_fixed_size 0
		.amdhsa_kernarg_size 64
		.amdhsa_user_sgpr_count 15
		.amdhsa_user_sgpr_dispatch_ptr 0
		.amdhsa_user_sgpr_queue_ptr 0
		.amdhsa_user_sgpr_kernarg_segment_ptr 1
		.amdhsa_user_sgpr_dispatch_id 0
		.amdhsa_user_sgpr_private_segment_size 0
		.amdhsa_wavefront_size32 1
		.amdhsa_uses_dynamic_stack 0
		.amdhsa_enable_private_segment 0
		.amdhsa_system_sgpr_workgroup_id_x 1
		.amdhsa_system_sgpr_workgroup_id_y 0
		.amdhsa_system_sgpr_workgroup_id_z 0
		.amdhsa_system_sgpr_workgroup_info 0
		.amdhsa_system_vgpr_workitem_id 1
		.amdhsa_next_free_vgpr 103
		.amdhsa_next_free_sgpr 41
		.amdhsa_reserve_vcc 1
		.amdhsa_float_round_mode_32 0
		.amdhsa_float_round_mode_16_64 0
		.amdhsa_float_denorm_mode_32 3
		.amdhsa_float_denorm_mode_16_64 3
		.amdhsa_dx10_clamp 1
		.amdhsa_ieee_mode 1
		.amdhsa_fp16_overflow 0
		.amdhsa_workgroup_processor_mode 1
		.amdhsa_memory_ordered 1
		.amdhsa_forward_progress 0
		.amdhsa_shared_vgpr_count 0
		.amdhsa_exception_fp_ieee_invalid_op 0
		.amdhsa_exception_fp_denorm_src 0
		.amdhsa_exception_fp_ieee_div_zero 0
		.amdhsa_exception_fp_ieee_overflow 0
		.amdhsa_exception_fp_ieee_underflow 0
		.amdhsa_exception_fp_ieee_inexact 0
		.amdhsa_exception_int_div_zero 0
	.end_amdhsa_kernel
	.section	.text._Z16wvSplitK_hf_big_I14__hip_bfloat16Li64ELi1ELi16ELi8ELi4ELi4EEviiiiiiPKT_S3_S3_PS1_ii,"axG",@progbits,_Z16wvSplitK_hf_big_I14__hip_bfloat16Li64ELi1ELi16ELi8ELi4ELi4EEviiiiiiPKT_S3_S3_PS1_ii,comdat
.Lfunc_end265:
	.size	_Z16wvSplitK_hf_big_I14__hip_bfloat16Li64ELi1ELi16ELi8ELi4ELi4EEviiiiiiPKT_S3_S3_PS1_ii, .Lfunc_end265-_Z16wvSplitK_hf_big_I14__hip_bfloat16Li64ELi1ELi16ELi8ELi4ELi4EEviiiiiiPKT_S3_S3_PS1_ii
                                        ; -- End function
	.section	.AMDGPU.csdata,"",@progbits
; Kernel info:
; codeLenInByte = 5712
; NumSgprs: 43
; NumVgprs: 103
; ScratchSize: 0
; MemoryBound: 0
; FloatMode: 240
; IeeeMode: 1
; LDSByteSize: 65536 bytes/workgroup (compile time only)
; SGPRBlocks: 5
; VGPRBlocks: 12
; NumSGPRsForWavesPerEU: 43
; NumVGPRsForWavesPerEU: 103
; Occupancy: 12
; WaveLimiterHint : 0
; COMPUTE_PGM_RSRC2:SCRATCH_EN: 0
; COMPUTE_PGM_RSRC2:USER_SGPR: 15
; COMPUTE_PGM_RSRC2:TRAP_HANDLER: 0
; COMPUTE_PGM_RSRC2:TGID_X_EN: 1
; COMPUTE_PGM_RSRC2:TGID_Y_EN: 0
; COMPUTE_PGM_RSRC2:TGID_Z_EN: 0
; COMPUTE_PGM_RSRC2:TIDIG_COMP_CNT: 1
	.section	.text._Z16wvSplitK_hf_sml_I14__hip_bfloat16Li64ELi2ELi16ELi8ELi2ELi4EEviiiiiiPKT_S3_S3_PS1_ii,"axG",@progbits,_Z16wvSplitK_hf_sml_I14__hip_bfloat16Li64ELi2ELi16ELi8ELi2ELi4EEviiiiiiPKT_S3_S3_PS1_ii,comdat
	.protected	_Z16wvSplitK_hf_sml_I14__hip_bfloat16Li64ELi2ELi16ELi8ELi2ELi4EEviiiiiiPKT_S3_S3_PS1_ii ; -- Begin function _Z16wvSplitK_hf_sml_I14__hip_bfloat16Li64ELi2ELi16ELi8ELi2ELi4EEviiiiiiPKT_S3_S3_PS1_ii
	.globl	_Z16wvSplitK_hf_sml_I14__hip_bfloat16Li64ELi2ELi16ELi8ELi2ELi4EEviiiiiiPKT_S3_S3_PS1_ii
	.p2align	8
	.type	_Z16wvSplitK_hf_sml_I14__hip_bfloat16Li64ELi2ELi16ELi8ELi2ELi4EEviiiiiiPKT_S3_S3_PS1_ii,@function
_Z16wvSplitK_hf_sml_I14__hip_bfloat16Li64ELi2ELi16ELi8ELi2ELi4EEviiiiiiPKT_S3_S3_PS1_ii: ; @_Z16wvSplitK_hf_sml_I14__hip_bfloat16Li64ELi2ELi16ELi8ELi2ELi4EEviiiiiiPKT_S3_S3_PS1_ii
; %bb.0:
	s_clause 0x2
	s_load_b128 s[4:7], s[0:1], 0x0
	s_load_b64 s[8:9], s[0:1], 0x10
	s_load_b64 s[10:11], s[0:1], 0x28
	v_and_b32_e32 v2, 0x3ff, v0
	v_bfe_u32 v3, v0, 10, 10
	s_mov_b32 s12, exec_lo
	s_delay_alu instid0(VALU_DEP_2) | instskip(NEXT) | instid1(VALU_DEP_1)
	v_lshlrev_b32_e32 v55, 3, v2
	v_lshl_add_u32 v4, v3, 9, v55
	s_waitcnt lgkmcnt(0)
	s_lshl_b32 s14, s6, 2
	s_delay_alu instid0(SALU_CYCLE_1)
	s_min_u32 s3, s14, 0x8000
	s_delay_alu instid0(VALU_DEP_1) | instid1(SALU_CYCLE_1)
	v_cmpx_gt_u32_e64 s3, v4
	s_cbranch_execz .LBB266_3
; %bb.1:
	s_load_b64 s[16:17], s[0:1], 0x20
	v_lshlrev_b32_e32 v5, 10, v3
	v_lshlrev_b32_e32 v6, 4, v2
	s_mov_b32 s13, 0
	s_delay_alu instid0(VALU_DEP_1) | instskip(NEXT) | instid1(VALU_DEP_1)
	v_add_co_u32 v0, s2, v5, v6
	v_add_co_ci_u32_e64 v1, null, 0, 0, s2
	v_add_nc_u32_e32 v5, v5, v6
	s_waitcnt lgkmcnt(0)
	s_delay_alu instid0(VALU_DEP_3) | instskip(NEXT) | instid1(VALU_DEP_3)
	v_add_co_u32 v0, vcc_lo, s16, v0
	v_add_co_ci_u32_e32 v1, vcc_lo, s17, v1, vcc_lo
	.p2align	6
.LBB266_2:                              ; =>This Inner Loop Header: Depth=1
	global_load_b128 v[6:9], v[0:1], off
	v_add_nc_u32_e32 v4, 0x2000, v4
	v_add_co_u32 v0, vcc_lo, 0x4000, v0
	v_add_co_ci_u32_e32 v1, vcc_lo, 0, v1, vcc_lo
	s_delay_alu instid0(VALU_DEP_3) | instskip(NEXT) | instid1(VALU_DEP_1)
	v_cmp_le_u32_e64 s2, s3, v4
	s_or_b32 s13, s2, s13
	s_waitcnt vmcnt(0)
	ds_store_b128 v5, v[6:9]
	v_add_nc_u32_e32 v5, 0x4000, v5
	s_and_not1_b32 exec_lo, exec_lo, s13
	s_cbranch_execnz .LBB266_2
.LBB266_3:
	s_or_b32 exec_lo, exec_lo, s12
	s_load_b64 s[16:17], s[0:1], 0x38
	s_waitcnt lgkmcnt(0)
	s_barrier
	buffer_gl0_inv
	s_mov_b32 s2, exec_lo
	v_cmpx_gt_u32_e64 s16, v3
	s_cbranch_execz .LBB266_50
; %bb.4:
	s_mul_i32 s15, s15, s16
	s_delay_alu instid0(SALU_CYCLE_1) | instskip(NEXT) | instid1(VALU_DEP_1)
	v_add_lshl_u32 v40, s15, v3, 1
	v_cmp_gt_u32_e32 vcc_lo, s7, v40
	s_and_b32 exec_lo, exec_lo, vcc_lo
	s_cbranch_execz .LBB266_50
; %bb.5:
	s_cmp_lg_u32 s4, 0
	v_mbcnt_lo_u32_b32 v3, -1, 0
	s_cselect_b32 s15, -1, 0
	s_add_i32 s18, s4, -8
	s_add_i32 s19, s7, -1
	s_cmp_lg_u64 s[10:11], 0
	v_cvt_f32_u32_e32 v1, s8
	s_cselect_b32 s20, -1, 0
	s_abs_i32 s21, s9
	s_mul_i32 s9, s16, s17
	v_cvt_f32_u32_e32 v0, s21
	v_rcp_iflag_f32_e32 v1, v1
	s_sub_i32 s17, 0, s21
	s_lshl_b32 s9, s9, 1
	s_sub_i32 s22, 0, s8
	v_rcp_iflag_f32_e32 v0, v0
	s_sub_i32 s23, 1, s21
	s_clause 0x1
	s_load_b64 s[2:3], s[0:1], 0x18
	s_load_b64 s[12:13], s[0:1], 0x30
	v_cmp_eq_u32_e64 s0, 63, v2
	v_lshlrev_b32_e32 v56, 4, v2
	s_mov_b32 s1, 0
	s_waitcnt_depctr 0xfff
	v_mul_f32_e32 v0, 0x4f7ffffe, v0
	s_delay_alu instid0(VALU_DEP_1) | instskip(NEXT) | instid1(VALU_DEP_1)
	v_cvt_u32_f32_e32 v0, v0
	v_readfirstlane_b32 s16, v0
	v_mul_f32_e32 v0, 0x4f7ffffe, v1
	v_xor_b32_e32 v1, 16, v3
	s_delay_alu instid0(VALU_DEP_3) | instskip(NEXT) | instid1(VALU_DEP_2)
	s_mul_i32 s17, s17, s16
	v_cvt_u32_f32_e32 v0, v0
	s_mul_hi_u32 s17, s16, s17
	s_delay_alu instid0(VALU_DEP_2)
	v_cmp_gt_i32_e32 vcc_lo, 32, v1
	s_add_i32 s17, s16, s17
	s_cmp_lt_u32 s21, 2
	v_mul_lo_u32 v4, s22, v0
	s_cselect_b32 s23, s23, 1
	v_cndmask_b32_e32 v1, v3, v1, vcc_lo
	s_sub_i32 s24, s23, s21
	s_cmp_ge_u32 s23, s21
	v_mov_b32_e32 v42, 0
	s_cselect_b32 s23, s24, s23
	v_lshlrev_b32_e32 v57, 2, v1
	s_lshr_b32 s24, s17, 31
	s_mul_hi_u32 s17, s17, 3
	s_mul_i32 s24, s24, s21
	s_mul_i32 s17, s17, s21
	s_sub_i32 s22, 2, s24
	v_mul_hi_u32 v2, v0, v4
	s_sub_i32 s24, s22, s21
	s_cmp_ge_u32 s22, s21
	s_mul_i32 s16, s6, 6
	s_cselect_b32 s22, s24, s22
	s_delay_alu instid0(SALU_CYCLE_1) | instskip(SKIP_1) | instid1(VALU_DEP_1)
	s_sub_i32 s24, s22, s21
	s_cmp_ge_u32 s22, s21
	v_add_nc_u32_e32 v58, v0, v2
	s_cselect_b32 s22, s24, s22
	s_sub_i32 s17, 3, s17
	s_delay_alu instid0(SALU_CYCLE_1)
	s_sub_i32 s24, s17, s21
	s_cmp_ge_u32 s17, s21
	s_cselect_b32 s24, s24, s17
	s_mul_i32 s17, s23, s8
	s_sub_i32 s25, s24, s21
	s_cmp_ge_u32 s24, s21
	s_mul_i32 s21, s22, s8
	s_cselect_b32 s23, s25, s24
	s_lshl_b32 s6, s6, 1
	s_mul_i32 s22, s23, s8
	s_branch .LBB266_8
.LBB266_6:                              ;   in Loop: Header=BB266_8 Depth=1
	s_or_b32 exec_lo, exec_lo, s24
	v_add_nc_u32_e32 v41, 1, v41
	s_delay_alu instid0(VALU_DEP_1) | instskip(NEXT) | instid1(VALU_DEP_1)
	v_lshlrev_b64 v[1:2], 1, v[41:42]
	v_add_co_u32 v1, vcc_lo, s12, v1
	s_delay_alu instid0(VALU_DEP_2)
	v_add_co_ci_u32_e32 v2, vcc_lo, s13, v2, vcc_lo
	global_store_d16_hi_b16 v[1:2], v0, off
.LBB266_7:                              ;   in Loop: Header=BB266_8 Depth=1
	s_or_b32 exec_lo, exec_lo, s23
	v_add_nc_u32_e32 v40, s9, v40
	s_delay_alu instid0(VALU_DEP_1) | instskip(SKIP_1) | instid1(SALU_CYCLE_1)
	v_cmp_le_u32_e32 vcc_lo, s7, v40
	s_or_b32 s1, vcc_lo, s1
	s_and_not1_b32 exec_lo, exec_lo, s1
	s_cbranch_execz .LBB266_50
.LBB266_8:                              ; =>This Loop Header: Depth=1
                                        ;     Child Loop BB266_12 Depth 2
	v_mov_b32_e32 v60, v42
	v_mov_b32_e32 v61, v42
	;; [unrolled: 1-line block ×8, first 2 shown]
	s_and_not1_b32 vcc_lo, exec_lo, s15
	s_cbranch_vccnz .LBB266_15
; %bb.9:                                ;   in Loop: Header=BB266_8 Depth=1
	v_or_b32_e32 v0, 1, v40
	v_min_u32_e32 v2, s19, v40
	s_waitcnt lgkmcnt(0)
	v_dual_mov_b32 v1, v42 :: v_dual_mov_b32 v66, 0
	v_dual_mov_b32 v59, v56 :: v_dual_mov_b32 v64, 0
	v_min_u32_e32 v0, s19, v0
	v_mul_lo_u32 v41, v2, s5
	v_dual_mov_b32 v65, 0 :: v_dual_mov_b32 v62, 0
	v_dual_mov_b32 v67, 0 :: v_dual_mov_b32 v60, 0
	s_delay_alu instid0(VALU_DEP_4) | instskip(SKIP_4) | instid1(VALU_DEP_4)
	v_mul_lo_u32 v0, v0, s5
	v_mov_b32_e32 v63, 0
	v_mov_b32_e32 v61, 0
	v_lshlrev_b64 v[43:44], 1, v[41:42]
	s_mov_b32 s23, 0
	v_lshlrev_b64 v[45:46], 1, v[0:1]
	s_branch .LBB266_12
.LBB266_10:                             ;   in Loop: Header=BB266_12 Depth=2
	s_or_b32 exec_lo, exec_lo, s25
.LBB266_11:                             ;   in Loop: Header=BB266_12 Depth=2
	s_delay_alu instid0(SALU_CYCLE_1)
	s_or_b32 exec_lo, exec_lo, s24
	s_waitcnt lgkmcnt(4)
	v_and_b32_e32 v69, 0xffff0000, v37
	s_waitcnt vmcnt(3)
	v_and_b32_e32 v71, 0xffff0000, v33
	v_and_b32_e32 v41, 0xffff0000, v36
	s_waitcnt vmcnt(2)
	v_and_b32_e32 v75, 0xffff0000, v24
	v_lshlrev_b32_e32 v36, 16, v36
	v_lshlrev_b32_e32 v24, 16, v24
	v_mul_f32_e32 v74, v69, v71
	v_and_b32_e32 v68, 0xffff0000, v32
	v_and_b32_e32 v76, 0xffff0000, v25
	v_lshlrev_b32_e32 v25, 16, v25
	s_addk_i32 s23, 0x400
	s_delay_alu instid0(VALU_DEP_3) | instskip(SKIP_3) | instid1(VALU_DEP_2)
	v_dual_mul_f32 v70, v41, v68 :: v_dual_add_nc_u32 v59, 0x800, v59
	v_dual_mul_f32 v41, v41, v75 :: v_dual_and_b32 v72, 0xffff0000, v38
	v_and_b32_e32 v77, 0xffff0000, v35
	s_cmp_ge_u32 s23, s4
	v_fmac_f32_e32 v41, v36, v24
	s_delay_alu instid0(VALU_DEP_1) | instskip(NEXT) | instid1(VALU_DEP_1)
	v_dual_add_f32 v41, v64, v41 :: v_dual_lshlrev_b32 v32, 16, v32
	v_dual_fmac_f32 v70, v36, v32 :: v_dual_lshlrev_b32 v37, 16, v37
	v_dual_mul_f32 v36, v69, v76 :: v_dual_and_b32 v73, 0xffff0000, v34
	v_and_b32_e32 v69, 0xffff0000, v26
	v_lshlrev_b32_e32 v26, 16, v26
	s_delay_alu instid0(VALU_DEP_4) | instskip(NEXT) | instid1(VALU_DEP_4)
	v_add_f32_e32 v66, v66, v70
	v_fmac_f32_e32 v36, v37, v25
	v_mul_f32_e32 v70, v72, v73
	s_waitcnt lgkmcnt(3)
	s_delay_alu instid0(VALU_DEP_2) | instskip(SKIP_3) | instid1(VALU_DEP_1)
	v_dual_add_f32 v36, v41, v36 :: v_dual_and_b32 v41, 0xffff0000, v29
	v_lshlrev_b32_e32 v38, 16, v38
	v_lshlrev_b32_e32 v29, 16, v29
	;; [unrolled: 1-line block ×3, first 2 shown]
	v_dual_fmac_f32 v70, v38, v34 :: v_dual_lshlrev_b32 v33, 16, v33
	s_delay_alu instid0(VALU_DEP_1) | instskip(SKIP_2) | instid1(VALU_DEP_3)
	v_fmac_f32_e32 v74, v37, v33
	v_dual_mul_f32 v37, v72, v69 :: v_dual_and_b32 v72, 0xffff0000, v30
	v_lshlrev_b32_e32 v30, 16, v30
	v_add_f32_e32 v66, v66, v74
	s_delay_alu instid0(VALU_DEP_3) | instskip(NEXT) | instid1(VALU_DEP_2)
	v_dual_fmac_f32 v37, v38, v26 :: v_dual_and_b32 v74, 0xffff0000, v39
	v_dual_add_f32 v64, v66, v70 :: v_dual_lshlrev_b32 v39, 16, v39
	v_and_b32_e32 v66, 0xffff0000, v28
	v_lshlrev_b32_e32 v28, 16, v28
	s_delay_alu instid0(VALU_DEP_4) | instskip(SKIP_1) | instid1(VALU_DEP_4)
	v_dual_add_f32 v36, v36, v37 :: v_dual_mul_f32 v37, v41, v71
	v_and_b32_e32 v70, 0xffff0000, v27
	v_dual_mul_f32 v38, v66, v68 :: v_dual_lshlrev_b32 v27, 16, v27
	s_delay_alu instid0(VALU_DEP_1) | instskip(NEXT) | instid1(VALU_DEP_1)
	v_fmac_f32_e32 v38, v28, v32
	v_add_f32_e32 v38, v65, v38
	v_fmac_f32_e32 v37, v29, v33
	v_mul_f32_e32 v65, v72, v73
	v_dual_mul_f32 v78, v74, v77 :: v_dual_lshlrev_b32 v35, 16, v35
	s_delay_alu instid0(VALU_DEP_3) | instskip(SKIP_1) | instid1(VALU_DEP_3)
	v_add_f32_e32 v37, v38, v37
	v_mul_f32_e32 v38, v66, v75
	v_dual_fmac_f32 v65, v30, v34 :: v_dual_fmac_f32 v78, v39, v35
	s_delay_alu instid0(VALU_DEP_2) | instskip(NEXT) | instid1(VALU_DEP_2)
	v_fmac_f32_e32 v38, v28, v24
	v_add_f32_e32 v28, v37, v65
	v_mul_f32_e32 v37, v41, v76
	s_waitcnt lgkmcnt(2)
	v_dual_add_f32 v64, v64, v78 :: v_dual_lshlrev_b32 v41, 16, v53
	s_delay_alu instid0(VALU_DEP_2) | instskip(NEXT) | instid1(VALU_DEP_1)
	v_dual_add_f32 v38, v67, v38 :: v_dual_fmac_f32 v37, v29, v25
	v_add_f32_e32 v37, v38, v37
	v_mul_f32_e32 v74, v74, v70
	v_and_b32_e32 v38, 0xffff0000, v54
	s_delay_alu instid0(VALU_DEP_1) | instskip(NEXT) | instid1(VALU_DEP_3)
	v_dual_mul_f32 v65, v38, v71 :: v_dual_lshlrev_b32 v54, 16, v54
	v_dual_fmac_f32 v74, v39, v27 :: v_dual_and_b32 v39, 0xffff0000, v53
	s_delay_alu instid0(VALU_DEP_1) | instskip(SKIP_1) | instid1(VALU_DEP_2)
	v_mul_f32_e32 v53, v39, v68
	v_mul_f32_e32 v39, v39, v75
	v_fmac_f32_e32 v53, v41, v32
	v_dual_mul_f32 v29, v72, v69 :: v_dual_and_b32 v78, 0xffff0000, v31
	v_lshlrev_b32_e32 v31, 16, v31
	s_delay_alu instid0(VALU_DEP_4)
	v_fmac_f32_e32 v39, v41, v24
	s_waitcnt lgkmcnt(1)
	v_lshlrev_b32_e32 v41, 16, v52
	v_fmac_f32_e32 v29, v30, v26
	v_mul_f32_e32 v66, v78, v77
	v_mul_f32_e32 v30, v78, v70
	v_add_f32_e32 v39, v62, v39
	s_delay_alu instid0(VALU_DEP_4)
	v_dual_mul_f32 v38, v38, v76 :: v_dual_add_f32 v29, v37, v29
	v_and_b32_e32 v37, 0xffff0000, v51
	v_fmac_f32_e32 v66, v31, v35
	v_fmac_f32_e32 v30, v31, v27
	v_add_f32_e32 v31, v63, v53
	v_lshlrev_b32_e32 v51, 16, v51
	v_mul_f32_e32 v53, v37, v73
	v_mul_f32_e32 v37, v37, v69
	v_dual_fmac_f32 v65, v54, v33 :: v_dual_add_f32 v36, v36, v74
	v_add_f32_e32 v28, v28, v66
	v_add_f32_e32 v29, v29, v30
	v_fmac_f32_e32 v53, v51, v34
	s_delay_alu instid0(VALU_DEP_4) | instskip(SKIP_2) | instid1(VALU_DEP_2)
	v_dual_add_f32 v30, v31, v65 :: v_dual_and_b32 v31, 0xffff0000, v52
	v_dual_fmac_f32 v38, v54, v25 :: v_dual_fmac_f32 v37, v51, v26
	s_waitcnt lgkmcnt(0)
	v_dual_add_f32 v30, v30, v53 :: v_dual_and_b32 v53, 0xffff0000, v20
	v_lshlrev_b32_e32 v20, 16, v20
	s_delay_alu instid0(VALU_DEP_2) | instskip(NEXT) | instid1(VALU_DEP_1)
	v_mul_f32_e32 v54, v53, v68
	v_fmac_f32_e32 v54, v20, v32
	v_mul_f32_e32 v52, v31, v77
	v_mul_f32_e32 v31, v31, v70
	v_dual_add_f32 v38, v39, v38 :: v_dual_and_b32 v39, 0xffff0000, v21
	s_delay_alu instid0(VALU_DEP_4) | instskip(NEXT) | instid1(VALU_DEP_4)
	v_add_f32_e32 v51, v61, v54
	v_fmac_f32_e32 v52, v41, v35
	s_delay_alu instid0(VALU_DEP_4) | instskip(NEXT) | instid1(VALU_DEP_4)
	v_fmac_f32_e32 v31, v41, v27
	v_add_f32_e32 v37, v38, v37
	v_lshlrev_b32_e32 v21, 16, v21
	v_and_b32_e32 v38, 0xffff0000, v22
	v_dual_add_f32 v30, v30, v52 :: v_dual_and_b32 v41, 0xffff0000, v23
	v_mul_f32_e32 v52, v53, v75
	s_delay_alu instid0(VALU_DEP_1) | instskip(SKIP_4) | instid1(VALU_DEP_2)
	v_dual_fmac_f32 v52, v20, v24 :: v_dual_lshlrev_b32 v23, 16, v23
	s_waitcnt vmcnt(1)
	v_dual_add_f32 v20, v37, v31 :: v_dual_and_b32 v37, 0xffff0000, v13
	v_dual_mul_f32 v31, v39, v76 :: v_dual_lshlrev_b32 v22, 16, v22
	v_lshlrev_b32_e32 v13, 16, v13
	v_dual_fmac_f32 v31, v21, v25 :: v_dual_mul_f32 v32, v39, v71
	s_delay_alu instid0(VALU_DEP_1) | instskip(SKIP_1) | instid1(VALU_DEP_2)
	v_fmac_f32_e32 v32, v21, v33
	v_mul_f32_e32 v33, v38, v73
	v_dual_mul_f32 v21, v38, v69 :: v_dual_add_f32 v32, v51, v32
	s_delay_alu instid0(VALU_DEP_2) | instskip(NEXT) | instid1(VALU_DEP_2)
	v_dual_fmac_f32 v33, v22, v34 :: v_dual_mul_f32 v34, v41, v77
	v_fmac_f32_e32 v21, v22, v26
	v_mul_f32_e32 v26, v41, v70
	s_delay_alu instid0(VALU_DEP_3)
	v_dual_add_f32 v24, v32, v33 :: v_dual_and_b32 v39, 0xffff0000, v14
	v_and_b32_e32 v33, 0xffff0000, v16
	v_lshlrev_b32_e32 v16, 16, v16
	v_dual_fmac_f32 v34, v23, v35 :: v_dual_and_b32 v35, 0xffff0000, v12
	v_lshlrev_b32_e32 v12, 16, v12
	s_waitcnt vmcnt(0)
	v_dual_fmac_f32 v26, v23, v27 :: v_dual_and_b32 v23, 0xffff0000, v4
	s_delay_alu instid0(VALU_DEP_3) | instskip(SKIP_1) | instid1(VALU_DEP_1)
	v_dual_mul_f32 v25, v33, v35 :: v_dual_lshlrev_b32 v4, 16, v4
	v_dual_add_f32 v32, v60, v52 :: v_dual_and_b32 v51, 0xffff0000, v10
	v_add_f32_e32 v31, v32, v31
	s_delay_alu instid0(VALU_DEP_3) | instskip(SKIP_2) | instid1(VALU_DEP_4)
	v_fmac_f32_e32 v25, v16, v12
	v_add_f32_e32 v24, v24, v34
	v_and_b32_e32 v38, 0xffff0000, v18
	v_dual_add_f32 v21, v31, v21 :: v_dual_lshlrev_b32 v18, 16, v18
	v_dual_mul_f32 v31, v33, v23 :: v_dual_and_b32 v32, 0xffff0000, v17
	s_delay_alu instid0(VALU_DEP_3) | instskip(SKIP_1) | instid1(VALU_DEP_3)
	v_mul_f32_e32 v41, v38, v39
	v_lshlrev_b32_e32 v17, 16, v17
	v_dual_fmac_f32 v31, v16, v4 :: v_dual_lshlrev_b32 v14, 16, v14
	s_delay_alu instid0(VALU_DEP_4) | instskip(SKIP_2) | instid1(VALU_DEP_4)
	v_mul_f32_e32 v22, v32, v37
	v_add_f32_e32 v25, v64, v25
	v_and_b32_e32 v33, 0xffff0000, v5
	v_fmac_f32_e32 v41, v18, v14
	s_delay_alu instid0(VALU_DEP_4) | instskip(SKIP_1) | instid1(VALU_DEP_4)
	v_dual_fmac_f32 v22, v17, v13 :: v_dual_and_b32 v27, 0xffff0000, v15
	v_lshlrev_b32_e32 v5, 16, v5
	v_dual_mul_f32 v16, v32, v33 :: v_dual_lshlrev_b32 v15, 16, v15
	s_delay_alu instid0(VALU_DEP_3) | instskip(NEXT) | instid1(VALU_DEP_2)
	v_dual_add_f32 v31, v36, v31 :: v_dual_add_f32 v22, v25, v22
	v_dual_fmac_f32 v16, v17, v5 :: v_dual_and_b32 v25, 0xffff0000, v19
	s_delay_alu instid0(VALU_DEP_2) | instskip(NEXT) | instid1(VALU_DEP_2)
	v_dual_add_f32 v22, v22, v41 :: v_dual_lshlrev_b32 v19, 16, v19
	v_mul_f32_e32 v34, v25, v27
	s_delay_alu instid0(VALU_DEP_3) | instskip(SKIP_2) | instid1(VALU_DEP_3)
	v_dual_add_f32 v16, v31, v16 :: v_dual_and_b32 v31, 0xffff0000, v9
	v_and_b32_e32 v32, 0xffff0000, v6
	v_lshlrev_b32_e32 v9, 16, v9
	v_mul_f32_e32 v41, v31, v37
	s_delay_alu instid0(VALU_DEP_3) | instskip(NEXT) | instid1(VALU_DEP_2)
	v_dual_fmac_f32 v34, v19, v15 :: v_dual_mul_f32 v17, v38, v32
	v_dual_fmac_f32 v41, v9, v13 :: v_dual_lshlrev_b32 v6, 16, v6
	v_and_b32_e32 v36, 0xffff0000, v8
	s_delay_alu instid0(VALU_DEP_3) | instskip(NEXT) | instid1(VALU_DEP_3)
	v_add_f32_e32 v66, v22, v34
	v_dual_fmac_f32 v17, v18, v6 :: v_dual_and_b32 v18, 0xffff0000, v7
	v_lshlrev_b32_e32 v7, 16, v7
	s_delay_alu instid0(VALU_DEP_4) | instskip(SKIP_1) | instid1(VALU_DEP_4)
	v_mul_f32_e32 v38, v36, v35
	v_mul_f32_e32 v34, v51, v32
	v_dual_add_f32 v16, v16, v17 :: v_dual_add_f32 v17, v21, v26
	v_and_b32_e32 v21, 0xffff0000, v11
	v_dual_mul_f32 v25, v25, v18 :: v_dual_lshlrev_b32 v8, 16, v8
	v_lshlrev_b32_e32 v10, 16, v10
	s_delay_alu instid0(VALU_DEP_2) | instskip(NEXT) | instid1(VALU_DEP_2)
	v_dual_fmac_f32 v38, v8, v12 :: v_dual_lshlrev_b32 v11, 16, v11
	v_dual_fmac_f32 v25, v19, v7 :: v_dual_fmac_f32 v34, v10, v6
	s_delay_alu instid0(VALU_DEP_2) | instskip(NEXT) | instid1(VALU_DEP_1)
	v_add_f32_e32 v28, v28, v38
	v_dual_mul_f32 v38, v51, v39 :: v_dual_add_f32 v19, v28, v41
	s_delay_alu instid0(VALU_DEP_1) | instskip(NEXT) | instid1(VALU_DEP_4)
	v_fmac_f32_e32 v38, v10, v14
	v_add_f32_e32 v64, v16, v25
	v_dual_mul_f32 v16, v36, v23 :: v_dual_mul_f32 v25, v31, v33
	s_delay_alu instid0(VALU_DEP_1) | instskip(NEXT) | instid1(VALU_DEP_2)
	v_dual_add_f32 v19, v19, v38 :: v_dual_fmac_f32 v16, v8, v4
	v_fmac_f32_e32 v25, v9, v5
	v_dual_mul_f32 v8, v21, v27 :: v_dual_lshlrev_b32 v9, 16, v50
	s_delay_alu instid0(VALU_DEP_3) | instskip(NEXT) | instid1(VALU_DEP_2)
	v_dual_add_f32 v16, v29, v16 :: v_dual_and_b32 v29, 0xffff0000, v50
	v_fmac_f32_e32 v8, v11, v15
	v_and_b32_e32 v22, 0xffff0000, v49
	s_delay_alu instid0(VALU_DEP_3) | instskip(NEXT) | instid1(VALU_DEP_4)
	v_add_f32_e32 v16, v16, v25
	v_mul_f32_e32 v31, v29, v37
	s_delay_alu instid0(VALU_DEP_4)
	v_add_f32_e32 v65, v19, v8
	v_and_b32_e32 v19, 0xffff0000, v48
	v_lshlrev_b32_e32 v26, 16, v49
	v_mul_f32_e32 v10, v21, v18
	v_dual_mul_f32 v28, v22, v35 :: v_dual_fmac_f32 v31, v9, v13
	v_and_b32_e32 v25, 0xffff0000, v47
	s_delay_alu instid0(VALU_DEP_3) | instskip(SKIP_2) | instid1(VALU_DEP_2)
	v_dual_fmac_f32 v10, v11, v7 :: v_dual_lshlrev_b32 v21, 16, v48
	v_dual_mul_f32 v11, v22, v23 :: v_dual_and_b32 v22, 0xffff0000, v0
	v_lshlrev_b32_e32 v0, 16, v0
	v_dual_mul_f32 v36, v25, v39 :: v_dual_fmac_f32 v11, v26, v4
	v_fmac_f32_e32 v28, v26, v12
	v_mul_f32_e32 v26, v19, v27
	s_delay_alu instid0(VALU_DEP_2) | instskip(SKIP_3) | instid1(VALU_DEP_4)
	v_dual_add_f32 v11, v20, v11 :: v_dual_add_f32 v28, v30, v28
	v_and_b32_e32 v20, 0xffff0000, v1
	v_lshlrev_b32_e32 v1, 16, v1
	v_lshlrev_b32_e32 v30, 16, v47
	v_add_f32_e32 v8, v28, v31
	v_dual_mul_f32 v28, v29, v33 :: v_dual_mul_f32 v29, v22, v35
	s_delay_alu instid0(VALU_DEP_1) | instskip(SKIP_2) | instid1(VALU_DEP_2)
	v_fmac_f32_e32 v29, v0, v12
	v_mul_f32_e32 v12, v20, v37
	v_add_f32_e32 v16, v16, v34
	v_dual_fmac_f32 v12, v1, v13 :: v_dual_mul_f32 v13, v22, v23
	s_delay_alu instid0(VALU_DEP_1) | instskip(SKIP_3) | instid1(VALU_DEP_4)
	v_dual_fmac_f32 v13, v0, v4 :: v_dual_fmac_f32 v28, v9, v5
	v_dual_mul_f32 v9, v25, v32 :: v_dual_mul_f32 v0, v20, v33
	v_and_b32_e32 v20, 0xffff0000, v3
	v_lshlrev_b32_e32 v3, 16, v3
	v_add_f32_e32 v11, v11, v28
	s_delay_alu instid0(VALU_DEP_4) | instskip(SKIP_3) | instid1(VALU_DEP_3)
	v_fmac_f32_e32 v9, v30, v6
	v_fmac_f32_e32 v36, v30, v14
	v_dual_fmac_f32 v0, v1, v5 :: v_dual_mul_f32 v5, v20, v27
	v_add_f32_e32 v67, v16, v10
	v_dual_add_f32 v9, v11, v9 :: v_dual_add_f32 v8, v8, v36
	v_mul_f32_e32 v11, v19, v18
	v_dual_fmac_f32 v26, v21, v15 :: v_dual_and_b32 v19, 0xffff0000, v2
	v_dual_add_f32 v24, v24, v29 :: v_dual_fmac_f32 v5, v3, v15
	s_delay_alu instid0(VALU_DEP_3) | instskip(NEXT) | instid1(VALU_DEP_3)
	v_dual_fmac_f32 v11, v21, v7 :: v_dual_lshlrev_b32 v2, 16, v2
	v_dual_mul_f32 v4, v19, v39 :: v_dual_add_f32 v63, v8, v26
	s_delay_alu instid0(VALU_DEP_3) | instskip(NEXT) | instid1(VALU_DEP_2)
	v_dual_add_f32 v12, v24, v12 :: v_dual_add_f32 v13, v17, v13
	v_dual_mul_f32 v1, v19, v32 :: v_dual_fmac_f32 v4, v2, v14
	s_delay_alu instid0(VALU_DEP_4) | instskip(NEXT) | instid1(VALU_DEP_3)
	v_add_f32_e32 v62, v9, v11
	v_add_f32_e32 v0, v13, v0
	s_delay_alu instid0(VALU_DEP_3) | instskip(NEXT) | instid1(VALU_DEP_1)
	v_add_f32_e32 v4, v12, v4
	v_add_f32_e32 v61, v4, v5
	v_fmac_f32_e32 v1, v2, v6
	v_mul_f32_e32 v2, v20, v18
	s_delay_alu instid0(VALU_DEP_2) | instskip(NEXT) | instid1(VALU_DEP_2)
	v_add_f32_e32 v0, v0, v1
	v_fmac_f32_e32 v2, v3, v7
	s_delay_alu instid0(VALU_DEP_1)
	v_add_f32_e32 v60, v0, v2
	s_cbranch_scc1 .LBB266_15
.LBB266_12:                             ;   Parent Loop BB266_8 Depth=1
                                        ; =>  This Inner Loop Header: Depth=2
	v_add_nc_u32_e32 v8, s23, v55
	v_dual_mov_b32 v48, 0 :: v_dual_mov_b32 v11, 0
	v_dual_mov_b32 v50, 0 :: v_dual_mov_b32 v9, 0
	s_delay_alu instid0(VALU_DEP_3) | instskip(SKIP_3) | instid1(VALU_DEP_4)
	v_min_u32_e32 v41, s18, v8
	v_add_nc_u32_e32 v68, 0x200, v8
	v_dual_mov_b32 v10, 0 :: v_dual_mov_b32 v19, 0
	v_dual_mov_b32 v18, 0 :: v_dual_mov_b32 v23, 0
	v_lshlrev_b64 v[0:1], 1, v[41:42]
	s_delay_alu instid0(VALU_DEP_4) | instskip(SKIP_3) | instid1(VALU_DEP_4)
	v_min_u32_e32 v41, s18, v68
	v_dual_mov_b32 v16, 0 :: v_dual_mov_b32 v21, 0
	v_dual_mov_b32 v22, 0 :: v_dual_mov_b32 v51, 0
	s_waitcnt lgkmcnt(0)
	v_add_co_u32 v4, vcc_lo, s2, v0
	v_add_co_ci_u32_e32 v5, vcc_lo, s3, v1, vcc_lo
	v_lshlrev_b64 v[0:1], 1, v[41:42]
	s_delay_alu instid0(VALU_DEP_3) | instskip(NEXT) | instid1(VALU_DEP_3)
	v_add_co_u32 v2, vcc_lo, v4, v43
	v_add_co_ci_u32_e32 v3, vcc_lo, v5, v44, vcc_lo
	v_dual_mov_b32 v20, 0 :: v_dual_mov_b32 v53, 0
	s_delay_alu instid0(VALU_DEP_4) | instskip(SKIP_3) | instid1(VALU_DEP_4)
	v_add_co_u32 v6, vcc_lo, s2, v0
	v_add_co_ci_u32_e32 v7, vcc_lo, s3, v1, vcc_lo
	v_add_co_u32 v0, vcc_lo, v4, v45
	v_add_co_ci_u32_e32 v1, vcc_lo, v5, v46, vcc_lo
	v_add_co_u32 v4, vcc_lo, v6, v43
	s_delay_alu instid0(VALU_DEP_4)
	v_add_co_ci_u32_e32 v5, vcc_lo, v7, v44, vcc_lo
	v_add_co_u32 v6, vcc_lo, v6, v45
	v_add_co_ci_u32_e32 v7, vcc_lo, v7, v46, vcc_lo
	s_clause 0x3
	global_load_b128 v[32:35], v[2:3], off slc dlc
	global_load_b128 v[24:27], v[0:1], off slc dlc
	;; [unrolled: 1-line block ×4, first 2 shown]
	v_mov_b32_e32 v3, 0
	v_cmp_gt_u32_e32 vcc_lo, s4, v8
	v_dual_mov_b32 v2, 0 :: v_dual_mov_b32 v47, 0
	v_dual_mov_b32 v1, 0 :: v_dual_mov_b32 v0, 0
	;; [unrolled: 1-line block ×8, first 2 shown]
	v_mov_b32_e32 v36, 0
	s_and_saveexec_b32 s24, vcc_lo
	s_cbranch_execz .LBB266_11
; %bb.13:                               ;   in Loop: Header=BB266_12 Depth=2
	v_dual_mov_b32 v16, 0 :: v_dual_add_nc_u32 v41, s6, v59
	v_dual_mov_b32 v17, 0 :: v_dual_add_nc_u32 v70, s14, v59
	;; [unrolled: 1-line block ×3, first 2 shown]
	ds_load_b128 v[36:39], v59
	ds_load_b128 v[28:31], v41
	ds_load_2addr_b32 v[53:54], v70 offset1:1
	ds_load_2addr_b32 v[51:52], v70 offset0:2 offset1:3
	ds_load_b128 v[20:23], v69
	v_dual_mov_b32 v19, 0 :: v_dual_mov_b32 v8, 0
	v_dual_mov_b32 v9, 0 :: v_dual_mov_b32 v10, 0
	;; [unrolled: 1-line block ×6, first 2 shown]
	v_mov_b32_e32 v3, 0
	s_mov_b32 s25, exec_lo
	v_cmpx_gt_u32_e64 s4, v68
	s_cbranch_execz .LBB266_10
; %bb.14:                               ;   in Loop: Header=BB266_12 Depth=2
	v_add_nc_u32_e32 v0, 0x400, v70
	v_add_nc_u32_e32 v1, 0x408, v70
	ds_load_b128 v[16:19], v59 offset:1024
	ds_load_2addr_b32 v[49:50], v0 offset1:1
	ds_load_2addr_b32 v[47:48], v1 offset1:1
	ds_load_b128 v[8:11], v41 offset:1024
	ds_load_b128 v[0:3], v69 offset:1024
	s_branch .LBB266_10
.LBB266_15:                             ;   in Loop: Header=BB266_8 Depth=1
	; sched_barrier mask(0x00000000)
	s_delay_alu instid0(VALU_DEP_1)
	v_cvt_i32_f32_e32 v0, v66
	v_cvt_i32_f32_e32 v2, v65
	s_waitcnt lgkmcnt(0)
	v_cvt_i32_f32_e32 v1, v64
	v_cvt_i32_f32_e32 v3, v67
	;; [unrolled: 1-line block ×3, first 2 shown]
	v_cvt_f32_i32_dpp v0, v0 row_shr:8 row_mask:0xf bank_mask:0xf bound_ctrl:1
	v_cvt_f32_i32_dpp v2, v2 row_shr:8 row_mask:0xf bank_mask:0xf bound_ctrl:1
	;; [unrolled: 1-line block ×4, first 2 shown]
	v_cvt_i32_f32_e32 v4, v63
	v_add_f32_e32 v0, v66, v0
	s_delay_alu instid0(VALU_DEP_4) | instskip(NEXT) | instid1(VALU_DEP_4)
	v_dual_add_f32 v2, v65, v2 :: v_dual_add_f32 v1, v64, v1
	v_add_f32_e32 v3, v67, v3
	v_cvt_i32_f32_e32 v5, v62
	s_delay_alu instid0(VALU_DEP_4) | instskip(NEXT) | instid1(VALU_DEP_4)
	v_cvt_i32_f32_e32 v7, v0
	v_cvt_i32_f32_e32 v9, v2
	;; [unrolled: 1-line block ×3, first 2 shown]
	v_cvt_f32_i32_dpp v4, v4 row_shr:8 row_mask:0xf bank_mask:0xf bound_ctrl:1
	v_cvt_f32_i32_dpp v5, v5 row_shr:8 row_mask:0xf bank_mask:0xf bound_ctrl:1
	v_cvt_f32_i32_dpp v7, v7 row_shr:4 row_mask:0xf bank_mask:0xf bound_ctrl:1
	v_cvt_f32_i32_dpp v9, v9 row_shr:4 row_mask:0xf bank_mask:0xf bound_ctrl:1
	v_cvt_f32_i32_dpp v8, v8 row_shr:4 row_mask:0xf bank_mask:0xf bound_ctrl:1
	s_delay_alu instid0(VALU_DEP_4) | instskip(NEXT) | instid1(VALU_DEP_4)
	v_dual_add_f32 v4, v63, v4 :: v_dual_add_f32 v5, v62, v5
	v_add_f32_e32 v0, v0, v7
	v_cvt_f32_i32_dpp v7, v10 row_shr:8 row_mask:0xf bank_mask:0xf bound_ctrl:1
	s_delay_alu instid0(VALU_DEP_4) | instskip(SKIP_1) | instid1(VALU_DEP_4)
	v_dual_add_f32 v1, v1, v8 :: v_dual_add_f32 v2, v2, v9
	v_cvt_i32_f32_e32 v6, v61
	v_cvt_i32_f32_e32 v8, v0
	s_delay_alu instid0(VALU_DEP_4) | instskip(NEXT) | instid1(VALU_DEP_4)
	v_add_f32_e32 v7, v60, v7
	v_cvt_i32_f32_e32 v9, v1
	v_cvt_i32_f32_e32 v10, v2
	;; [unrolled: 1-line block ×3, first 2 shown]
	v_cvt_f32_i32_dpp v8, v8 row_shr:2 row_mask:0xf bank_mask:0xf bound_ctrl:1
	v_cvt_f32_i32_dpp v6, v6 row_shr:8 row_mask:0xf bank_mask:0xf bound_ctrl:1
	;; [unrolled: 1-line block ×4, first 2 shown]
	v_cvt_i32_f32_e32 v14, v5
	v_add_f32_e32 v0, v0, v8
	v_cvt_i32_f32_e32 v8, v3
	s_delay_alu instid0(VALU_DEP_4) | instskip(SKIP_1) | instid1(VALU_DEP_4)
	v_dual_add_f32 v1, v1, v9 :: v_dual_add_f32 v2, v2, v10
	v_cvt_i32_f32_e32 v19, v7
	v_cvt_i32_f32_e32 v9, v0
	s_delay_alu instid0(VALU_DEP_3) | instskip(NEXT) | instid1(VALU_DEP_4)
	v_cvt_i32_f32_e32 v10, v1
	v_cvt_i32_f32_e32 v11, v2
	s_delay_alu instid0(VALU_DEP_3) | instskip(SKIP_1) | instid1(VALU_DEP_4)
	v_cvt_f32_i32_dpp v9, v9 row_shr:1 row_mask:0xf bank_mask:0xf bound_ctrl:1
	v_add_f32_e32 v6, v61, v6
	v_cvt_f32_i32_dpp v10, v10 row_shr:1 row_mask:0xf bank_mask:0xf bound_ctrl:1
	s_delay_alu instid0(VALU_DEP_4) | instskip(NEXT) | instid1(VALU_DEP_4)
	v_cvt_f32_i32_dpp v11, v11 row_shr:1 row_mask:0xf bank_mask:0xf bound_ctrl:1
	v_add_f32_e32 v17, v0, v9
	s_delay_alu instid0(VALU_DEP_4) | instskip(SKIP_1) | instid1(VALU_DEP_4)
	v_cvt_i32_f32_e32 v16, v6
	v_cvt_f32_i32_dpp v9, v14 row_shr:4 row_mask:0xf bank_mask:0xf bound_ctrl:1
	v_add_f32_e32 v12, v2, v11
	v_cvt_f32_i32_dpp v2, v8 row_shr:4 row_mask:0xf bank_mask:0xf bound_ctrl:1
	v_cvt_f32_i32_dpp v8, v13 row_shr:4 row_mask:0xf bank_mask:0xf bound_ctrl:1
	;; [unrolled: 1-line block ×3, first 2 shown]
	ds_bpermute_b32 v18, v57, v17
	v_dual_add_f32 v2, v3, v2 :: v_dual_add_f32 v3, v4, v8
	s_delay_alu instid0(VALU_DEP_1) | instskip(NEXT) | instid1(VALU_DEP_1)
	v_cvt_i32_f32_e32 v8, v3
	v_cvt_f32_i32_dpp v8, v8 row_shr:2 row_mask:0xf bank_mask:0xf bound_ctrl:1
	v_add_f32_e32 v0, v1, v10
	v_cvt_f32_i32_dpp v10, v16 row_shr:4 row_mask:0xf bank_mask:0xf bound_ctrl:1
	s_delay_alu instid0(VALU_DEP_3)
	v_dual_add_f32 v4, v5, v9 :: v_dual_add_f32 v3, v3, v8
	ds_bpermute_b32 v1, v57, v0
	v_dual_add_f32 v5, v6, v10 :: v_dual_add_f32 v6, v7, v11
	v_cvt_i32_f32_e32 v7, v2
	v_cvt_i32_f32_e32 v9, v4
	;; [unrolled: 1-line block ×3, first 2 shown]
	s_delay_alu instid0(VALU_DEP_4)
	v_cvt_i32_f32_e32 v10, v5
	v_cvt_i32_f32_e32 v11, v6
	v_cvt_f32_i32_dpp v7, v7 row_shr:2 row_mask:0xf bank_mask:0xf bound_ctrl:1
	v_cvt_f32_i32_dpp v9, v9 row_shr:2 row_mask:0xf bank_mask:0xf bound_ctrl:1
	;; [unrolled: 1-line block ×5, first 2 shown]
	v_add_f32_e32 v2, v2, v7
	s_delay_alu instid0(VALU_DEP_3) | instskip(NEXT) | instid1(VALU_DEP_3)
	v_dual_add_f32 v8, v3, v8 :: v_dual_add_f32 v5, v5, v10
	v_add_f32_e32 v7, v6, v11
	s_delay_alu instid0(VALU_DEP_3)
	v_cvt_i32_f32_e32 v6, v2
	ds_bpermute_b32 v15, v57, v12
	v_cvt_i32_f32_e32 v10, v5
	v_cvt_i32_f32_e32 v11, v7
	v_cvt_f32_i32_dpp v6, v6 row_shr:1 row_mask:0xf bank_mask:0xf bound_ctrl:1
	v_add_f32_e32 v4, v4, v9
	s_delay_alu instid0(VALU_DEP_4) | instskip(NEXT) | instid1(VALU_DEP_4)
	v_cvt_f32_i32_dpp v10, v10 row_shr:1 row_mask:0xf bank_mask:0xf bound_ctrl:1
	v_cvt_f32_i32_dpp v13, v11 row_shr:1 row_mask:0xf bank_mask:0xf bound_ctrl:1
	s_delay_alu instid0(VALU_DEP_4) | instskip(NEXT) | instid1(VALU_DEP_4)
	v_add_f32_e32 v11, v2, v6
	v_cvt_i32_f32_e32 v9, v4
	s_delay_alu instid0(VALU_DEP_3)
	v_add_f32_e32 v2, v7, v13
	ds_bpermute_b32 v14, v57, v11
	v_cvt_f32_i32_dpp v9, v9 row_shr:1 row_mask:0xf bank_mask:0xf bound_ctrl:1
	ds_bpermute_b32 v3, v57, v2
	v_add_f32_e32 v6, v4, v9
	v_add_f32_e32 v4, v5, v10
	ds_bpermute_b32 v9, v57, v8
	ds_bpermute_b32 v7, v57, v6
	;; [unrolled: 1-line block ×3, first 2 shown]
	s_and_saveexec_b32 s23, s0
	s_cbranch_execz .LBB266_7
; %bb.16:                               ;   in Loop: Header=BB266_8 Depth=1
	v_dual_mov_b32 v23, 0 :: v_dual_mov_b32 v22, 0
	v_dual_mov_b32 v21, 0 :: v_dual_mov_b32 v20, 0
	;; [unrolled: 1-line block ×4, first 2 shown]
	s_and_not1_b32 vcc_lo, exec_lo, s20
	s_cbranch_vccnz .LBB266_18
; %bb.17:                               ;   in Loop: Header=BB266_8 Depth=1
	v_or_b32_e32 v10, 1, v40
	v_mul_hi_u32 v13, v40, v58
	s_delay_alu instid0(VALU_DEP_2) | instskip(NEXT) | instid1(VALU_DEP_2)
	v_mul_hi_u32 v16, v10, v58
	v_mul_lo_u32 v13, v13, s8
	s_delay_alu instid0(VALU_DEP_2) | instskip(NEXT) | instid1(VALU_DEP_2)
	v_mul_lo_u32 v16, v16, s8
	v_sub_nc_u32_e32 v13, v40, v13
	s_delay_alu instid0(VALU_DEP_2) | instskip(NEXT) | instid1(VALU_DEP_2)
	v_sub_nc_u32_e32 v10, v10, v16
	v_subrev_nc_u32_e32 v16, s8, v13
	v_cmp_le_u32_e32 vcc_lo, s8, v13
	s_delay_alu instid0(VALU_DEP_3) | instskip(NEXT) | instid1(VALU_DEP_3)
	v_subrev_nc_u32_e32 v19, s8, v10
	v_cndmask_b32_e32 v13, v13, v16, vcc_lo
	v_cmp_le_u32_e32 vcc_lo, s8, v10
	s_delay_alu instid0(VALU_DEP_3) | instskip(NEXT) | instid1(VALU_DEP_3)
	v_cndmask_b32_e32 v10, v10, v19, vcc_lo
	v_subrev_nc_u32_e32 v16, s8, v13
	v_cmp_le_u32_e32 vcc_lo, s8, v13
	v_mov_b32_e32 v20, v42
	s_delay_alu instid0(VALU_DEP_4) | instskip(NEXT) | instid1(VALU_DEP_4)
	v_subrev_nc_u32_e32 v19, s8, v10
	v_cndmask_b32_e32 v41, v13, v16, vcc_lo
	v_cmp_le_u32_e32 vcc_lo, s8, v10
	v_mov_b32_e32 v22, v42
	v_mov_b32_e32 v23, v42
	;; [unrolled: 1-line block ×3, first 2 shown]
	v_lshlrev_b64 v[27:28], 1, v[41:42]
	v_cndmask_b32_e32 v19, v10, v19, vcc_lo
	v_add_nc_u32_e32 v21, s17, v41
	v_dual_mov_b32 v25, v42 :: v_dual_add_nc_u32 v24, s21, v41
	v_add_nc_u32_e32 v41, s22, v41
	s_delay_alu instid0(VALU_DEP_4) | instskip(NEXT) | instid1(VALU_DEP_4)
	v_lshlrev_b64 v[29:30], 1, v[19:20]
	v_lshlrev_b64 v[20:21], 1, v[21:22]
	v_add_nc_u32_e32 v22, s17, v19
	v_add_co_u32 v27, vcc_lo, s10, v27
	v_add_co_ci_u32_e32 v28, vcc_lo, s11, v28, vcc_lo
	v_lshlrev_b64 v[31:32], 1, v[24:25]
	v_add_co_u32 v29, vcc_lo, s10, v29
	v_add_nc_u32_e32 v25, s21, v19
	v_add_co_ci_u32_e32 v30, vcc_lo, s11, v30, vcc_lo
	v_lshlrev_b64 v[33:34], 1, v[41:42]
	v_add_nc_u32_e32 v41, s22, v19
	v_lshlrev_b64 v[22:23], 1, v[22:23]
	v_add_co_u32 v19, vcc_lo, s10, v20
	v_add_co_ci_u32_e32 v20, vcc_lo, s11, v21, vcc_lo
	v_lshlrev_b64 v[24:25], 1, v[25:26]
	v_add_co_u32 v31, vcc_lo, s10, v31
	v_add_co_ci_u32_e32 v32, vcc_lo, s11, v32, vcc_lo
	v_add_co_u32 v35, vcc_lo, s10, v22
	v_add_co_ci_u32_e32 v36, vcc_lo, s11, v23, vcc_lo
	v_add_co_u32 v24, vcc_lo, s10, v24
	v_lshlrev_b64 v[21:22], 1, v[41:42]
	v_add_co_ci_u32_e32 v25, vcc_lo, s11, v25, vcc_lo
	v_add_co_u32 v33, vcc_lo, s10, v33
	v_add_co_ci_u32_e32 v34, vcc_lo, s11, v34, vcc_lo
	s_delay_alu instid0(VALU_DEP_4)
	v_add_co_u32 v37, vcc_lo, s10, v21
	v_add_co_ci_u32_e32 v38, vcc_lo, s11, v22, vcc_lo
	s_clause 0x7
	global_load_u16 v23, v[27:28], off
	global_load_u16 v22, v[29:30], off
	;; [unrolled: 1-line block ×8, first 2 shown]
.LBB266_18:                             ;   in Loop: Header=BB266_8 Depth=1
	s_waitcnt vmcnt(7) lgkmcnt(0)
	v_dual_add_f32 v17, v17, v18 :: v_dual_lshlrev_b32 v18, 16, v23
	s_delay_alu instid0(VALU_DEP_1) | instskip(NEXT) | instid1(VALU_DEP_1)
	v_add_f32_e32 v18, v17, v18
	v_and_b32_e32 v17, 0x7f800000, v18
	s_delay_alu instid0(VALU_DEP_1) | instskip(SKIP_1) | instid1(SALU_CYCLE_1)
	v_cmp_ne_u32_e32 vcc_lo, 0x7f800000, v17
                                        ; implicit-def: $vgpr17
	s_and_saveexec_b32 s24, vcc_lo
	s_xor_b32 s24, exec_lo, s24
; %bb.19:                               ;   in Loop: Header=BB266_8 Depth=1
	v_bfe_u32 v17, v18, 16, 1
	s_delay_alu instid0(VALU_DEP_1)
	v_add3_u32 v17, v18, v17, 0x7fff
                                        ; implicit-def: $vgpr18
; %bb.20:                               ;   in Loop: Header=BB266_8 Depth=1
	s_and_not1_saveexec_b32 s24, s24
; %bb.21:                               ;   in Loop: Header=BB266_8 Depth=1
	v_and_b32_e32 v17, 0xffff, v18
	v_or_b32_e32 v23, 0x10000, v18
	s_delay_alu instid0(VALU_DEP_2) | instskip(NEXT) | instid1(VALU_DEP_2)
	v_cmp_eq_u32_e32 vcc_lo, 0, v17
	v_cndmask_b32_e32 v17, v23, v18, vcc_lo
; %bb.22:                               ;   in Loop: Header=BB266_8 Depth=1
	s_or_b32 exec_lo, exec_lo, s24
	s_waitcnt vmcnt(6)
	v_dual_add_f32 v0, v0, v1 :: v_dual_lshlrev_b32 v1, 16, v22
	v_mov_b32_e32 v41, v42
	s_mov_b32 s24, exec_lo
	s_delay_alu instid0(VALU_DEP_2) | instskip(NEXT) | instid1(VALU_DEP_2)
	v_add_f32_e32 v18, v0, v1
	v_lshlrev_b64 v[0:1], 1, v[40:41]
	s_delay_alu instid0(VALU_DEP_2) | instskip(NEXT) | instid1(VALU_DEP_2)
	v_and_b32_e32 v22, 0x7f800000, v18
	v_add_co_u32 v0, vcc_lo, s12, v0
	s_delay_alu instid0(VALU_DEP_3)
	v_add_co_ci_u32_e32 v1, vcc_lo, s13, v1, vcc_lo
	global_store_d16_hi_b16 v[0:1], v17, off
                                        ; implicit-def: $vgpr17
	v_cmpx_ne_u32_e32 0x7f800000, v22
	s_xor_b32 s24, exec_lo, s24
; %bb.23:                               ;   in Loop: Header=BB266_8 Depth=1
	v_bfe_u32 v17, v18, 16, 1
	s_delay_alu instid0(VALU_DEP_1)
	v_add3_u32 v17, v18, v17, 0x7fff
                                        ; implicit-def: $vgpr18
; %bb.24:                               ;   in Loop: Header=BB266_8 Depth=1
	s_and_not1_saveexec_b32 s24, s24
; %bb.25:                               ;   in Loop: Header=BB266_8 Depth=1
	v_and_b32_e32 v17, 0xffff, v18
	v_or_b32_e32 v22, 0x10000, v18
	s_delay_alu instid0(VALU_DEP_2) | instskip(NEXT) | instid1(VALU_DEP_2)
	v_cmp_eq_u32_e32 vcc_lo, 0, v17
	v_cndmask_b32_e32 v17, v22, v18, vcc_lo
; %bb.26:                               ;   in Loop: Header=BB266_8 Depth=1
	s_or_b32 exec_lo, exec_lo, s24
	s_waitcnt vmcnt(5)
	v_dual_add_f32 v12, v12, v15 :: v_dual_lshlrev_b32 v15, 16, v21
	s_mov_b32 s24, exec_lo
	global_store_d16_hi_b16 v[0:1], v17, off offset:2
                                        ; implicit-def: $vgpr0
	v_add_f32_e32 v12, v12, v15
	s_delay_alu instid0(VALU_DEP_1) | instskip(NEXT) | instid1(VALU_DEP_1)
	v_and_b32_e32 v15, 0x7f800000, v12
	v_cmpx_ne_u32_e32 0x7f800000, v15
	s_xor_b32 s24, exec_lo, s24
; %bb.27:                               ;   in Loop: Header=BB266_8 Depth=1
	v_bfe_u32 v0, v12, 16, 1
	s_delay_alu instid0(VALU_DEP_1)
	v_add3_u32 v0, v12, v0, 0x7fff
                                        ; implicit-def: $vgpr12
; %bb.28:                               ;   in Loop: Header=BB266_8 Depth=1
	s_and_not1_saveexec_b32 s24, s24
; %bb.29:                               ;   in Loop: Header=BB266_8 Depth=1
	v_and_b32_e32 v0, 0xffff, v12
	v_or_b32_e32 v1, 0x10000, v12
	s_delay_alu instid0(VALU_DEP_2) | instskip(NEXT) | instid1(VALU_DEP_2)
	v_cmp_eq_u32_e32 vcc_lo, 0, v0
	v_cndmask_b32_e32 v0, v1, v12, vcc_lo
; %bb.30:                               ;   in Loop: Header=BB266_8 Depth=1
	s_or_b32 exec_lo, exec_lo, s24
	v_add_f32_e32 v1, v11, v14
	s_waitcnt vmcnt(4)
	v_lshlrev_b32_e32 v11, 16, v20
	v_add_nc_u32_e32 v41, s7, v40
	s_mov_b32 s24, exec_lo
	s_delay_alu instid0(VALU_DEP_2) | instskip(NEXT) | instid1(VALU_DEP_2)
	v_add_f32_e32 v1, v1, v11
	v_lshlrev_b64 v[11:12], 1, v[41:42]
	s_delay_alu instid0(VALU_DEP_2) | instskip(NEXT) | instid1(VALU_DEP_2)
	v_and_b32_e32 v14, 0x7f800000, v1
	v_add_co_u32 v11, vcc_lo, s12, v11
	s_delay_alu instid0(VALU_DEP_3)
	v_add_co_ci_u32_e32 v12, vcc_lo, s13, v12, vcc_lo
	global_store_d16_hi_b16 v[11:12], v0, off
                                        ; implicit-def: $vgpr0
	v_cmpx_ne_u32_e32 0x7f800000, v14
	s_xor_b32 s24, exec_lo, s24
; %bb.31:                               ;   in Loop: Header=BB266_8 Depth=1
	v_bfe_u32 v0, v1, 16, 1
	s_delay_alu instid0(VALU_DEP_1)
	v_add3_u32 v0, v1, v0, 0x7fff
                                        ; implicit-def: $vgpr1
; %bb.32:                               ;   in Loop: Header=BB266_8 Depth=1
	s_and_not1_saveexec_b32 s24, s24
; %bb.33:                               ;   in Loop: Header=BB266_8 Depth=1
	v_and_b32_e32 v0, 0xffff, v1
	v_or_b32_e32 v11, 0x10000, v1
	s_delay_alu instid0(VALU_DEP_2) | instskip(NEXT) | instid1(VALU_DEP_2)
	v_cmp_eq_u32_e32 vcc_lo, 0, v0
	v_cndmask_b32_e32 v0, v11, v1, vcc_lo
; %bb.34:                               ;   in Loop: Header=BB266_8 Depth=1
	s_or_b32 exec_lo, exec_lo, s24
	v_add_f32_e32 v1, v8, v9
	v_dual_mov_b32 v9, v42 :: v_dual_add_nc_u32 v8, 1, v41
	s_waitcnt vmcnt(3)
	v_lshlrev_b32_e32 v11, 16, v19
	s_mov_b32 s24, exec_lo
	s_delay_alu instid0(VALU_DEP_2) | instskip(NEXT) | instid1(VALU_DEP_2)
	v_lshlrev_b64 v[8:9], 1, v[8:9]
	v_add_f32_e32 v1, v1, v11
	s_delay_alu instid0(VALU_DEP_1) | instskip(NEXT) | instid1(VALU_DEP_3)
	v_and_b32_e32 v11, 0x7f800000, v1
	v_add_co_u32 v8, vcc_lo, s12, v8
	s_delay_alu instid0(VALU_DEP_4)
	v_add_co_ci_u32_e32 v9, vcc_lo, s13, v9, vcc_lo
	global_store_d16_hi_b16 v[8:9], v0, off
                                        ; implicit-def: $vgpr8
	v_cmpx_ne_u32_e32 0x7f800000, v11
	s_xor_b32 s24, exec_lo, s24
; %bb.35:                               ;   in Loop: Header=BB266_8 Depth=1
	v_bfe_u32 v0, v1, 16, 1
	s_delay_alu instid0(VALU_DEP_1)
	v_add3_u32 v8, v1, v0, 0x7fff
                                        ; implicit-def: $vgpr1
; %bb.36:                               ;   in Loop: Header=BB266_8 Depth=1
	s_and_not1_saveexec_b32 s24, s24
; %bb.37:                               ;   in Loop: Header=BB266_8 Depth=1
	v_and_b32_e32 v0, 0xffff, v1
	v_or_b32_e32 v8, 0x10000, v1
	s_delay_alu instid0(VALU_DEP_2) | instskip(NEXT) | instid1(VALU_DEP_2)
	v_cmp_eq_u32_e32 vcc_lo, 0, v0
	v_cndmask_b32_e32 v8, v8, v1, vcc_lo
; %bb.38:                               ;   in Loop: Header=BB266_8 Depth=1
	s_or_b32 exec_lo, exec_lo, s24
	s_waitcnt vmcnt(2)
	v_dual_add_f32 v0, v6, v7 :: v_dual_lshlrev_b32 v1, 16, v16
	v_add_nc_u32_e32 v41, s7, v41
	s_delay_alu instid0(VALU_DEP_2) | instskip(NEXT) | instid1(VALU_DEP_2)
	v_add_f32_e32 v6, v0, v1
	v_lshlrev_b64 v[0:1], 1, v[41:42]
	s_delay_alu instid0(VALU_DEP_2) | instskip(NEXT) | instid1(VALU_DEP_2)
	v_and_b32_e32 v7, 0x7f800000, v6
	v_add_co_u32 v0, vcc_lo, s12, v0
	s_delay_alu instid0(VALU_DEP_3) | instskip(NEXT) | instid1(VALU_DEP_3)
	v_add_co_ci_u32_e32 v1, vcc_lo, s13, v1, vcc_lo
	v_cmp_ne_u32_e32 vcc_lo, 0x7f800000, v7
                                        ; implicit-def: $vgpr7
	global_store_d16_hi_b16 v[0:1], v8, off
	s_and_saveexec_b32 s24, vcc_lo
	s_delay_alu instid0(SALU_CYCLE_1)
	s_xor_b32 s24, exec_lo, s24
; %bb.39:                               ;   in Loop: Header=BB266_8 Depth=1
	v_bfe_u32 v7, v6, 16, 1
	s_delay_alu instid0(VALU_DEP_1)
	v_add3_u32 v7, v6, v7, 0x7fff
                                        ; implicit-def: $vgpr6
; %bb.40:                               ;   in Loop: Header=BB266_8 Depth=1
	s_and_not1_saveexec_b32 s24, s24
; %bb.41:                               ;   in Loop: Header=BB266_8 Depth=1
	v_and_b32_e32 v7, 0xffff, v6
	v_or_b32_e32 v8, 0x10000, v6
	s_delay_alu instid0(VALU_DEP_2) | instskip(NEXT) | instid1(VALU_DEP_2)
	v_cmp_eq_u32_e32 vcc_lo, 0, v7
	v_cndmask_b32_e32 v7, v8, v6, vcc_lo
; %bb.42:                               ;   in Loop: Header=BB266_8 Depth=1
	s_or_b32 exec_lo, exec_lo, s24
	v_add_f32_e32 v4, v4, v5
	s_waitcnt vmcnt(1)
	v_lshlrev_b32_e32 v5, 16, v13
	s_mov_b32 s24, exec_lo
	global_store_d16_hi_b16 v[0:1], v7, off offset:2
                                        ; implicit-def: $vgpr0
	v_add_f32_e32 v4, v4, v5
	s_delay_alu instid0(VALU_DEP_1) | instskip(NEXT) | instid1(VALU_DEP_1)
	v_and_b32_e32 v5, 0x7f800000, v4
	v_cmpx_ne_u32_e32 0x7f800000, v5
	s_xor_b32 s24, exec_lo, s24
; %bb.43:                               ;   in Loop: Header=BB266_8 Depth=1
	v_bfe_u32 v0, v4, 16, 1
	s_delay_alu instid0(VALU_DEP_1)
	v_add3_u32 v0, v4, v0, 0x7fff
                                        ; implicit-def: $vgpr4
; %bb.44:                               ;   in Loop: Header=BB266_8 Depth=1
	s_and_not1_saveexec_b32 s24, s24
; %bb.45:                               ;   in Loop: Header=BB266_8 Depth=1
	v_and_b32_e32 v0, 0xffff, v4
	v_or_b32_e32 v1, 0x10000, v4
	s_delay_alu instid0(VALU_DEP_2) | instskip(NEXT) | instid1(VALU_DEP_2)
	v_cmp_eq_u32_e32 vcc_lo, 0, v0
	v_cndmask_b32_e32 v0, v1, v4, vcc_lo
; %bb.46:                               ;   in Loop: Header=BB266_8 Depth=1
	s_or_b32 exec_lo, exec_lo, s24
	s_waitcnt vmcnt(0)
	v_dual_add_f32 v1, v2, v3 :: v_dual_lshlrev_b32 v2, 16, v10
	v_add_nc_u32_e32 v41, s7, v41
	s_mov_b32 s24, exec_lo
	s_delay_alu instid0(VALU_DEP_2) | instskip(NEXT) | instid1(VALU_DEP_2)
	v_add_f32_e32 v1, v1, v2
	v_lshlrev_b64 v[2:3], 1, v[41:42]
	s_delay_alu instid0(VALU_DEP_2) | instskip(NEXT) | instid1(VALU_DEP_2)
	v_and_b32_e32 v4, 0x7f800000, v1
	v_add_co_u32 v2, vcc_lo, s12, v2
	s_delay_alu instid0(VALU_DEP_3)
	v_add_co_ci_u32_e32 v3, vcc_lo, s13, v3, vcc_lo
	global_store_d16_hi_b16 v[2:3], v0, off
                                        ; implicit-def: $vgpr0
	v_cmpx_ne_u32_e32 0x7f800000, v4
	s_xor_b32 s24, exec_lo, s24
; %bb.47:                               ;   in Loop: Header=BB266_8 Depth=1
	v_bfe_u32 v0, v1, 16, 1
	s_delay_alu instid0(VALU_DEP_1)
	v_add3_u32 v0, v1, v0, 0x7fff
                                        ; implicit-def: $vgpr1
; %bb.48:                               ;   in Loop: Header=BB266_8 Depth=1
	s_and_not1_saveexec_b32 s24, s24
	s_cbranch_execz .LBB266_6
; %bb.49:                               ;   in Loop: Header=BB266_8 Depth=1
	v_and_b32_e32 v0, 0xffff, v1
	v_or_b32_e32 v2, 0x10000, v1
	s_delay_alu instid0(VALU_DEP_2) | instskip(NEXT) | instid1(VALU_DEP_2)
	v_cmp_eq_u32_e32 vcc_lo, 0, v0
	v_cndmask_b32_e32 v0, v2, v1, vcc_lo
	s_branch .LBB266_6
.LBB266_50:
	s_nop 0
	s_sendmsg sendmsg(MSG_DEALLOC_VGPRS)
	s_endpgm
	.section	.rodata,"a",@progbits
	.p2align	6, 0x0
	.amdhsa_kernel _Z16wvSplitK_hf_sml_I14__hip_bfloat16Li64ELi2ELi16ELi8ELi2ELi4EEviiiiiiPKT_S3_S3_PS1_ii
		.amdhsa_group_segment_fixed_size 65536
		.amdhsa_private_segment_fixed_size 0
		.amdhsa_kernarg_size 64
		.amdhsa_user_sgpr_count 15
		.amdhsa_user_sgpr_dispatch_ptr 0
		.amdhsa_user_sgpr_queue_ptr 0
		.amdhsa_user_sgpr_kernarg_segment_ptr 1
		.amdhsa_user_sgpr_dispatch_id 0
		.amdhsa_user_sgpr_private_segment_size 0
		.amdhsa_wavefront_size32 1
		.amdhsa_uses_dynamic_stack 0
		.amdhsa_enable_private_segment 0
		.amdhsa_system_sgpr_workgroup_id_x 1
		.amdhsa_system_sgpr_workgroup_id_y 0
		.amdhsa_system_sgpr_workgroup_id_z 0
		.amdhsa_system_sgpr_workgroup_info 0
		.amdhsa_system_vgpr_workitem_id 1
		.amdhsa_next_free_vgpr 79
		.amdhsa_next_free_sgpr 26
		.amdhsa_reserve_vcc 1
		.amdhsa_float_round_mode_32 0
		.amdhsa_float_round_mode_16_64 0
		.amdhsa_float_denorm_mode_32 3
		.amdhsa_float_denorm_mode_16_64 3
		.amdhsa_dx10_clamp 1
		.amdhsa_ieee_mode 1
		.amdhsa_fp16_overflow 0
		.amdhsa_workgroup_processor_mode 1
		.amdhsa_memory_ordered 1
		.amdhsa_forward_progress 0
		.amdhsa_shared_vgpr_count 0
		.amdhsa_exception_fp_ieee_invalid_op 0
		.amdhsa_exception_fp_denorm_src 0
		.amdhsa_exception_fp_ieee_div_zero 0
		.amdhsa_exception_fp_ieee_overflow 0
		.amdhsa_exception_fp_ieee_underflow 0
		.amdhsa_exception_fp_ieee_inexact 0
		.amdhsa_exception_int_div_zero 0
	.end_amdhsa_kernel
	.section	.text._Z16wvSplitK_hf_sml_I14__hip_bfloat16Li64ELi2ELi16ELi8ELi2ELi4EEviiiiiiPKT_S3_S3_PS1_ii,"axG",@progbits,_Z16wvSplitK_hf_sml_I14__hip_bfloat16Li64ELi2ELi16ELi8ELi2ELi4EEviiiiiiPKT_S3_S3_PS1_ii,comdat
.Lfunc_end266:
	.size	_Z16wvSplitK_hf_sml_I14__hip_bfloat16Li64ELi2ELi16ELi8ELi2ELi4EEviiiiiiPKT_S3_S3_PS1_ii, .Lfunc_end266-_Z16wvSplitK_hf_sml_I14__hip_bfloat16Li64ELi2ELi16ELi8ELi2ELi4EEviiiiiiPKT_S3_S3_PS1_ii
                                        ; -- End function
	.section	.AMDGPU.csdata,"",@progbits
; Kernel info:
; codeLenInByte = 5148
; NumSgprs: 28
; NumVgprs: 79
; ScratchSize: 0
; MemoryBound: 0
; FloatMode: 240
; IeeeMode: 1
; LDSByteSize: 65536 bytes/workgroup (compile time only)
; SGPRBlocks: 3
; VGPRBlocks: 9
; NumSGPRsForWavesPerEU: 28
; NumVGPRsForWavesPerEU: 79
; Occupancy: 16
; WaveLimiterHint : 0
; COMPUTE_PGM_RSRC2:SCRATCH_EN: 0
; COMPUTE_PGM_RSRC2:USER_SGPR: 15
; COMPUTE_PGM_RSRC2:TRAP_HANDLER: 0
; COMPUTE_PGM_RSRC2:TGID_X_EN: 1
; COMPUTE_PGM_RSRC2:TGID_Y_EN: 0
; COMPUTE_PGM_RSRC2:TGID_Z_EN: 0
; COMPUTE_PGM_RSRC2:TIDIG_COMP_CNT: 1
	.section	.text._Z12wvSplitK_hf_I14__hip_bfloat16Li64ELi2ELi16ELi8ELi2ELi4EEviiiiiiPKT_S3_S3_PS1_ii,"axG",@progbits,_Z12wvSplitK_hf_I14__hip_bfloat16Li64ELi2ELi16ELi8ELi2ELi4EEviiiiiiPKT_S3_S3_PS1_ii,comdat
	.protected	_Z12wvSplitK_hf_I14__hip_bfloat16Li64ELi2ELi16ELi8ELi2ELi4EEviiiiiiPKT_S3_S3_PS1_ii ; -- Begin function _Z12wvSplitK_hf_I14__hip_bfloat16Li64ELi2ELi16ELi8ELi2ELi4EEviiiiiiPKT_S3_S3_PS1_ii
	.globl	_Z12wvSplitK_hf_I14__hip_bfloat16Li64ELi2ELi16ELi8ELi2ELi4EEviiiiiiPKT_S3_S3_PS1_ii
	.p2align	8
	.type	_Z12wvSplitK_hf_I14__hip_bfloat16Li64ELi2ELi16ELi8ELi2ELi4EEviiiiiiPKT_S3_S3_PS1_ii,@function
_Z12wvSplitK_hf_I14__hip_bfloat16Li64ELi2ELi16ELi8ELi2ELi4EEviiiiiiPKT_S3_S3_PS1_ii: ; @_Z12wvSplitK_hf_I14__hip_bfloat16Li64ELi2ELi16ELi8ELi2ELi4EEviiiiiiPKT_S3_S3_PS1_ii
; %bb.0:
	s_clause 0x1
	s_load_b64 s[18:19], s[0:1], 0x38
	s_load_b128 s[4:7], s[0:1], 0x0
	v_bfe_u32 v2, v0, 10, 10
	s_clause 0x1
	s_load_b64 s[8:9], s[0:1], 0x20
	s_load_b64 s[10:11], s[0:1], 0x10
	s_mov_b32 s12, 1
	s_delay_alu instid0(SALU_CYCLE_1) | instskip(NEXT) | instid1(SALU_CYCLE_1)
	s_mov_b32 s13, s12
	v_dual_mov_b32 v49, s13 :: v_dual_mov_b32 v48, s12
	s_waitcnt lgkmcnt(0)
	s_mul_i32 s15, s15, s18
	s_delay_alu instid0(SALU_CYCLE_1) | instskip(NEXT) | instid1(VALU_DEP_1)
	v_add_lshl_u32 v50, s15, v2, 1
	v_add_nc_u32_e32 v1, 2, v50
	v_cmp_gt_u32_e32 vcc_lo, s7, v50
	s_delay_alu instid0(VALU_DEP_2) | instskip(NEXT) | instid1(VALU_DEP_1)
	v_cmp_le_u32_e64 s2, s7, v1
	s_and_b32 s2, vcc_lo, s2
	s_delay_alu instid0(SALU_CYCLE_1)
	s_and_saveexec_b32 s14, s2
	s_cbranch_execz .LBB267_6
; %bb.1:
	v_dual_mov_b32 v49, s13 :: v_dual_mov_b32 v48, s12
	s_add_i32 s15, s7, -2
	s_mov_b32 s16, exec_lo
	v_cmpx_ne_u32_e64 s15, v50
	s_cbranch_execz .LBB267_5
; %bb.2:
	v_subrev_nc_u32_e32 v1, s15, v50
	s_mov_b32 s2, 1
	s_mov_b32 s17, 0
	s_mov_b64 s[12:13], 0
	s_mov_b32 s3, s2
	v_cmp_lt_u32_e32 vcc_lo, 1, v1
	v_cndmask_b32_e32 v1, 1, v1, vcc_lo
.LBB267_3:                              ; =>This Inner Loop Header: Depth=1
	s_cmp_lg_u32 s12, 1
	s_cselect_b32 s3, s3, 0
	s_cmp_lg_u32 s12, 0
	s_cselect_b32 s2, s2, 0
	s_add_u32 s12, s12, 1
	v_dual_mov_b32 v49, s3 :: v_dual_mov_b32 v48, s2
	v_cmp_eq_u32_e32 vcc_lo, s12, v1
	s_addc_u32 s13, s13, 0
	s_or_b32 s17, vcc_lo, s17
	s_delay_alu instid0(SALU_CYCLE_1)
	s_and_not1_b32 exec_lo, exec_lo, s17
	s_cbranch_execnz .LBB267_3
; %bb.4:
	s_or_b32 exec_lo, exec_lo, s17
	v_mov_b32_e32 v50, s15
.LBB267_5:
	s_or_b32 exec_lo, exec_lo, s16
.LBB267_6:
	s_delay_alu instid0(SALU_CYCLE_1)
	s_or_b32 exec_lo, exec_lo, s14
	s_load_b64 s[12:13], s[0:1], 0x28
	v_and_b32_e32 v3, 0x3ff, v0
	s_lshl_b32 s3, s6, 2
	s_mov_b32 s15, exec_lo
	s_min_u32 s14, s3, 0x8000
	s_delay_alu instid0(VALU_DEP_1) | instskip(NEXT) | instid1(VALU_DEP_1)
	v_lshlrev_b32_e32 v52, 3, v3
	v_lshl_add_u32 v4, v2, 9, v52
	s_delay_alu instid0(VALU_DEP_1)
	v_cmpx_gt_u32_e64 s14, v4
	s_cbranch_execz .LBB267_9
; %bb.7:
	v_lshlrev_b32_e32 v5, 10, v2
	v_lshlrev_b32_e32 v6, 4, v3
	s_mov_b32 s16, 0
	s_delay_alu instid0(VALU_DEP_1) | instskip(NEXT) | instid1(VALU_DEP_1)
	v_add_co_u32 v0, s2, v5, v6
	v_add_co_ci_u32_e64 v1, null, 0, 0, s2
	v_add_nc_u32_e32 v5, v5, v6
	s_delay_alu instid0(VALU_DEP_3) | instskip(NEXT) | instid1(VALU_DEP_3)
	v_add_co_u32 v0, vcc_lo, s8, v0
	v_add_co_ci_u32_e32 v1, vcc_lo, s9, v1, vcc_lo
	.p2align	6
.LBB267_8:                              ; =>This Inner Loop Header: Depth=1
	global_load_b128 v[6:9], v[0:1], off
	v_add_nc_u32_e32 v4, 0x2000, v4
	v_add_co_u32 v0, vcc_lo, 0x4000, v0
	v_add_co_ci_u32_e32 v1, vcc_lo, 0, v1, vcc_lo
	s_delay_alu instid0(VALU_DEP_3) | instskip(NEXT) | instid1(VALU_DEP_1)
	v_cmp_le_u32_e64 s2, s14, v4
	s_or_b32 s16, s2, s16
	s_waitcnt vmcnt(0)
	ds_store_b128 v5, v[6:9]
	v_add_nc_u32_e32 v5, 0x4000, v5
	s_and_not1_b32 exec_lo, exec_lo, s16
	s_cbranch_execnz .LBB267_8
.LBB267_9:
	s_or_b32 exec_lo, exec_lo, s15
	v_cmp_gt_u32_e32 vcc_lo, s18, v2
	v_cmp_gt_u32_e64 s2, s7, v50
	s_waitcnt lgkmcnt(0)
	s_barrier
	buffer_gl0_inv
	s_and_b32 s2, vcc_lo, s2
	s_delay_alu instid0(SALU_CYCLE_1)
	s_and_saveexec_b32 s14, s2
	s_cbranch_execz .LBB267_108
; %bb.10:
	s_cmp_lg_u32 s4, 0
	s_clause 0x1
	s_load_b64 s[14:15], s[0:1], 0x18
	s_load_b64 s[16:17], s[0:1], 0x30
	s_cselect_b32 s20, -1, 0
	s_add_i32 s21, s4, -8
	s_add_i32 s22, s7, -1
	s_cmp_lg_u64 s[12:13], 0
	s_mul_i32 s1, s18, s19
	s_cselect_b32 s23, -1, 0
	s_abs_i32 s2, s11
	v_mbcnt_lo_u32_b32 v1, -1, 0
	v_cvt_f32_u32_e32 v0, s2
	v_cvt_f32_u32_e32 v2, s10
	s_lshl_b32 s24, s1, 1
	s_sub_i32 s1, 0, s2
	s_add_i32 s25, s7, -2
	v_rcp_iflag_f32_e32 v0, v0
	s_sub_i32 s19, 0, s10
	s_sub_i32 s26, 1, s2
	v_mad_u64_u32 v[55:56], null, s6, 3, v[52:53]
	v_cmp_eq_u32_e64 s0, 63, v3
	v_add_nc_u32_e32 v68, s6, v52
	v_lshlrev_b32_e32 v67, 4, v3
	s_mov_b32 s11, 0
	s_waitcnt_depctr 0xfff
	v_mul_f32_e32 v0, 0x4f7ffffe, v0
	s_delay_alu instid0(VALU_DEP_1) | instskip(NEXT) | instid1(VALU_DEP_1)
	v_cvt_u32_f32_e32 v0, v0
	v_readfirstlane_b32 s18, v0
	v_rcp_iflag_f32_e32 v0, v2
	v_xor_b32_e32 v2, 16, v1
	s_delay_alu instid0(VALU_DEP_2) | instskip(NEXT) | instid1(SALU_CYCLE_1)
	s_mul_i32 s1, s1, s18
	s_mul_hi_u32 s1, s18, s1
	s_delay_alu instid0(VALU_DEP_1)
	v_cmp_gt_i32_e32 vcc_lo, 32, v2
	s_add_i32 s18, s18, s1
	s_cmp_lt_u32 s2, 2
	v_mov_b32_e32 v54, 0
	s_cselect_b32 s1, s26, 1
	v_cndmask_b32_e32 v1, v1, v2, vcc_lo
	s_sub_i32 s26, s1, s2
	s_cmp_ge_u32 s1, s2
	s_waitcnt_depctr 0xfff
	v_mul_f32_e32 v0, 0x4f7ffffe, v0
	s_cselect_b32 s27, s26, s1
	v_lshlrev_b32_e32 v69, 2, v1
	s_lshr_b32 s1, s18, 31
	s_mul_hi_u32 s18, s18, 3
	s_mul_i32 s1, s1, s2
	v_cvt_u32_f32_e32 v0, v0
	s_sub_i32 s1, 2, s1
	s_mul_i32 s18, s18, s2
	s_sub_i32 s26, s1, s2
	s_cmp_ge_u32 s1, s2
	v_mul_lo_u32 v2, s19, v0
	s_cselect_b32 s1, s26, s1
	s_mul_i32 s27, s27, s10
	s_sub_i32 s19, s1, s2
	s_cmp_ge_u32 s1, s2
	s_cselect_b32 s28, s19, s1
	s_sub_i32 s1, 3, s18
	s_delay_alu instid0(VALU_DEP_1) | instskip(SKIP_4) | instid1(SALU_CYCLE_1)
	v_mul_hi_u32 v2, v0, v2
	s_sub_i32 s18, s1, s2
	s_cmp_ge_u32 s1, s2
	s_mul_i32 s28, s28, s10
	s_cselect_b32 s1, s18, s1
	s_sub_i32 s18, s1, s2
	s_cmp_ge_u32 s1, s2
	s_delay_alu instid0(VALU_DEP_1)
	v_add_nc_u32_e32 v70, v0, v2
	s_cselect_b32 s29, s18, s1
	s_lshl_b32 s26, s6, 1
	s_mul_i32 s29, s29, s10
	v_add_nc_u32_e32 v71, s26, v52
	s_mul_i32 s6, s6, 6
	s_branch .LBB267_13
.LBB267_11:                             ;   in Loop: Header=BB267_13 Depth=1
	s_or_b32 exec_lo, exec_lo, s31
	v_mov_b32_e32 v50, s25
.LBB267_12:                             ;   in Loop: Header=BB267_13 Depth=1
	s_or_b32 exec_lo, exec_lo, s30
	s_delay_alu instid0(VALU_DEP_1) | instskip(SKIP_1) | instid1(SALU_CYCLE_1)
	v_cmp_le_u32_e32 vcc_lo, s7, v50
	s_or_b32 s11, vcc_lo, s11
	s_and_not1_b32 exec_lo, exec_lo, s11
	s_cbranch_execz .LBB267_108
.LBB267_13:                             ; =>This Loop Header: Depth=1
                                        ;     Child Loop BB267_18 Depth 2
                                        ;     Child Loop BB267_106 Depth 2
	v_dual_mov_b32 v51, v54 :: v_dual_add_nc_u32 v56, 1, v50
	v_mov_b32_e32 v72, v54
	v_mov_b32_e32 v75, v54
	;; [unrolled: 1-line block ×7, first 2 shown]
	s_and_not1_b32 vcc_lo, exec_lo, s20
	s_cbranch_vccnz .LBB267_52
; %bb.14:                               ;   in Loop: Header=BB267_13 Depth=1
	v_min_u32_e32 v0, s22, v50
	v_min_u32_e32 v2, s22, v56
	s_waitcnt lgkmcnt(0)
	v_dual_mov_b32 v1, v54 :: v_dual_mov_b32 v76, 0
	v_dual_mov_b32 v73, v67 :: v_dual_mov_b32 v78, 0
	v_mul_lo_u32 v53, v0, s5
	v_mul_lo_u32 v0, v2, s5
	v_dual_mov_b32 v74, 0 :: v_dual_mov_b32 v79, 0
	v_dual_mov_b32 v77, 0 :: v_dual_mov_b32 v72, 0
	v_mov_b32_e32 v75, 0
	v_mov_b32_e32 v51, 0
	v_lshlrev_b64 v[57:58], 1, v[53:54]
	v_lshlrev_b64 v[59:60], 1, v[0:1]
	s_mov_b32 s1, 0
	s_branch .LBB267_18
.LBB267_15:                             ;   in Loop: Header=BB267_18 Depth=2
	s_or_b32 exec_lo, exec_lo, s19
.LBB267_16:                             ;   in Loop: Header=BB267_18 Depth=2
	s_delay_alu instid0(SALU_CYCLE_1)
	s_or_b32 exec_lo, exec_lo, s18
.LBB267_17:                             ;   in Loop: Header=BB267_18 Depth=2
	s_delay_alu instid0(SALU_CYCLE_1)
	s_or_b32 exec_lo, exec_lo, s2
	s_waitcnt vmcnt(0) lgkmcnt(0)
	v_and_b32_e32 v65, 0xffff0000, v33
	v_and_b32_e32 v84, 0xffff0000, v35
	;; [unrolled: 1-line block ×3, first 2 shown]
	v_lshlrev_b32_e32 v82, 16, v34
	v_and_b32_e32 v61, 0xffff0000, v29
	v_and_b32_e32 v63, 0xffff0000, v32
	v_lshlrev_b32_e32 v64, 16, v32
	v_lshlrev_b32_e32 v66, 16, v33
	;; [unrolled: 1-line block ×3, first 2 shown]
	v_dual_mul_f32 v81, v65, v61 :: v_dual_lshlrev_b32 v32, 16, v28
	v_and_b32_e32 v33, 0xffff0000, v30
	v_lshlrev_b32_e32 v31, 16, v31
	s_delay_alu instid0(VALU_DEP_3)
	v_dual_fmac_f32 v81, v66, v29 :: v_dual_and_b32 v88, 0xffff0000, v6
	v_and_b32_e32 v80, 0xffff0000, v34
	v_and_b32_e32 v53, 0xffff0000, v28
	v_lshlrev_b32_e32 v35, 16, v35
	v_lshlrev_b32_e32 v28, 16, v30
	;; [unrolled: 1-line block ×3, first 2 shown]
	s_addk_i32 s1, 0x400
	v_mul_f32_e32 v62, v63, v53
	s_cmp_ge_u32 s1, s4
	v_and_b32_e32 v87, 0xffff0000, v15
	v_lshlrev_b32_e32 v15, 16, v15
	s_delay_alu instid0(VALU_DEP_3) | instskip(NEXT) | instid1(VALU_DEP_1)
	v_dual_fmac_f32 v62, v64, v32 :: v_dual_add_nc_u32 v73, 0x800, v73
	v_add_f32_e32 v30, v76, v62
	v_and_b32_e32 v62, 0xffff0000, v20
	v_lshlrev_b32_e32 v20, 16, v21
	s_delay_alu instid0(VALU_DEP_3) | instskip(NEXT) | instid1(VALU_DEP_3)
	v_add_f32_e32 v81, v30, v81
	v_mul_f32_e32 v83, v63, v62
	v_and_b32_e32 v63, 0xffff0000, v21
	v_and_b32_e32 v30, 0xffff0000, v22
	s_delay_alu instid0(VALU_DEP_2) | instskip(NEXT) | instid1(VALU_DEP_1)
	v_dual_fmac_f32 v83, v64, v34 :: v_dual_mul_f32 v64, v65, v63
	v_add_f32_e32 v78, v78, v83
	v_mul_f32_e32 v76, v80, v33
	s_delay_alu instid0(VALU_DEP_3) | instskip(SKIP_2) | instid1(VALU_DEP_3)
	v_dual_fmac_f32 v64, v66, v20 :: v_dual_lshlrev_b32 v21, 16, v22
	v_mul_f32_e32 v22, v80, v30
	v_dual_mul_f32 v65, v84, v85 :: v_dual_and_b32 v80, 0xffff0000, v12
	v_dual_add_f32 v64, v78, v64 :: v_dual_lshlrev_b32 v83, 16, v13
	s_delay_alu instid0(VALU_DEP_2)
	v_dual_fmac_f32 v22, v82, v21 :: v_dual_fmac_f32 v65, v35, v31
	v_fmac_f32_e32 v76, v82, v28
	v_lshlrev_b32_e32 v6, 16, v6
	v_and_b32_e32 v82, 0xffff0000, v13
	v_and_b32_e32 v13, 0xffff0000, v14
	;; [unrolled: 1-line block ×3, first 2 shown]
	v_add_f32_e32 v66, v81, v76
	v_dual_add_f32 v22, v64, v22 :: v_dual_lshlrev_b32 v81, 16, v12
	v_and_b32_e32 v76, 0xffff0000, v45
	v_lshlrev_b32_e32 v45, 16, v45
	s_delay_alu instid0(VALU_DEP_4)
	v_dual_add_f32 v65, v66, v65 :: v_dual_and_b32 v66, 0xffff0000, v44
	v_lshlrev_b32_e32 v44, 16, v44
	v_and_b32_e32 v64, 0xffff0000, v23
	v_lshlrev_b32_e32 v23, 16, v23
	v_lshlrev_b32_e32 v4, 16, v4
	v_mul_f32_e32 v12, v66, v80
	s_delay_alu instid0(VALU_DEP_1) | instskip(NEXT) | instid1(VALU_DEP_1)
	v_fmac_f32_e32 v12, v44, v81
	v_add_f32_e32 v65, v65, v12
	v_mul_f32_e32 v78, v84, v64
	v_mul_f32_e32 v84, v76, v82
	v_lshlrev_b32_e32 v12, 16, v14
	s_delay_alu instid0(VALU_DEP_3) | instskip(SKIP_1) | instid1(VALU_DEP_2)
	v_dual_fmac_f32 v78, v35, v23 :: v_dual_and_b32 v35, 0xffff0000, v46
	v_lshlrev_b32_e32 v46, 16, v46
	v_add_f32_e32 v22, v22, v78
	s_delay_alu instid0(VALU_DEP_3) | instskip(SKIP_3) | instid1(VALU_DEP_4)
	v_mul_f32_e32 v14, v35, v13
	v_and_b32_e32 v78, 0xffff0000, v47
	v_lshlrev_b32_e32 v47, 16, v47
	v_dual_fmac_f32 v84, v45, v83 :: v_dual_mul_f32 v35, v35, v88
	v_fmac_f32_e32 v14, v46, v12
	s_delay_alu instid0(VALU_DEP_2) | instskip(NEXT) | instid1(VALU_DEP_3)
	v_add_f32_e32 v65, v65, v84
	v_fmac_f32_e32 v35, v46, v6
	v_mul_f32_e32 v66, v66, v86
	v_and_b32_e32 v84, 0xffff0000, v5
	v_and_b32_e32 v46, 0xffff0000, v17
	v_dual_add_f32 v14, v65, v14 :: v_dual_lshlrev_b32 v17, 16, v17
	s_delay_alu instid0(VALU_DEP_4) | instskip(SKIP_2) | instid1(VALU_DEP_3)
	v_dual_fmac_f32 v66, v44, v4 :: v_dual_and_b32 v65, 0xffff0000, v18
	v_lshlrev_b32_e32 v5, 16, v5
	v_lshlrev_b32_e32 v18, 16, v18
	v_add_f32_e32 v22, v22, v66
	s_delay_alu instid0(VALU_DEP_4) | instskip(SKIP_2) | instid1(VALU_DEP_3)
	v_mul_f32_e32 v66, v65, v33
	v_dual_mul_f32 v65, v65, v30 :: v_dual_mul_f32 v44, v76, v84
	v_mul_f32_e32 v76, v78, v87
	v_fmac_f32_e32 v66, v18, v28
	s_delay_alu instid0(VALU_DEP_3) | instskip(NEXT) | instid1(VALU_DEP_4)
	v_fmac_f32_e32 v65, v18, v21
	v_dual_fmac_f32 v44, v45, v5 :: v_dual_and_b32 v45, 0xffff0000, v16
	s_delay_alu instid0(VALU_DEP_4) | instskip(SKIP_2) | instid1(VALU_DEP_4)
	v_fmac_f32_e32 v76, v47, v15
	v_lshlrev_b32_e32 v16, 16, v16
	v_and_b32_e32 v18, 0xffff0000, v42
	v_add_f32_e32 v22, v22, v44
	v_mul_f32_e32 v44, v45, v53
	v_dual_add_f32 v76, v14, v76 :: v_dual_mul_f32 v45, v45, v62
	s_delay_alu instid0(VALU_DEP_3) | instskip(NEXT) | instid1(VALU_DEP_3)
	v_add_f32_e32 v14, v22, v35
	v_fmac_f32_e32 v44, v16, v32
	v_dual_mul_f32 v22, v46, v61 :: v_dual_and_b32 v35, 0xffff0000, v7
	s_delay_alu instid0(VALU_DEP_4) | instskip(NEXT) | instid1(VALU_DEP_3)
	v_dual_fmac_f32 v45, v16, v34 :: v_dual_mul_f32 v16, v46, v63
	v_add_f32_e32 v44, v74, v44
	s_delay_alu instid0(VALU_DEP_3) | instskip(NEXT) | instid1(VALU_DEP_4)
	v_fmac_f32_e32 v22, v17, v29
	v_mul_f32_e32 v74, v78, v35
	v_and_b32_e32 v78, 0xffff0000, v19
	v_lshlrev_b32_e32 v19, 16, v19
	s_delay_alu instid0(VALU_DEP_4) | instskip(SKIP_1) | instid1(VALU_DEP_4)
	v_dual_add_f32 v45, v79, v45 :: v_dual_add_f32 v22, v44, v22
	v_fmac_f32_e32 v16, v17, v20
	v_dual_mul_f32 v44, v78, v85 :: v_dual_lshlrev_b32 v17, 16, v40
	s_delay_alu instid0(VALU_DEP_3) | instskip(NEXT) | instid1(VALU_DEP_3)
	v_dual_add_f32 v22, v22, v66 :: v_dual_lshlrev_b32 v7, 16, v7
	v_add_f32_e32 v16, v45, v16
	s_delay_alu instid0(VALU_DEP_3) | instskip(SKIP_1) | instid1(VALU_DEP_4)
	v_fmac_f32_e32 v44, v19, v31
	v_mul_f32_e32 v66, v78, v64
	v_fmac_f32_e32 v74, v47, v7
	s_delay_alu instid0(VALU_DEP_4) | instskip(NEXT) | instid1(VALU_DEP_4)
	v_add_f32_e32 v16, v16, v65
	v_add_f32_e32 v22, v22, v44
	v_and_b32_e32 v44, 0xffff0000, v41
	v_dual_fmac_f32 v66, v19, v23 :: v_dual_lshlrev_b32 v41, 16, v41
	v_add_f32_e32 v78, v14, v74
	s_delay_alu instid0(VALU_DEP_3) | instskip(NEXT) | instid1(VALU_DEP_3)
	v_mul_f32_e32 v45, v44, v82
	v_add_f32_e32 v14, v16, v66
	v_and_b32_e32 v16, 0xffff0000, v43
	s_delay_alu instid0(VALU_DEP_3) | instskip(NEXT) | instid1(VALU_DEP_1)
	v_dual_fmac_f32 v45, v41, v83 :: v_dual_and_b32 v46, 0xffff0000, v40
	v_mul_f32_e32 v40, v46, v80
	s_delay_alu instid0(VALU_DEP_1) | instskip(NEXT) | instid1(VALU_DEP_1)
	v_fmac_f32_e32 v40, v17, v81
	v_add_f32_e32 v22, v22, v40
	v_lshlrev_b32_e32 v40, 16, v42
	v_mul_f32_e32 v42, v18, v13
	s_delay_alu instid0(VALU_DEP_3) | instskip(SKIP_1) | instid1(VALU_DEP_3)
	v_add_f32_e32 v19, v22, v45
	v_mul_f32_e32 v22, v46, v86
	v_fmac_f32_e32 v42, v40, v12
	s_delay_alu instid0(VALU_DEP_1)
	v_dual_add_f32 v19, v19, v42 :: v_dual_fmac_f32 v22, v17, v4
	v_lshlrev_b32_e32 v42, 16, v43
	v_mul_f32_e32 v43, v16, v87
	v_mul_f32_e32 v17, v44, v84
	v_and_b32_e32 v44, 0xffff0000, v8
	v_add_f32_e32 v14, v14, v22
	s_delay_alu instid0(VALU_DEP_4) | instskip(NEXT) | instid1(VALU_DEP_4)
	v_dual_fmac_f32 v43, v42, v15 :: v_dual_lshlrev_b32 v8, 16, v8
	v_dual_fmac_f32 v17, v41, v5 :: v_dual_mul_f32 v18, v18, v88
	s_delay_alu instid0(VALU_DEP_4) | instskip(SKIP_2) | instid1(VALU_DEP_4)
	v_mul_f32_e32 v22, v44, v53
	v_and_b32_e32 v41, 0xffff0000, v9
	v_lshlrev_b32_e32 v9, 16, v9
	v_add_f32_e32 v14, v14, v17
	v_add_f32_e32 v74, v19, v43
	s_delay_alu instid0(VALU_DEP_4) | instskip(SKIP_3) | instid1(VALU_DEP_4)
	v_dual_fmac_f32 v22, v8, v32 :: v_dual_mul_f32 v17, v41, v61
	v_fmac_f32_e32 v18, v40, v6
	v_and_b32_e32 v19, 0xffff0000, v10
	v_lshlrev_b32_e32 v10, 16, v10
	v_dual_mul_f32 v40, v44, v62 :: v_dual_fmac_f32 v17, v9, v29
	s_delay_alu instid0(VALU_DEP_4) | instskip(SKIP_2) | instid1(VALU_DEP_4)
	v_add_f32_e32 v14, v14, v18
	v_add_f32_e32 v18, v77, v22
	v_mul_f32_e32 v22, v19, v33
	v_fmac_f32_e32 v40, v8, v34
	s_delay_alu instid0(VALU_DEP_3) | instskip(SKIP_1) | instid1(VALU_DEP_4)
	v_dual_add_f32 v17, v18, v17 :: v_dual_lshlrev_b32 v8, 16, v11
	v_and_b32_e32 v18, 0xffff0000, v11
	v_dual_fmac_f32 v22, v10, v28 :: v_dual_mul_f32 v11, v41, v63
	s_delay_alu instid0(VALU_DEP_2) | instskip(NEXT) | instid1(VALU_DEP_2)
	v_mul_f32_e32 v41, v18, v85
	v_dual_add_f32 v17, v17, v22 :: v_dual_add_f32 v22, v75, v40
	v_and_b32_e32 v40, 0xffff0000, v36
	s_delay_alu instid0(VALU_DEP_4) | instskip(SKIP_3) | instid1(VALU_DEP_4)
	v_fmac_f32_e32 v11, v9, v20
	v_mul_f32_e32 v9, v19, v30
	v_fmac_f32_e32 v41, v8, v31
	v_lshlrev_b32_e32 v19, 16, v36
	v_dual_mul_f32 v36, v40, v80 :: v_dual_add_f32 v11, v22, v11
	v_and_b32_e32 v22, 0xffff0000, v37
	v_fmac_f32_e32 v9, v10, v21
	v_add_f32_e32 v10, v17, v41
	s_delay_alu instid0(VALU_DEP_4) | instskip(SKIP_4) | instid1(VALU_DEP_3)
	v_fmac_f32_e32 v36, v19, v81
	v_lshlrev_b32_e32 v17, 16, v37
	v_mul_f32_e32 v37, v22, v82
	v_add_f32_e32 v9, v11, v9
	v_dual_mul_f32 v18, v18, v64 :: v_dual_and_b32 v11, 0xffff0000, v38
	v_dual_add_f32 v10, v10, v36 :: v_dual_fmac_f32 v37, v17, v83
	v_lshlrev_b32_e32 v36, 16, v38
	s_delay_alu instid0(VALU_DEP_3) | instskip(NEXT) | instid1(VALU_DEP_4)
	v_mul_f32_e32 v38, v11, v13
	v_dual_fmac_f32 v18, v8, v23 :: v_dual_and_b32 v41, 0xffff0000, v1
	s_delay_alu instid0(VALU_DEP_4) | instskip(NEXT) | instid1(VALU_DEP_3)
	v_dual_add_f32 v8, v10, v37 :: v_dual_and_b32 v37, 0xffff0000, v0
	v_fmac_f32_e32 v38, v36, v12
	v_lshlrev_b32_e32 v0, 16, v0
	v_lshlrev_b32_e32 v1, 16, v1
	v_add_f32_e32 v9, v9, v18
	s_delay_alu instid0(VALU_DEP_4) | instskip(SKIP_2) | instid1(VALU_DEP_3)
	v_dual_mul_f32 v11, v11, v88 :: v_dual_add_f32 v8, v8, v38
	v_mul_f32_e32 v38, v40, v86
	v_mul_f32_e32 v40, v37, v53
	v_dual_fmac_f32 v11, v36, v6 :: v_dual_and_b32 v10, 0xffff0000, v39
	v_lshlrev_b32_e32 v18, 16, v39
	s_delay_alu instid0(VALU_DEP_4) | instskip(SKIP_4) | instid1(VALU_DEP_4)
	v_fmac_f32_e32 v38, v19, v4
	v_mul_f32_e32 v19, v22, v84
	v_fmac_f32_e32 v40, v0, v32
	v_mul_f32_e32 v22, v41, v61
	v_and_b32_e32 v32, 0xffff0000, v2
	v_dual_fmac_f32 v19, v17, v5 :: v_dual_lshlrev_b32 v2, 16, v2
	s_delay_alu instid0(VALU_DEP_3) | instskip(NEXT) | instid1(VALU_DEP_3)
	v_dual_add_f32 v17, v72, v40 :: v_dual_fmac_f32 v22, v1, v29
	v_mul_f32_e32 v29, v32, v33
	v_add_f32_e32 v9, v9, v38
	v_mul_f32_e32 v39, v10, v87
	s_delay_alu instid0(VALU_DEP_4) | instskip(NEXT) | instid1(VALU_DEP_4)
	v_dual_mul_f32 v10, v10, v35 :: v_dual_add_f32 v17, v17, v22
	v_dual_mul_f32 v22, v37, v62 :: v_dual_fmac_f32 v29, v2, v28
	s_delay_alu instid0(VALU_DEP_4) | instskip(SKIP_1) | instid1(VALU_DEP_3)
	v_add_f32_e32 v9, v9, v19
	v_and_b32_e32 v19, 0xffff0000, v3
	v_dual_fmac_f32 v22, v0, v34 :: v_dual_lshlrev_b32 v3, 16, v3
	s_delay_alu instid0(VALU_DEP_4) | instskip(NEXT) | instid1(VALU_DEP_3)
	v_add_f32_e32 v0, v17, v29
	v_dual_mul_f32 v17, v41, v63 :: v_dual_mul_f32 v28, v19, v85
	s_delay_alu instid0(VALU_DEP_3) | instskip(SKIP_1) | instid1(VALU_DEP_3)
	v_dual_add_f32 v22, v51, v22 :: v_dual_and_b32 v29, 0xffff0000, v24
	v_add_f32_e32 v9, v9, v11
	v_fmac_f32_e32 v17, v1, v20
	s_delay_alu instid0(VALU_DEP_4) | instskip(SKIP_1) | instid1(VALU_DEP_3)
	v_dual_mul_f32 v1, v32, v30 :: v_dual_fmac_f32 v28, v3, v31
	v_lshlrev_b32_e32 v20, 16, v24
	v_dual_mul_f32 v24, v29, v80 :: v_dual_add_f32 v17, v22, v17
	s_delay_alu instid0(VALU_DEP_3) | instskip(SKIP_2) | instid1(VALU_DEP_4)
	v_dual_fmac_f32 v1, v2, v21 :: v_dual_mul_f32 v2, v19, v64
	v_and_b32_e32 v22, 0xffff0000, v25
	v_add_f32_e32 v0, v0, v28
	v_fmac_f32_e32 v24, v20, v81
	s_delay_alu instid0(VALU_DEP_4) | instskip(SKIP_2) | instid1(VALU_DEP_4)
	v_dual_add_f32 v1, v17, v1 :: v_dual_fmac_f32 v2, v3, v23
	v_mul_f32_e32 v3, v29, v86
	v_lshlrev_b32_e32 v19, 16, v25
	v_dual_mul_f32 v21, v22, v82 :: v_dual_add_f32 v0, v0, v24
	s_delay_alu instid0(VALU_DEP_4) | instskip(NEXT) | instid1(VALU_DEP_4)
	v_add_f32_e32 v1, v1, v2
	v_dual_fmac_f32 v3, v20, v4 :: v_dual_and_b32 v2, 0xffff0000, v26
	s_delay_alu instid0(VALU_DEP_3) | instskip(SKIP_1) | instid1(VALU_DEP_3)
	v_dual_mul_f32 v4, v22, v84 :: v_dual_fmac_f32 v21, v19, v83
	v_lshlrev_b32_e32 v11, 16, v26
	v_mul_f32_e32 v13, v2, v13
	v_and_b32_e32 v17, 0xffff0000, v27
	s_delay_alu instid0(VALU_DEP_4) | instskip(SKIP_3) | instid1(VALU_DEP_4)
	v_dual_add_f32 v1, v1, v3 :: v_dual_fmac_f32 v4, v19, v5
	v_mul_f32_e32 v2, v2, v88
	v_mul_f32_e32 v16, v16, v35
	v_dual_add_f32 v0, v0, v21 :: v_dual_fmac_f32 v13, v11, v12
	v_add_f32_e32 v1, v1, v4
	v_lshlrev_b32_e32 v3, 16, v27
	v_dual_mul_f32 v5, v17, v87 :: v_dual_fmac_f32 v2, v11, v6
	v_mul_f32_e32 v4, v17, v35
	v_fmac_f32_e32 v16, v42, v7
	v_fmac_f32_e32 v39, v18, v15
	;; [unrolled: 1-line block ×3, first 2 shown]
	v_dual_add_f32 v0, v0, v13 :: v_dual_fmac_f32 v5, v3, v15
	v_dual_add_f32 v1, v1, v2 :: v_dual_fmac_f32 v4, v3, v7
	v_add_f32_e32 v79, v14, v16
	v_add_f32_e32 v77, v8, v39
	s_delay_alu instid0(VALU_DEP_4) | instskip(NEXT) | instid1(VALU_DEP_4)
	v_dual_add_f32 v75, v9, v10 :: v_dual_add_f32 v72, v0, v5
	v_add_f32_e32 v51, v1, v4
	s_cbranch_scc1 .LBB267_52
.LBB267_18:                             ;   Parent Loop BB267_13 Depth=1
                                        ; =>  This Inner Loop Header: Depth=2
	v_dual_mov_b32 v27, 0 :: v_dual_add_nc_u32 v62, s1, v52
	v_dual_mov_b32 v25, 0 :: v_dual_mov_b32 v24, 0
	v_dual_mov_b32 v39, 0 :: v_dual_mov_b32 v38, 0
	s_delay_alu instid0(VALU_DEP_3) | instskip(SKIP_2) | instid1(VALU_DEP_3)
	v_min_u32_e32 v53, s21, v62
	v_dual_mov_b32 v26, 0 :: v_dual_add_nc_u32 v61, 0x200, v62
	v_dual_mov_b32 v37, 0 :: v_dual_mov_b32 v36, 0
	v_lshlrev_b64 v[0:1], 1, v[53:54]
	s_delay_alu instid0(VALU_DEP_3) | instskip(SKIP_3) | instid1(VALU_DEP_4)
	v_min_u32_e32 v53, s21, v61
	v_dual_mov_b32 v43, 0 :: v_dual_mov_b32 v42, 0
	v_dual_mov_b32 v41, 0 :: v_dual_mov_b32 v40, 0
	s_waitcnt lgkmcnt(0)
	v_add_co_u32 v4, vcc_lo, s14, v0
	v_add_co_ci_u32_e32 v5, vcc_lo, s15, v1, vcc_lo
	v_lshlrev_b64 v[0:1], 1, v[53:54]
	s_delay_alu instid0(VALU_DEP_3) | instskip(NEXT) | instid1(VALU_DEP_3)
	v_add_co_u32 v2, vcc_lo, v4, v57
	v_add_co_ci_u32_e32 v3, vcc_lo, v5, v58, vcc_lo
	v_dual_mov_b32 v47, 0 :: v_dual_mov_b32 v46, 0
	s_waitcnt vmcnt(0)
	s_delay_alu instid0(VALU_DEP_4) | instskip(SKIP_3) | instid1(VALU_DEP_4)
	v_add_co_u32 v6, vcc_lo, s14, v0
	v_add_co_ci_u32_e32 v7, vcc_lo, s15, v1, vcc_lo
	v_add_co_u32 v0, vcc_lo, v4, v59
	v_add_co_ci_u32_e32 v1, vcc_lo, v5, v60, vcc_lo
	v_add_co_u32 v4, vcc_lo, v6, v57
	s_delay_alu instid0(VALU_DEP_4)
	v_add_co_ci_u32_e32 v5, vcc_lo, v7, v58, vcc_lo
	v_add_co_u32 v6, vcc_lo, v6, v59
	v_add_co_ci_u32_e32 v7, vcc_lo, v7, v60, vcc_lo
	s_clause 0x3
	global_load_b128 v[28:31], v[2:3], off slc dlc
	global_load_b128 v[20:23], v[0:1], off slc dlc
	;; [unrolled: 1-line block ×4, first 2 shown]
	v_cmp_gt_u32_e32 vcc_lo, s4, v62
	v_dual_mov_b32 v45, 0 :: v_dual_mov_b32 v44, 0
	v_dual_mov_b32 v3, 0 :: v_dual_mov_b32 v2, 0
	;; [unrolled: 1-line block ×9, first 2 shown]
	s_and_saveexec_b32 s2, vcc_lo
	s_cbranch_execz .LBB267_17
; %bb.19:                               ;   in Loop: Header=BB267_18 Depth=2
	s_mov_b32 s18, exec_lo
                                        ; implicit-def: $vgpr35
	v_cmpx_lt_u32_e32 0x7fff, v62
	s_xor_b32 s18, exec_lo, s18
	s_cbranch_execz .LBB267_21
; %bb.20:                               ;   in Loop: Header=BB267_18 Depth=2
	v_mov_b32_e32 v63, v54
	s_delay_alu instid0(VALU_DEP_1) | instskip(NEXT) | instid1(VALU_DEP_1)
	v_lshlrev_b64 v[0:1], 1, v[62:63]
	v_add_co_u32 v0, vcc_lo, s8, v0
	s_delay_alu instid0(VALU_DEP_2)
	v_add_co_ci_u32_e32 v1, vcc_lo, s9, v1, vcc_lo
	global_load_b128 v[32:35], v[0:1], off
.LBB267_21:                             ;   in Loop: Header=BB267_18 Depth=2
	s_and_not1_saveexec_b32 s18, s18
	s_cbranch_execz .LBB267_23
; %bb.22:                               ;   in Loop: Header=BB267_18 Depth=2
	s_waitcnt vmcnt(0)
	ds_load_b128 v[32:35], v73
.LBB267_23:                             ;   in Loop: Header=BB267_18 Depth=2
	s_or_b32 exec_lo, exec_lo, s18
	v_add_nc_u32_e32 v53, s1, v68
	s_mov_b32 s18, exec_lo
                                        ; implicit-def: $vgpr19
	s_delay_alu instid0(VALU_DEP_1)
	v_cmpx_lt_u32_e32 0x7fff, v53
	s_xor_b32 s18, exec_lo, s18
	s_cbranch_execz .LBB267_25
; %bb.24:                               ;   in Loop: Header=BB267_18 Depth=2
	v_lshlrev_b64 v[0:1], 1, v[53:54]
	s_delay_alu instid0(VALU_DEP_1) | instskip(NEXT) | instid1(VALU_DEP_2)
	v_add_co_u32 v0, vcc_lo, s8, v0
	v_add_co_ci_u32_e32 v1, vcc_lo, s9, v1, vcc_lo
	global_load_b128 v[16:19], v[0:1], off
.LBB267_25:                             ;   in Loop: Header=BB267_18 Depth=2
	s_and_not1_saveexec_b32 s18, s18
	s_cbranch_execz .LBB267_27
; %bb.26:                               ;   in Loop: Header=BB267_18 Depth=2
	v_add_nc_u32_e32 v0, s26, v73
	s_waitcnt vmcnt(0)
	ds_load_b128 v[16:19], v0
.LBB267_27:                             ;   in Loop: Header=BB267_18 Depth=2
	s_or_b32 exec_lo, exec_lo, s18
	v_add_nc_u32_e32 v65, s1, v71
	s_mov_b32 s18, exec_lo
                                        ; implicit-def: $vgpr11
	s_delay_alu instid0(VALU_DEP_1)
	v_cmpx_lt_u32_e32 0x7fff, v65
	s_xor_b32 s18, exec_lo, s18
	s_cbranch_execz .LBB267_29
; %bb.28:                               ;   in Loop: Header=BB267_18 Depth=2
	v_mov_b32_e32 v66, v54
	s_delay_alu instid0(VALU_DEP_1) | instskip(NEXT) | instid1(VALU_DEP_1)
	v_lshlrev_b64 v[0:1], 1, v[65:66]
	v_add_co_u32 v0, vcc_lo, s8, v0
	s_delay_alu instid0(VALU_DEP_2)
	v_add_co_ci_u32_e32 v1, vcc_lo, s9, v1, vcc_lo
	global_load_b128 v[8:11], v[0:1], off
.LBB267_29:                             ;   in Loop: Header=BB267_18 Depth=2
	s_and_not1_saveexec_b32 s18, s18
	s_cbranch_execz .LBB267_31
; %bb.30:                               ;   in Loop: Header=BB267_18 Depth=2
	v_add_nc_u32_e32 v0, s3, v73
	s_waitcnt vmcnt(0)
	ds_load_2addr_b32 v[8:9], v0 offset1:1
	ds_load_2addr_b32 v[10:11], v0 offset0:2 offset1:3
.LBB267_31:                             ;   in Loop: Header=BB267_18 Depth=2
	s_or_b32 exec_lo, exec_lo, s18
	v_add_nc_u32_e32 v63, s1, v55
	s_mov_b32 s18, exec_lo
                                        ; implicit-def: $vgpr3
	s_delay_alu instid0(VALU_DEP_1)
	v_cmpx_lt_u32_e32 0x7fff, v63
	s_xor_b32 s18, exec_lo, s18
	s_cbranch_execz .LBB267_33
; %bb.32:                               ;   in Loop: Header=BB267_18 Depth=2
	v_mov_b32_e32 v64, v54
	s_delay_alu instid0(VALU_DEP_1) | instskip(NEXT) | instid1(VALU_DEP_1)
	v_lshlrev_b64 v[0:1], 1, v[63:64]
	v_add_co_u32 v0, vcc_lo, s8, v0
	s_delay_alu instid0(VALU_DEP_2)
	v_add_co_ci_u32_e32 v1, vcc_lo, s9, v1, vcc_lo
	global_load_b128 v[0:3], v[0:1], off
.LBB267_33:                             ;   in Loop: Header=BB267_18 Depth=2
	s_and_not1_saveexec_b32 s18, s18
	s_cbranch_execz .LBB267_35
; %bb.34:                               ;   in Loop: Header=BB267_18 Depth=2
	s_waitcnt vmcnt(0)
	v_add_nc_u32_e32 v0, s6, v73
	ds_load_b128 v[0:3], v0
.LBB267_35:                             ;   in Loop: Header=BB267_18 Depth=2
	s_or_b32 exec_lo, exec_lo, s18
	v_dual_mov_b32 v27, 0 :: v_dual_mov_b32 v26, 0
	v_dual_mov_b32 v25, 0 :: v_dual_mov_b32 v24, 0
	;; [unrolled: 1-line block ×8, first 2 shown]
	s_mov_b32 s18, exec_lo
	v_cmpx_gt_u32_e64 s4, v61
	s_cbranch_execz .LBB267_16
; %bb.36:                               ;   in Loop: Header=BB267_18 Depth=2
	s_mov_b32 s19, exec_lo
                                        ; implicit-def: $vgpr47
	v_cmpx_lt_u32_e32 0x7fff, v61
	s_xor_b32 s19, exec_lo, s19
	s_cbranch_execz .LBB267_38
; %bb.37:                               ;   in Loop: Header=BB267_18 Depth=2
	v_mov_b32_e32 v62, v54
	s_delay_alu instid0(VALU_DEP_1) | instskip(NEXT) | instid1(VALU_DEP_1)
	v_lshlrev_b64 v[24:25], 1, v[61:62]
	v_add_co_u32 v24, vcc_lo, s8, v24
	s_delay_alu instid0(VALU_DEP_2)
	v_add_co_ci_u32_e32 v25, vcc_lo, s9, v25, vcc_lo
	global_load_b128 v[44:47], v[24:25], off
.LBB267_38:                             ;   in Loop: Header=BB267_18 Depth=2
	s_and_not1_saveexec_b32 s19, s19
	s_cbranch_execz .LBB267_40
; %bb.39:                               ;   in Loop: Header=BB267_18 Depth=2
	s_waitcnt vmcnt(0)
	ds_load_b128 v[44:47], v73 offset:1024
.LBB267_40:                             ;   in Loop: Header=BB267_18 Depth=2
	s_or_b32 exec_lo, exec_lo, s19
	v_add_nc_u32_e32 v53, 0x200, v53
	s_mov_b32 s19, exec_lo
                                        ; implicit-def: $vgpr43
	s_delay_alu instid0(VALU_DEP_1)
	v_cmpx_lt_u32_e32 0x7fff, v53
	s_xor_b32 s19, exec_lo, s19
	s_cbranch_execz .LBB267_42
; %bb.41:                               ;   in Loop: Header=BB267_18 Depth=2
	v_lshlrev_b64 v[24:25], 1, v[53:54]
	s_delay_alu instid0(VALU_DEP_1) | instskip(NEXT) | instid1(VALU_DEP_2)
	v_add_co_u32 v24, vcc_lo, s8, v24
	v_add_co_ci_u32_e32 v25, vcc_lo, s9, v25, vcc_lo
	global_load_b128 v[40:43], v[24:25], off
.LBB267_42:                             ;   in Loop: Header=BB267_18 Depth=2
	s_and_not1_saveexec_b32 s19, s19
	s_cbranch_execz .LBB267_44
; %bb.43:                               ;   in Loop: Header=BB267_18 Depth=2
	v_add_nc_u32_e32 v24, s26, v73
	s_waitcnt vmcnt(0)
	ds_load_b128 v[40:43], v24 offset:1024
.LBB267_44:                             ;   in Loop: Header=BB267_18 Depth=2
	s_or_b32 exec_lo, exec_lo, s19
	v_add_nc_u32_e32 v53, 0x200, v65
	s_mov_b32 s19, exec_lo
                                        ; implicit-def: $vgpr39
	s_delay_alu instid0(VALU_DEP_1)
	v_cmpx_lt_u32_e32 0x7fff, v53
	s_xor_b32 s19, exec_lo, s19
	s_cbranch_execz .LBB267_46
; %bb.45:                               ;   in Loop: Header=BB267_18 Depth=2
	v_lshlrev_b64 v[24:25], 1, v[53:54]
	s_delay_alu instid0(VALU_DEP_1) | instskip(NEXT) | instid1(VALU_DEP_2)
	v_add_co_u32 v24, vcc_lo, s8, v24
	v_add_co_ci_u32_e32 v25, vcc_lo, s9, v25, vcc_lo
	global_load_b128 v[36:39], v[24:25], off
.LBB267_46:                             ;   in Loop: Header=BB267_18 Depth=2
	s_and_not1_saveexec_b32 s19, s19
	s_cbranch_execz .LBB267_48
; %bb.47:                               ;   in Loop: Header=BB267_18 Depth=2
	v_add_nc_u32_e32 v24, s3, v73
	s_delay_alu instid0(VALU_DEP_1)
	v_add_nc_u32_e32 v25, 0x400, v24
	v_add_nc_u32_e32 v24, 0x408, v24
	s_waitcnt vmcnt(0)
	ds_load_2addr_b32 v[36:37], v25 offset1:1
	ds_load_2addr_b32 v[38:39], v24 offset1:1
.LBB267_48:                             ;   in Loop: Header=BB267_18 Depth=2
	s_or_b32 exec_lo, exec_lo, s19
	v_add_nc_u32_e32 v53, 0x200, v63
	s_mov_b32 s19, exec_lo
                                        ; implicit-def: $vgpr27
	s_delay_alu instid0(VALU_DEP_1)
	v_cmpx_lt_u32_e32 0x7fff, v53
	s_xor_b32 s19, exec_lo, s19
	s_cbranch_execz .LBB267_50
; %bb.49:                               ;   in Loop: Header=BB267_18 Depth=2
	v_lshlrev_b64 v[24:25], 1, v[53:54]
	s_delay_alu instid0(VALU_DEP_1) | instskip(NEXT) | instid1(VALU_DEP_2)
	v_add_co_u32 v24, vcc_lo, s8, v24
	v_add_co_ci_u32_e32 v25, vcc_lo, s9, v25, vcc_lo
	global_load_b128 v[24:27], v[24:25], off
.LBB267_50:                             ;   in Loop: Header=BB267_18 Depth=2
	s_and_not1_saveexec_b32 s19, s19
	s_cbranch_execz .LBB267_15
; %bb.51:                               ;   in Loop: Header=BB267_18 Depth=2
	s_waitcnt vmcnt(0)
	v_add_nc_u32_e32 v24, s6, v73
	ds_load_b128 v[24:27], v24 offset:1024
	s_branch .LBB267_15
.LBB267_52:                             ;   in Loop: Header=BB267_13 Depth=1
	s_delay_alu instid0(VALU_DEP_1)
	v_cvt_i32_f32_e32 v0, v76
	s_waitcnt lgkmcnt(0)
	v_cvt_i32_f32_e32 v1, v78
	v_cvt_i32_f32_e32 v2, v74
	;; [unrolled: 1-line block ×4, first 2 shown]
	v_cvt_f32_i32_dpp v0, v0 row_shr:8 row_mask:0xf bank_mask:0xf bound_ctrl:1
	v_cvt_f32_i32_dpp v1, v1 row_shr:8 row_mask:0xf bank_mask:0xf bound_ctrl:1
	;; [unrolled: 1-line block ×3, first 2 shown]
	s_waitcnt vmcnt(0)
	v_cvt_i32_f32_e32 v6, v72
	v_cvt_i32_f32_e32 v10, v51
	v_dual_add_f32 v0, v76, v0 :: v_dual_add_f32 v1, v78, v1
	v_cvt_f32_i32_dpp v3, v3 row_shr:8 row_mask:0xf bank_mask:0xf bound_ctrl:1
	v_cvt_i32_f32_e32 v4, v77
	v_cvt_f32_i32_dpp v5, v5 row_shr:8 row_mask:0xf bank_mask:0xf bound_ctrl:1
	s_delay_alu instid0(VALU_DEP_4)
	v_cvt_i32_f32_e32 v7, v0
	v_cvt_i32_f32_e32 v8, v1
	v_cvt_f32_i32_dpp v6, v6 row_shr:8 row_mask:0xf bank_mask:0xf bound_ctrl:1
	v_cvt_f32_i32_dpp v4, v4 row_shr:8 row_mask:0xf bank_mask:0xf bound_ctrl:1
	v_add_f32_e32 v5, v75, v5
	v_cvt_f32_i32_dpp v7, v7 row_shr:4 row_mask:0xf bank_mask:0xf bound_ctrl:1
	v_cvt_f32_i32_dpp v8, v8 row_shr:4 row_mask:0xf bank_mask:0xf bound_ctrl:1
	v_dual_add_f32 v2, v74, v2 :: v_dual_add_f32 v3, v79, v3
	s_delay_alu instid0(VALU_DEP_4) | instskip(NEXT) | instid1(VALU_DEP_3)
	v_cvt_i32_f32_e32 v14, v5
	v_dual_add_f32 v0, v0, v7 :: v_dual_add_f32 v1, v1, v8
	s_delay_alu instid0(VALU_DEP_3) | instskip(SKIP_2) | instid1(VALU_DEP_4)
	v_cvt_i32_f32_e32 v9, v2
	v_cvt_f32_i32_dpp v7, v10 row_shr:8 row_mask:0xf bank_mask:0xf bound_ctrl:1
	v_add_f32_e32 v4, v77, v4
	v_cvt_i32_f32_e32 v8, v0
	s_delay_alu instid0(VALU_DEP_4) | instskip(NEXT) | instid1(VALU_DEP_4)
	v_cvt_f32_i32_dpp v9, v9 row_shr:4 row_mask:0xf bank_mask:0xf bound_ctrl:1
	v_add_f32_e32 v7, v51, v7
	s_delay_alu instid0(VALU_DEP_4) | instskip(NEXT) | instid1(VALU_DEP_4)
	v_cvt_i32_f32_e32 v13, v4
	v_cvt_f32_i32_dpp v8, v8 row_shr:2 row_mask:0xf bank_mask:0xf bound_ctrl:1
	s_delay_alu instid0(VALU_DEP_4) | instskip(SKIP_2) | instid1(VALU_DEP_3)
	v_add_f32_e32 v2, v2, v9
	v_cvt_i32_f32_e32 v9, v1
	v_cvt_i32_f32_e32 v20, v7
	;; [unrolled: 1-line block ×3, first 2 shown]
	s_delay_alu instid0(VALU_DEP_3) | instskip(SKIP_1) | instid1(VALU_DEP_3)
	v_cvt_f32_i32_dpp v9, v9 row_shr:2 row_mask:0xf bank_mask:0xf bound_ctrl:1
	v_add_f32_e32 v6, v72, v6
	v_cvt_f32_i32_dpp v10, v10 row_shr:2 row_mask:0xf bank_mask:0xf bound_ctrl:1
	s_delay_alu instid0(VALU_DEP_3) | instskip(NEXT) | instid1(VALU_DEP_3)
	v_add_f32_e32 v1, v1, v9
	v_cvt_i32_f32_e32 v17, v6
	s_delay_alu instid0(VALU_DEP_3) | instskip(NEXT) | instid1(VALU_DEP_3)
	v_add_f32_e32 v2, v2, v10
	v_cvt_i32_f32_e32 v10, v1
	s_delay_alu instid0(VALU_DEP_1) | instskip(SKIP_2) | instid1(VALU_DEP_3)
	v_cvt_f32_i32_dpp v10, v10 row_shr:1 row_mask:0xf bank_mask:0xf bound_ctrl:1
	v_add_f32_e32 v0, v0, v8
	v_cvt_i32_f32_e32 v8, v3
	v_add_f32_e32 v15, v1, v10
	s_delay_alu instid0(VALU_DEP_3)
	v_cvt_i32_f32_e32 v9, v0
	v_cvt_f32_i32_dpp v1, v13 row_shr:4 row_mask:0xf bank_mask:0xf bound_ctrl:1
	ds_bpermute_b32 v16, v69, v15
	v_cvt_f32_i32_dpp v9, v9 row_shr:1 row_mask:0xf bank_mask:0xf bound_ctrl:1
	v_add_f32_e32 v1, v4, v1
	v_cvt_i32_f32_e32 v11, v2
	s_delay_alu instid0(VALU_DEP_3) | instskip(SKIP_4) | instid1(VALU_DEP_4)
	v_add_f32_e32 v18, v0, v9
	v_cvt_f32_i32_dpp v9, v20 row_shr:4 row_mask:0xf bank_mask:0xf bound_ctrl:1
	v_cvt_f32_i32_dpp v0, v8 row_shr:4 row_mask:0xf bank_mask:0xf bound_ctrl:1
	;; [unrolled: 1-line block ×4, first 2 shown]
	v_add_f32_e32 v4, v7, v9
	s_delay_alu instid0(VALU_DEP_1) | instskip(NEXT) | instid1(VALU_DEP_1)
	v_cvt_i32_f32_e32 v9, v4
	v_cvt_f32_i32_dpp v9, v9 row_shr:2 row_mask:0xf bank_mask:0xf bound_ctrl:1
	v_add_f32_e32 v0, v3, v0
	v_add_f32_e32 v3, v6, v8
	v_cvt_i32_f32_e32 v6, v1
	ds_bpermute_b32 v19, v69, v18
	v_cvt_i32_f32_e32 v8, v3
	v_cvt_f32_i32_dpp v6, v6 row_shr:2 row_mask:0xf bank_mask:0xf bound_ctrl:1
	v_add_f32_e32 v12, v2, v11
	v_cvt_f32_i32_dpp v2, v14 row_shr:4 row_mask:0xf bank_mask:0xf bound_ctrl:1
	s_delay_alu instid0(VALU_DEP_4) | instskip(NEXT) | instid1(VALU_DEP_4)
	v_cvt_f32_i32_dpp v8, v8 row_shr:2 row_mask:0xf bank_mask:0xf bound_ctrl:1
	v_add_f32_e32 v1, v1, v6
	ds_bpermute_b32 v13, v69, v12
	v_add_f32_e32 v2, v5, v2
	v_cvt_i32_f32_e32 v5, v0
	v_add_f32_e32 v3, v3, v8
	v_cvt_i32_f32_e32 v6, v1
	s_delay_alu instid0(VALU_DEP_4) | instskip(NEXT) | instid1(VALU_DEP_4)
	v_cvt_i32_f32_e32 v7, v2
	v_cvt_f32_i32_dpp v5, v5 row_shr:2 row_mask:0xf bank_mask:0xf bound_ctrl:1
	s_delay_alu instid0(VALU_DEP_4) | instskip(NEXT) | instid1(VALU_DEP_4)
	v_cvt_i32_f32_e32 v8, v3
	v_cvt_f32_i32_dpp v6, v6 row_shr:1 row_mask:0xf bank_mask:0xf bound_ctrl:1
	s_delay_alu instid0(VALU_DEP_4) | instskip(NEXT) | instid1(VALU_DEP_4)
	v_cvt_f32_i32_dpp v7, v7 row_shr:2 row_mask:0xf bank_mask:0xf bound_ctrl:1
	v_add_f32_e32 v0, v0, v5
	s_delay_alu instid0(VALU_DEP_4) | instskip(NEXT) | instid1(VALU_DEP_3)
	v_cvt_f32_i32_dpp v8, v8 row_shr:1 row_mask:0xf bank_mask:0xf bound_ctrl:1
	v_add_f32_e32 v2, v2, v7
	s_delay_alu instid0(VALU_DEP_1) | instskip(NEXT) | instid1(VALU_DEP_1)
	v_cvt_i32_f32_e32 v7, v2
	v_cvt_f32_i32_dpp v11, v7 row_shr:1 row_mask:0xf bank_mask:0xf bound_ctrl:1
	v_add_f32_e32 v7, v1, v6
	v_add_f32_e32 v5, v4, v9
	v_cvt_i32_f32_e32 v4, v0
	s_delay_alu instid0(VALU_DEP_2) | instskip(NEXT) | instid1(VALU_DEP_2)
	v_cvt_i32_f32_e32 v9, v5
	v_cvt_f32_i32_dpp v4, v4 row_shr:1 row_mask:0xf bank_mask:0xf bound_ctrl:1
	s_delay_alu instid0(VALU_DEP_2) | instskip(NEXT) | instid1(VALU_DEP_2)
	v_cvt_f32_i32_dpp v9, v9 row_shr:1 row_mask:0xf bank_mask:0xf bound_ctrl:1
	v_add_f32_e32 v10, v0, v4
	v_add_f32_e32 v4, v2, v11
	;; [unrolled: 1-line block ×3, first 2 shown]
	ds_bpermute_b32 v8, v69, v7
	v_add_f32_e32 v0, v5, v9
	ds_bpermute_b32 v11, v69, v10
	ds_bpermute_b32 v5, v69, v4
	;; [unrolled: 1-line block ×4, first 2 shown]
	s_and_saveexec_b32 s18, s0
	s_cbranch_execz .LBB267_103
; %bb.53:                               ;   in Loop: Header=BB267_13 Depth=1
	v_dual_mov_b32 v23, 0 :: v_dual_mov_b32 v22, 0
	v_dual_mov_b32 v21, 0 :: v_dual_mov_b32 v20, 0
	;; [unrolled: 1-line block ×4, first 2 shown]
	s_and_not1_b32 vcc_lo, exec_lo, s23
	s_cbranch_vccnz .LBB267_55
; %bb.54:                               ;   in Loop: Header=BB267_13 Depth=1
	v_mul_hi_u32 v6, v50, v70
	v_mul_hi_u32 v9, v56, v70
	s_delay_alu instid0(VALU_DEP_2) | instskip(NEXT) | instid1(VALU_DEP_2)
	v_mul_lo_u32 v6, v6, s10
	v_mul_lo_u32 v9, v9, s10
	s_delay_alu instid0(VALU_DEP_2) | instskip(NEXT) | instid1(VALU_DEP_2)
	v_sub_nc_u32_e32 v6, v50, v6
	v_sub_nc_u32_e32 v9, v56, v9
	s_delay_alu instid0(VALU_DEP_2) | instskip(SKIP_1) | instid1(VALU_DEP_3)
	v_subrev_nc_u32_e32 v14, s10, v6
	v_cmp_le_u32_e32 vcc_lo, s10, v6
	v_subrev_nc_u32_e32 v17, s10, v9
	s_delay_alu instid0(VALU_DEP_3) | instskip(SKIP_1) | instid1(VALU_DEP_3)
	v_cndmask_b32_e32 v6, v6, v14, vcc_lo
	v_cmp_le_u32_e32 vcc_lo, s10, v9
	v_cndmask_b32_e32 v9, v9, v17, vcc_lo
	s_delay_alu instid0(VALU_DEP_3) | instskip(SKIP_1) | instid1(VALU_DEP_3)
	v_subrev_nc_u32_e32 v14, s10, v6
	v_cmp_le_u32_e32 vcc_lo, s10, v6
	v_subrev_nc_u32_e32 v17, s10, v9
	s_delay_alu instid0(VALU_DEP_3) | instskip(SKIP_3) | instid1(VALU_DEP_4)
	v_cndmask_b32_e32 v53, v6, v14, vcc_lo
	v_cmp_le_u32_e32 vcc_lo, s10, v9
	v_mov_b32_e32 v21, v54
	v_mov_b32_e32 v22, v54
	v_dual_mov_b32 v26, v54 :: v_dual_add_nc_u32 v25, s28, v53
	v_cndmask_b32_e32 v20, v9, v17, vcc_lo
	v_lshlrev_b64 v[29:30], 1, v[53:54]
	v_mov_b32_e32 v24, v54
	v_mov_b32_e32 v28, v54
	v_lshlrev_b64 v[25:26], 1, v[25:26]
	v_add_nc_u32_e32 v27, s28, v20
	v_lshlrev_b64 v[31:32], 1, v[20:21]
	v_add_nc_u32_e32 v21, s27, v53
	v_add_nc_u32_e32 v23, s27, v20
	v_add_co_u32 v29, vcc_lo, s12, v29
	v_add_co_ci_u32_e32 v30, vcc_lo, s13, v30, vcc_lo
	s_delay_alu instid0(VALU_DEP_4) | instskip(NEXT) | instid1(VALU_DEP_4)
	v_lshlrev_b64 v[21:22], 1, v[21:22]
	v_lshlrev_b64 v[23:24], 1, v[23:24]
	v_add_co_u32 v31, vcc_lo, s12, v31
	v_add_nc_u32_e32 v53, s29, v53
	v_add_co_ci_u32_e32 v32, vcc_lo, s13, v32, vcc_lo
	v_add_co_u32 v33, vcc_lo, s12, v21
	v_add_co_ci_u32_e32 v34, vcc_lo, s13, v22, vcc_lo
	v_lshlrev_b64 v[27:28], 1, v[27:28]
	v_add_co_u32 v35, vcc_lo, s12, v23
	v_lshlrev_b64 v[21:22], 1, v[53:54]
	v_add_nc_u32_e32 v53, s29, v20
	v_add_co_ci_u32_e32 v36, vcc_lo, s13, v24, vcc_lo
	v_add_co_u32 v24, vcc_lo, s12, v25
	v_add_co_ci_u32_e32 v25, vcc_lo, s13, v26, vcc_lo
	v_add_co_u32 v26, vcc_lo, s12, v27
	v_lshlrev_b64 v[37:38], 1, v[53:54]
	v_add_co_ci_u32_e32 v27, vcc_lo, s13, v28, vcc_lo
	v_add_co_u32 v39, vcc_lo, s12, v21
	v_add_co_ci_u32_e32 v40, vcc_lo, s13, v22, vcc_lo
	s_delay_alu instid0(VALU_DEP_4)
	v_add_co_u32 v37, vcc_lo, s12, v37
	v_add_co_ci_u32_e32 v38, vcc_lo, s13, v38, vcc_lo
	s_clause 0x7
	global_load_u16 v23, v[29:30], off
	global_load_u16 v22, v[31:32], off
	;; [unrolled: 1-line block ×8, first 2 shown]
.LBB267_55:                             ;   in Loop: Header=BB267_13 Depth=1
	v_cmp_ne_u32_e32 vcc_lo, 0, v48
	s_and_saveexec_b32 s2, vcc_lo
	s_cbranch_execnz .LBB267_63
; %bb.56:                               ;   in Loop: Header=BB267_13 Depth=1
	s_or_b32 exec_lo, exec_lo, s2
	v_cmp_ne_u32_e64 s1, 0, v49
	s_delay_alu instid0(VALU_DEP_1)
	s_and_saveexec_b32 s19, s1
	s_cbranch_execnz .LBB267_68
.LBB267_57:                             ;   in Loop: Header=BB267_13 Depth=1
	s_or_b32 exec_lo, exec_lo, s19
	v_add_nc_u32_e32 v53, s7, v50
	s_and_saveexec_b32 s19, vcc_lo
	s_cbranch_execnz .LBB267_73
.LBB267_58:                             ;   in Loop: Header=BB267_13 Depth=1
	s_or_b32 exec_lo, exec_lo, s19
	s_and_saveexec_b32 s19, s1
	s_cbranch_execnz .LBB267_78
.LBB267_59:                             ;   in Loop: Header=BB267_13 Depth=1
	s_or_b32 exec_lo, exec_lo, s19
	v_add_nc_u32_e32 v53, s7, v53
	s_and_saveexec_b32 s19, vcc_lo
	s_cbranch_execnz .LBB267_83
.LBB267_60:                             ;   in Loop: Header=BB267_13 Depth=1
	s_or_b32 exec_lo, exec_lo, s19
	s_and_saveexec_b32 s19, s1
	s_cbranch_execnz .LBB267_88
.LBB267_61:                             ;   in Loop: Header=BB267_13 Depth=1
	s_or_b32 exec_lo, exec_lo, s19
	v_add_nc_u32_e32 v53, s7, v53
	s_and_saveexec_b32 s2, vcc_lo
	s_cbranch_execnz .LBB267_93
.LBB267_62:                             ;   in Loop: Header=BB267_13 Depth=1
	s_or_b32 exec_lo, exec_lo, s2
	s_delay_alu instid0(SALU_CYCLE_1)
	s_and_b32 exec_lo, exec_lo, s1
	s_cbranch_execnz .LBB267_98
	s_branch .LBB267_103
.LBB267_63:                             ;   in Loop: Header=BB267_13 Depth=1
	s_waitcnt lgkmcnt(0)
	v_add_f32_e32 v18, v18, v19
	s_waitcnt vmcnt(7)
	v_lshlrev_b32_e32 v19, 16, v23
	s_delay_alu instid0(VALU_DEP_1) | instskip(NEXT) | instid1(VALU_DEP_1)
	v_add_f32_e32 v19, v18, v19
	v_and_b32_e32 v18, 0x7f800000, v19
	s_delay_alu instid0(VALU_DEP_1) | instskip(NEXT) | instid1(VALU_DEP_1)
	v_cmp_ne_u32_e64 s1, 0x7f800000, v18
                                        ; implicit-def: $vgpr18
	s_and_saveexec_b32 s19, s1
	s_delay_alu instid0(SALU_CYCLE_1)
	s_xor_b32 s1, exec_lo, s19
; %bb.64:                               ;   in Loop: Header=BB267_13 Depth=1
	v_bfe_u32 v18, v19, 16, 1
	s_delay_alu instid0(VALU_DEP_1)
	v_add3_u32 v18, v19, v18, 0x7fff
                                        ; implicit-def: $vgpr19
; %bb.65:                               ;   in Loop: Header=BB267_13 Depth=1
	s_and_not1_saveexec_b32 s19, s1
; %bb.66:                               ;   in Loop: Header=BB267_13 Depth=1
	v_and_b32_e32 v18, 0xffff, v19
	v_or_b32_e32 v23, 0x10000, v19
	s_delay_alu instid0(VALU_DEP_2) | instskip(NEXT) | instid1(VALU_DEP_1)
	v_cmp_eq_u32_e64 s1, 0, v18
	v_cndmask_b32_e64 v18, v23, v19, s1
; %bb.67:                               ;   in Loop: Header=BB267_13 Depth=1
	s_or_b32 exec_lo, exec_lo, s19
	v_mov_b32_e32 v51, v54
	s_delay_alu instid0(VALU_DEP_1) | instskip(NEXT) | instid1(VALU_DEP_1)
	v_lshlrev_b64 v[23:24], 1, v[50:51]
	v_add_co_u32 v23, s1, s16, v23
	s_delay_alu instid0(VALU_DEP_1) | instskip(SKIP_3) | instid1(VALU_DEP_1)
	v_add_co_ci_u32_e64 v24, s1, s17, v24, s1
	global_store_d16_hi_b16 v[23:24], v18, off
	s_or_b32 exec_lo, exec_lo, s2
	v_cmp_ne_u32_e64 s1, 0, v49
	s_and_saveexec_b32 s19, s1
	s_cbranch_execz .LBB267_57
.LBB267_68:                             ;   in Loop: Header=BB267_13 Depth=1
	s_waitcnt vmcnt(6) lgkmcnt(0)
	v_dual_add_f32 v15, v15, v16 :: v_dual_lshlrev_b32 v16, 16, v22
	s_delay_alu instid0(VALU_DEP_1) | instskip(NEXT) | instid1(VALU_DEP_1)
	v_add_f32_e32 v16, v15, v16
	v_and_b32_e32 v15, 0x7f800000, v16
	s_delay_alu instid0(VALU_DEP_1) | instskip(NEXT) | instid1(VALU_DEP_1)
	v_cmp_ne_u32_e64 s2, 0x7f800000, v15
                                        ; implicit-def: $vgpr15
	s_and_saveexec_b32 s30, s2
	s_delay_alu instid0(SALU_CYCLE_1)
	s_xor_b32 s2, exec_lo, s30
; %bb.69:                               ;   in Loop: Header=BB267_13 Depth=1
	v_bfe_u32 v15, v16, 16, 1
	s_delay_alu instid0(VALU_DEP_1)
	v_add3_u32 v15, v16, v15, 0x7fff
                                        ; implicit-def: $vgpr16
; %bb.70:                               ;   in Loop: Header=BB267_13 Depth=1
	s_and_not1_saveexec_b32 s30, s2
; %bb.71:                               ;   in Loop: Header=BB267_13 Depth=1
	v_and_b32_e32 v15, 0xffff, v16
	v_or_b32_e32 v18, 0x10000, v16
	s_delay_alu instid0(VALU_DEP_2) | instskip(NEXT) | instid1(VALU_DEP_1)
	v_cmp_eq_u32_e64 s2, 0, v15
	v_cndmask_b32_e64 v15, v18, v16, s2
; %bb.72:                               ;   in Loop: Header=BB267_13 Depth=1
	s_or_b32 exec_lo, exec_lo, s30
	v_mov_b32_e32 v57, v54
	s_delay_alu instid0(VALU_DEP_1) | instskip(NEXT) | instid1(VALU_DEP_1)
	v_lshlrev_b64 v[18:19], 1, v[56:57]
	v_add_co_u32 v18, s2, s16, v18
	s_delay_alu instid0(VALU_DEP_1)
	v_add_co_ci_u32_e64 v19, s2, s17, v19, s2
	global_store_d16_hi_b16 v[18:19], v15, off
	s_or_b32 exec_lo, exec_lo, s19
	v_add_nc_u32_e32 v53, s7, v50
	s_and_saveexec_b32 s19, vcc_lo
	s_cbranch_execz .LBB267_58
.LBB267_73:                             ;   in Loop: Header=BB267_13 Depth=1
	s_waitcnt lgkmcnt(0)
	v_add_f32_e32 v12, v12, v13
	s_waitcnt vmcnt(5)
	v_lshlrev_b32_e32 v13, 16, v21
	s_delay_alu instid0(VALU_DEP_1) | instskip(NEXT) | instid1(VALU_DEP_1)
	v_add_f32_e32 v13, v12, v13
	v_and_b32_e32 v12, 0x7f800000, v13
	s_delay_alu instid0(VALU_DEP_1) | instskip(NEXT) | instid1(VALU_DEP_1)
	v_cmp_ne_u32_e64 s2, 0x7f800000, v12
                                        ; implicit-def: $vgpr12
	s_and_saveexec_b32 s30, s2
	s_delay_alu instid0(SALU_CYCLE_1)
	s_xor_b32 s2, exec_lo, s30
; %bb.74:                               ;   in Loop: Header=BB267_13 Depth=1
	v_bfe_u32 v12, v13, 16, 1
	s_delay_alu instid0(VALU_DEP_1)
	v_add3_u32 v12, v13, v12, 0x7fff
                                        ; implicit-def: $vgpr13
; %bb.75:                               ;   in Loop: Header=BB267_13 Depth=1
	s_and_not1_saveexec_b32 s30, s2
; %bb.76:                               ;   in Loop: Header=BB267_13 Depth=1
	v_and_b32_e32 v12, 0xffff, v13
	v_or_b32_e32 v15, 0x10000, v13
	s_delay_alu instid0(VALU_DEP_2) | instskip(NEXT) | instid1(VALU_DEP_1)
	v_cmp_eq_u32_e64 s2, 0, v12
	v_cndmask_b32_e64 v12, v15, v13, s2
; %bb.77:                               ;   in Loop: Header=BB267_13 Depth=1
	s_or_b32 exec_lo, exec_lo, s30
	v_lshlrev_b64 v[15:16], 1, v[53:54]
	s_delay_alu instid0(VALU_DEP_1) | instskip(NEXT) | instid1(VALU_DEP_1)
	v_add_co_u32 v15, s2, s16, v15
	v_add_co_ci_u32_e64 v16, s2, s17, v16, s2
	global_store_d16_hi_b16 v[15:16], v12, off
	s_or_b32 exec_lo, exec_lo, s19
	s_and_saveexec_b32 s19, s1
	s_cbranch_execz .LBB267_59
.LBB267_78:                             ;   in Loop: Header=BB267_13 Depth=1
	s_waitcnt vmcnt(4) lgkmcnt(0)
	v_dual_add_f32 v10, v10, v11 :: v_dual_lshlrev_b32 v11, 16, v20
	s_delay_alu instid0(VALU_DEP_1) | instskip(NEXT) | instid1(VALU_DEP_1)
	v_add_f32_e32 v11, v10, v11
	v_and_b32_e32 v10, 0x7f800000, v11
	s_delay_alu instid0(VALU_DEP_1) | instskip(NEXT) | instid1(VALU_DEP_1)
	v_cmp_ne_u32_e64 s2, 0x7f800000, v10
                                        ; implicit-def: $vgpr10
	s_and_saveexec_b32 s30, s2
	s_delay_alu instid0(SALU_CYCLE_1)
	s_xor_b32 s2, exec_lo, s30
; %bb.79:                               ;   in Loop: Header=BB267_13 Depth=1
	v_bfe_u32 v10, v11, 16, 1
	s_delay_alu instid0(VALU_DEP_1)
	v_add3_u32 v10, v11, v10, 0x7fff
                                        ; implicit-def: $vgpr11
; %bb.80:                               ;   in Loop: Header=BB267_13 Depth=1
	s_and_not1_saveexec_b32 s30, s2
; %bb.81:                               ;   in Loop: Header=BB267_13 Depth=1
	v_and_b32_e32 v10, 0xffff, v11
	v_or_b32_e32 v12, 0x10000, v11
	s_delay_alu instid0(VALU_DEP_2) | instskip(NEXT) | instid1(VALU_DEP_1)
	v_cmp_eq_u32_e64 s2, 0, v10
	v_cndmask_b32_e64 v10, v12, v11, s2
; %bb.82:                               ;   in Loop: Header=BB267_13 Depth=1
	s_or_b32 exec_lo, exec_lo, s30
	v_dual_mov_b32 v12, v54 :: v_dual_add_nc_u32 v11, 1, v53
	s_delay_alu instid0(VALU_DEP_1) | instskip(NEXT) | instid1(VALU_DEP_1)
	v_lshlrev_b64 v[11:12], 1, v[11:12]
	v_add_co_u32 v11, s2, s16, v11
	s_delay_alu instid0(VALU_DEP_1)
	v_add_co_ci_u32_e64 v12, s2, s17, v12, s2
	global_store_d16_hi_b16 v[11:12], v10, off
	s_or_b32 exec_lo, exec_lo, s19
	v_add_nc_u32_e32 v53, s7, v53
	s_and_saveexec_b32 s19, vcc_lo
	s_cbranch_execz .LBB267_60
.LBB267_83:                             ;   in Loop: Header=BB267_13 Depth=1
	s_waitcnt vmcnt(3) lgkmcnt(0)
	v_dual_add_f32 v7, v7, v8 :: v_dual_lshlrev_b32 v8, 16, v17
	s_delay_alu instid0(VALU_DEP_1) | instskip(NEXT) | instid1(VALU_DEP_1)
	v_add_f32_e32 v8, v7, v8
	v_and_b32_e32 v7, 0x7f800000, v8
	s_delay_alu instid0(VALU_DEP_1) | instskip(NEXT) | instid1(VALU_DEP_1)
	v_cmp_ne_u32_e64 s2, 0x7f800000, v7
                                        ; implicit-def: $vgpr7
	s_and_saveexec_b32 s30, s2
	s_delay_alu instid0(SALU_CYCLE_1)
	s_xor_b32 s2, exec_lo, s30
; %bb.84:                               ;   in Loop: Header=BB267_13 Depth=1
	v_bfe_u32 v7, v8, 16, 1
	s_delay_alu instid0(VALU_DEP_1)
	v_add3_u32 v7, v8, v7, 0x7fff
                                        ; implicit-def: $vgpr8
; %bb.85:                               ;   in Loop: Header=BB267_13 Depth=1
	s_and_not1_saveexec_b32 s30, s2
; %bb.86:                               ;   in Loop: Header=BB267_13 Depth=1
	v_and_b32_e32 v7, 0xffff, v8
	v_or_b32_e32 v10, 0x10000, v8
	s_delay_alu instid0(VALU_DEP_2) | instskip(NEXT) | instid1(VALU_DEP_1)
	v_cmp_eq_u32_e64 s2, 0, v7
	v_cndmask_b32_e64 v7, v10, v8, s2
; %bb.87:                               ;   in Loop: Header=BB267_13 Depth=1
	s_or_b32 exec_lo, exec_lo, s30
	v_lshlrev_b64 v[10:11], 1, v[53:54]
	s_delay_alu instid0(VALU_DEP_1) | instskip(NEXT) | instid1(VALU_DEP_1)
	v_add_co_u32 v10, s2, s16, v10
	v_add_co_ci_u32_e64 v11, s2, s17, v11, s2
	global_store_d16_hi_b16 v[10:11], v7, off
	s_or_b32 exec_lo, exec_lo, s19
	s_and_saveexec_b32 s19, s1
	s_cbranch_execz .LBB267_61
.LBB267_88:                             ;   in Loop: Header=BB267_13 Depth=1
	s_waitcnt vmcnt(2) lgkmcnt(0)
	v_dual_add_f32 v4, v4, v5 :: v_dual_lshlrev_b32 v5, 16, v14
	s_delay_alu instid0(VALU_DEP_1) | instskip(NEXT) | instid1(VALU_DEP_1)
	v_add_f32_e32 v5, v4, v5
	v_and_b32_e32 v4, 0x7f800000, v5
	s_delay_alu instid0(VALU_DEP_1) | instskip(NEXT) | instid1(VALU_DEP_1)
	v_cmp_ne_u32_e64 s2, 0x7f800000, v4
                                        ; implicit-def: $vgpr4
	s_and_saveexec_b32 s30, s2
	s_delay_alu instid0(SALU_CYCLE_1)
	s_xor_b32 s2, exec_lo, s30
; %bb.89:                               ;   in Loop: Header=BB267_13 Depth=1
	v_bfe_u32 v4, v5, 16, 1
	s_delay_alu instid0(VALU_DEP_1)
	v_add3_u32 v4, v5, v4, 0x7fff
                                        ; implicit-def: $vgpr5
; %bb.90:                               ;   in Loop: Header=BB267_13 Depth=1
	s_and_not1_saveexec_b32 s30, s2
; %bb.91:                               ;   in Loop: Header=BB267_13 Depth=1
	v_and_b32_e32 v4, 0xffff, v5
	v_or_b32_e32 v7, 0x10000, v5
	s_delay_alu instid0(VALU_DEP_2) | instskip(NEXT) | instid1(VALU_DEP_1)
	v_cmp_eq_u32_e64 s2, 0, v4
	v_cndmask_b32_e64 v4, v7, v5, s2
; %bb.92:                               ;   in Loop: Header=BB267_13 Depth=1
	s_or_b32 exec_lo, exec_lo, s30
	v_dual_mov_b32 v8, v54 :: v_dual_add_nc_u32 v7, 1, v53
	s_delay_alu instid0(VALU_DEP_1) | instskip(NEXT) | instid1(VALU_DEP_1)
	v_lshlrev_b64 v[7:8], 1, v[7:8]
	v_add_co_u32 v7, s2, s16, v7
	s_delay_alu instid0(VALU_DEP_1)
	v_add_co_ci_u32_e64 v8, s2, s17, v8, s2
	global_store_d16_hi_b16 v[7:8], v4, off
	s_or_b32 exec_lo, exec_lo, s19
	v_add_nc_u32_e32 v53, s7, v53
	s_and_saveexec_b32 s2, vcc_lo
	s_cbranch_execz .LBB267_62
.LBB267_93:                             ;   in Loop: Header=BB267_13 Depth=1
	s_waitcnt vmcnt(1) lgkmcnt(0)
	v_dual_add_f32 v2, v2, v3 :: v_dual_lshlrev_b32 v3, 16, v9
	s_delay_alu instid0(VALU_DEP_1) | instskip(NEXT) | instid1(VALU_DEP_1)
	v_add_f32_e32 v3, v2, v3
	v_and_b32_e32 v2, 0x7f800000, v3
	s_delay_alu instid0(VALU_DEP_1) | instskip(SKIP_1) | instid1(SALU_CYCLE_1)
	v_cmp_ne_u32_e32 vcc_lo, 0x7f800000, v2
                                        ; implicit-def: $vgpr2
	s_and_saveexec_b32 s19, vcc_lo
	s_xor_b32 s19, exec_lo, s19
; %bb.94:                               ;   in Loop: Header=BB267_13 Depth=1
	v_bfe_u32 v2, v3, 16, 1
	s_delay_alu instid0(VALU_DEP_1)
	v_add3_u32 v2, v3, v2, 0x7fff
                                        ; implicit-def: $vgpr3
; %bb.95:                               ;   in Loop: Header=BB267_13 Depth=1
	s_and_not1_saveexec_b32 s19, s19
; %bb.96:                               ;   in Loop: Header=BB267_13 Depth=1
	v_and_b32_e32 v2, 0xffff, v3
	v_or_b32_e32 v4, 0x10000, v3
	s_delay_alu instid0(VALU_DEP_2) | instskip(NEXT) | instid1(VALU_DEP_2)
	v_cmp_eq_u32_e32 vcc_lo, 0, v2
	v_cndmask_b32_e32 v2, v4, v3, vcc_lo
; %bb.97:                               ;   in Loop: Header=BB267_13 Depth=1
	s_or_b32 exec_lo, exec_lo, s19
	v_lshlrev_b64 v[3:4], 1, v[53:54]
	s_delay_alu instid0(VALU_DEP_1) | instskip(NEXT) | instid1(VALU_DEP_2)
	v_add_co_u32 v3, vcc_lo, s16, v3
	v_add_co_ci_u32_e32 v4, vcc_lo, s17, v4, vcc_lo
	global_store_d16_hi_b16 v[3:4], v2, off
	s_or_b32 exec_lo, exec_lo, s2
	s_delay_alu instid0(SALU_CYCLE_1)
	s_and_b32 exec_lo, exec_lo, s1
	s_cbranch_execz .LBB267_103
.LBB267_98:                             ;   in Loop: Header=BB267_13 Depth=1
	s_waitcnt vmcnt(0) lgkmcnt(0)
	v_dual_add_f32 v0, v0, v1 :: v_dual_lshlrev_b32 v1, 16, v6
	s_delay_alu instid0(VALU_DEP_1) | instskip(NEXT) | instid1(VALU_DEP_1)
	v_add_f32_e32 v1, v0, v1
	v_and_b32_e32 v0, 0x7f800000, v1
	s_delay_alu instid0(VALU_DEP_1) | instskip(SKIP_1) | instid1(SALU_CYCLE_1)
	v_cmp_ne_u32_e32 vcc_lo, 0x7f800000, v0
                                        ; implicit-def: $vgpr0
	s_and_saveexec_b32 s1, vcc_lo
	s_xor_b32 s1, exec_lo, s1
; %bb.99:                               ;   in Loop: Header=BB267_13 Depth=1
	v_bfe_u32 v0, v1, 16, 1
	s_delay_alu instid0(VALU_DEP_1)
	v_add3_u32 v0, v1, v0, 0x7fff
                                        ; implicit-def: $vgpr1
; %bb.100:                              ;   in Loop: Header=BB267_13 Depth=1
	s_and_not1_saveexec_b32 s1, s1
; %bb.101:                              ;   in Loop: Header=BB267_13 Depth=1
	v_and_b32_e32 v0, 0xffff, v1
	v_or_b32_e32 v2, 0x10000, v1
	s_delay_alu instid0(VALU_DEP_2) | instskip(NEXT) | instid1(VALU_DEP_2)
	v_cmp_eq_u32_e32 vcc_lo, 0, v0
	v_cndmask_b32_e32 v0, v2, v1, vcc_lo
; %bb.102:                              ;   in Loop: Header=BB267_13 Depth=1
	s_or_b32 exec_lo, exec_lo, s1
	v_add_nc_u32_e32 v53, 1, v53
	s_delay_alu instid0(VALU_DEP_1) | instskip(NEXT) | instid1(VALU_DEP_1)
	v_lshlrev_b64 v[1:2], 1, v[53:54]
	v_add_co_u32 v1, vcc_lo, s16, v1
	s_delay_alu instid0(VALU_DEP_2)
	v_add_co_ci_u32_e32 v2, vcc_lo, s17, v2, vcc_lo
	global_store_d16_hi_b16 v[1:2], v0, off
.LBB267_103:                            ;   in Loop: Header=BB267_13 Depth=1
	s_or_b32 exec_lo, exec_lo, s18
	v_add_nc_u32_e32 v50, s24, v50
	s_delay_alu instid0(VALU_DEP_1) | instskip(SKIP_1) | instid1(VALU_DEP_2)
	v_add_nc_u32_e32 v0, 2, v50
	v_cmp_gt_u32_e32 vcc_lo, s7, v50
	v_cmp_le_u32_e64 s1, s7, v0
	s_delay_alu instid0(VALU_DEP_1) | instskip(NEXT) | instid1(SALU_CYCLE_1)
	s_and_b32 s1, vcc_lo, s1
	s_and_saveexec_b32 s30, s1
	s_cbranch_execz .LBB267_12
; %bb.104:                              ;   in Loop: Header=BB267_13 Depth=1
	s_mov_b32 s31, exec_lo
	v_cmpx_ne_u32_e64 s25, v50
	s_cbranch_execz .LBB267_11
; %bb.105:                              ;   in Loop: Header=BB267_13 Depth=1
	v_subrev_nc_u32_e32 v0, s25, v50
	s_mov_b32 s33, 0
	s_mov_b64 s[18:19], 0
	s_delay_alu instid0(VALU_DEP_1)
	v_cmp_lt_u32_e32 vcc_lo, 1, v0
	v_cndmask_b32_e32 v0, 1, v0, vcc_lo
.LBB267_106:                            ;   Parent Loop BB267_13 Depth=1
                                        ; =>  This Inner Loop Header: Depth=2
	s_cmp_lg_u32 s18, 1
	s_cselect_b32 vcc_lo, -1, 0
	s_cmp_lg_u32 s18, 0
	v_cndmask_b32_e32 v49, 0, v49, vcc_lo
	s_cselect_b32 s1, -1, 0
	s_add_u32 s18, s18, 1
	v_cndmask_b32_e64 v48, 0, v48, s1
	v_cmp_eq_u32_e64 s2, s18, v0
	s_addc_u32 s19, s19, 0
	s_delay_alu instid0(VALU_DEP_1) | instskip(NEXT) | instid1(SALU_CYCLE_1)
	s_or_b32 s33, s2, s33
	s_and_not1_b32 exec_lo, exec_lo, s33
	s_cbranch_execnz .LBB267_106
; %bb.107:                              ;   in Loop: Header=BB267_13 Depth=1
	s_or_b32 exec_lo, exec_lo, s33
	s_branch .LBB267_11
.LBB267_108:
	s_nop 0
	s_sendmsg sendmsg(MSG_DEALLOC_VGPRS)
	s_endpgm
	.section	.rodata,"a",@progbits
	.p2align	6, 0x0
	.amdhsa_kernel _Z12wvSplitK_hf_I14__hip_bfloat16Li64ELi2ELi16ELi8ELi2ELi4EEviiiiiiPKT_S3_S3_PS1_ii
		.amdhsa_group_segment_fixed_size 65536
		.amdhsa_private_segment_fixed_size 0
		.amdhsa_kernarg_size 64
		.amdhsa_user_sgpr_count 15
		.amdhsa_user_sgpr_dispatch_ptr 0
		.amdhsa_user_sgpr_queue_ptr 0
		.amdhsa_user_sgpr_kernarg_segment_ptr 1
		.amdhsa_user_sgpr_dispatch_id 0
		.amdhsa_user_sgpr_private_segment_size 0
		.amdhsa_wavefront_size32 1
		.amdhsa_uses_dynamic_stack 0
		.amdhsa_enable_private_segment 0
		.amdhsa_system_sgpr_workgroup_id_x 1
		.amdhsa_system_sgpr_workgroup_id_y 0
		.amdhsa_system_sgpr_workgroup_id_z 0
		.amdhsa_system_sgpr_workgroup_info 0
		.amdhsa_system_vgpr_workitem_id 1
		.amdhsa_next_free_vgpr 89
		.amdhsa_next_free_sgpr 34
		.amdhsa_reserve_vcc 1
		.amdhsa_float_round_mode_32 0
		.amdhsa_float_round_mode_16_64 0
		.amdhsa_float_denorm_mode_32 3
		.amdhsa_float_denorm_mode_16_64 3
		.amdhsa_dx10_clamp 1
		.amdhsa_ieee_mode 1
		.amdhsa_fp16_overflow 0
		.amdhsa_workgroup_processor_mode 1
		.amdhsa_memory_ordered 1
		.amdhsa_forward_progress 0
		.amdhsa_shared_vgpr_count 0
		.amdhsa_exception_fp_ieee_invalid_op 0
		.amdhsa_exception_fp_denorm_src 0
		.amdhsa_exception_fp_ieee_div_zero 0
		.amdhsa_exception_fp_ieee_overflow 0
		.amdhsa_exception_fp_ieee_underflow 0
		.amdhsa_exception_fp_ieee_inexact 0
		.amdhsa_exception_int_div_zero 0
	.end_amdhsa_kernel
	.section	.text._Z12wvSplitK_hf_I14__hip_bfloat16Li64ELi2ELi16ELi8ELi2ELi4EEviiiiiiPKT_S3_S3_PS1_ii,"axG",@progbits,_Z12wvSplitK_hf_I14__hip_bfloat16Li64ELi2ELi16ELi8ELi2ELi4EEviiiiiiPKT_S3_S3_PS1_ii,comdat
.Lfunc_end267:
	.size	_Z12wvSplitK_hf_I14__hip_bfloat16Li64ELi2ELi16ELi8ELi2ELi4EEviiiiiiPKT_S3_S3_PS1_ii, .Lfunc_end267-_Z12wvSplitK_hf_I14__hip_bfloat16Li64ELi2ELi16ELi8ELi2ELi4EEviiiiiiPKT_S3_S3_PS1_ii
                                        ; -- End function
	.section	.AMDGPU.csdata,"",@progbits
; Kernel info:
; codeLenInByte = 6564
; NumSgprs: 36
; NumVgprs: 89
; ScratchSize: 0
; MemoryBound: 0
; FloatMode: 240
; IeeeMode: 1
; LDSByteSize: 65536 bytes/workgroup (compile time only)
; SGPRBlocks: 4
; VGPRBlocks: 11
; NumSGPRsForWavesPerEU: 36
; NumVGPRsForWavesPerEU: 89
; Occupancy: 16
; WaveLimiterHint : 0
; COMPUTE_PGM_RSRC2:SCRATCH_EN: 0
; COMPUTE_PGM_RSRC2:USER_SGPR: 15
; COMPUTE_PGM_RSRC2:TRAP_HANDLER: 0
; COMPUTE_PGM_RSRC2:TGID_X_EN: 1
; COMPUTE_PGM_RSRC2:TGID_Y_EN: 0
; COMPUTE_PGM_RSRC2:TGID_Z_EN: 0
; COMPUTE_PGM_RSRC2:TIDIG_COMP_CNT: 1
	.section	.text._Z16wvSplitK_hf_big_I14__hip_bfloat16Li64ELi2ELi16ELi8ELi2ELi4EEviiiiiiPKT_S3_S3_PS1_ii,"axG",@progbits,_Z16wvSplitK_hf_big_I14__hip_bfloat16Li64ELi2ELi16ELi8ELi2ELi4EEviiiiiiPKT_S3_S3_PS1_ii,comdat
	.protected	_Z16wvSplitK_hf_big_I14__hip_bfloat16Li64ELi2ELi16ELi8ELi2ELi4EEviiiiiiPKT_S3_S3_PS1_ii ; -- Begin function _Z16wvSplitK_hf_big_I14__hip_bfloat16Li64ELi2ELi16ELi8ELi2ELi4EEviiiiiiPKT_S3_S3_PS1_ii
	.globl	_Z16wvSplitK_hf_big_I14__hip_bfloat16Li64ELi2ELi16ELi8ELi2ELi4EEviiiiiiPKT_S3_S3_PS1_ii
	.p2align	8
	.type	_Z16wvSplitK_hf_big_I14__hip_bfloat16Li64ELi2ELi16ELi8ELi2ELi4EEviiiiiiPKT_S3_S3_PS1_ii,@function
_Z16wvSplitK_hf_big_I14__hip_bfloat16Li64ELi2ELi16ELi8ELi2ELi4EEviiiiiiPKT_S3_S3_PS1_ii: ; @_Z16wvSplitK_hf_big_I14__hip_bfloat16Li64ELi2ELi16ELi8ELi2ELi4EEviiiiiiPKT_S3_S3_PS1_ii
; %bb.0:
	s_load_b64 s[20:21], s[0:1], 0x38
	v_bfe_u32 v1, v0, 10, 10
	s_mov_b32 s2, exec_lo
	s_waitcnt lgkmcnt(0)
	s_delay_alu instid0(VALU_DEP_1)
	v_cmpx_gt_u32_e64 s20, v1
	s_cbranch_execz .LBB268_88
; %bb.1:
	s_load_b128 s[16:19], s[0:1], 0x0
	s_mul_i32 s15, s15, s20
	s_mov_b32 s4, 1
	v_add_lshl_u32 v50, s15, v1, 1
	s_mov_b32 s5, s4
	s_delay_alu instid0(SALU_CYCLE_1) | instskip(NEXT) | instid1(VALU_DEP_2)
	v_dual_mov_b32 v49, s5 :: v_dual_mov_b32 v48, s4
	v_add_nc_u32_e32 v2, 2, v50
	s_waitcnt lgkmcnt(0)
	v_cmp_gt_u32_e32 vcc_lo, s19, v50
	s_delay_alu instid0(VALU_DEP_2) | instskip(NEXT) | instid1(VALU_DEP_1)
	v_cmp_le_u32_e64 s2, s19, v2
	s_and_b32 s2, vcc_lo, s2
	s_delay_alu instid0(SALU_CYCLE_1)
	s_and_saveexec_b32 s6, s2
	s_cbranch_execz .LBB268_7
; %bb.2:
	v_dual_mov_b32 v49, s5 :: v_dual_mov_b32 v48, s4
	s_add_i32 s7, s19, -2
	s_mov_b32 s8, exec_lo
	v_cmpx_ne_u32_e64 s7, v50
	s_cbranch_execz .LBB268_6
; %bb.3:
	v_subrev_nc_u32_e32 v2, s7, v50
	s_mov_b32 s2, 1
	s_mov_b32 s9, 0
	s_mov_b64 s[4:5], 0
	s_mov_b32 s3, s2
	v_cmp_lt_u32_e32 vcc_lo, 1, v2
	v_cndmask_b32_e32 v2, 1, v2, vcc_lo
.LBB268_4:                              ; =>This Inner Loop Header: Depth=1
	s_cmp_lg_u32 s4, 1
	s_cselect_b32 s3, s3, 0
	s_cmp_lg_u32 s4, 0
	s_cselect_b32 s2, s2, 0
	s_add_u32 s4, s4, 1
	v_dual_mov_b32 v49, s3 :: v_dual_mov_b32 v48, s2
	v_cmp_eq_u32_e32 vcc_lo, s4, v2
	s_addc_u32 s5, s5, 0
	s_or_b32 s9, vcc_lo, s9
	s_delay_alu instid0(SALU_CYCLE_1)
	s_and_not1_b32 exec_lo, exec_lo, s9
	s_cbranch_execnz .LBB268_4
; %bb.5:
	s_or_b32 exec_lo, exec_lo, s9
	v_mov_b32_e32 v50, s7
.LBB268_6:
	s_or_b32 exec_lo, exec_lo, s8
.LBB268_7:
	s_delay_alu instid0(SALU_CYCLE_1)
	s_or_b32 exec_lo, exec_lo, s6
	s_lshl_b32 s2, s20, 1
	s_abs_i32 s6, s19
	s_abs_i32 s3, s2
	s_mov_b32 s22, 0
	v_cvt_f32_u32_e32 v2, s3
	s_sub_i32 s5, 0, s3
	s_delay_alu instid0(VALU_DEP_1) | instskip(SKIP_2) | instid1(VALU_DEP_1)
	v_rcp_iflag_f32_e32 v2, v2
	s_waitcnt_depctr 0xfff
	v_mul_f32_e32 v2, 0x4f7ffffe, v2
	v_cvt_u32_f32_e32 v2, v2
	s_delay_alu instid0(VALU_DEP_1) | instskip(NEXT) | instid1(VALU_DEP_1)
	v_readfirstlane_b32 s4, v2
	s_mul_i32 s5, s5, s4
	s_delay_alu instid0(SALU_CYCLE_1) | instskip(NEXT) | instid1(SALU_CYCLE_1)
	s_mul_hi_u32 s5, s4, s5
	s_add_i32 s4, s4, s5
	s_ashr_i32 s5, s19, 31
	s_mul_hi_u32 s4, s6, s4
	s_delay_alu instid0(SALU_CYCLE_1) | instskip(NEXT) | instid1(SALU_CYCLE_1)
	s_mul_i32 s4, s4, s3
	s_sub_i32 s4, s6, s4
	s_delay_alu instid0(SALU_CYCLE_1) | instskip(SKIP_2) | instid1(SALU_CYCLE_1)
	s_sub_i32 s6, s4, s3
	s_cmp_ge_u32 s4, s3
	s_cselect_b32 s4, s6, s4
	s_sub_i32 s6, s4, s3
	s_cmp_ge_u32 s4, s3
	s_cselect_b32 s3, s6, s4
	s_add_i32 s2, s2, s19
	s_xor_b32 s3, s3, s5
	s_delay_alu instid0(SALU_CYCLE_1) | instskip(NEXT) | instid1(SALU_CYCLE_1)
	s_sub_i32 s3, s3, s5
	s_sub_i32 s2, s2, s3
	s_cmp_eq_u32 s3, 0
	s_cselect_b32 s3, s19, s2
	s_delay_alu instid0(SALU_CYCLE_1)
	v_cmp_gt_u32_e32 vcc_lo, s3, v50
	s_and_b32 exec_lo, exec_lo, vcc_lo
	s_cbranch_execz .LBB268_88
; %bb.8:
	s_load_b256 s[4:11], s[0:1], 0x10
	s_min_u32 s23, s18, 0x2000
	s_cmp_lg_u32 s16, 0
	s_mul_i32 s2, s21, s20
	s_cselect_b32 s24, -1, 0
	s_cmp_lg_u32 s18, 0
	s_load_b64 s[12:13], s[0:1], 0x30
	s_cselect_b32 s21, -1, 0
	s_lshl_b32 s25, s20, 9
	s_add_i32 s26, s16, -8
	s_add_i32 s27, s19, -1
	s_lshl_b32 s28, s2, 1
	v_and_b32_e32 v0, 0x3ff, v0
	v_mbcnt_lo_u32_b32 v59, -1, 0
	s_delay_alu instid0(VALU_DEP_2)
	v_lshlrev_b32_e32 v60, 3, v0
	v_cmp_eq_u32_e64 s0, 63, v0
	v_lshlrev_b32_e32 v0, 4, v0
	s_waitcnt lgkmcnt(0)
	s_cmp_lg_u64 s[10:11], 0
	v_cvt_f32_u32_e32 v3, s4
	s_cselect_b32 s29, -1, 0
	s_abs_i32 s2, s5
	s_add_i32 s30, s19, -2
	v_cvt_f32_u32_e32 v2, s2
	v_rcp_iflag_f32_e32 v3, v3
	s_sub_i32 s14, 0, s2
	s_sub_i32 s15, 0, s4
	;; [unrolled: 1-line block ×3, first 2 shown]
	v_rcp_iflag_f32_e32 v2, v2
	v_lshl_add_u32 v61, v1, 10, v0
	v_lshl_add_u32 v53, v1, 9, v60
	v_mov_b32_e32 v52, 0
	s_mul_i32 s5, s23, 6
	s_delay_alu instid0(VALU_DEP_2) | instskip(SKIP_4) | instid1(VALU_DEP_2)
	v_add_nc_u32_e32 v63, s18, v53
	v_mad_u64_u32 v[54:55], null, s18, 3, v[53:54]
	s_waitcnt_depctr 0xfff
	v_mul_f32_e32 v2, 0x4f7ffffe, v2
	v_lshl_add_u32 v62, s18, 1, v53
	v_cvt_u32_f32_e32 v2, v2
	s_delay_alu instid0(VALU_DEP_1) | instskip(SKIP_1) | instid1(VALU_DEP_2)
	v_readfirstlane_b32 s1, v2
	v_mul_f32_e32 v2, 0x4f7ffffe, v3
	s_mul_i32 s14, s14, s1
	s_delay_alu instid0(VALU_DEP_1) | instskip(SKIP_1) | instid1(SALU_CYCLE_1)
	v_cvt_u32_f32_e32 v0, v2
	s_mul_hi_u32 s14, s1, s14
	s_add_i32 s1, s1, s14
	s_cmp_lt_u32 s2, 2
	s_delay_alu instid0(VALU_DEP_1) | instskip(SKIP_1) | instid1(SALU_CYCLE_1)
	v_mul_lo_u32 v1, s15, v0
	s_cselect_b32 s14, s31, 1
	s_sub_i32 s31, s14, s2
	s_cmp_ge_u32 s14, s2
	s_cselect_b32 s31, s31, s14
	s_lshr_b32 s14, s1, 31
	s_mul_hi_u32 s1, s1, 3
	s_mul_i32 s14, s14, s2
	s_mul_i32 s1, s1, s2
	s_sub_i32 s14, 2, s14
	v_mul_hi_u32 v1, v0, v1
	s_sub_i32 s15, s14, s2
	s_cmp_ge_u32 s14, s2
	s_mul_i32 s31, s31, s4
	s_cselect_b32 s14, s15, s14
	s_delay_alu instid0(SALU_CYCLE_1) | instskip(SKIP_1) | instid1(VALU_DEP_1)
	s_sub_i32 s15, s14, s2
	s_cmp_ge_u32 s14, s2
	v_add_nc_u32_e32 v64, v0, v1
	s_cselect_b32 s33, s15, s14
	s_sub_i32 s1, 3, s1
	s_mul_i32 s33, s33, s4
	s_sub_i32 s14, s1, s2
	s_cmp_ge_u32 s1, s2
	s_cselect_b32 s1, s14, s1
	s_delay_alu instid0(SALU_CYCLE_1)
	s_sub_i32 s14, s1, s2
	s_cmp_ge_u32 s1, s2
	s_cselect_b32 s37, s14, s1
	s_add_u32 s34, s12, 2
	s_addc_u32 s35, s13, 0
	s_lshl_b32 s20, s20, 10
	s_lshl_b32 s36, s23, 2
	s_mul_i32 s37, s37, s4
	s_lshl_b32 s38, s23, 1
	s_branch .LBB268_12
.LBB268_9:                              ;   in Loop: Header=BB268_12 Depth=1
	s_or_b32 exec_lo, exec_lo, s41
	v_mov_b32_e32 v50, s30
.LBB268_10:                             ;   in Loop: Header=BB268_12 Depth=1
	s_or_b32 exec_lo, exec_lo, s40
.LBB268_11:                             ;   in Loop: Header=BB268_12 Depth=1
	s_delay_alu instid0(SALU_CYCLE_1) | instskip(NEXT) | instid1(VALU_DEP_1)
	s_or_b32 exec_lo, exec_lo, s39
	v_cmp_le_u32_e32 vcc_lo, s3, v50
	s_or_b32 s22, vcc_lo, s22
	s_delay_alu instid0(SALU_CYCLE_1)
	s_and_not1_b32 exec_lo, exec_lo, s22
	s_cbranch_execz .LBB268_88
.LBB268_12:                             ; =>This Loop Header: Depth=1
                                        ;     Child Loop BB268_17 Depth 2
                                        ;       Child Loop BB268_22 Depth 3
                                        ;     Child Loop BB268_86 Depth 2
	v_mov_b32_e32 v65, v52
	v_mov_b32_e32 v66, v52
	;; [unrolled: 1-line block ×8, first 2 shown]
	s_and_not1_b32 vcc_lo, exec_lo, s24
	s_mov_b32 s14, 0
	s_cbranch_vccnz .LBB268_29
; %bb.13:                               ;   in Loop: Header=BB268_12 Depth=1
	s_waitcnt lgkmcnt(2)
	v_dual_mov_b32 v1, v52 :: v_dual_add_nc_u32 v0, 1, v50
	v_min_u32_e32 v2, s27, v50
	v_cmp_gt_u32_e64 s1, s19, v50
	v_dual_mov_b32 v72, 0 :: v_dual_mov_b32 v69, 0
	s_delay_alu instid0(VALU_DEP_4) | instskip(NEXT) | instid1(VALU_DEP_4)
	v_min_u32_e32 v0, s27, v0
	v_mul_lo_u32 v51, v2, s17
	v_dual_mov_b32 v71, 0 :: v_dual_mov_b32 v70, 0
	v_dual_mov_b32 v68, 0 :: v_dual_mov_b32 v67, 0
	s_delay_alu instid0(VALU_DEP_4) | instskip(SKIP_3) | instid1(VALU_DEP_3)
	v_mul_lo_u32 v0, v0, s17
	v_dual_mov_b32 v66, 0 :: v_dual_mov_b32 v65, 0
	v_lshlrev_b64 v[55:56], 1, v[51:52]
	s_mov_b32 s15, 0
	v_lshlrev_b64 v[57:58], 1, v[0:1]
	s_branch .LBB268_17
.LBB268_14:                             ;   in Loop: Header=BB268_17 Depth=2
	s_or_b32 exec_lo, exec_lo, s40
.LBB268_15:                             ;   in Loop: Header=BB268_17 Depth=2
	s_delay_alu instid0(SALU_CYCLE_1)
	s_or_b32 exec_lo, exec_lo, s39
	s_waitcnt lgkmcnt(3)
	v_and_b32_e32 v51, 0xffff0000, v44
	v_and_b32_e32 v74, 0xffff0000, v45
	v_lshlrev_b32_e32 v45, 16, v45
	s_waitcnt vmcnt(3)
	v_and_b32_e32 v78, 0xffff0000, v42
	s_waitcnt vmcnt(2)
	v_and_b32_e32 v81, 0xffff0000, v33
	v_and_b32_e32 v77, 0xffff0000, v46
	v_lshlrev_b32_e32 v46, 16, v46
	v_and_b32_e32 v82, 0xffff0000, v43
	v_and_b32_e32 v80, 0xffff0000, v32
	v_lshlrev_b32_e32 v42, 16, v42
	v_and_b32_e32 v76, 0xffff0000, v41
	v_lshlrev_b32_e32 v41, 16, v41
	v_lshlrev_b32_e32 v33, 16, v33
	;; [unrolled: 1-line block ×3, first 2 shown]
	s_delay_alu instid0(VALU_DEP_4) | instskip(NEXT) | instid1(VALU_DEP_1)
	v_mul_f32_e32 v79, v74, v76
	v_fmac_f32_e32 v79, v45, v41
	v_and_b32_e32 v73, 0xffff0000, v40
	v_lshlrev_b32_e32 v44, 16, v44
	s_delay_alu instid0(VALU_DEP_2) | instskip(NEXT) | instid1(VALU_DEP_1)
	v_dual_mul_f32 v75, v51, v73 :: v_dual_lshlrev_b32 v40, 16, v40
	v_fmac_f32_e32 v75, v44, v40
	s_delay_alu instid0(VALU_DEP_1) | instskip(NEXT) | instid1(VALU_DEP_1)
	v_add_f32_e32 v72, v72, v75
	v_add_f32_e32 v72, v72, v79
	v_and_b32_e32 v79, 0xffff0000, v47
	s_delay_alu instid0(VALU_DEP_1) | instskip(SKIP_1) | instid1(VALU_DEP_1)
	v_mul_f32_e32 v83, v79, v82
	v_mul_f32_e32 v51, v51, v80
	v_dual_fmac_f32 v51, v44, v32 :: v_dual_mul_f32 v44, v74, v81
	v_mul_f32_e32 v75, v77, v78
	s_delay_alu instid0(VALU_DEP_2) | instskip(NEXT) | instid1(VALU_DEP_2)
	v_add_f32_e32 v51, v69, v51
	v_dual_fmac_f32 v44, v45, v33 :: v_dual_fmac_f32 v75, v46, v42
	v_and_b32_e32 v74, 0xffff0000, v34
	s_delay_alu instid0(VALU_DEP_2) | instskip(SKIP_1) | instid1(VALU_DEP_2)
	v_dual_add_f32 v44, v51, v44 :: v_dual_add_f32 v69, v72, v75
	s_waitcnt lgkmcnt(2)
	v_dual_mul_f32 v45, v77, v74 :: v_dual_and_b32 v72, 0xffff0000, v36
	v_lshlrev_b32_e32 v47, 16, v47
	v_lshlrev_b32_e32 v34, 16, v34
	;; [unrolled: 1-line block ×3, first 2 shown]
	v_and_b32_e32 v75, 0xffff0000, v35
	v_lshlrev_b32_e32 v35, 16, v35
	s_delay_alu instid0(VALU_DEP_4) | instskip(SKIP_1) | instid1(VALU_DEP_2)
	v_fmac_f32_e32 v45, v46, v34
	v_dual_mul_f32 v46, v72, v73 :: v_dual_lshlrev_b32 v43, 16, v43
	v_dual_mul_f32 v79, v79, v75 :: v_dual_add_f32 v44, v44, v45
	s_delay_alu instid0(VALU_DEP_2) | instskip(NEXT) | instid1(VALU_DEP_2)
	v_dual_fmac_f32 v83, v47, v43 :: v_dual_fmac_f32 v46, v36, v40
	v_fmac_f32_e32 v79, v47, v35
	s_waitcnt lgkmcnt(1)
	v_and_b32_e32 v47, 0xffff0000, v28
	s_delay_alu instid0(VALU_DEP_3) | instskip(SKIP_4) | instid1(VALU_DEP_3)
	v_dual_add_f32 v69, v69, v83 :: v_dual_lshlrev_b32 v28, 16, v28
	v_and_b32_e32 v83, 0xffff0000, v39
	v_and_b32_e32 v51, 0xffff0000, v37
	v_dual_add_f32 v46, v71, v46 :: v_dual_lshlrev_b32 v37, 16, v37
	v_lshlrev_b32_e32 v39, 16, v39
	v_dual_add_f32 v44, v44, v79 :: v_dual_mul_f32 v45, v51, v76
	s_delay_alu instid0(VALU_DEP_1) | instskip(NEXT) | instid1(VALU_DEP_1)
	v_fmac_f32_e32 v45, v37, v41
	v_add_f32_e32 v45, v46, v45
	v_and_b32_e32 v77, 0xffff0000, v38
	v_lshlrev_b32_e32 v38, 16, v38
	v_mul_f32_e32 v46, v72, v80
	v_mul_f32_e32 v72, v83, v82
	s_delay_alu instid0(VALU_DEP_2) | instskip(NEXT) | instid1(VALU_DEP_1)
	v_dual_mul_f32 v71, v77, v78 :: v_dual_fmac_f32 v46, v36, v32
	v_fmac_f32_e32 v71, v38, v42
	s_delay_alu instid0(VALU_DEP_2) | instskip(NEXT) | instid1(VALU_DEP_2)
	v_add_f32_e32 v46, v70, v46
	v_dual_add_f32 v36, v45, v71 :: v_dual_mul_f32 v45, v51, v81
	v_mul_f32_e32 v51, v47, v73
	v_mul_f32_e32 v47, v47, v80
	s_delay_alu instid0(VALU_DEP_2) | instskip(NEXT) | instid1(VALU_DEP_2)
	v_fmac_f32_e32 v51, v28, v40
	v_dual_fmac_f32 v47, v28, v32 :: v_dual_lshlrev_b32 v28, 16, v31
	v_fmac_f32_e32 v45, v37, v33
	v_mul_f32_e32 v37, v77, v74
	s_delay_alu instid0(VALU_DEP_3) | instskip(NEXT) | instid1(VALU_DEP_3)
	v_add_f32_e32 v47, v67, v47
	v_add_f32_e32 v45, v46, v45
	v_and_b32_e32 v46, 0xffff0000, v29
	v_lshlrev_b32_e32 v29, 16, v29
	v_fmac_f32_e32 v37, v38, v34
	s_delay_alu instid0(VALU_DEP_3) | instskip(NEXT) | instid1(VALU_DEP_2)
	v_mul_f32_e32 v70, v46, v76
	v_dual_mul_f32 v38, v83, v75 :: v_dual_add_f32 v37, v45, v37
	s_delay_alu instid0(VALU_DEP_2) | instskip(SKIP_1) | instid1(VALU_DEP_1)
	v_fmac_f32_e32 v70, v29, v41
	v_fmac_f32_e32 v72, v39, v43
	v_add_f32_e32 v36, v36, v72
	s_delay_alu instid0(VALU_DEP_4) | instskip(SKIP_1) | instid1(VALU_DEP_2)
	v_fmac_f32_e32 v38, v39, v35
	v_add_f32_e32 v39, v68, v51
	v_add_f32_e32 v37, v37, v38
	s_delay_alu instid0(VALU_DEP_2) | instskip(NEXT) | instid1(VALU_DEP_1)
	v_dual_add_f32 v38, v39, v70 :: v_dual_and_b32 v39, 0xffff0000, v31
	v_dual_mul_f32 v31, v46, v81 :: v_dual_mul_f32 v46, v39, v82
	s_delay_alu instid0(VALU_DEP_1) | instskip(SKIP_1) | instid1(VALU_DEP_3)
	v_fmac_f32_e32 v31, v29, v33
	v_mul_f32_e32 v39, v39, v75
	v_fmac_f32_e32 v46, v28, v43
	s_delay_alu instid0(VALU_DEP_3)
	v_add_f32_e32 v31, v47, v31
	s_waitcnt lgkmcnt(0)
	v_and_b32_e32 v47, 0xffff0000, v25
	v_lshlrev_b32_e32 v25, 16, v25
	v_and_b32_e32 v45, 0xffff0000, v30
	v_dual_fmac_f32 v39, v28, v35 :: v_dual_lshlrev_b32 v30, 16, v30
	v_and_b32_e32 v28, 0xffff0000, v27
	v_lshlrev_b32_e32 v27, 16, v27
	s_delay_alu instid0(VALU_DEP_4) | instskip(SKIP_1) | instid1(VALU_DEP_2)
	v_mul_f32_e32 v29, v45, v74
	v_mul_f32_e32 v51, v45, v78
	v_fmac_f32_e32 v29, v30, v34
	s_delay_alu instid0(VALU_DEP_1) | instskip(NEXT) | instid1(VALU_DEP_3)
	v_add_f32_e32 v29, v31, v29
	v_fmac_f32_e32 v51, v30, v42
	v_and_b32_e32 v31, 0xffff0000, v26
	v_lshlrev_b32_e32 v26, 16, v26
	s_delay_alu instid0(VALU_DEP_3) | instskip(SKIP_1) | instid1(VALU_DEP_2)
	v_dual_add_f32 v38, v38, v51 :: v_dual_and_b32 v51, 0xffff0000, v24
	v_lshlrev_b32_e32 v24, 16, v24
	v_dual_add_f32 v30, v38, v46 :: v_dual_mul_f32 v45, v51, v73
	v_mul_f32_e32 v38, v47, v76
	s_delay_alu instid0(VALU_DEP_1) | instskip(NEXT) | instid1(VALU_DEP_1)
	v_dual_fmac_f32 v45, v24, v40 :: v_dual_fmac_f32 v38, v25, v41
	v_dual_mul_f32 v41, v31, v78 :: v_dual_add_f32 v40, v66, v45
	v_mul_f32_e32 v45, v51, v80
	s_delay_alu instid0(VALU_DEP_2)
	v_fmac_f32_e32 v41, v26, v42
	s_waitcnt vmcnt(1)
	v_and_b32_e32 v42, 0xffff0000, v18
	v_lshlrev_b32_e32 v18, 16, v18
	v_add_f32_e32 v38, v40, v38
	v_mul_f32_e32 v40, v28, v82
	v_mul_f32_e32 v28, v28, v75
	v_dual_fmac_f32 v45, v24, v32 :: v_dual_add_f32 v24, v29, v39
	s_delay_alu instid0(VALU_DEP_3) | instskip(NEXT) | instid1(VALU_DEP_3)
	v_fmac_f32_e32 v40, v27, v43
	v_fmac_f32_e32 v28, v27, v35
	s_waitcnt vmcnt(0)
	v_dual_mul_f32 v32, v47, v81 :: v_dual_and_b32 v27, 0xffff0000, v8
	v_dual_add_f32 v29, v38, v41 :: v_dual_lshlrev_b32 v8, 16, v8
	v_add_f32_e32 v38, v65, v45
	s_delay_alu instid0(VALU_DEP_3)
	v_fmac_f32_e32 v32, v25, v33
	v_and_b32_e32 v33, 0xffff0000, v21
	v_mul_f32_e32 v25, v31, v74
	v_and_b32_e32 v45, 0xffff0000, v14
	v_lshlrev_b32_e32 v14, 16, v14
	v_add_f32_e32 v32, v38, v32
	v_and_b32_e32 v38, 0xffff0000, v17
	v_and_b32_e32 v41, 0xffff0000, v16
	v_lshlrev_b32_e32 v16, 16, v16
	v_lshlrev_b32_e32 v21, 16, v21
	v_and_b32_e32 v39, 0xffff0000, v20
	v_lshlrev_b32_e32 v20, 16, v20
	v_lshlrev_b32_e32 v17, 16, v17
	s_delay_alu instid0(VALU_DEP_3) | instskip(SKIP_3) | instid1(VALU_DEP_4)
	v_mul_f32_e32 v31, v39, v41
	v_mul_f32_e32 v35, v39, v27
	v_and_b32_e32 v39, 0xffff0000, v9
	v_lshlrev_b32_e32 v9, 16, v9
	v_fmac_f32_e32 v31, v20, v16
	s_delay_alu instid0(VALU_DEP_3) | instskip(NEXT) | instid1(VALU_DEP_1)
	v_dual_fmac_f32 v35, v20, v8 :: v_dual_mul_f32 v20, v33, v39
	v_dual_add_f32 v35, v44, v35 :: v_dual_fmac_f32 v20, v21, v9
	s_delay_alu instid0(VALU_DEP_1) | instskip(NEXT) | instid1(VALU_DEP_1)
	v_dual_add_f32 v20, v35, v20 :: v_dual_and_b32 v35, 0xffff0000, v13
	v_dual_mul_f32 v44, v35, v38 :: v_dual_lshlrev_b32 v13, 16, v13
	v_fmac_f32_e32 v25, v26, v34
	v_mul_f32_e32 v26, v33, v38
	v_and_b32_e32 v34, 0xffff0000, v22
	v_and_b32_e32 v33, 0xffff0000, v10
	v_lshlrev_b32_e32 v22, 16, v22
	v_lshlrev_b32_e32 v10, 16, v10
	v_fmac_f32_e32 v26, v21, v17
	v_fmac_f32_e32 v44, v13, v17
	v_mul_f32_e32 v21, v34, v33
	v_add_f32_e32 v31, v69, v31
	s_delay_alu instid0(VALU_DEP_2) | instskip(SKIP_1) | instid1(VALU_DEP_3)
	v_fmac_f32_e32 v21, v22, v10
	v_mul_f32_e32 v43, v34, v42
	v_add_f32_e32 v26, v31, v26
	s_delay_alu instid0(VALU_DEP_2) | instskip(SKIP_2) | instid1(VALU_DEP_3)
	v_dual_add_f32 v20, v20, v21 :: v_dual_fmac_f32 v43, v22, v18
	v_and_b32_e32 v22, 0xffff0000, v11
	v_lshlrev_b32_e32 v11, 16, v11
	v_dual_add_f32 v26, v26, v43 :: v_dual_and_b32 v43, 0xffff0000, v12
	v_lshlrev_b32_e32 v12, 16, v12
	v_and_b32_e32 v31, 0xffff0000, v23
	s_delay_alu instid0(VALU_DEP_3) | instskip(SKIP_1) | instid1(VALU_DEP_2)
	v_dual_mul_f32 v34, v43, v41 :: v_dual_lshlrev_b32 v23, 16, v23
	v_dual_add_f32 v25, v32, v25 :: v_dual_and_b32 v32, 0xffff0000, v19
	v_dual_fmac_f32 v34, v12, v16 :: v_dual_lshlrev_b32 v19, 16, v19
	s_delay_alu instid0(VALU_DEP_1) | instskip(SKIP_4) | instid1(VALU_DEP_4)
	v_add_f32_e32 v34, v36, v34
	v_mul_f32_e32 v36, v45, v42
	v_add_f32_e32 v29, v29, v40
	v_mul_f32_e32 v40, v31, v32
	v_add_f32_e32 v21, v25, v28
	v_dual_fmac_f32 v36, v14, v18 :: v_dual_and_b32 v25, 0xffff0000, v15
	v_mul_f32_e32 v28, v35, v39
	s_delay_alu instid0(VALU_DEP_4) | instskip(NEXT) | instid1(VALU_DEP_1)
	v_fmac_f32_e32 v40, v23, v19
	v_dual_add_f32 v72, v26, v40 :: v_dual_lshlrev_b32 v15, 16, v15
	v_dual_mul_f32 v31, v31, v22 :: v_dual_and_b32 v26, 0xffff0000, v4
	s_delay_alu instid0(VALU_DEP_1) | instskip(SKIP_2) | instid1(VALU_DEP_3)
	v_dual_fmac_f32 v31, v23, v11 :: v_dual_lshlrev_b32 v4, 16, v4
	v_dual_add_f32 v23, v34, v44 :: v_dual_and_b32 v34, 0xffff0000, v5
	v_lshlrev_b32_e32 v5, 16, v5
	v_add_f32_e32 v69, v20, v31
	v_mul_f32_e32 v31, v26, v41
	s_delay_alu instid0(VALU_DEP_4) | instskip(NEXT) | instid1(VALU_DEP_2)
	v_add_f32_e32 v23, v23, v36
	v_fmac_f32_e32 v31, v4, v16
	s_delay_alu instid0(VALU_DEP_1) | instskip(SKIP_1) | instid1(VALU_DEP_1)
	v_add_f32_e32 v30, v30, v31
	v_mul_f32_e32 v20, v43, v27
	v_fmac_f32_e32 v20, v12, v8
	v_mul_f32_e32 v12, v25, v32
	s_delay_alu instid0(VALU_DEP_2) | instskip(NEXT) | instid1(VALU_DEP_2)
	v_add_f32_e32 v20, v37, v20
	v_fmac_f32_e32 v12, v15, v19
	v_dual_fmac_f32 v28, v13, v9 :: v_dual_mul_f32 v13, v34, v38
	v_mul_f32_e32 v35, v45, v33
	s_delay_alu instid0(VALU_DEP_3) | instskip(SKIP_1) | instid1(VALU_DEP_4)
	v_add_f32_e32 v71, v23, v12
	v_and_b32_e32 v23, 0xffff0000, v0
	v_fmac_f32_e32 v13, v5, v17
	s_delay_alu instid0(VALU_DEP_4)
	v_fmac_f32_e32 v35, v14, v10
	v_mul_f32_e32 v14, v25, v22
	v_lshlrev_b32_e32 v0, 16, v0
	v_add_f32_e32 v20, v20, v28
	v_add_f32_e32 v12, v30, v13
	v_and_b32_e32 v28, 0xffff0000, v6
	v_fmac_f32_e32 v14, v15, v11
	v_dual_mul_f32 v15, v26, v27 :: v_dual_mul_f32 v26, v23, v41
	v_lshlrev_b32_e32 v6, 16, v6
	s_delay_alu instid0(VALU_DEP_4) | instskip(NEXT) | instid1(VALU_DEP_3)
	v_mul_f32_e32 v31, v28, v42
	v_fmac_f32_e32 v15, v4, v8
	s_delay_alu instid0(VALU_DEP_4) | instskip(NEXT) | instid1(VALU_DEP_2)
	v_fmac_f32_e32 v26, v0, v16
	v_dual_add_f32 v15, v24, v15 :: v_dual_and_b32 v24, 0xffff0000, v1
	s_delay_alu instid0(VALU_DEP_1) | instskip(NEXT) | instid1(VALU_DEP_1)
	v_dual_mul_f32 v16, v24, v38 :: v_dual_lshlrev_b32 v1, 16, v1
	v_dual_fmac_f32 v16, v1, v17 :: v_dual_mul_f32 v17, v23, v27
	s_delay_alu instid0(VALU_DEP_1) | instskip(NEXT) | instid1(VALU_DEP_1)
	v_fmac_f32_e32 v17, v0, v8
	v_dual_mul_f32 v0, v24, v39 :: v_dual_add_f32 v17, v21, v17
	s_delay_alu instid0(VALU_DEP_1) | instskip(SKIP_3) | instid1(VALU_DEP_4)
	v_dual_fmac_f32 v0, v1, v9 :: v_dual_fmac_f32 v31, v6, v18
	v_add_f32_e32 v13, v20, v35
	v_mul_f32_e32 v25, v34, v39
	v_and_b32_e32 v20, 0xffff0000, v7
	v_add_f32_e32 v0, v17, v0
	s_delay_alu instid0(VALU_DEP_3) | instskip(SKIP_1) | instid1(VALU_DEP_2)
	v_dual_add_f32 v12, v12, v31 :: v_dual_fmac_f32 v25, v5, v9
	v_mul_f32_e32 v5, v28, v33
	v_dual_mul_f32 v4, v20, v32 :: v_dual_add_f32 v15, v15, v25
	s_delay_alu instid0(VALU_DEP_2) | instskip(NEXT) | instid1(VALU_DEP_1)
	v_fmac_f32_e32 v5, v6, v10
	v_dual_add_f32 v6, v29, v26 :: v_dual_add_f32 v5, v15, v5
	v_mul_f32_e32 v15, v20, v22
	v_and_b32_e32 v20, 0xffff0000, v2
	s_delay_alu instid0(VALU_DEP_3) | instskip(SKIP_2) | instid1(VALU_DEP_4)
	v_add_f32_e32 v6, v6, v16
	v_lshlrev_b32_e32 v2, 16, v2
	v_and_b32_e32 v16, 0xffff0000, v3
	v_dual_mul_f32 v8, v20, v42 :: v_dual_lshlrev_b32 v7, 16, v7
	v_mul_f32_e32 v1, v20, v33
	v_lshlrev_b32_e32 v3, 16, v3
	s_delay_alu instid0(VALU_DEP_3) | instskip(NEXT) | instid1(VALU_DEP_3)
	v_dual_mul_f32 v9, v16, v32 :: v_dual_fmac_f32 v8, v2, v18
	v_fmac_f32_e32 v1, v2, v10
	v_mul_f32_e32 v2, v16, v22
	v_fmac_f32_e32 v4, v7, v19
	s_delay_alu instid0(VALU_DEP_4) | instskip(NEXT) | instid1(VALU_DEP_4)
	v_dual_fmac_f32 v15, v7, v11 :: v_dual_add_f32 v6, v6, v8
	v_dual_fmac_f32 v9, v3, v19 :: v_dual_add_f32 v0, v0, v1
	s_delay_alu instid0(VALU_DEP_4) | instskip(SKIP_1) | instid1(VALU_DEP_4)
	v_fmac_f32_e32 v2, v3, v11
	v_add_f32_e32 v70, v13, v14
	v_dual_add_f32 v68, v12, v4 :: v_dual_add_f32 v67, v5, v15
	s_delay_alu instid0(VALU_DEP_3)
	v_dual_add_f32 v66, v6, v9 :: v_dual_add_f32 v65, v0, v2
.LBB268_16:                             ;   in Loop: Header=BB268_17 Depth=2
	s_or_b32 exec_lo, exec_lo, s2
	s_addk_i32 s15, 0x400
	s_delay_alu instid0(SALU_CYCLE_1)
	s_cmp_ge_u32 s15, s16
	s_cbranch_scc1 .LBB268_29
.LBB268_17:                             ;   Parent Loop BB268_12 Depth=1
                                        ; =>  This Loop Header: Depth=2
                                        ;       Child Loop BB268_22 Depth 3
	s_cmp_eq_u32 s15, 0
	s_cselect_b32 s39, -1, 0
	s_add_i32 s2, s14, s23
	s_delay_alu instid0(SALU_CYCLE_1) | instskip(SKIP_1) | instid1(SALU_CYCLE_1)
	s_cmp_eq_u32 s15, s2
	s_cselect_b32 s40, -1, 0
	s_or_b32 s40, s39, s40
	s_delay_alu instid0(SALU_CYCLE_1)
	s_and_not1_b32 vcc_lo, exec_lo, s40
	s_cbranch_vccz .LBB268_19
; %bb.18:                               ;   in Loop: Header=BB268_17 Depth=2
	s_and_saveexec_b32 s2, s1
	s_cbranch_execz .LBB268_16
	s_branch .LBB268_26
.LBB268_19:                             ;   in Loop: Header=BB268_17 Depth=2
	s_and_b32 s39, s39, exec_lo
	s_cselect_b32 s14, s14, s2
	s_and_not1_b32 vcc_lo, exec_lo, s21
	s_waitcnt vmcnt(0) lgkmcnt(0)
	s_waitcnt_vscnt null, 0x0
	s_barrier
	buffer_gl0_inv
	s_cbranch_vccnz .LBB268_25
; %bb.20:                               ;   in Loop: Header=BB268_17 Depth=2
	v_add_nc_u32_e32 v0, s14, v62
	v_dual_mov_b32 v4, v61 :: v_dual_add_nc_u32 v1, s14, v54
	v_add_nc_u32_e32 v2, s14, v63
	v_add_nc_u32_e32 v3, s14, v53
	s_mov_b32 s39, 0
	s_mov_b32 s40, 0
                                        ; implicit-def: $sgpr41
	s_branch .LBB268_22
.LBB268_21:                             ;   in Loop: Header=BB268_22 Depth=3
	s_or_b32 exec_lo, exec_lo, s2
	s_delay_alu instid0(SALU_CYCLE_1) | instskip(NEXT) | instid1(SALU_CYCLE_1)
	s_and_b32 s2, exec_lo, s41
	s_or_b32 s39, s2, s39
	s_delay_alu instid0(SALU_CYCLE_1)
	s_and_not1_b32 exec_lo, exec_lo, s39
	s_cbranch_execz .LBB268_24
.LBB268_22:                             ;   Parent Loop BB268_12 Depth=1
                                        ;     Parent Loop BB268_17 Depth=2
                                        ; =>    This Inner Loop Header: Depth=3
	s_delay_alu instid0(VALU_DEP_1) | instskip(SKIP_2) | instid1(VALU_DEP_2)
	v_add_nc_u32_e32 v51, s40, v3
	v_add_nc_u32_e32 v5, s40, v53
	s_or_b32 s41, s41, exec_lo
	v_cmp_gt_u32_e32 vcc_lo, s18, v51
	s_delay_alu instid0(VALU_DEP_2) | instskip(NEXT) | instid1(VALU_DEP_1)
	v_cmp_gt_u32_e64 s2, s23, v5
	s_and_b32 s42, s2, vcc_lo
	s_delay_alu instid0(SALU_CYCLE_1)
	s_and_saveexec_b32 s2, s42
	s_cbranch_execz .LBB268_21
; %bb.23:                               ;   in Loop: Header=BB268_22 Depth=3
	v_lshlrev_b64 v[5:6], 1, v[51:52]
	v_add_nc_u32_e32 v51, s40, v2
	v_add_nc_u32_e32 v21, s38, v4
	;; [unrolled: 1-line block ×3, first 2 shown]
	s_delay_alu instid0(VALU_DEP_3) | instskip(SKIP_3) | instid1(VALU_DEP_3)
	v_lshlrev_b64 v[7:8], 1, v[51:52]
	v_add_nc_u32_e32 v51, s40, v0
	v_add_co_u32 v5, vcc_lo, s8, v5
	v_add_co_ci_u32_e32 v6, vcc_lo, s9, v6, vcc_lo
	v_lshlrev_b64 v[13:14], 1, v[51:52]
	v_add_nc_u32_e32 v51, s40, v1
	v_add_co_u32 v9, vcc_lo, s8, v7
	v_add_co_ci_u32_e32 v10, vcc_lo, s9, v8, vcc_lo
	s_delay_alu instid0(VALU_DEP_3)
	v_lshlrev_b64 v[15:16], 1, v[51:52]
	v_add_co_u32 v13, vcc_lo, s8, v13
	v_add_co_ci_u32_e32 v14, vcc_lo, s9, v14, vcc_lo
	s_clause 0x1
	global_load_b128 v[5:8], v[5:6], off
	global_load_b128 v[9:12], v[9:10], off
	v_add_co_u32 v17, vcc_lo, s8, v15
	v_add_co_ci_u32_e32 v18, vcc_lo, s9, v16, vcc_lo
	s_clause 0x1
	global_load_b128 v[13:16], v[13:14], off
	global_load_b128 v[17:20], v[17:18], off
	s_add_i32 s40, s40, s25
	s_waitcnt vmcnt(3)
	ds_store_b128 v4, v[5:8]
	s_waitcnt vmcnt(2)
	ds_store_2addr_b64 v21, v[9:10], v[11:12] offset1:1
	s_cmp_ge_u32 s40, s23
	v_add_nc_u32_e32 v5, s5, v4
	s_cselect_b32 s42, -1, 0
	v_add_nc_u32_e32 v4, s20, v4
	s_and_not1_b32 s41, s41, exec_lo
	s_and_b32 s42, s42, exec_lo
	s_waitcnt vmcnt(1)
	ds_store_2addr_b32 v22, v13, v14 offset1:1
	ds_store_2addr_b32 v22, v15, v16 offset0:2 offset1:3
	s_or_b32 s41, s41, s42
	s_waitcnt vmcnt(0)
	ds_store_2addr_b64 v5, v[17:18], v[19:20] offset1:1
	s_branch .LBB268_21
.LBB268_24:                             ;   in Loop: Header=BB268_17 Depth=2
	s_or_b32 exec_lo, exec_lo, s39
.LBB268_25:                             ;   in Loop: Header=BB268_17 Depth=2
	s_waitcnt lgkmcnt(0)
	s_barrier
	buffer_gl0_inv
	s_and_saveexec_b32 s2, s1
	s_cbranch_execz .LBB268_16
.LBB268_26:                             ;   in Loop: Header=BB268_17 Depth=2
	v_add_nc_u32_e32 v73, s15, v60
	s_waitcnt vmcnt(2)
	v_dual_mov_b32 v15, 0 :: v_dual_mov_b32 v14, 0
	v_dual_mov_b32 v13, 0 :: v_dual_mov_b32 v12, 0
	s_delay_alu instid0(VALU_DEP_3) | instskip(SKIP_3) | instid1(VALU_DEP_4)
	v_min_u32_e32 v51, s26, v73
	v_dual_mov_b32 v23, 0 :: v_dual_add_nc_u32 v74, 0x200, v73
	v_dual_mov_b32 v22, 0 :: v_dual_mov_b32 v21, 0
	v_mov_b32_e32 v20, 0
	v_lshlrev_b64 v[0:1], 1, v[51:52]
	s_delay_alu instid0(VALU_DEP_4) | instskip(SKIP_2) | instid1(VALU_DEP_4)
	v_min_u32_e32 v51, s26, v74
	v_dual_mov_b32 v27, 0 :: v_dual_mov_b32 v26, 0
	v_dual_mov_b32 v25, 0 :: v_dual_mov_b32 v24, 0
	v_add_co_u32 v4, vcc_lo, s6, v0
	v_add_co_ci_u32_e32 v5, vcc_lo, s7, v1, vcc_lo
	v_lshlrev_b64 v[0:1], 1, v[51:52]
	s_delay_alu instid0(VALU_DEP_3) | instskip(SKIP_1) | instid1(VALU_DEP_3)
	v_add_co_u32 v2, vcc_lo, v4, v55
	s_waitcnt lgkmcnt(0)
	v_add_co_ci_u32_e32 v3, vcc_lo, v5, v56, vcc_lo
	v_dual_mov_b32 v31, 0 :: v_dual_mov_b32 v30, 0
	s_waitcnt vmcnt(0)
	v_add_co_u32 v6, vcc_lo, s6, v0
	v_add_co_ci_u32_e32 v7, vcc_lo, s7, v1, vcc_lo
	v_add_co_u32 v0, vcc_lo, v4, v57
	v_add_co_ci_u32_e32 v1, vcc_lo, v5, v58, vcc_lo
	s_delay_alu instid0(VALU_DEP_4) | instskip(NEXT) | instid1(VALU_DEP_4)
	v_add_co_u32 v4, vcc_lo, v6, v55
	v_add_co_ci_u32_e32 v5, vcc_lo, v7, v56, vcc_lo
	v_add_co_u32 v6, vcc_lo, v6, v57
	v_add_co_ci_u32_e32 v7, vcc_lo, v7, v58, vcc_lo
	s_clause 0x3
	global_load_b128 v[40:43], v[2:3], off slc dlc
	global_load_b128 v[32:35], v[0:1], off slc dlc
	;; [unrolled: 1-line block ×4, first 2 shown]
	v_dual_mov_b32 v3, 0 :: v_dual_mov_b32 v2, 0
	v_cmp_gt_u32_e32 vcc_lo, s16, v73
	v_dual_mov_b32 v1, 0 :: v_dual_mov_b32 v0, 0
	v_dual_mov_b32 v7, 0 :: v_dual_mov_b32 v6, 0
	;; [unrolled: 1-line block ×8, first 2 shown]
	s_and_saveexec_b32 s39, vcc_lo
	s_cbranch_execz .LBB268_15
; %bb.27:                               ;   in Loop: Header=BB268_17 Depth=2
	v_subrev_nc_u32_e32 v0, s14, v73
	v_cmp_gt_u32_e32 vcc_lo, s16, v74
	v_dual_mov_b32 v23, 0 :: v_dual_mov_b32 v14, 0
	v_dual_mov_b32 v13, 0 :: v_dual_mov_b32 v4, 0
	s_delay_alu instid0(VALU_DEP_4) | instskip(SKIP_1) | instid1(VALU_DEP_2)
	v_dual_mov_b32 v21, 0 :: v_dual_lshlrev_b32 v76, 1, v0
	v_dual_mov_b32 v15, 0 :: v_dual_mov_b32 v6, 0
	v_dual_mov_b32 v20, 0 :: v_dual_add_nc_u32 v75, s38, v76
	v_dual_mov_b32 v5, 0 :: v_dual_mov_b32 v0, 0
	v_dual_mov_b32 v7, 0 :: v_dual_mov_b32 v2, 0
	s_delay_alu instid0(VALU_DEP_3) | instskip(SKIP_2) | instid1(VALU_DEP_3)
	v_dual_mov_b32 v22, 0 :: v_dual_add_nc_u32 v73, s38, v75
	v_mov_b32_e32 v1, 0
	v_dual_mov_b32 v3, 0 :: v_dual_mov_b32 v12, 0
	v_add_nc_u32_e32 v51, s38, v73
	ds_load_b128 v[44:47], v76
	ds_load_b128 v[36:39], v75
	;; [unrolled: 1-line block ×4, first 2 shown]
	s_and_saveexec_b32 s40, vcc_lo
	s_cbranch_execz .LBB268_14
; %bb.28:                               ;   in Loop: Header=BB268_17 Depth=2
	ds_load_b128 v[20:23], v76 offset:1024
	ds_load_b128 v[12:15], v75 offset:1024
	;; [unrolled: 1-line block ×4, first 2 shown]
	s_branch .LBB268_14
.LBB268_29:                             ;   in Loop: Header=BB268_12 Depth=1
	s_mov_b32 s1, exec_lo
	v_cmpx_le_u32_e64 s19, v50
	s_xor_b32 s1, exec_lo, s1
; %bb.30:                               ;   in Loop: Header=BB268_12 Depth=1
	v_add_nc_u32_e32 v50, s28, v50
                                        ; implicit-def: $vgpr65
                                        ; implicit-def: $vgpr66
                                        ; implicit-def: $vgpr67
                                        ; implicit-def: $vgpr68
                                        ; implicit-def: $vgpr70
                                        ; implicit-def: $vgpr71
                                        ; implicit-def: $vgpr69
                                        ; implicit-def: $vgpr72
; %bb.31:                               ;   in Loop: Header=BB268_12 Depth=1
	s_and_not1_saveexec_b32 s39, s1
	s_cbranch_execz .LBB268_11
; %bb.32:                               ;   in Loop: Header=BB268_12 Depth=1
	v_cvt_i32_f32_e32 v0, v72
	s_waitcnt lgkmcnt(2)
	v_cvt_i32_f32_e32 v1, v69
	v_cvt_i32_f32_e32 v2, v71
	s_waitcnt lgkmcnt(0)
	v_xor_b32_e32 v3, 16, v59
	s_waitcnt vmcnt(0)
	v_cvt_i32_f32_e32 v6, v67
	v_cvt_f32_i32_dpp v0, v0 row_shr:8 row_mask:0xf bank_mask:0xf bound_ctrl:1
	v_cvt_f32_i32_dpp v1, v1 row_shr:8 row_mask:0xf bank_mask:0xf bound_ctrl:1
	;; [unrolled: 1-line block ×3, first 2 shown]
	v_cmp_gt_i32_e32 vcc_lo, 32, v3
	v_cvt_i32_f32_e32 v10, v66
	s_delay_alu instid0(VALU_DEP_4) | instskip(SKIP_2) | instid1(VALU_DEP_4)
	v_dual_add_f32 v0, v72, v0 :: v_dual_add_f32 v1, v69, v1
	v_cvt_i32_f32_e32 v4, v70
	v_cvt_f32_i32_dpp v6, v6 row_shr:8 row_mask:0xf bank_mask:0xf bound_ctrl:1
	v_cvt_f32_i32_dpp v10, v10 row_shr:8 row_mask:0xf bank_mask:0xf bound_ctrl:1
	s_delay_alu instid0(VALU_DEP_4)
	v_cvt_i32_f32_e32 v7, v0
	v_cvt_i32_f32_e32 v8, v1
	;; [unrolled: 1-line block ×3, first 2 shown]
	v_cvt_f32_i32_dpp v4, v4 row_shr:8 row_mask:0xf bank_mask:0xf bound_ctrl:1
	v_add_f32_e32 v6, v67, v6
	v_cvt_f32_i32_dpp v7, v7 row_shr:4 row_mask:0xf bank_mask:0xf bound_ctrl:1
	v_cvt_f32_i32_dpp v8, v8 row_shr:4 row_mask:0xf bank_mask:0xf bound_ctrl:1
	v_add_f32_e32 v2, v71, v2
	v_cvt_i32_f32_e32 v5, v68
	v_cvt_f32_i32_dpp v11, v11 row_shr:8 row_mask:0xf bank_mask:0xf bound_ctrl:1
	s_delay_alu instid0(VALU_DEP_4) | instskip(NEXT) | instid1(VALU_DEP_4)
	v_add_f32_e32 v1, v1, v8
	v_cvt_i32_f32_e32 v9, v2
	s_delay_alu instid0(VALU_DEP_4) | instskip(NEXT) | instid1(VALU_DEP_3)
	v_cvt_f32_i32_dpp v5, v5 row_shr:8 row_mask:0xf bank_mask:0xf bound_ctrl:1
	v_cvt_i32_f32_e32 v8, v1
	s_delay_alu instid0(VALU_DEP_3) | instskip(SKIP_1) | instid1(VALU_DEP_3)
	v_cvt_f32_i32_dpp v9, v9 row_shr:4 row_mask:0xf bank_mask:0xf bound_ctrl:1
	v_cndmask_b32_e32 v3, v59, v3, vcc_lo
	v_cvt_f32_i32_dpp v8, v8 row_shr:2 row_mask:0xf bank_mask:0xf bound_ctrl:1
	s_delay_alu instid0(VALU_DEP_3) | instskip(SKIP_1) | instid1(VALU_DEP_4)
	v_add_f32_e32 v2, v2, v9
	v_add_f32_e32 v0, v0, v7
	v_dual_add_f32 v3, v70, v4 :: v_dual_lshlrev_b32 v14, 2, v3
	s_delay_alu instid0(VALU_DEP_4) | instskip(NEXT) | instid1(VALU_DEP_4)
	v_add_f32_e32 v1, v1, v8
	v_cvt_i32_f32_e32 v9, v2
	s_delay_alu instid0(VALU_DEP_4) | instskip(NEXT) | instid1(VALU_DEP_2)
	v_cvt_i32_f32_e32 v7, v0
	v_cvt_f32_i32_dpp v9, v9 row_shr:2 row_mask:0xf bank_mask:0xf bound_ctrl:1
	s_delay_alu instid0(VALU_DEP_2) | instskip(NEXT) | instid1(VALU_DEP_1)
	v_cvt_f32_i32_dpp v7, v7 row_shr:2 row_mask:0xf bank_mask:0xf bound_ctrl:1
	v_add_f32_e32 v0, v0, v7
	v_cvt_i32_f32_e32 v7, v1
	s_delay_alu instid0(VALU_DEP_1) | instskip(SKIP_2) | instid1(VALU_DEP_3)
	v_cvt_f32_i32_dpp v7, v7 row_shr:1 row_mask:0xf bank_mask:0xf bound_ctrl:1
	v_add_f32_e32 v2, v2, v9
	v_add_f32_e32 v9, v66, v10
	;; [unrolled: 1-line block ×3, first 2 shown]
	v_cvt_i32_f32_e32 v1, v6
	s_delay_alu instid0(VALU_DEP_4)
	v_cvt_i32_f32_e32 v8, v2
	ds_bpermute_b32 v16, v14, v15
	v_cvt_f32_i32_dpp v1, v1 row_shr:4 row_mask:0xf bank_mask:0xf bound_ctrl:1
	v_add_f32_e32 v10, v65, v11
	v_cvt_i32_f32_e32 v11, v3
	v_cvt_f32_i32_dpp v8, v8 row_shr:1 row_mask:0xf bank_mask:0xf bound_ctrl:1
	s_delay_alu instid0(VALU_DEP_4) | instskip(NEXT) | instid1(VALU_DEP_3)
	v_add_f32_e32 v1, v6, v1
	v_cvt_f32_i32_dpp v7, v11 row_shr:4 row_mask:0xf bank_mask:0xf bound_ctrl:1
	v_add_f32_e32 v4, v68, v5
	v_cvt_i32_f32_e32 v5, v0
	s_delay_alu instid0(VALU_DEP_3) | instskip(SKIP_1) | instid1(VALU_DEP_3)
	v_add_f32_e32 v3, v3, v7
	v_cvt_i32_f32_e32 v7, v1
	v_cvt_f32_i32_dpp v5, v5 row_shr:1 row_mask:0xf bank_mask:0xf bound_ctrl:1
	s_delay_alu instid0(VALU_DEP_2) | instskip(NEXT) | instid1(VALU_DEP_2)
	v_cvt_f32_i32_dpp v7, v7 row_shr:2 row_mask:0xf bank_mask:0xf bound_ctrl:1
	v_add_f32_e32 v18, v0, v5
	v_cvt_i32_f32_e32 v0, v4
	v_cvt_i32_f32_e32 v5, v10
	s_delay_alu instid0(VALU_DEP_4) | instskip(SKIP_4) | instid1(VALU_DEP_3)
	v_add_f32_e32 v1, v1, v7
	ds_bpermute_b32 v19, v14, v18
	v_cvt_f32_i32_dpp v0, v0 row_shr:4 row_mask:0xf bank_mask:0xf bound_ctrl:1
	v_cvt_f32_i32_dpp v5, v5 row_shr:4 row_mask:0xf bank_mask:0xf bound_ctrl:1
	v_cvt_i32_f32_e32 v7, v1
	v_add_f32_e32 v0, v4, v0
	s_delay_alu instid0(VALU_DEP_2) | instskip(NEXT) | instid1(VALU_DEP_2)
	v_cvt_f32_i32_dpp v11, v7 row_shr:1 row_mask:0xf bank_mask:0xf bound_ctrl:1
	v_cvt_i32_f32_e32 v6, v0
	s_delay_alu instid0(VALU_DEP_1) | instskip(NEXT) | instid1(VALU_DEP_1)
	v_cvt_f32_i32_dpp v6, v6 row_shr:2 row_mask:0xf bank_mask:0xf bound_ctrl:1
	v_add_f32_e32 v0, v0, v6
	s_delay_alu instid0(VALU_DEP_1) | instskip(NEXT) | instid1(VALU_DEP_1)
	v_cvt_i32_f32_e32 v6, v0
	v_cvt_f32_i32_dpp v6, v6 row_shr:1 row_mask:0xf bank_mask:0xf bound_ctrl:1
	v_add_f32_e32 v4, v10, v5
	v_cvt_i32_f32_e32 v5, v3
	s_delay_alu instid0(VALU_DEP_3) | instskip(NEXT) | instid1(VALU_DEP_2)
	v_add_f32_e32 v7, v0, v6
	v_cvt_f32_i32_dpp v5, v5 row_shr:2 row_mask:0xf bank_mask:0xf bound_ctrl:1
	v_add_f32_e32 v12, v2, v8
	v_cvt_i32_f32_e32 v2, v9
	s_delay_alu instid0(VALU_DEP_3) | instskip(SKIP_2) | instid1(VALU_DEP_1)
	v_add_f32_e32 v3, v3, v5
	ds_bpermute_b32 v13, v14, v12
	v_cvt_f32_i32_dpp v2, v2 row_shr:4 row_mask:0xf bank_mask:0xf bound_ctrl:1
	v_add_f32_e32 v2, v9, v2
	v_cvt_i32_f32_e32 v9, v4
	s_delay_alu instid0(VALU_DEP_1) | instskip(NEXT) | instid1(VALU_DEP_1)
	v_cvt_f32_i32_dpp v9, v9 row_shr:2 row_mask:0xf bank_mask:0xf bound_ctrl:1
	v_add_f32_e32 v5, v4, v9
	s_delay_alu instid0(VALU_DEP_4) | instskip(SKIP_1) | instid1(VALU_DEP_3)
	v_cvt_i32_f32_e32 v8, v2
	v_cvt_i32_f32_e32 v4, v3
	;; [unrolled: 1-line block ×3, first 2 shown]
	s_delay_alu instid0(VALU_DEP_3) | instskip(NEXT) | instid1(VALU_DEP_3)
	v_cvt_f32_i32_dpp v8, v8 row_shr:2 row_mask:0xf bank_mask:0xf bound_ctrl:1
	v_cvt_f32_i32_dpp v4, v4 row_shr:1 row_mask:0xf bank_mask:0xf bound_ctrl:1
	s_delay_alu instid0(VALU_DEP_3) | instskip(NEXT) | instid1(VALU_DEP_3)
	v_cvt_f32_i32_dpp v9, v9 row_shr:1 row_mask:0xf bank_mask:0xf bound_ctrl:1
	v_add_f32_e32 v2, v2, v8
	s_delay_alu instid0(VALU_DEP_3) | instskip(SKIP_1) | instid1(VALU_DEP_4)
	v_add_f32_e32 v10, v3, v4
	v_add_f32_e32 v4, v1, v11
	;; [unrolled: 1-line block ×3, first 2 shown]
	s_delay_alu instid0(VALU_DEP_4) | instskip(SKIP_4) | instid1(VALU_DEP_1)
	v_cvt_i32_f32_e32 v8, v2
	ds_bpermute_b32 v11, v14, v10
	ds_bpermute_b32 v5, v14, v4
	ds_bpermute_b32 v1, v14, v0
	v_cvt_f32_i32_dpp v8, v8 row_shr:1 row_mask:0xf bank_mask:0xf bound_ctrl:1
	v_add_f32_e32 v2, v2, v8
	ds_bpermute_b32 v8, v14, v7
	ds_bpermute_b32 v3, v14, v2
	s_and_saveexec_b32 s14, s0
	s_cbranch_execz .LBB268_83
; %bb.33:                               ;   in Loop: Header=BB268_12 Depth=1
	v_dual_mov_b32 v23, 0 :: v_dual_mov_b32 v22, 0
	v_dual_mov_b32 v21, 0 :: v_dual_mov_b32 v20, 0
	v_dual_mov_b32 v17, 0 :: v_dual_mov_b32 v14, 0
	v_dual_mov_b32 v9, 0 :: v_dual_mov_b32 v6, 0
	s_and_not1_b32 vcc_lo, exec_lo, s29
	s_cbranch_vccnz .LBB268_35
; %bb.34:                               ;   in Loop: Header=BB268_12 Depth=1
	v_dual_mov_b32 v21, v52 :: v_dual_add_nc_u32 v6, 1, v50
	v_mul_hi_u32 v9, v50, v64
	s_delay_alu instid0(VALU_DEP_2) | instskip(NEXT) | instid1(VALU_DEP_2)
	v_mul_hi_u32 v14, v6, v64
	v_mul_lo_u32 v9, v9, s4
	s_delay_alu instid0(VALU_DEP_2) | instskip(NEXT) | instid1(VALU_DEP_2)
	v_mul_lo_u32 v14, v14, s4
	v_sub_nc_u32_e32 v9, v50, v9
	s_delay_alu instid0(VALU_DEP_2) | instskip(NEXT) | instid1(VALU_DEP_2)
	v_sub_nc_u32_e32 v6, v6, v14
	v_subrev_nc_u32_e32 v14, s4, v9
	v_cmp_le_u32_e32 vcc_lo, s4, v9
	s_delay_alu instid0(VALU_DEP_3) | instskip(NEXT) | instid1(VALU_DEP_3)
	v_subrev_nc_u32_e32 v17, s4, v6
	v_cndmask_b32_e32 v9, v9, v14, vcc_lo
	v_cmp_le_u32_e32 vcc_lo, s4, v6
	s_delay_alu instid0(VALU_DEP_3) | instskip(NEXT) | instid1(VALU_DEP_3)
	v_cndmask_b32_e32 v6, v6, v17, vcc_lo
	v_subrev_nc_u32_e32 v14, s4, v9
	v_cmp_le_u32_e32 vcc_lo, s4, v9
	v_mov_b32_e32 v24, v52
	s_delay_alu instid0(VALU_DEP_4) | instskip(NEXT) | instid1(VALU_DEP_4)
	v_subrev_nc_u32_e32 v17, s4, v6
	v_cndmask_b32_e32 v51, v9, v14, vcc_lo
	v_cmp_le_u32_e32 vcc_lo, s4, v6
	v_mov_b32_e32 v23, v52
	v_mov_b32_e32 v27, v52
	s_delay_alu instid0(VALU_DEP_4)
	v_dual_mov_b32 v26, v52 :: v_dual_add_nc_u32 v25, s33, v51
	v_cndmask_b32_e32 v20, v6, v17, vcc_lo
	v_lshlrev_b64 v[28:29], 1, v[51:52]
	v_add_nc_u32_e32 v22, s31, v51
	v_add_nc_u32_e32 v51, s37, v51
	v_lshlrev_b64 v[32:33], 1, v[25:26]
	v_lshlrev_b64 v[30:31], 1, v[20:21]
	v_add_nc_u32_e32 v26, s33, v20
	v_lshlrev_b64 v[21:22], 1, v[22:23]
	v_add_co_u32 v28, vcc_lo, s10, v28
	v_add_nc_u32_e32 v23, s31, v20
	v_add_co_ci_u32_e32 v29, vcc_lo, s11, v29, vcc_lo
	v_add_co_u32 v30, vcc_lo, s10, v30
	v_add_co_ci_u32_e32 v31, vcc_lo, s11, v31, vcc_lo
	v_lshlrev_b64 v[34:35], 1, v[51:52]
	v_add_nc_u32_e32 v51, s37, v20
	v_lshlrev_b64 v[23:24], 1, v[23:24]
	v_add_co_u32 v20, vcc_lo, s10, v21
	v_add_co_ci_u32_e32 v21, vcc_lo, s11, v22, vcc_lo
	v_lshlrev_b64 v[25:26], 1, v[26:27]
	v_add_co_u32 v32, vcc_lo, s10, v32
	v_add_co_ci_u32_e32 v33, vcc_lo, s11, v33, vcc_lo
	v_add_co_u32 v36, vcc_lo, s10, v23
	v_add_co_ci_u32_e32 v37, vcc_lo, s11, v24, vcc_lo
	v_add_co_u32 v24, vcc_lo, s10, v25
	v_lshlrev_b64 v[22:23], 1, v[51:52]
	v_add_co_ci_u32_e32 v25, vcc_lo, s11, v26, vcc_lo
	v_add_co_u32 v26, vcc_lo, s10, v34
	v_add_co_ci_u32_e32 v27, vcc_lo, s11, v35, vcc_lo
	s_delay_alu instid0(VALU_DEP_4)
	v_add_co_u32 v34, vcc_lo, s10, v22
	v_add_co_ci_u32_e32 v35, vcc_lo, s11, v23, vcc_lo
	s_clause 0x7
	global_load_u16 v23, v[28:29], off
	global_load_u16 v22, v[30:31], off
	;; [unrolled: 1-line block ×8, first 2 shown]
.LBB268_35:                             ;   in Loop: Header=BB268_12 Depth=1
	v_cmp_ne_u32_e32 vcc_lo, 0, v48
	s_and_saveexec_b32 s2, vcc_lo
	s_cbranch_execnz .LBB268_43
; %bb.36:                               ;   in Loop: Header=BB268_12 Depth=1
	s_or_b32 exec_lo, exec_lo, s2
	v_cmp_ne_u32_e64 s1, 0, v49
	s_delay_alu instid0(VALU_DEP_1)
	s_and_saveexec_b32 s15, s1
	s_cbranch_execnz .LBB268_48
.LBB268_37:                             ;   in Loop: Header=BB268_12 Depth=1
	s_or_b32 exec_lo, exec_lo, s15
	v_add_nc_u32_e32 v51, s19, v50
	s_and_saveexec_b32 s15, vcc_lo
	s_cbranch_execnz .LBB268_53
.LBB268_38:                             ;   in Loop: Header=BB268_12 Depth=1
	s_or_b32 exec_lo, exec_lo, s15
	s_and_saveexec_b32 s15, s1
	s_cbranch_execnz .LBB268_58
.LBB268_39:                             ;   in Loop: Header=BB268_12 Depth=1
	s_or_b32 exec_lo, exec_lo, s15
	v_add_nc_u32_e32 v51, s19, v51
	s_and_saveexec_b32 s15, vcc_lo
	s_cbranch_execnz .LBB268_63
.LBB268_40:                             ;   in Loop: Header=BB268_12 Depth=1
	s_or_b32 exec_lo, exec_lo, s15
	s_and_saveexec_b32 s15, s1
	s_cbranch_execnz .LBB268_68
.LBB268_41:                             ;   in Loop: Header=BB268_12 Depth=1
	s_or_b32 exec_lo, exec_lo, s15
	v_add_nc_u32_e32 v51, s19, v51
	s_and_saveexec_b32 s2, vcc_lo
	s_cbranch_execnz .LBB268_73
.LBB268_42:                             ;   in Loop: Header=BB268_12 Depth=1
	s_or_b32 exec_lo, exec_lo, s2
	s_delay_alu instid0(SALU_CYCLE_1)
	s_and_b32 exec_lo, exec_lo, s1
	s_cbranch_execnz .LBB268_78
	s_branch .LBB268_83
.LBB268_43:                             ;   in Loop: Header=BB268_12 Depth=1
	s_waitcnt lgkmcnt(6)
	v_add_f32_e32 v18, v18, v19
	s_waitcnt vmcnt(7)
	v_lshlrev_b32_e32 v19, 16, v23
	s_delay_alu instid0(VALU_DEP_1) | instskip(NEXT) | instid1(VALU_DEP_1)
	v_add_f32_e32 v19, v18, v19
	v_and_b32_e32 v18, 0x7f800000, v19
	s_delay_alu instid0(VALU_DEP_1) | instskip(NEXT) | instid1(VALU_DEP_1)
	v_cmp_ne_u32_e64 s1, 0x7f800000, v18
                                        ; implicit-def: $vgpr18
	s_and_saveexec_b32 s15, s1
	s_delay_alu instid0(SALU_CYCLE_1)
	s_xor_b32 s1, exec_lo, s15
; %bb.44:                               ;   in Loop: Header=BB268_12 Depth=1
	v_bfe_u32 v18, v19, 16, 1
	s_delay_alu instid0(VALU_DEP_1)
	v_add3_u32 v18, v19, v18, 0x7fff
                                        ; implicit-def: $vgpr19
; %bb.45:                               ;   in Loop: Header=BB268_12 Depth=1
	s_and_not1_saveexec_b32 s15, s1
; %bb.46:                               ;   in Loop: Header=BB268_12 Depth=1
	v_and_b32_e32 v18, 0xffff, v19
	v_or_b32_e32 v23, 0x10000, v19
	s_delay_alu instid0(VALU_DEP_2) | instskip(NEXT) | instid1(VALU_DEP_1)
	v_cmp_eq_u32_e64 s1, 0, v18
	v_cndmask_b32_e64 v18, v23, v19, s1
; %bb.47:                               ;   in Loop: Header=BB268_12 Depth=1
	s_or_b32 exec_lo, exec_lo, s15
	v_mov_b32_e32 v51, v52
	s_delay_alu instid0(VALU_DEP_1) | instskip(NEXT) | instid1(VALU_DEP_1)
	v_lshlrev_b64 v[23:24], 1, v[50:51]
	v_add_co_u32 v23, s1, s12, v23
	s_delay_alu instid0(VALU_DEP_1) | instskip(SKIP_3) | instid1(VALU_DEP_1)
	v_add_co_ci_u32_e64 v24, s1, s13, v24, s1
	global_store_d16_hi_b16 v[23:24], v18, off
	s_or_b32 exec_lo, exec_lo, s2
	v_cmp_ne_u32_e64 s1, 0, v49
	s_and_saveexec_b32 s15, s1
	s_cbranch_execz .LBB268_37
.LBB268_48:                             ;   in Loop: Header=BB268_12 Depth=1
	s_waitcnt vmcnt(6) lgkmcnt(7)
	v_dual_add_f32 v15, v15, v16 :: v_dual_lshlrev_b32 v16, 16, v22
	s_delay_alu instid0(VALU_DEP_1) | instskip(NEXT) | instid1(VALU_DEP_1)
	v_add_f32_e32 v16, v15, v16
	v_and_b32_e32 v15, 0x7f800000, v16
	s_delay_alu instid0(VALU_DEP_1) | instskip(NEXT) | instid1(VALU_DEP_1)
	v_cmp_ne_u32_e64 s2, 0x7f800000, v15
                                        ; implicit-def: $vgpr15
	s_and_saveexec_b32 s40, s2
	s_delay_alu instid0(SALU_CYCLE_1)
	s_xor_b32 s2, exec_lo, s40
; %bb.49:                               ;   in Loop: Header=BB268_12 Depth=1
	v_bfe_u32 v15, v16, 16, 1
	s_delay_alu instid0(VALU_DEP_1)
	v_add3_u32 v15, v16, v15, 0x7fff
                                        ; implicit-def: $vgpr16
; %bb.50:                               ;   in Loop: Header=BB268_12 Depth=1
	s_and_not1_saveexec_b32 s40, s2
; %bb.51:                               ;   in Loop: Header=BB268_12 Depth=1
	v_and_b32_e32 v15, 0xffff, v16
	v_or_b32_e32 v18, 0x10000, v16
	s_delay_alu instid0(VALU_DEP_2) | instskip(NEXT) | instid1(VALU_DEP_1)
	v_cmp_eq_u32_e64 s2, 0, v15
	v_cndmask_b32_e64 v15, v18, v16, s2
; %bb.52:                               ;   in Loop: Header=BB268_12 Depth=1
	s_or_b32 exec_lo, exec_lo, s40
	v_mov_b32_e32 v51, v52
	s_waitcnt lgkmcnt(6)
	s_delay_alu instid0(VALU_DEP_1) | instskip(NEXT) | instid1(VALU_DEP_1)
	v_lshlrev_b64 v[18:19], 1, v[50:51]
	v_add_co_u32 v18, s2, s34, v18
	s_delay_alu instid0(VALU_DEP_1)
	v_add_co_ci_u32_e64 v19, s2, s35, v19, s2
	global_store_d16_hi_b16 v[18:19], v15, off
	s_or_b32 exec_lo, exec_lo, s15
	v_add_nc_u32_e32 v51, s19, v50
	s_and_saveexec_b32 s15, vcc_lo
	s_cbranch_execz .LBB268_38
.LBB268_53:                             ;   in Loop: Header=BB268_12 Depth=1
	s_waitcnt lgkmcnt(5)
	v_add_f32_e32 v12, v12, v13
	s_waitcnt vmcnt(5)
	v_lshlrev_b32_e32 v13, 16, v21
	s_delay_alu instid0(VALU_DEP_1) | instskip(NEXT) | instid1(VALU_DEP_1)
	v_add_f32_e32 v13, v12, v13
	v_and_b32_e32 v12, 0x7f800000, v13
	s_delay_alu instid0(VALU_DEP_1) | instskip(NEXT) | instid1(VALU_DEP_1)
	v_cmp_ne_u32_e64 s2, 0x7f800000, v12
                                        ; implicit-def: $vgpr12
	s_and_saveexec_b32 s40, s2
	s_delay_alu instid0(SALU_CYCLE_1)
	s_xor_b32 s2, exec_lo, s40
; %bb.54:                               ;   in Loop: Header=BB268_12 Depth=1
	v_bfe_u32 v12, v13, 16, 1
	s_delay_alu instid0(VALU_DEP_1)
	v_add3_u32 v12, v13, v12, 0x7fff
                                        ; implicit-def: $vgpr13
; %bb.55:                               ;   in Loop: Header=BB268_12 Depth=1
	s_and_not1_saveexec_b32 s40, s2
; %bb.56:                               ;   in Loop: Header=BB268_12 Depth=1
	v_and_b32_e32 v12, 0xffff, v13
	v_or_b32_e32 v15, 0x10000, v13
	s_delay_alu instid0(VALU_DEP_2) | instskip(NEXT) | instid1(VALU_DEP_1)
	v_cmp_eq_u32_e64 s2, 0, v12
	v_cndmask_b32_e64 v12, v15, v13, s2
; %bb.57:                               ;   in Loop: Header=BB268_12 Depth=1
	s_or_b32 exec_lo, exec_lo, s40
	v_lshlrev_b64 v[15:16], 1, v[51:52]
	s_delay_alu instid0(VALU_DEP_1) | instskip(NEXT) | instid1(VALU_DEP_1)
	v_add_co_u32 v15, s2, s12, v15
	v_add_co_ci_u32_e64 v16, s2, s13, v16, s2
	global_store_d16_hi_b16 v[15:16], v12, off
	s_or_b32 exec_lo, exec_lo, s15
	s_and_saveexec_b32 s15, s1
	s_cbranch_execz .LBB268_39
.LBB268_58:                             ;   in Loop: Header=BB268_12 Depth=1
	s_waitcnt vmcnt(4) lgkmcnt(4)
	v_dual_add_f32 v10, v10, v11 :: v_dual_lshlrev_b32 v11, 16, v20
	s_delay_alu instid0(VALU_DEP_1) | instskip(NEXT) | instid1(VALU_DEP_1)
	v_add_f32_e32 v11, v10, v11
	v_and_b32_e32 v10, 0x7f800000, v11
	s_delay_alu instid0(VALU_DEP_1) | instskip(NEXT) | instid1(VALU_DEP_1)
	v_cmp_ne_u32_e64 s2, 0x7f800000, v10
                                        ; implicit-def: $vgpr10
	s_and_saveexec_b32 s40, s2
	s_delay_alu instid0(SALU_CYCLE_1)
	s_xor_b32 s2, exec_lo, s40
; %bb.59:                               ;   in Loop: Header=BB268_12 Depth=1
	v_bfe_u32 v10, v11, 16, 1
	s_delay_alu instid0(VALU_DEP_1)
	v_add3_u32 v10, v11, v10, 0x7fff
                                        ; implicit-def: $vgpr11
; %bb.60:                               ;   in Loop: Header=BB268_12 Depth=1
	s_and_not1_saveexec_b32 s40, s2
; %bb.61:                               ;   in Loop: Header=BB268_12 Depth=1
	v_and_b32_e32 v10, 0xffff, v11
	v_or_b32_e32 v12, 0x10000, v11
	s_delay_alu instid0(VALU_DEP_2) | instskip(NEXT) | instid1(VALU_DEP_1)
	v_cmp_eq_u32_e64 s2, 0, v10
	v_cndmask_b32_e64 v10, v12, v11, s2
; %bb.62:                               ;   in Loop: Header=BB268_12 Depth=1
	s_or_b32 exec_lo, exec_lo, s40
	v_dual_mov_b32 v12, v52 :: v_dual_add_nc_u32 v11, 1, v51
	s_delay_alu instid0(VALU_DEP_1) | instskip(NEXT) | instid1(VALU_DEP_1)
	v_lshlrev_b64 v[11:12], 1, v[11:12]
	v_add_co_u32 v11, s2, s12, v11
	s_delay_alu instid0(VALU_DEP_1)
	v_add_co_ci_u32_e64 v12, s2, s13, v12, s2
	global_store_d16_hi_b16 v[11:12], v10, off
	s_or_b32 exec_lo, exec_lo, s15
	v_add_nc_u32_e32 v51, s19, v51
	s_and_saveexec_b32 s15, vcc_lo
	s_cbranch_execz .LBB268_40
.LBB268_63:                             ;   in Loop: Header=BB268_12 Depth=1
	s_waitcnt vmcnt(3) lgkmcnt(1)
	v_dual_add_f32 v7, v7, v8 :: v_dual_lshlrev_b32 v8, 16, v17
	s_delay_alu instid0(VALU_DEP_1) | instskip(NEXT) | instid1(VALU_DEP_1)
	v_add_f32_e32 v8, v7, v8
	v_and_b32_e32 v7, 0x7f800000, v8
	s_delay_alu instid0(VALU_DEP_1) | instskip(NEXT) | instid1(VALU_DEP_1)
	v_cmp_ne_u32_e64 s2, 0x7f800000, v7
                                        ; implicit-def: $vgpr7
	s_and_saveexec_b32 s40, s2
	s_delay_alu instid0(SALU_CYCLE_1)
	s_xor_b32 s2, exec_lo, s40
; %bb.64:                               ;   in Loop: Header=BB268_12 Depth=1
	v_bfe_u32 v7, v8, 16, 1
	s_delay_alu instid0(VALU_DEP_1)
	v_add3_u32 v7, v8, v7, 0x7fff
                                        ; implicit-def: $vgpr8
; %bb.65:                               ;   in Loop: Header=BB268_12 Depth=1
	s_and_not1_saveexec_b32 s40, s2
; %bb.66:                               ;   in Loop: Header=BB268_12 Depth=1
	v_and_b32_e32 v7, 0xffff, v8
	v_or_b32_e32 v10, 0x10000, v8
	s_delay_alu instid0(VALU_DEP_2) | instskip(NEXT) | instid1(VALU_DEP_1)
	v_cmp_eq_u32_e64 s2, 0, v7
	v_cndmask_b32_e64 v7, v10, v8, s2
; %bb.67:                               ;   in Loop: Header=BB268_12 Depth=1
	s_or_b32 exec_lo, exec_lo, s40
	v_lshlrev_b64 v[10:11], 1, v[51:52]
	s_delay_alu instid0(VALU_DEP_1) | instskip(NEXT) | instid1(VALU_DEP_1)
	v_add_co_u32 v10, s2, s12, v10
	v_add_co_ci_u32_e64 v11, s2, s13, v11, s2
	global_store_d16_hi_b16 v[10:11], v7, off
	s_or_b32 exec_lo, exec_lo, s15
	s_and_saveexec_b32 s15, s1
	s_cbranch_execz .LBB268_41
.LBB268_68:                             ;   in Loop: Header=BB268_12 Depth=1
	s_waitcnt vmcnt(2) lgkmcnt(3)
	v_dual_add_f32 v4, v4, v5 :: v_dual_lshlrev_b32 v5, 16, v14
	s_delay_alu instid0(VALU_DEP_1) | instskip(NEXT) | instid1(VALU_DEP_1)
	v_add_f32_e32 v5, v4, v5
	v_and_b32_e32 v4, 0x7f800000, v5
	s_delay_alu instid0(VALU_DEP_1) | instskip(NEXT) | instid1(VALU_DEP_1)
	v_cmp_ne_u32_e64 s2, 0x7f800000, v4
                                        ; implicit-def: $vgpr4
	s_and_saveexec_b32 s40, s2
	s_delay_alu instid0(SALU_CYCLE_1)
	s_xor_b32 s2, exec_lo, s40
; %bb.69:                               ;   in Loop: Header=BB268_12 Depth=1
	v_bfe_u32 v4, v5, 16, 1
	s_delay_alu instid0(VALU_DEP_1)
	v_add3_u32 v4, v5, v4, 0x7fff
                                        ; implicit-def: $vgpr5
; %bb.70:                               ;   in Loop: Header=BB268_12 Depth=1
	s_and_not1_saveexec_b32 s40, s2
; %bb.71:                               ;   in Loop: Header=BB268_12 Depth=1
	v_and_b32_e32 v4, 0xffff, v5
	v_or_b32_e32 v7, 0x10000, v5
	s_delay_alu instid0(VALU_DEP_2) | instskip(NEXT) | instid1(VALU_DEP_1)
	v_cmp_eq_u32_e64 s2, 0, v4
	v_cndmask_b32_e64 v4, v7, v5, s2
; %bb.72:                               ;   in Loop: Header=BB268_12 Depth=1
	s_or_b32 exec_lo, exec_lo, s40
	s_waitcnt lgkmcnt(1)
	v_dual_mov_b32 v8, v52 :: v_dual_add_nc_u32 v7, 1, v51
	s_delay_alu instid0(VALU_DEP_1) | instskip(NEXT) | instid1(VALU_DEP_1)
	v_lshlrev_b64 v[7:8], 1, v[7:8]
	v_add_co_u32 v7, s2, s12, v7
	s_delay_alu instid0(VALU_DEP_1)
	v_add_co_ci_u32_e64 v8, s2, s13, v8, s2
	global_store_d16_hi_b16 v[7:8], v4, off
	s_or_b32 exec_lo, exec_lo, s15
	v_add_nc_u32_e32 v51, s19, v51
	s_and_saveexec_b32 s2, vcc_lo
	s_cbranch_execz .LBB268_42
.LBB268_73:                             ;   in Loop: Header=BB268_12 Depth=1
	s_waitcnt vmcnt(1) lgkmcnt(0)
	v_dual_add_f32 v2, v2, v3 :: v_dual_lshlrev_b32 v3, 16, v9
	s_delay_alu instid0(VALU_DEP_1) | instskip(NEXT) | instid1(VALU_DEP_1)
	v_add_f32_e32 v3, v2, v3
	v_and_b32_e32 v2, 0x7f800000, v3
	s_delay_alu instid0(VALU_DEP_1) | instskip(SKIP_1) | instid1(SALU_CYCLE_1)
	v_cmp_ne_u32_e32 vcc_lo, 0x7f800000, v2
                                        ; implicit-def: $vgpr2
	s_and_saveexec_b32 s15, vcc_lo
	s_xor_b32 s15, exec_lo, s15
; %bb.74:                               ;   in Loop: Header=BB268_12 Depth=1
	v_bfe_u32 v2, v3, 16, 1
	s_delay_alu instid0(VALU_DEP_1)
	v_add3_u32 v2, v3, v2, 0x7fff
                                        ; implicit-def: $vgpr3
; %bb.75:                               ;   in Loop: Header=BB268_12 Depth=1
	s_and_not1_saveexec_b32 s15, s15
; %bb.76:                               ;   in Loop: Header=BB268_12 Depth=1
	v_and_b32_e32 v2, 0xffff, v3
	v_or_b32_e32 v4, 0x10000, v3
	s_delay_alu instid0(VALU_DEP_2) | instskip(NEXT) | instid1(VALU_DEP_2)
	v_cmp_eq_u32_e32 vcc_lo, 0, v2
	v_cndmask_b32_e32 v2, v4, v3, vcc_lo
; %bb.77:                               ;   in Loop: Header=BB268_12 Depth=1
	s_or_b32 exec_lo, exec_lo, s15
	v_lshlrev_b64 v[3:4], 1, v[51:52]
	s_delay_alu instid0(VALU_DEP_1) | instskip(NEXT) | instid1(VALU_DEP_2)
	v_add_co_u32 v3, vcc_lo, s12, v3
	v_add_co_ci_u32_e32 v4, vcc_lo, s13, v4, vcc_lo
	global_store_d16_hi_b16 v[3:4], v2, off
	s_or_b32 exec_lo, exec_lo, s2
	s_delay_alu instid0(SALU_CYCLE_1)
	s_and_b32 exec_lo, exec_lo, s1
	s_cbranch_execz .LBB268_83
.LBB268_78:                             ;   in Loop: Header=BB268_12 Depth=1
	s_waitcnt vmcnt(0) lgkmcnt(2)
	v_dual_add_f32 v0, v0, v1 :: v_dual_lshlrev_b32 v1, 16, v6
	s_delay_alu instid0(VALU_DEP_1) | instskip(NEXT) | instid1(VALU_DEP_1)
	v_add_f32_e32 v1, v0, v1
	v_and_b32_e32 v0, 0x7f800000, v1
	s_delay_alu instid0(VALU_DEP_1) | instskip(SKIP_1) | instid1(SALU_CYCLE_1)
	v_cmp_ne_u32_e32 vcc_lo, 0x7f800000, v0
                                        ; implicit-def: $vgpr0
	s_and_saveexec_b32 s1, vcc_lo
	s_xor_b32 s1, exec_lo, s1
; %bb.79:                               ;   in Loop: Header=BB268_12 Depth=1
	v_bfe_u32 v0, v1, 16, 1
	s_delay_alu instid0(VALU_DEP_1)
	v_add3_u32 v0, v1, v0, 0x7fff
                                        ; implicit-def: $vgpr1
; %bb.80:                               ;   in Loop: Header=BB268_12 Depth=1
	s_and_not1_saveexec_b32 s1, s1
; %bb.81:                               ;   in Loop: Header=BB268_12 Depth=1
	v_and_b32_e32 v0, 0xffff, v1
	v_or_b32_e32 v2, 0x10000, v1
	s_delay_alu instid0(VALU_DEP_2) | instskip(NEXT) | instid1(VALU_DEP_2)
	v_cmp_eq_u32_e32 vcc_lo, 0, v0
	v_cndmask_b32_e32 v0, v2, v1, vcc_lo
; %bb.82:                               ;   in Loop: Header=BB268_12 Depth=1
	s_or_b32 exec_lo, exec_lo, s1
	v_add_nc_u32_e32 v51, 1, v51
	s_delay_alu instid0(VALU_DEP_1) | instskip(NEXT) | instid1(VALU_DEP_1)
	v_lshlrev_b64 v[1:2], 1, v[51:52]
	v_add_co_u32 v1, vcc_lo, s12, v1
	s_delay_alu instid0(VALU_DEP_2)
	v_add_co_ci_u32_e32 v2, vcc_lo, s13, v2, vcc_lo
	global_store_d16_hi_b16 v[1:2], v0, off
.LBB268_83:                             ;   in Loop: Header=BB268_12 Depth=1
	s_or_b32 exec_lo, exec_lo, s14
	v_add_nc_u32_e32 v50, s28, v50
	s_delay_alu instid0(VALU_DEP_1) | instskip(SKIP_1) | instid1(VALU_DEP_2)
	v_add_nc_u32_e32 v0, 2, v50
	v_cmp_gt_u32_e32 vcc_lo, s19, v50
	v_cmp_le_u32_e64 s1, s19, v0
	s_delay_alu instid0(VALU_DEP_1) | instskip(NEXT) | instid1(SALU_CYCLE_1)
	s_and_b32 s1, vcc_lo, s1
	s_and_saveexec_b32 s40, s1
	s_cbranch_execz .LBB268_10
; %bb.84:                               ;   in Loop: Header=BB268_12 Depth=1
	s_mov_b32 s41, exec_lo
	v_cmpx_ne_u32_e64 s30, v50
	s_cbranch_execz .LBB268_9
; %bb.85:                               ;   in Loop: Header=BB268_12 Depth=1
	v_subrev_nc_u32_e32 v0, s30, v50
	s_mov_b32 s42, 0
	s_mov_b64 s[14:15], 0
	s_delay_alu instid0(VALU_DEP_1)
	v_cmp_lt_u32_e32 vcc_lo, 1, v0
	v_cndmask_b32_e32 v0, 1, v0, vcc_lo
.LBB268_86:                             ;   Parent Loop BB268_12 Depth=1
                                        ; =>  This Inner Loop Header: Depth=2
	s_cmp_lg_u32 s14, 1
	s_cselect_b32 vcc_lo, -1, 0
	s_cmp_lg_u32 s14, 0
	v_cndmask_b32_e32 v49, 0, v49, vcc_lo
	s_cselect_b32 s1, -1, 0
	s_add_u32 s14, s14, 1
	v_cndmask_b32_e64 v48, 0, v48, s1
	v_cmp_eq_u32_e64 s2, s14, v0
	s_addc_u32 s15, s15, 0
	s_delay_alu instid0(VALU_DEP_1) | instskip(NEXT) | instid1(SALU_CYCLE_1)
	s_or_b32 s42, s2, s42
	s_and_not1_b32 exec_lo, exec_lo, s42
	s_cbranch_execnz .LBB268_86
; %bb.87:                               ;   in Loop: Header=BB268_12 Depth=1
	s_or_b32 exec_lo, exec_lo, s42
	s_branch .LBB268_9
.LBB268_88:
	s_nop 0
	s_sendmsg sendmsg(MSG_DEALLOC_VGPRS)
	s_endpgm
	.section	.rodata,"a",@progbits
	.p2align	6, 0x0
	.amdhsa_kernel _Z16wvSplitK_hf_big_I14__hip_bfloat16Li64ELi2ELi16ELi8ELi2ELi4EEviiiiiiPKT_S3_S3_PS1_ii
		.amdhsa_group_segment_fixed_size 65536
		.amdhsa_private_segment_fixed_size 0
		.amdhsa_kernarg_size 64
		.amdhsa_user_sgpr_count 15
		.amdhsa_user_sgpr_dispatch_ptr 0
		.amdhsa_user_sgpr_queue_ptr 0
		.amdhsa_user_sgpr_kernarg_segment_ptr 1
		.amdhsa_user_sgpr_dispatch_id 0
		.amdhsa_user_sgpr_private_segment_size 0
		.amdhsa_wavefront_size32 1
		.amdhsa_uses_dynamic_stack 0
		.amdhsa_enable_private_segment 0
		.amdhsa_system_sgpr_workgroup_id_x 1
		.amdhsa_system_sgpr_workgroup_id_y 0
		.amdhsa_system_sgpr_workgroup_id_z 0
		.amdhsa_system_sgpr_workgroup_info 0
		.amdhsa_system_vgpr_workitem_id 1
		.amdhsa_next_free_vgpr 84
		.amdhsa_next_free_sgpr 43
		.amdhsa_reserve_vcc 1
		.amdhsa_float_round_mode_32 0
		.amdhsa_float_round_mode_16_64 0
		.amdhsa_float_denorm_mode_32 3
		.amdhsa_float_denorm_mode_16_64 3
		.amdhsa_dx10_clamp 1
		.amdhsa_ieee_mode 1
		.amdhsa_fp16_overflow 0
		.amdhsa_workgroup_processor_mode 1
		.amdhsa_memory_ordered 1
		.amdhsa_forward_progress 0
		.amdhsa_shared_vgpr_count 0
		.amdhsa_exception_fp_ieee_invalid_op 0
		.amdhsa_exception_fp_denorm_src 0
		.amdhsa_exception_fp_ieee_div_zero 0
		.amdhsa_exception_fp_ieee_overflow 0
		.amdhsa_exception_fp_ieee_underflow 0
		.amdhsa_exception_fp_ieee_inexact 0
		.amdhsa_exception_int_div_zero 0
	.end_amdhsa_kernel
	.section	.text._Z16wvSplitK_hf_big_I14__hip_bfloat16Li64ELi2ELi16ELi8ELi2ELi4EEviiiiiiPKT_S3_S3_PS1_ii,"axG",@progbits,_Z16wvSplitK_hf_big_I14__hip_bfloat16Li64ELi2ELi16ELi8ELi2ELi4EEviiiiiiPKT_S3_S3_PS1_ii,comdat
.Lfunc_end268:
	.size	_Z16wvSplitK_hf_big_I14__hip_bfloat16Li64ELi2ELi16ELi8ELi2ELi4EEviiiiiiPKT_S3_S3_PS1_ii, .Lfunc_end268-_Z16wvSplitK_hf_big_I14__hip_bfloat16Li64ELi2ELi16ELi8ELi2ELi4EEviiiiiiPKT_S3_S3_PS1_ii
                                        ; -- End function
	.section	.AMDGPU.csdata,"",@progbits
; Kernel info:
; codeLenInByte = 6460
; NumSgprs: 45
; NumVgprs: 84
; ScratchSize: 0
; MemoryBound: 0
; FloatMode: 240
; IeeeMode: 1
; LDSByteSize: 65536 bytes/workgroup (compile time only)
; SGPRBlocks: 5
; VGPRBlocks: 10
; NumSGPRsForWavesPerEU: 45
; NumVGPRsForWavesPerEU: 84
; Occupancy: 16
; WaveLimiterHint : 0
; COMPUTE_PGM_RSRC2:SCRATCH_EN: 0
; COMPUTE_PGM_RSRC2:USER_SGPR: 15
; COMPUTE_PGM_RSRC2:TRAP_HANDLER: 0
; COMPUTE_PGM_RSRC2:TGID_X_EN: 1
; COMPUTE_PGM_RSRC2:TGID_Y_EN: 0
; COMPUTE_PGM_RSRC2:TGID_Z_EN: 0
; COMPUTE_PGM_RSRC2:TIDIG_COMP_CNT: 1
	.section	.text._Z16wvSplitK_hf_sml_I14__hip_bfloat16Li64ELi3ELi16ELi8ELi2ELi4EEviiiiiiPKT_S3_S3_PS1_ii,"axG",@progbits,_Z16wvSplitK_hf_sml_I14__hip_bfloat16Li64ELi3ELi16ELi8ELi2ELi4EEviiiiiiPKT_S3_S3_PS1_ii,comdat
	.protected	_Z16wvSplitK_hf_sml_I14__hip_bfloat16Li64ELi3ELi16ELi8ELi2ELi4EEviiiiiiPKT_S3_S3_PS1_ii ; -- Begin function _Z16wvSplitK_hf_sml_I14__hip_bfloat16Li64ELi3ELi16ELi8ELi2ELi4EEviiiiiiPKT_S3_S3_PS1_ii
	.globl	_Z16wvSplitK_hf_sml_I14__hip_bfloat16Li64ELi3ELi16ELi8ELi2ELi4EEviiiiiiPKT_S3_S3_PS1_ii
	.p2align	8
	.type	_Z16wvSplitK_hf_sml_I14__hip_bfloat16Li64ELi3ELi16ELi8ELi2ELi4EEviiiiiiPKT_S3_S3_PS1_ii,@function
_Z16wvSplitK_hf_sml_I14__hip_bfloat16Li64ELi3ELi16ELi8ELi2ELi4EEviiiiiiPKT_S3_S3_PS1_ii: ; @_Z16wvSplitK_hf_sml_I14__hip_bfloat16Li64ELi3ELi16ELi8ELi2ELi4EEviiiiiiPKT_S3_S3_PS1_ii
; %bb.0:
	s_clause 0x2
	s_load_b128 s[4:7], s[0:1], 0x0
	s_load_b64 s[8:9], s[0:1], 0x10
	s_load_b64 s[10:11], s[0:1], 0x28
	v_and_b32_e32 v3, 0x3ff, v0
	v_bfe_u32 v0, v0, 10, 10
	s_mov_b32 s12, exec_lo
	s_delay_alu instid0(VALU_DEP_2) | instskip(NEXT) | instid1(VALU_DEP_1)
	v_lshlrev_b32_e32 v66, 3, v3
	v_lshl_add_u32 v4, v0, 9, v66
	s_waitcnt lgkmcnt(0)
	s_lshl_b32 s14, s6, 2
	s_delay_alu instid0(SALU_CYCLE_1)
	s_min_u32 s3, s14, 0x8000
	s_delay_alu instid0(VALU_DEP_1) | instid1(SALU_CYCLE_1)
	v_cmpx_gt_u32_e64 s3, v4
	s_cbranch_execz .LBB269_3
; %bb.1:
	s_load_b64 s[16:17], s[0:1], 0x20
	v_lshlrev_b32_e32 v5, 10, v0
	v_lshlrev_b32_e32 v6, 4, v3
	s_mov_b32 s13, 0
	s_delay_alu instid0(VALU_DEP_1) | instskip(NEXT) | instid1(VALU_DEP_1)
	v_add_co_u32 v1, s2, v5, v6
	v_add_co_ci_u32_e64 v2, null, 0, 0, s2
	v_add_nc_u32_e32 v5, v5, v6
	s_waitcnt lgkmcnt(0)
	s_delay_alu instid0(VALU_DEP_3) | instskip(NEXT) | instid1(VALU_DEP_3)
	v_add_co_u32 v1, vcc_lo, s16, v1
	v_add_co_ci_u32_e32 v2, vcc_lo, s17, v2, vcc_lo
	.p2align	6
.LBB269_2:                              ; =>This Inner Loop Header: Depth=1
	global_load_b128 v[6:9], v[1:2], off
	v_add_nc_u32_e32 v4, 0x2000, v4
	v_add_co_u32 v1, vcc_lo, 0x4000, v1
	v_add_co_ci_u32_e32 v2, vcc_lo, 0, v2, vcc_lo
	s_delay_alu instid0(VALU_DEP_3) | instskip(NEXT) | instid1(VALU_DEP_1)
	v_cmp_le_u32_e64 s2, s3, v4
	s_or_b32 s13, s2, s13
	s_waitcnt vmcnt(0)
	ds_store_b128 v5, v[6:9]
	v_add_nc_u32_e32 v5, 0x4000, v5
	s_and_not1_b32 exec_lo, exec_lo, s13
	s_cbranch_execnz .LBB269_2
.LBB269_3:
	s_or_b32 exec_lo, exec_lo, s12
	s_load_b64 s[16:17], s[0:1], 0x38
	s_waitcnt lgkmcnt(0)
	s_barrier
	buffer_gl0_inv
	s_mov_b32 s2, exec_lo
	v_cmpx_gt_u32_e64 s16, v0
	s_cbranch_execz .LBB269_66
; %bb.4:
	v_mad_u64_u32 v[1:2], null, s15, s16, v[0:1]
	s_delay_alu instid0(VALU_DEP_1) | instskip(NEXT) | instid1(VALU_DEP_1)
	v_lshl_add_u32 v48, v1, 1, v1
	v_cmp_gt_u32_e32 vcc_lo, s7, v48
	s_and_b32 exec_lo, exec_lo, vcc_lo
	s_cbranch_execz .LBB269_66
; %bb.5:
	s_cmp_lg_u32 s4, 0
	v_cvt_f32_u32_e32 v1, s8
	s_cselect_b32 s15, -1, 0
	s_add_i32 s18, s4, -8
	s_add_i32 s19, s7, -1
	s_cmp_lg_u64 s[10:11], 0
	s_mul_i32 s16, s16, s17
	s_cselect_b32 s20, -1, 0
	s_abs_i32 s21, s9
	v_rcp_iflag_f32_e32 v1, v1
	v_cvt_f32_u32_e32 v0, s21
	s_sub_i32 s22, 0, s21
	s_sub_i32 s23, 0, s8
	;; [unrolled: 1-line block ×3, first 2 shown]
	v_mbcnt_lo_u32_b32 v2, -1, 0
	v_rcp_iflag_f32_e32 v0, v0
	s_clause 0x1
	s_load_b64 s[2:3], s[0:1], 0x18
	s_load_b64 s[12:13], s[0:1], 0x30
	v_cmp_eq_u32_e64 s0, 63, v3
	s_mov_b32 s1, 0
	s_mul_i32 s9, s6, 6
	s_mul_i32 s16, s16, 3
	s_waitcnt_depctr 0xfff
	v_dual_mul_f32 v0, 0x4f7ffffe, v0 :: v_dual_lshlrev_b32 v67, 4, v3
	s_delay_alu instid0(VALU_DEP_1) | instskip(NEXT) | instid1(VALU_DEP_1)
	v_cvt_u32_f32_e32 v0, v0
	v_readfirstlane_b32 s17, v0
	v_mul_f32_e32 v0, 0x4f7ffffe, v1
	v_xor_b32_e32 v1, 16, v2
	s_delay_alu instid0(VALU_DEP_3) | instskip(NEXT) | instid1(VALU_DEP_2)
	s_mul_i32 s22, s22, s17
	v_cvt_u32_f32_e32 v0, v0
	s_mul_hi_u32 s22, s17, s22
	s_delay_alu instid0(VALU_DEP_2)
	v_cmp_gt_i32_e32 vcc_lo, 32, v1
	s_add_i32 s17, s17, s22
	s_cmp_lt_u32 s21, 2
	v_mul_lo_u32 v3, s23, v0
	s_cselect_b32 s22, s24, 1
	v_dual_mov_b32 v50, 0 :: v_dual_cndmask_b32 v1, v2, v1
	s_sub_i32 s24, s22, s21
	s_cmp_ge_u32 s22, s21
	s_cselect_b32 s22, s24, s22
	s_lshr_b32 s24, s17, 31
	s_mul_hi_u32 s17, s17, 3
	s_mul_i32 s24, s24, s21
	s_mul_i32 s17, s17, s21
	s_sub_i32 s23, 2, s24
	v_mul_hi_u32 v2, v0, v3
	s_sub_i32 s24, s23, s21
	s_cmp_ge_u32 s23, s21
	v_lshlrev_b32_e32 v68, 2, v1
	s_cselect_b32 s23, s24, s23
	s_delay_alu instid0(SALU_CYCLE_1) | instskip(SKIP_1) | instid1(VALU_DEP_2)
	s_sub_i32 s24, s23, s21
	s_cmp_ge_u32 s23, s21
	v_add_nc_u32_e32 v69, v0, v2
	s_cselect_b32 s23, s24, s23
	s_sub_i32 s17, 3, s17
	s_delay_alu instid0(SALU_CYCLE_1)
	s_sub_i32 s24, s17, s21
	s_cmp_ge_u32 s17, s21
	s_cselect_b32 s24, s24, s17
	s_mul_i32 s17, s22, s8
	s_sub_i32 s25, s24, s21
	s_cmp_ge_u32 s24, s21
	s_mul_i32 s21, s23, s8
	s_cselect_b32 s22, s25, s24
	s_lshl_b32 s6, s6, 1
	s_mul_i32 s22, s22, s8
	s_branch .LBB269_8
.LBB269_6:                              ;   in Loop: Header=BB269_8 Depth=1
	s_or_b32 exec_lo, exec_lo, s24
	v_add_nc_u32_e32 v49, 2, v49
	s_delay_alu instid0(VALU_DEP_1) | instskip(NEXT) | instid1(VALU_DEP_1)
	v_lshlrev_b64 v[1:2], 1, v[49:50]
	v_add_co_u32 v1, vcc_lo, s12, v1
	s_delay_alu instid0(VALU_DEP_2)
	v_add_co_ci_u32_e32 v2, vcc_lo, s13, v2, vcc_lo
	global_store_d16_hi_b16 v[1:2], v0, off
.LBB269_7:                              ;   in Loop: Header=BB269_8 Depth=1
	s_or_b32 exec_lo, exec_lo, s23
	v_add_nc_u32_e32 v48, s16, v48
	s_delay_alu instid0(VALU_DEP_1) | instskip(SKIP_1) | instid1(SALU_CYCLE_1)
	v_cmp_le_u32_e32 vcc_lo, s7, v48
	s_or_b32 s1, vcc_lo, s1
	s_and_not1_b32 exec_lo, exec_lo, s1
	s_cbranch_execz .LBB269_66
.LBB269_8:                              ; =>This Loop Header: Depth=1
                                        ;     Child Loop BB269_12 Depth 2
	v_dual_mov_b32 v72, v50 :: v_dual_add_nc_u32 v51, 2, v48
	v_mov_b32_e32 v71, v50
	v_mov_b32_e32 v73, v50
	;; [unrolled: 1-line block ×11, first 2 shown]
	s_and_not1_b32 vcc_lo, exec_lo, s15
	s_cbranch_vccnz .LBB269_15
; %bb.9:                                ;   in Loop: Header=BB269_8 Depth=1
	s_waitcnt lgkmcnt(0)
	v_dual_mov_b32 v1, v50 :: v_dual_add_nc_u32 v0, 1, v48
	v_min_u32_e32 v2, s19, v48
	v_min_u32_e32 v4, s19, v51
	v_dual_mov_b32 v3, v50 :: v_dual_mov_b32 v80, 0
	s_delay_alu instid0(VALU_DEP_4) | instskip(NEXT) | instid1(VALU_DEP_4)
	v_min_u32_e32 v0, s19, v0
	v_mul_lo_u32 v49, v2, s5
	s_delay_alu instid0(VALU_DEP_4) | instskip(SKIP_1) | instid1(VALU_DEP_4)
	v_mul_lo_u32 v2, v4, s5
	v_dual_mov_b32 v70, v67 :: v_dual_mov_b32 v81, 0
	v_mul_lo_u32 v0, v0, s5
	v_dual_mov_b32 v82, 0 :: v_dual_mov_b32 v79, 0
	v_dual_mov_b32 v76, 0 :: v_dual_mov_b32 v77, 0
	v_lshlrev_b64 v[52:53], 1, v[49:50]
	v_lshlrev_b64 v[54:55], 1, v[2:3]
	v_dual_mov_b32 v78, 0 :: v_dual_mov_b32 v75, 0
	v_lshlrev_b64 v[56:57], 1, v[0:1]
	v_dual_mov_b32 v74, 0 :: v_dual_mov_b32 v73, 0
	v_dual_mov_b32 v72, 0 :: v_dual_mov_b32 v71, 0
	s_mov_b32 s23, 0
	s_branch .LBB269_12
.LBB269_10:                             ;   in Loop: Header=BB269_12 Depth=2
	s_or_b32 exec_lo, exec_lo, s25
.LBB269_11:                             ;   in Loop: Header=BB269_12 Depth=2
	s_delay_alu instid0(SALU_CYCLE_1)
	s_or_b32 exec_lo, exec_lo, s24
	s_waitcnt lgkmcnt(4)
	v_lshlrev_b32_e32 v85, 16, v44
	v_and_b32_e32 v86, 0xffff0000, v45
	v_and_b32_e32 v89, 0xffff0000, v46
	v_lshlrev_b32_e32 v46, 16, v46
	s_waitcnt vmcnt(5)
	v_and_b32_e32 v83, 0xffff0000, v41
	v_and_b32_e32 v49, 0xffff0000, v40
	s_waitcnt vmcnt(4)
	v_and_b32_e32 v95, 0xffff0000, v38
	v_lshlrev_b32_e32 v38, 16, v38
	v_lshlrev_b32_e32 v88, 16, v45
	v_dual_mul_f32 v90, v86, v83 :: v_dual_lshlrev_b32 v45, 16, v41
	v_add_nc_u32_e32 v70, 0x800, v70
	s_addk_i32 s23, 0x400
	v_and_b32_e32 v91, 0xffff0000, v47
	v_and_b32_e32 v92, 0xffff0000, v37
	v_fmac_f32_e32 v90, v88, v45
	v_and_b32_e32 v84, 0xffff0000, v44
	v_lshlrev_b32_e32 v44, 16, v40
	v_and_b32_e32 v41, 0xffff0000, v42
	v_lshlrev_b32_e32 v40, 16, v42
	s_cmp_ge_u32 s23, s4
	v_mul_f32_e32 v87, v84, v49
	s_delay_alu instid0(VALU_DEP_1) | instskip(SKIP_1) | instid1(VALU_DEP_2)
	v_fmac_f32_e32 v87, v85, v44
	v_dual_mul_f32 v94, v86, v92 :: v_dual_lshlrev_b32 v47, 16, v47
	v_add_f32_e32 v42, v80, v87
	s_delay_alu instid0(VALU_DEP_1) | instskip(SKIP_2) | instid1(VALU_DEP_1)
	v_add_f32_e32 v42, v42, v90
	v_lshlrev_b32_e32 v90, 16, v36
	v_and_b32_e32 v87, 0xffff0000, v36
	v_mul_f32_e32 v36, v84, v87
	v_mul_f32_e32 v80, v89, v41
	s_delay_alu instid0(VALU_DEP_2) | instskip(NEXT) | instid1(VALU_DEP_2)
	v_fmac_f32_e32 v36, v85, v90
	v_dual_fmac_f32 v80, v46, v40 :: v_dual_and_b32 v93, 0xffff0000, v43
	s_delay_alu instid0(VALU_DEP_2) | instskip(NEXT) | instid1(VALU_DEP_2)
	v_dual_add_f32 v36, v81, v36 :: v_dual_lshlrev_b32 v37, 16, v37
	v_dual_add_f32 v42, v42, v80 :: v_dual_mul_f32 v81, v89, v95
	s_delay_alu instid0(VALU_DEP_3) | instskip(NEXT) | instid1(VALU_DEP_2)
	v_dual_mul_f32 v96, v91, v93 :: v_dual_lshlrev_b32 v43, 16, v43
	v_dual_fmac_f32 v81, v46, v38 :: v_dual_fmac_f32 v94, v88, v37
	s_delay_alu instid0(VALU_DEP_2) | instskip(NEXT) | instid1(VALU_DEP_2)
	v_fmac_f32_e32 v96, v47, v43
	v_add_f32_e32 v80, v36, v94
	s_delay_alu instid0(VALU_DEP_1) | instskip(SKIP_1) | instid1(VALU_DEP_3)
	v_add_f32_e32 v80, v80, v81
	s_waitcnt vmcnt(3)
	v_dual_add_f32 v36, v42, v96 :: v_dual_and_b32 v81, 0xffff0000, v33
	v_lshlrev_b32_e32 v33, 16, v33
	s_waitcnt lgkmcnt(3)
	v_and_b32_e32 v98, 0xffff0000, v30
	v_and_b32_e32 v94, 0xffff0000, v32
	v_lshlrev_b32_e32 v32, 16, v32
	v_lshlrev_b32_e32 v30, 16, v30
	s_delay_alu instid0(VALU_DEP_3) | instskip(NEXT) | instid1(VALU_DEP_1)
	v_mul_f32_e32 v42, v84, v94
	v_dual_fmac_f32 v42, v85, v32 :: v_dual_mul_f32 v85, v86, v81
	s_delay_alu instid0(VALU_DEP_1) | instskip(NEXT) | instid1(VALU_DEP_2)
	v_add_f32_e32 v42, v82, v42
	v_dual_fmac_f32 v85, v88, v33 :: v_dual_and_b32 v82, 0xffff0000, v28
	v_and_b32_e32 v96, 0xffff0000, v34
	s_delay_alu instid0(VALU_DEP_2) | instskip(NEXT) | instid1(VALU_DEP_2)
	v_add_f32_e32 v42, v42, v85
	v_mul_f32_e32 v88, v89, v96
	s_delay_alu instid0(VALU_DEP_4) | instskip(SKIP_2) | instid1(VALU_DEP_3)
	v_dual_mul_f32 v28, v82, v49 :: v_dual_lshlrev_b32 v89, 16, v28
	v_and_b32_e32 v85, 0xffff0000, v29
	v_lshlrev_b32_e32 v34, 16, v34
	v_dual_fmac_f32 v28, v89, v44 :: v_dual_lshlrev_b32 v29, 16, v29
	s_delay_alu instid0(VALU_DEP_2) | instskip(SKIP_1) | instid1(VALU_DEP_3)
	v_dual_mul_f32 v97, v85, v83 :: v_dual_fmac_f32 v88, v46, v34
	v_and_b32_e32 v46, 0xffff0000, v35
	v_dual_add_f32 v28, v79, v28 :: v_dual_lshlrev_b32 v35, 16, v35
	s_delay_alu instid0(VALU_DEP_3) | instskip(SKIP_1) | instid1(VALU_DEP_2)
	v_dual_fmac_f32 v97, v29, v45 :: v_dual_and_b32 v84, 0xffff0000, v39
	v_lshlrev_b32_e32 v39, 16, v39
	v_dual_mul_f32 v79, v98, v41 :: v_dual_mul_f32 v86, v91, v84
	v_mul_f32_e32 v91, v91, v46
	s_delay_alu instid0(VALU_DEP_2) | instskip(NEXT) | instid1(VALU_DEP_2)
	v_dual_fmac_f32 v79, v30, v40 :: v_dual_fmac_f32 v86, v47, v39
	v_fmac_f32_e32 v91, v47, v35
	v_add_f32_e32 v47, v28, v97
	s_delay_alu instid0(VALU_DEP_1) | instskip(SKIP_2) | instid1(VALU_DEP_2)
	v_add_f32_e32 v47, v47, v79
	v_mul_f32_e32 v79, v85, v92
	v_mul_f32_e32 v85, v85, v81
	v_dual_fmac_f32 v79, v29, v37 :: v_dual_add_f32 v42, v42, v88
	v_mul_f32_e32 v88, v82, v87
	s_delay_alu instid0(VALU_DEP_3) | instskip(SKIP_1) | instid1(VALU_DEP_1)
	v_dual_mul_f32 v82, v82, v94 :: v_dual_fmac_f32 v85, v29, v33
	v_mul_f32_e32 v29, v98, v96
	v_dual_fmac_f32 v82, v89, v32 :: v_dual_fmac_f32 v29, v30, v34
	s_delay_alu instid0(VALU_DEP_1) | instskip(NEXT) | instid1(VALU_DEP_1)
	v_add_f32_e32 v78, v78, v82
	v_add_f32_e32 v78, v78, v85
	s_waitcnt lgkmcnt(2)
	v_and_b32_e32 v85, 0xffff0000, v65
	v_dual_add_f32 v28, v42, v91 :: v_dual_lshlrev_b32 v65, 16, v65
	v_and_b32_e32 v42, 0xffff0000, v31
	v_lshlrev_b32_e32 v31, 16, v31
	v_dual_add_f32 v29, v78, v29 :: v_dual_add_f32 v80, v80, v86
	v_mul_f32_e32 v78, v85, v83
	s_delay_alu instid0(VALU_DEP_4) | instskip(SKIP_2) | instid1(VALU_DEP_4)
	v_mul_f32_e32 v86, v42, v93
	v_mul_f32_e32 v82, v42, v84
	;; [unrolled: 1-line block ×3, first 2 shown]
	v_fmac_f32_e32 v78, v65, v45
	s_delay_alu instid0(VALU_DEP_3) | instskip(NEXT) | instid1(VALU_DEP_3)
	v_fmac_f32_e32 v82, v31, v39
	v_fmac_f32_e32 v42, v31, v35
	s_delay_alu instid0(VALU_DEP_1) | instskip(SKIP_1) | instid1(VALU_DEP_1)
	v_add_f32_e32 v29, v29, v42
	v_fmac_f32_e32 v88, v89, v90
	v_add_f32_e32 v76, v76, v88
	v_mul_f32_e32 v88, v98, v95
	s_delay_alu instid0(VALU_DEP_1) | instskip(SKIP_1) | instid1(VALU_DEP_4)
	v_fmac_f32_e32 v88, v30, v38
	v_lshlrev_b32_e32 v30, 16, v64
	v_dual_add_f32 v76, v76, v79 :: v_dual_and_b32 v79, 0xffff0000, v64
	s_delay_alu instid0(VALU_DEP_1) | instskip(NEXT) | instid1(VALU_DEP_2)
	v_add_f32_e32 v76, v76, v88
	v_mul_f32_e32 v64, v79, v49
	v_mul_f32_e32 v42, v79, v87
	s_delay_alu instid0(VALU_DEP_2) | instskip(NEXT) | instid1(VALU_DEP_2)
	v_fmac_f32_e32 v64, v30, v44
	v_fmac_f32_e32 v42, v30, v90
	s_delay_alu instid0(VALU_DEP_2) | instskip(NEXT) | instid1(VALU_DEP_2)
	v_add_f32_e32 v64, v77, v64
	v_add_f32_e32 v42, v75, v42
	s_delay_alu instid0(VALU_DEP_2)
	v_add_f32_e32 v64, v64, v78
	s_waitcnt lgkmcnt(1)
	v_and_b32_e32 v78, 0xffff0000, v63
	v_dual_fmac_f32 v86, v31, v43 :: v_dual_add_f32 v31, v76, v82
	v_and_b32_e32 v76, 0xffff0000, v62
	v_mul_f32_e32 v82, v85, v92
	v_lshlrev_b32_e32 v62, 16, v62
	v_lshlrev_b32_e32 v63, 16, v63
	s_delay_alu instid0(VALU_DEP_3) | instskip(SKIP_1) | instid1(VALU_DEP_2)
	v_dual_mul_f32 v75, v76, v95 :: v_dual_fmac_f32 v82, v65, v37
	v_mul_f32_e32 v77, v76, v41
	v_fmac_f32_e32 v75, v62, v38
	s_delay_alu instid0(VALU_DEP_3) | instskip(NEXT) | instid1(VALU_DEP_3)
	v_add_f32_e32 v42, v42, v82
	v_fmac_f32_e32 v77, v62, v40
	s_waitcnt lgkmcnt(0)
	s_delay_alu instid0(VALU_DEP_2) | instskip(SKIP_1) | instid1(VALU_DEP_3)
	v_dual_add_f32 v42, v42, v75 :: v_dual_and_b32 v75, 0xffff0000, v24
	v_lshlrev_b32_e32 v24, 16, v24
	v_dual_add_f32 v64, v64, v77 :: v_dual_mul_f32 v77, v79, v94
	s_delay_alu instid0(VALU_DEP_3) | instskip(NEXT) | instid1(VALU_DEP_1)
	v_mul_f32_e32 v49, v75, v49
	v_fmac_f32_e32 v49, v24, v44
	s_delay_alu instid0(VALU_DEP_1) | instskip(NEXT) | instid1(VALU_DEP_4)
	v_add_f32_e32 v49, v73, v49
	v_dual_fmac_f32 v77, v30, v32 :: v_dual_mul_f32 v30, v85, v81
	s_delay_alu instid0(VALU_DEP_1) | instskip(NEXT) | instid1(VALU_DEP_2)
	v_add_f32_e32 v74, v74, v77
	v_dual_fmac_f32 v30, v65, v33 :: v_dual_mul_f32 v65, v76, v96
	v_and_b32_e32 v76, 0xffff0000, v25
	s_delay_alu instid0(VALU_DEP_2) | instskip(NEXT) | instid1(VALU_DEP_2)
	v_dual_add_f32 v30, v74, v30 :: v_dual_lshlrev_b32 v25, 16, v25
	v_dual_fmac_f32 v65, v62, v34 :: v_dual_mul_f32 v44, v76, v83
	s_delay_alu instid0(VALU_DEP_1) | instskip(NEXT) | instid1(VALU_DEP_2)
	v_dual_add_f32 v30, v30, v65 :: v_dual_and_b32 v65, 0xffff0000, v26
	v_fmac_f32_e32 v44, v25, v45
	v_dual_mul_f32 v45, v75, v87 :: v_dual_lshlrev_b32 v26, 16, v26
	s_delay_alu instid0(VALU_DEP_3) | instskip(NEXT) | instid1(VALU_DEP_3)
	v_mul_f32_e32 v41, v65, v41
	v_dual_add_f32 v44, v49, v44 :: v_dual_and_b32 v49, 0xffff0000, v27
	v_lshlrev_b32_e32 v27, 16, v27
	s_delay_alu instid0(VALU_DEP_4) | instskip(NEXT) | instid1(VALU_DEP_3)
	v_fmac_f32_e32 v45, v24, v90
	v_dual_fmac_f32 v41, v26, v40 :: v_dual_mul_f32 v40, v49, v93
	s_delay_alu instid0(VALU_DEP_2) | instskip(NEXT) | instid1(VALU_DEP_2)
	v_add_f32_e32 v45, v72, v45
	v_add_f32_e32 v41, v44, v41
	v_mul_f32_e32 v79, v78, v84
	v_dual_add_f32 v47, v47, v86 :: v_dual_mul_f32 v86, v78, v93
	v_mul_f32_e32 v62, v78, v46
	v_fmac_f32_e32 v40, v27, v43
	s_delay_alu instid0(VALU_DEP_4) | instskip(NEXT) | instid1(VALU_DEP_4)
	v_fmac_f32_e32 v79, v63, v39
	v_fmac_f32_e32 v86, v63, v43
	v_mul_f32_e32 v43, v75, v94
	s_delay_alu instid0(VALU_DEP_1)
	v_fmac_f32_e32 v43, v24, v32
	v_add_f32_e32 v24, v41, v40
	v_and_b32_e32 v40, 0xffff0000, v20
	v_lshlrev_b32_e32 v20, 16, v20
	v_dual_fmac_f32 v62, v63, v35 :: v_dual_mul_f32 v63, v76, v92
	s_waitcnt vmcnt(2)
	v_and_b32_e32 v41, 0xffff0000, v16
	s_delay_alu instid0(VALU_DEP_2) | instskip(SKIP_1) | instid1(VALU_DEP_1)
	v_fmac_f32_e32 v63, v25, v37
	v_mul_f32_e32 v37, v65, v95
	v_dual_add_f32 v44, v45, v63 :: v_dual_fmac_f32 v37, v26, v38
	v_dual_mul_f32 v38, v49, v84 :: v_dual_and_b32 v45, 0xffff0000, v18
	s_delay_alu instid0(VALU_DEP_2) | instskip(NEXT) | instid1(VALU_DEP_2)
	v_add_f32_e32 v32, v44, v37
	v_dual_mul_f32 v37, v76, v81 :: v_dual_fmac_f32 v38, v27, v39
	v_add_f32_e32 v39, v71, v43
	v_and_b32_e32 v43, 0xffff0000, v17
	v_lshlrev_b32_e32 v17, 16, v17
	s_delay_alu instid0(VALU_DEP_4) | instskip(SKIP_2) | instid1(VALU_DEP_3)
	v_fmac_f32_e32 v37, v25, v33
	v_dual_mul_f32 v25, v65, v96 :: v_dual_add_f32 v64, v64, v86
	v_mul_f32_e32 v33, v40, v41
	v_add_f32_e32 v37, v39, v37
	s_delay_alu instid0(VALU_DEP_3) | instskip(SKIP_2) | instid1(VALU_DEP_2)
	v_fmac_f32_e32 v25, v26, v34
	v_dual_mul_f32 v34, v49, v46 :: v_dual_and_b32 v39, 0xffff0000, v21
	v_dual_add_f32 v42, v42, v79 :: v_dual_lshlrev_b32 v21, 16, v21
	v_dual_add_f32 v25, v37, v25 :: v_dual_fmac_f32 v34, v27, v35
	s_waitcnt vmcnt(1)
	v_and_b32_e32 v27, 0xffff0000, v12
	v_lshlrev_b32_e32 v16, 16, v16
	v_lshlrev_b32_e32 v12, 16, v12
	v_mul_f32_e32 v26, v39, v43
	s_delay_alu instid0(VALU_DEP_4) | instskip(NEXT) | instid1(VALU_DEP_4)
	v_dual_mul_f32 v37, v40, v27 :: v_dual_and_b32 v44, 0xffff0000, v22
	v_dual_fmac_f32 v33, v20, v16 :: v_dual_lshlrev_b32 v22, 16, v22
	v_add_f32_e32 v25, v25, v34
	v_add_f32_e32 v32, v32, v38
	s_delay_alu instid0(VALU_DEP_4) | instskip(NEXT) | instid1(VALU_DEP_4)
	v_fmac_f32_e32 v37, v20, v12
	v_add_f32_e32 v33, v36, v33
	v_dual_mul_f32 v36, v44, v45 :: v_dual_and_b32 v35, 0xffff0000, v19
	s_delay_alu instid0(VALU_DEP_3)
	v_dual_add_f32 v34, v80, v37 :: v_dual_lshlrev_b32 v19, 16, v19
	v_and_b32_e32 v37, 0xffff0000, v14
	v_lshlrev_b32_e32 v14, 16, v14
	v_and_b32_e32 v38, 0xffff0000, v13
	v_fmac_f32_e32 v26, v21, v17
	v_lshlrev_b32_e32 v13, 16, v13
	v_lshlrev_b32_e32 v18, 16, v18
	s_waitcnt vmcnt(0)
	v_and_b32_e32 v49, 0xffff0000, v5
	v_dual_add_f32 v26, v33, v26 :: v_dual_lshlrev_b32 v5, 16, v5
	s_delay_alu instid0(VALU_DEP_3) | instskip(SKIP_1) | instid1(VALU_DEP_2)
	v_dual_fmac_f32 v36, v22, v18 :: v_dual_and_b32 v33, 0xffff0000, v23
	v_dual_add_f32 v30, v30, v62 :: v_dual_lshlrev_b32 v23, 16, v23
	v_mul_f32_e32 v46, v33, v35
	s_delay_alu instid0(VALU_DEP_3) | instskip(SKIP_1) | instid1(VALU_DEP_3)
	v_add_f32_e32 v26, v26, v36
	v_mul_f32_e32 v36, v39, v38
	v_fmac_f32_e32 v46, v23, v19
	s_delay_alu instid0(VALU_DEP_2) | instskip(NEXT) | instid1(VALU_DEP_2)
	v_fmac_f32_e32 v36, v21, v13
	v_add_f32_e32 v80, v26, v46
	v_mul_f32_e32 v46, v44, v37
	s_delay_alu instid0(VALU_DEP_3)
	v_add_f32_e32 v34, v34, v36
	v_and_b32_e32 v36, 0xffff0000, v15
	v_lshlrev_b32_e32 v15, 16, v15
	v_and_b32_e32 v26, 0xffff0000, v4
	v_fmac_f32_e32 v46, v22, v14
	v_lshlrev_b32_e32 v4, 16, v4
	v_mul_f32_e32 v62, v33, v36
	s_delay_alu instid0(VALU_DEP_3) | instskip(NEXT) | instid1(VALU_DEP_2)
	v_add_f32_e32 v34, v34, v46
	v_fmac_f32_e32 v62, v23, v15
	s_delay_alu instid0(VALU_DEP_1) | instskip(SKIP_3) | instid1(VALU_DEP_2)
	v_add_f32_e32 v81, v34, v62
	v_mul_f32_e32 v40, v40, v26
	v_and_b32_e32 v34, 0xffff0000, v7
	v_lshlrev_b32_e32 v7, 16, v7
	v_dual_mul_f32 v33, v33, v34 :: v_dual_fmac_f32 v40, v20, v4
	v_dual_mul_f32 v20, v39, v49 :: v_dual_and_b32 v39, 0xffff0000, v6
	s_delay_alu instid0(VALU_DEP_2) | instskip(NEXT) | instid1(VALU_DEP_3)
	v_dual_fmac_f32 v33, v23, v7 :: v_dual_lshlrev_b32 v6, 16, v6
	v_add_f32_e32 v28, v28, v40
	s_delay_alu instid0(VALU_DEP_3) | instskip(SKIP_1) | instid1(VALU_DEP_2)
	v_dual_fmac_f32 v20, v21, v5 :: v_dual_and_b32 v21, 0xffff0000, v8
	v_lshlrev_b32_e32 v8, 16, v8
	v_dual_add_f32 v20, v28, v20 :: v_dual_mul_f32 v23, v21, v27
	v_mul_f32_e32 v28, v21, v41
	v_mul_f32_e32 v21, v21, v26
	s_delay_alu instid0(VALU_DEP_3) | instskip(SKIP_1) | instid1(VALU_DEP_4)
	v_fmac_f32_e32 v23, v8, v12
	v_mul_f32_e32 v40, v44, v39
	v_fmac_f32_e32 v28, v8, v16
	s_delay_alu instid0(VALU_DEP_4) | instskip(NEXT) | instid1(VALU_DEP_3)
	v_fmac_f32_e32 v21, v8, v4
	v_dual_add_f32 v23, v31, v23 :: v_dual_fmac_f32 v40, v22, v6
	v_and_b32_e32 v22, 0xffff0000, v9
	s_delay_alu instid0(VALU_DEP_4) | instskip(NEXT) | instid1(VALU_DEP_3)
	v_dual_add_f32 v28, v47, v28 :: v_dual_lshlrev_b32 v9, 16, v9
	v_dual_add_f32 v21, v29, v21 :: v_dual_add_f32 v20, v20, v40
	v_and_b32_e32 v40, 0xffff0000, v10
	v_lshlrev_b32_e32 v10, 16, v10
	v_mul_f32_e32 v44, v22, v43
	v_mul_f32_e32 v8, v22, v49
	v_add_f32_e32 v82, v20, v33
	v_mul_f32_e32 v31, v40, v37
	v_dual_mul_f32 v46, v40, v45 :: v_dual_lshlrev_b32 v33, 16, v58
	s_delay_alu instid0(VALU_DEP_2) | instskip(NEXT) | instid1(VALU_DEP_1)
	v_dual_fmac_f32 v8, v9, v5 :: v_dual_fmac_f32 v31, v10, v14
	v_dual_mul_f32 v47, v22, v38 :: v_dual_add_f32 v8, v21, v8
	s_delay_alu instid0(VALU_DEP_1) | instskip(SKIP_1) | instid1(VALU_DEP_2)
	v_fmac_f32_e32 v47, v9, v13
	v_dual_fmac_f32 v44, v9, v17 :: v_dual_mul_f32 v9, v40, v39
	v_dual_fmac_f32 v46, v10, v18 :: v_dual_add_f32 v23, v23, v47
	s_delay_alu instid0(VALU_DEP_2) | instskip(SKIP_2) | instid1(VALU_DEP_4)
	v_add_f32_e32 v28, v28, v44
	v_and_b32_e32 v44, 0xffff0000, v11
	v_lshlrev_b32_e32 v11, 16, v11
	v_dual_fmac_f32 v9, v10, v6 :: v_dual_add_f32 v20, v23, v31
	s_delay_alu instid0(VALU_DEP_3) | instskip(SKIP_2) | instid1(VALU_DEP_3)
	v_dual_mul_f32 v62, v44, v35 :: v_dual_and_b32 v31, 0xffff0000, v61
	v_lshlrev_b32_e32 v10, 16, v61
	v_dual_add_f32 v28, v28, v46 :: v_dual_and_b32 v23, 0xffff0000, v60
	v_dual_mul_f32 v21, v31, v43 :: v_dual_add_f32 v8, v8, v9
	s_delay_alu instid0(VALU_DEP_2) | instskip(NEXT) | instid1(VALU_DEP_2)
	v_dual_mul_f32 v29, v23, v41 :: v_dual_lshlrev_b32 v46, 16, v59
	v_dual_fmac_f32 v21, v10, v17 :: v_dual_fmac_f32 v62, v11, v19
	v_mul_f32_e32 v22, v44, v36
	s_delay_alu instid0(VALU_DEP_2) | instskip(NEXT) | instid1(VALU_DEP_1)
	v_dual_add_f32 v79, v28, v62 :: v_dual_lshlrev_b32 v28, 16, v60
	v_dual_fmac_f32 v22, v11, v15 :: v_dual_fmac_f32 v29, v28, v16
	s_delay_alu instid0(VALU_DEP_1) | instskip(SKIP_2) | instid1(VALU_DEP_4)
	v_add_f32_e32 v76, v20, v22
	v_and_b32_e32 v20, 0xffff0000, v58
	v_mul_f32_e32 v22, v44, v34
	v_dual_mul_f32 v44, v31, v38 :: v_dual_add_f32 v9, v64, v29
	s_delay_alu instid0(VALU_DEP_3) | instskip(NEXT) | instid1(VALU_DEP_3)
	v_dual_mul_f32 v29, v23, v27 :: v_dual_mul_f32 v40, v20, v45
	v_fmac_f32_e32 v22, v11, v7
	s_delay_alu instid0(VALU_DEP_3) | instskip(NEXT) | instid1(VALU_DEP_4)
	v_fmac_f32_e32 v44, v10, v13
	v_add_f32_e32 v9, v9, v21
	v_and_b32_e32 v21, 0xffff0000, v59
	v_dual_fmac_f32 v29, v28, v12 :: v_dual_fmac_f32 v40, v33, v18
	v_add_f32_e32 v78, v8, v22
	v_mul_f32_e32 v23, v23, v26
	s_delay_alu instid0(VALU_DEP_4) | instskip(NEXT) | instid1(VALU_DEP_4)
	v_mul_f32_e32 v47, v21, v35
	v_add_f32_e32 v29, v42, v29
	v_dual_mul_f32 v42, v20, v37 :: v_dual_add_f32 v9, v9, v40
	s_delay_alu instid0(VALU_DEP_3) | instskip(NEXT) | instid1(VALU_DEP_3)
	v_dual_mul_f32 v22, v21, v36 :: v_dual_fmac_f32 v47, v46, v19
	v_add_f32_e32 v11, v29, v44
	s_delay_alu instid0(VALU_DEP_3) | instskip(SKIP_1) | instid1(VALU_DEP_4)
	v_fmac_f32_e32 v42, v33, v14
	v_and_b32_e32 v8, 0xffff0000, v0
	v_fmac_f32_e32 v22, v46, v15
	v_dual_add_f32 v77, v9, v47 :: v_dual_lshlrev_b32 v0, 16, v0
	s_delay_alu instid0(VALU_DEP_4) | instskip(NEXT) | instid1(VALU_DEP_4)
	v_add_f32_e32 v9, v11, v42
	v_mul_f32_e32 v11, v8, v41
	v_dual_mul_f32 v29, v31, v49 :: v_dual_mul_f32 v20, v20, v39
	v_mul_f32_e32 v21, v21, v34
	s_delay_alu instid0(VALU_DEP_4) | instskip(SKIP_4) | instid1(VALU_DEP_4)
	v_add_f32_e32 v75, v9, v22
	v_dual_fmac_f32 v23, v28, v4 :: v_dual_and_b32 v28, 0xffff0000, v1
	v_fmac_f32_e32 v11, v0, v16
	v_lshlrev_b32_e32 v1, 16, v1
	v_dual_fmac_f32 v29, v10, v5 :: v_dual_and_b32 v10, 0xffff0000, v2
	v_mul_f32_e32 v16, v28, v43
	s_delay_alu instid0(VALU_DEP_4) | instskip(SKIP_1) | instid1(VALU_DEP_3)
	v_dual_add_f32 v11, v24, v11 :: v_dual_lshlrev_b32 v2, 16, v2
	v_dual_add_f32 v23, v30, v23 :: v_dual_fmac_f32 v20, v33, v6
	v_fmac_f32_e32 v16, v1, v17
	v_mul_f32_e32 v17, v10, v45
	v_fmac_f32_e32 v21, v46, v7
	s_delay_alu instid0(VALU_DEP_4) | instskip(NEXT) | instid1(VALU_DEP_4)
	v_add_f32_e32 v23, v23, v29
	v_add_f32_e32 v11, v11, v16
	s_delay_alu instid0(VALU_DEP_4) | instskip(SKIP_1) | instid1(VALU_DEP_4)
	v_dual_fmac_f32 v17, v2, v18 :: v_dual_mul_f32 v18, v8, v27
	v_mul_f32_e32 v8, v8, v26
	v_add_f32_e32 v16, v23, v20
	s_delay_alu instid0(VALU_DEP_3) | instskip(SKIP_1) | instid1(VALU_DEP_4)
	v_dual_add_f32 v11, v11, v17 :: v_dual_fmac_f32 v18, v0, v12
	v_mul_f32_e32 v12, v28, v38
	v_fmac_f32_e32 v8, v0, v4
	v_dual_mul_f32 v0, v28, v49 :: v_dual_and_b32 v17, 0xffff0000, v3
	s_delay_alu instid0(VALU_DEP_4) | instskip(NEXT) | instid1(VALU_DEP_4)
	v_add_f32_e32 v4, v32, v18
	v_fmac_f32_e32 v12, v1, v13
	s_delay_alu instid0(VALU_DEP_4) | instskip(NEXT) | instid1(VALU_DEP_4)
	v_dual_mul_f32 v13, v10, v37 :: v_dual_add_f32 v8, v25, v8
	v_dual_fmac_f32 v0, v1, v5 :: v_dual_mul_f32 v1, v10, v39
	v_lshlrev_b32_e32 v3, 16, v3
	v_mul_f32_e32 v20, v17, v35
	s_delay_alu instid0(VALU_DEP_4) | instskip(SKIP_4) | instid1(VALU_DEP_4)
	v_dual_add_f32 v4, v4, v12 :: v_dual_fmac_f32 v13, v2, v14
	v_mul_f32_e32 v5, v17, v36
	v_dual_add_f32 v0, v8, v0 :: v_dual_fmac_f32 v1, v2, v6
	v_mul_f32_e32 v2, v17, v34
	v_fmac_f32_e32 v20, v3, v19
	v_dual_add_f32 v4, v4, v13 :: v_dual_fmac_f32 v5, v3, v15
	s_delay_alu instid0(VALU_DEP_4) | instskip(NEXT) | instid1(VALU_DEP_4)
	v_add_f32_e32 v0, v0, v1
	v_fmac_f32_e32 v2, v3, v7
	s_delay_alu instid0(VALU_DEP_4) | instskip(NEXT) | instid1(VALU_DEP_4)
	v_dual_add_f32 v74, v16, v21 :: v_dual_add_f32 v73, v11, v20
	v_add_f32_e32 v72, v4, v5
	s_delay_alu instid0(VALU_DEP_3)
	v_add_f32_e32 v71, v0, v2
	s_cbranch_scc1 .LBB269_15
.LBB269_12:                             ;   Parent Loop BB269_8 Depth=1
                                        ; =>  This Inner Loop Header: Depth=2
	v_dual_mov_b32 v59, 0 :: v_dual_add_nc_u32 v20, s23, v66
	v_dual_mov_b32 v58, 0 :: v_dual_mov_b32 v61, 0
	v_mov_b32_e32 v60, 0
	s_delay_alu instid0(VALU_DEP_3) | instskip(SKIP_3) | instid1(VALU_DEP_4)
	v_min_u32_e32 v49, s18, v20
	v_add_nc_u32_e32 v83, 0x200, v20
	v_dual_mov_b32 v23, 0 :: v_dual_mov_b32 v22, 0
	v_mov_b32_e32 v21, 0
	v_lshlrev_b64 v[0:1], 1, v[49:50]
	s_delay_alu instid0(VALU_DEP_4) | instskip(SKIP_3) | instid1(VALU_DEP_4)
	v_min_u32_e32 v49, s18, v83
	v_dual_mov_b32 v27, 0 :: v_dual_mov_b32 v26, 0
	v_dual_mov_b32 v25, 0 :: v_dual_mov_b32 v24, 0
	s_waitcnt lgkmcnt(0)
	v_add_co_u32 v6, vcc_lo, s2, v0
	v_add_co_ci_u32_e32 v7, vcc_lo, s3, v1, vcc_lo
	v_lshlrev_b64 v[0:1], 1, v[49:50]
	s_delay_alu instid0(VALU_DEP_3) | instskip(NEXT) | instid1(VALU_DEP_3)
	v_add_co_u32 v2, vcc_lo, v6, v52
	v_add_co_ci_u32_e32 v3, vcc_lo, v7, v53, vcc_lo
	v_add_co_u32 v4, vcc_lo, v6, v56
	v_add_co_ci_u32_e32 v5, vcc_lo, v7, v57, vcc_lo
	;; [unrolled: 2-line block ×4, first 2 shown]
	s_delay_alu instid0(VALU_DEP_4) | instskip(NEXT) | instid1(VALU_DEP_4)
	v_add_co_u32 v6, vcc_lo, v10, v52
	v_add_co_ci_u32_e32 v7, vcc_lo, v11, v53, vcc_lo
	v_add_co_u32 v8, vcc_lo, v10, v56
	v_add_co_ci_u32_e32 v9, vcc_lo, v11, v57, vcc_lo
	;; [unrolled: 2-line block ×3, first 2 shown]
	s_clause 0x5
	global_load_b128 v[40:43], v[2:3], off slc dlc
	global_load_b128 v[36:39], v[4:5], off slc dlc
	global_load_b128 v[32:35], v[0:1], off slc dlc
	global_load_b128 v[16:19], v[6:7], off slc dlc
	global_load_b128 v[12:15], v[8:9], off slc dlc
	global_load_b128 v[4:7], v[10:11], off slc dlc
	v_mov_b32_e32 v3, 0
	v_cmp_gt_u32_e32 vcc_lo, s4, v20
	v_dual_mov_b32 v2, 0 :: v_dual_mov_b32 v1, 0
	v_dual_mov_b32 v0, 0 :: v_dual_mov_b32 v11, 0
	v_dual_mov_b32 v10, 0 :: v_dual_mov_b32 v9, 0
	v_mov_b32_e32 v8, 0
	v_dual_mov_b32 v20, 0 :: v_dual_mov_b32 v63, 0
	v_dual_mov_b32 v62, 0 :: v_dual_mov_b32 v65, 0
	v_dual_mov_b32 v64, 0 :: v_dual_mov_b32 v31, 0
	v_dual_mov_b32 v30, 0 :: v_dual_mov_b32 v29, 0
	v_dual_mov_b32 v28, 0 :: v_dual_mov_b32 v47, 0
	v_dual_mov_b32 v46, 0 :: v_dual_mov_b32 v45, 0
	v_mov_b32_e32 v44, 0
	s_and_saveexec_b32 s24, vcc_lo
	s_cbranch_execz .LBB269_11
; %bb.13:                               ;   in Loop: Header=BB269_12 Depth=2
	v_dual_mov_b32 v20, 0 :: v_dual_add_nc_u32 v49, s6, v70
	v_dual_mov_b32 v22, 0 :: v_dual_add_nc_u32 v85, s14, v70
	v_dual_mov_b32 v21, 0 :: v_dual_add_nc_u32 v84, s9, v70
	ds_load_b128 v[44:47], v70
	ds_load_b128 v[28:31], v49
	ds_load_2addr_b32 v[64:65], v85 offset1:1
	ds_load_2addr_b32 v[62:63], v85 offset0:2 offset1:3
	ds_load_b128 v[24:27], v84
	v_dual_mov_b32 v23, 0 :: v_dual_mov_b32 v8, 0
	v_dual_mov_b32 v9, 0 :: v_dual_mov_b32 v10, 0
	;; [unrolled: 1-line block ×6, first 2 shown]
	v_mov_b32_e32 v3, 0
	s_mov_b32 s25, exec_lo
	v_cmpx_gt_u32_e64 s4, v83
	s_cbranch_execz .LBB269_10
; %bb.14:                               ;   in Loop: Header=BB269_12 Depth=2
	v_add_nc_u32_e32 v0, 0x400, v85
	v_add_nc_u32_e32 v1, 0x408, v85
	ds_load_b128 v[20:23], v70 offset:1024
	ds_load_2addr_b32 v[60:61], v0 offset1:1
	ds_load_2addr_b32 v[58:59], v1 offset1:1
	ds_load_b128 v[8:11], v49 offset:1024
	ds_load_b128 v[0:3], v84 offset:1024
	s_branch .LBB269_10
.LBB269_15:                             ;   in Loop: Header=BB269_8 Depth=1
	; sched_barrier mask(0x00000000)
	s_delay_alu instid0(VALU_DEP_1)
	v_cvt_i32_f32_e32 v0, v80
	s_waitcnt lgkmcnt(0)
	v_cvt_i32_f32_e32 v1, v81
	v_cvt_i32_f32_e32 v2, v82
	;; [unrolled: 1-line block ×4, first 2 shown]
	v_cvt_f32_i32_dpp v0, v0 row_shr:8 row_mask:0xf bank_mask:0xf bound_ctrl:1
	v_cvt_f32_i32_dpp v1, v1 row_shr:8 row_mask:0xf bank_mask:0xf bound_ctrl:1
	v_cvt_i32_f32_e32 v5, v78
	v_cvt_f32_i32_dpp v2, v2 row_shr:8 row_mask:0xf bank_mask:0xf bound_ctrl:1
	v_cvt_f32_i32_dpp v3, v3 row_shr:8 row_mask:0xf bank_mask:0xf bound_ctrl:1
	s_delay_alu instid0(VALU_DEP_4) | instskip(SKIP_2) | instid1(VALU_DEP_4)
	v_dual_add_f32 v0, v80, v0 :: v_dual_add_f32 v1, v81, v1
	v_cvt_f32_i32_dpp v4, v4 row_shr:8 row_mask:0xf bank_mask:0xf bound_ctrl:1
	v_cvt_f32_i32_dpp v5, v5 row_shr:8 row_mask:0xf bank_mask:0xf bound_ctrl:1
	v_dual_add_f32 v2, v82, v2 :: v_dual_add_f32 v3, v79, v3
	s_delay_alu instid0(VALU_DEP_4) | instskip(SKIP_1) | instid1(VALU_DEP_4)
	v_cvt_i32_f32_e32 v7, v0
	v_cvt_i32_f32_e32 v8, v1
	v_dual_add_f32 v4, v76, v4 :: v_dual_add_f32 v5, v78, v5
	v_cvt_i32_f32_e32 v6, v77
	s_delay_alu instid0(VALU_DEP_4) | instskip(NEXT) | instid1(VALU_DEP_4)
	v_cvt_f32_i32_dpp v7, v7 row_shr:4 row_mask:0xf bank_mask:0xf bound_ctrl:1
	v_cvt_f32_i32_dpp v8, v8 row_shr:4 row_mask:0xf bank_mask:0xf bound_ctrl:1
	s_delay_alu instid0(VALU_DEP_4) | instskip(SKIP_2) | instid1(VALU_DEP_4)
	v_cvt_i32_f32_e32 v11, v4
	v_cvt_i32_f32_e32 v12, v5
	v_cvt_f32_i32_dpp v6, v6 row_shr:8 row_mask:0xf bank_mask:0xf bound_ctrl:1
	v_dual_add_f32 v0, v0, v7 :: v_dual_add_f32 v1, v1, v8
	v_cvt_i32_f32_e32 v7, v2
	v_cvt_i32_f32_e32 v8, v3
	v_cvt_f32_i32_dpp v11, v11 row_shr:4 row_mask:0xf bank_mask:0xf bound_ctrl:1
	s_delay_alu instid0(VALU_DEP_4)
	v_cvt_i32_f32_e32 v9, v0
	v_cvt_i32_f32_e32 v10, v1
	v_cvt_f32_i32_dpp v7, v7 row_shr:4 row_mask:0xf bank_mask:0xf bound_ctrl:1
	v_cvt_f32_i32_dpp v8, v8 row_shr:4 row_mask:0xf bank_mask:0xf bound_ctrl:1
	v_add_f32_e32 v6, v77, v6
	v_cvt_f32_i32_dpp v9, v9 row_shr:2 row_mask:0xf bank_mask:0xf bound_ctrl:1
	v_cvt_f32_i32_dpp v10, v10 row_shr:2 row_mask:0xf bank_mask:0xf bound_ctrl:1
	s_delay_alu instid0(VALU_DEP_4) | instskip(NEXT) | instid1(VALU_DEP_4)
	v_add_f32_e32 v3, v3, v8
	v_cvt_i32_f32_e32 v13, v6
	s_delay_alu instid0(VALU_DEP_3) | instskip(SKIP_2) | instid1(VALU_DEP_4)
	v_dual_add_f32 v0, v0, v9 :: v_dual_add_f32 v1, v1, v10
	v_cvt_f32_i32_dpp v9, v12 row_shr:4 row_mask:0xf bank_mask:0xf bound_ctrl:1
	v_add_f32_e32 v2, v2, v7
	v_cvt_f32_i32_dpp v10, v13 row_shr:4 row_mask:0xf bank_mask:0xf bound_ctrl:1
	s_delay_alu instid0(VALU_DEP_4) | instskip(SKIP_3) | instid1(VALU_DEP_4)
	v_cvt_i32_f32_e32 v7, v0
	v_cvt_i32_f32_e32 v12, v1
	v_add_f32_e32 v5, v5, v9
	v_cvt_i32_f32_e32 v9, v2
	v_cvt_f32_i32_dpp v7, v7 row_shr:1 row_mask:0xf bank_mask:0xf bound_ctrl:1
	s_delay_alu instid0(VALU_DEP_4) | instskip(NEXT) | instid1(VALU_DEP_3)
	v_cvt_f32_i32_dpp v8, v12 row_shr:1 row_mask:0xf bank_mask:0xf bound_ctrl:1
	v_cvt_f32_i32_dpp v9, v9 row_shr:2 row_mask:0xf bank_mask:0xf bound_ctrl:1
	s_delay_alu instid0(VALU_DEP_3) | instskip(NEXT) | instid1(VALU_DEP_2)
	v_add_f32_e32 v26, v0, v7
	v_add_f32_e32 v2, v2, v9
	s_delay_alu instid0(VALU_DEP_4) | instskip(SKIP_1) | instid1(VALU_DEP_1)
	v_add_f32_e32 v0, v1, v8
	v_cvt_i32_f32_e32 v8, v5
	v_cvt_f32_i32_dpp v8, v8 row_shr:2 row_mask:0xf bank_mask:0xf bound_ctrl:1
	v_add_f32_e32 v6, v6, v10
	v_cvt_i32_f32_e32 v10, v3
	s_delay_alu instid0(VALU_DEP_3) | instskip(NEXT) | instid1(VALU_DEP_2)
	v_add_f32_e32 v5, v5, v8
	v_cvt_f32_i32_dpp v10, v10 row_shr:2 row_mask:0xf bank_mask:0xf bound_ctrl:1
	v_add_f32_e32 v4, v4, v11
	v_cvt_i32_f32_e32 v11, v6
	s_delay_alu instid0(VALU_DEP_3) | instskip(SKIP_1) | instid1(VALU_DEP_4)
	v_add_f32_e32 v3, v3, v10
	v_cvt_i32_f32_e32 v10, v5
	v_cvt_i32_f32_e32 v7, v4
	s_delay_alu instid0(VALU_DEP_4) | instskip(NEXT) | instid1(VALU_DEP_4)
	v_cvt_f32_i32_dpp v11, v11 row_shr:2 row_mask:0xf bank_mask:0xf bound_ctrl:1
	v_cvt_i32_f32_e32 v8, v3
	s_delay_alu instid0(VALU_DEP_4) | instskip(NEXT) | instid1(VALU_DEP_4)
	v_cvt_f32_i32_dpp v10, v10 row_shr:1 row_mask:0xf bank_mask:0xf bound_ctrl:1
	v_cvt_f32_i32_dpp v7, v7 row_shr:2 row_mask:0xf bank_mask:0xf bound_ctrl:1
	s_delay_alu instid0(VALU_DEP_3) | instskip(NEXT) | instid1(VALU_DEP_3)
	v_cvt_f32_i32_dpp v8, v8 row_shr:1 row_mask:0xf bank_mask:0xf bound_ctrl:1
	v_add_f32_e32 v12, v5, v10
	v_cvt_i32_f32_e32 v5, v72
	s_delay_alu instid0(VALU_DEP_3) | instskip(SKIP_1) | instid1(VALU_DEP_3)
	v_add_f32_e32 v20, v3, v8
	v_cvt_i32_f32_e32 v3, v74
	v_cvt_f32_i32_dpp v5, v5 row_shr:8 row_mask:0xf bank_mask:0xf bound_ctrl:1
	s_delay_alu instid0(VALU_DEP_2) | instskip(NEXT) | instid1(VALU_DEP_2)
	v_cvt_f32_i32_dpp v3, v3 row_shr:8 row_mask:0xf bank_mask:0xf bound_ctrl:1
	v_add_f32_e32 v5, v72, v5
	ds_bpermute_b32 v13, v68, v12
	v_add_f32_e32 v3, v74, v3
	v_cvt_i32_f32_e32 v14, v5
	ds_bpermute_b32 v21, v68, v20
	v_cvt_i32_f32_e32 v10, v3
	v_cvt_f32_i32_dpp v14, v14 row_shr:4 row_mask:0xf bank_mask:0xf bound_ctrl:1
	s_delay_alu instid0(VALU_DEP_2) | instskip(NEXT) | instid1(VALU_DEP_2)
	v_cvt_f32_i32_dpp v10, v10 row_shr:4 row_mask:0xf bank_mask:0xf bound_ctrl:1
	v_add_f32_e32 v5, v5, v14
	s_delay_alu instid0(VALU_DEP_2) | instskip(NEXT) | instid1(VALU_DEP_2)
	v_add_f32_e32 v3, v3, v10
	v_cvt_i32_f32_e32 v14, v5
	ds_bpermute_b32 v27, v68, v26
	v_cvt_i32_f32_e32 v10, v3
	v_cvt_f32_i32_dpp v14, v14 row_shr:2 row_mask:0xf bank_mask:0xf bound_ctrl:1
	s_delay_alu instid0(VALU_DEP_2) | instskip(SKIP_2) | instid1(VALU_DEP_4)
	v_cvt_f32_i32_dpp v10, v10 row_shr:2 row_mask:0xf bank_mask:0xf bound_ctrl:1
	v_add_f32_e32 v4, v4, v7
	v_cvt_i32_f32_e32 v7, v2
	v_add_f32_e32 v5, v5, v14
	s_delay_alu instid0(VALU_DEP_4) | instskip(NEXT) | instid1(VALU_DEP_4)
	v_add_f32_e32 v3, v3, v10
	v_cvt_i32_f32_e32 v9, v4
	s_delay_alu instid0(VALU_DEP_4) | instskip(NEXT) | instid1(VALU_DEP_4)
	v_cvt_f32_i32_dpp v7, v7 row_shr:1 row_mask:0xf bank_mask:0xf bound_ctrl:1
	v_cvt_i32_f32_e32 v14, v5
	s_delay_alu instid0(VALU_DEP_4) | instskip(NEXT) | instid1(VALU_DEP_4)
	v_cvt_i32_f32_e32 v10, v3
	v_cvt_f32_i32_dpp v9, v9 row_shr:1 row_mask:0xf bank_mask:0xf bound_ctrl:1
	v_add_f32_e32 v6, v6, v11
	v_add_f32_e32 v23, v2, v7
	v_cvt_i32_f32_e32 v2, v75
	v_cvt_f32_i32_dpp v10, v10 row_shr:1 row_mask:0xf bank_mask:0xf bound_ctrl:1
	v_add_f32_e32 v17, v4, v9
	v_cvt_i32_f32_e32 v11, v6
	v_cvt_i32_f32_e32 v4, v73
	v_cvt_f32_i32_dpp v2, v2 row_shr:8 row_mask:0xf bank_mask:0xf bound_ctrl:1
	v_add_f32_e32 v10, v3, v10
	ds_bpermute_b32 v1, v68, v0
	v_cvt_f32_i32_dpp v11, v11 row_shr:1 row_mask:0xf bank_mask:0xf bound_ctrl:1
	v_cvt_f32_i32_dpp v4, v4 row_shr:8 row_mask:0xf bank_mask:0xf bound_ctrl:1
	ds_bpermute_b32 v24, v68, v23
	ds_bpermute_b32 v18, v68, v17
	v_cvt_f32_i32_dpp v16, v14 row_shr:1 row_mask:0xf bank_mask:0xf bound_ctrl:1
	v_add_f32_e32 v8, v6, v11
	v_cvt_i32_f32_e32 v6, v71
	v_add_f32_e32 v4, v73, v4
	ds_bpermute_b32 v9, v68, v8
	v_cvt_f32_i32_dpp v6, v6 row_shr:8 row_mask:0xf bank_mask:0xf bound_ctrl:1
	v_cvt_i32_f32_e32 v11, v4
	s_delay_alu instid0(VALU_DEP_2) | instskip(NEXT) | instid1(VALU_DEP_2)
	v_add_f32_e32 v6, v71, v6
	v_cvt_f32_i32_dpp v11, v11 row_shr:4 row_mask:0xf bank_mask:0xf bound_ctrl:1
	s_delay_alu instid0(VALU_DEP_2) | instskip(NEXT) | instid1(VALU_DEP_2)
	v_cvt_i32_f32_e32 v15, v6
	v_add_f32_e32 v4, v4, v11
	s_delay_alu instid0(VALU_DEP_2) | instskip(NEXT) | instid1(VALU_DEP_2)
	v_cvt_f32_i32_dpp v15, v15 row_shr:4 row_mask:0xf bank_mask:0xf bound_ctrl:1
	v_cvt_i32_f32_e32 v11, v4
	s_delay_alu instid0(VALU_DEP_2) | instskip(NEXT) | instid1(VALU_DEP_2)
	v_add_f32_e32 v6, v6, v15
	v_cvt_f32_i32_dpp v11, v11 row_shr:2 row_mask:0xf bank_mask:0xf bound_ctrl:1
	s_delay_alu instid0(VALU_DEP_2) | instskip(NEXT) | instid1(VALU_DEP_2)
	v_cvt_i32_f32_e32 v15, v6
	v_add_f32_e32 v4, v4, v11
	s_delay_alu instid0(VALU_DEP_2) | instskip(SKIP_1) | instid1(VALU_DEP_3)
	v_cvt_f32_i32_dpp v15, v15 row_shr:2 row_mask:0xf bank_mask:0xf bound_ctrl:1
	v_add_f32_e32 v2, v75, v2
	v_cvt_i32_f32_e32 v11, v4
	s_delay_alu instid0(VALU_DEP_2) | instskip(NEXT) | instid1(VALU_DEP_2)
	v_cvt_i32_f32_e32 v7, v2
	v_cvt_f32_i32_dpp v11, v11 row_shr:1 row_mask:0xf bank_mask:0xf bound_ctrl:1
	s_delay_alu instid0(VALU_DEP_2) | instskip(NEXT) | instid1(VALU_DEP_1)
	v_cvt_f32_i32_dpp v7, v7 row_shr:4 row_mask:0xf bank_mask:0xf bound_ctrl:1
	v_add_f32_e32 v2, v2, v7
	s_delay_alu instid0(VALU_DEP_1) | instskip(NEXT) | instid1(VALU_DEP_1)
	v_cvt_i32_f32_e32 v7, v2
	v_cvt_f32_i32_dpp v7, v7 row_shr:2 row_mask:0xf bank_mask:0xf bound_ctrl:1
	s_delay_alu instid0(VALU_DEP_1) | instskip(SKIP_1) | instid1(VALU_DEP_2)
	v_add_f32_e32 v2, v2, v7
	v_add_f32_e32 v7, v6, v15
	v_cvt_i32_f32_e32 v6, v2
	s_delay_alu instid0(VALU_DEP_2) | instskip(NEXT) | instid1(VALU_DEP_2)
	v_cvt_i32_f32_e32 v15, v7
	v_cvt_f32_i32_dpp v6, v6 row_shr:1 row_mask:0xf bank_mask:0xf bound_ctrl:1
	s_delay_alu instid0(VALU_DEP_2) | instskip(NEXT) | instid1(VALU_DEP_2)
	v_cvt_f32_i32_dpp v15, v15 row_shr:1 row_mask:0xf bank_mask:0xf bound_ctrl:1
	v_add_f32_e32 v14, v2, v6
	v_add_f32_e32 v6, v4, v11
	v_add_f32_e32 v4, v5, v16
	s_delay_alu instid0(VALU_DEP_4)
	v_add_f32_e32 v2, v7, v15
	ds_bpermute_b32 v11, v68, v10
	ds_bpermute_b32 v15, v68, v14
	;; [unrolled: 1-line block ×5, first 2 shown]
	s_and_saveexec_b32 s23, s0
	s_cbranch_execz .LBB269_7
; %bb.16:                               ;   in Loop: Header=BB269_8 Depth=1
	v_dual_mov_b32 v35, 0 :: v_dual_mov_b32 v34, 0
	v_dual_mov_b32 v33, 0 :: v_dual_mov_b32 v32, 0
	;; [unrolled: 1-line block ×6, first 2 shown]
	s_and_not1_b32 vcc_lo, exec_lo, s20
	s_cbranch_vccnz .LBB269_18
; %bb.17:                               ;   in Loop: Header=BB269_8 Depth=1
	v_dual_mov_b32 v29, v50 :: v_dual_add_nc_u32 v16, 1, v48
	v_mul_hi_u32 v19, v48, v69
	v_mul_hi_u32 v22, v51, v69
	v_mov_b32_e32 v44, v50
	s_delay_alu instid0(VALU_DEP_4) | instskip(NEXT) | instid1(VALU_DEP_4)
	v_mul_hi_u32 v25, v16, v69
	v_mul_lo_u32 v19, v19, s8
	s_delay_alu instid0(VALU_DEP_4) | instskip(NEXT) | instid1(VALU_DEP_3)
	v_mul_lo_u32 v22, v22, s8
	v_mul_lo_u32 v25, v25, s8
	s_delay_alu instid0(VALU_DEP_3) | instskip(NEXT) | instid1(VALU_DEP_3)
	v_sub_nc_u32_e32 v19, v48, v19
	v_sub_nc_u32_e32 v22, v51, v22
	s_delay_alu instid0(VALU_DEP_3) | instskip(NEXT) | instid1(VALU_DEP_3)
	v_sub_nc_u32_e32 v16, v16, v25
	v_subrev_nc_u32_e32 v25, s8, v19
	v_cmp_le_u32_e32 vcc_lo, s8, v19
	s_delay_alu instid0(VALU_DEP_4) | instskip(NEXT) | instid1(VALU_DEP_4)
	v_subrev_nc_u32_e32 v28, s8, v22
	v_subrev_nc_u32_e32 v30, s8, v16
	s_delay_alu instid0(VALU_DEP_4) | instskip(SKIP_1) | instid1(VALU_DEP_4)
	v_cndmask_b32_e32 v19, v19, v25, vcc_lo
	v_cmp_le_u32_e32 vcc_lo, s8, v22
	v_cndmask_b32_e32 v22, v22, v28, vcc_lo
	v_cmp_le_u32_e32 vcc_lo, s8, v16
	v_mov_b32_e32 v31, v50
	v_subrev_nc_u32_e32 v25, s8, v19
	s_delay_alu instid0(VALU_DEP_4) | instskip(SKIP_3) | instid1(VALU_DEP_3)
	v_subrev_nc_u32_e32 v28, s8, v22
	v_cndmask_b32_e32 v16, v16, v30, vcc_lo
	v_cmp_le_u32_e32 vcc_lo, s8, v19
	v_mov_b32_e32 v34, v50
	v_subrev_nc_u32_e32 v32, s8, v16
	v_cndmask_b32_e32 v49, v19, v25, vcc_lo
	v_cmp_le_u32_e32 vcc_lo, s8, v22
	s_delay_alu instid0(VALU_DEP_2) | instskip(SKIP_3) | instid1(VALU_DEP_3)
	v_lshlrev_b64 v[37:38], 1, v[49:50]
	v_dual_cndmask_b32 v30, v22, v28 :: v_dual_add_nc_u32 v43, s21, v49
	v_cmp_le_u32_e32 vcc_lo, s8, v16
	v_mov_b32_e32 v33, v50
	v_dual_mov_b32 v36, v50 :: v_dual_add_nc_u32 v35, s17, v30
	v_lshlrev_b64 v[39:40], 1, v[30:31]
	v_cndmask_b32_e32 v28, v16, v32, vcc_lo
	v_add_nc_u32_e32 v32, s17, v49
	v_add_co_u32 v37, vcc_lo, s10, v37
	v_add_co_ci_u32_e32 v38, vcc_lo, s11, v38, vcc_lo
	s_delay_alu instid0(VALU_DEP_4) | instskip(NEXT) | instid1(VALU_DEP_4)
	v_lshlrev_b64 v[41:42], 1, v[28:29]
	v_lshlrev_b64 v[31:32], 1, v[32:33]
	v_add_nc_u32_e32 v33, s17, v28
	v_add_co_u32 v39, vcc_lo, s10, v39
	v_add_co_ci_u32_e32 v40, vcc_lo, s11, v40, vcc_lo
	s_delay_alu instid0(VALU_DEP_3)
	v_lshlrev_b64 v[33:34], 1, v[33:34]
	v_add_co_u32 v41, vcc_lo, s10, v41
	v_add_co_ci_u32_e32 v42, vcc_lo, s11, v42, vcc_lo
	v_add_co_u32 v31, vcc_lo, s10, v31
	v_add_co_ci_u32_e32 v32, vcc_lo, s11, v32, vcc_lo
	v_lshlrev_b64 v[35:36], 1, v[35:36]
	v_add_co_u32 v45, vcc_lo, s10, v33
	v_add_co_ci_u32_e32 v46, vcc_lo, s11, v34, vcc_lo
	v_lshlrev_b64 v[33:34], 1, v[43:44]
	v_add_nc_u32_e32 v43, s21, v28
	v_add_co_u32 v52, vcc_lo, s10, v35
	v_add_co_ci_u32_e32 v53, vcc_lo, s11, v36, vcc_lo
	s_delay_alu instid0(VALU_DEP_3) | instskip(SKIP_4) | instid1(VALU_DEP_4)
	v_lshlrev_b64 v[35:36], 1, v[43:44]
	v_add_nc_u32_e32 v43, s21, v30
	v_add_co_u32 v54, vcc_lo, s10, v33
	v_add_nc_u32_e32 v49, s22, v49
	v_add_co_ci_u32_e32 v55, vcc_lo, s11, v34, vcc_lo
	v_lshlrev_b64 v[33:34], 1, v[43:44]
	v_add_co_u32 v43, vcc_lo, s10, v35
	v_add_co_ci_u32_e32 v44, vcc_lo, s11, v36, vcc_lo
	v_lshlrev_b64 v[35:36], 1, v[49:50]
	v_add_nc_u32_e32 v49, s22, v28
	v_add_co_u32 v56, vcc_lo, s10, v33
	v_add_co_ci_u32_e32 v57, vcc_lo, s11, v34, vcc_lo
	s_delay_alu instid0(VALU_DEP_3) | instskip(SKIP_3) | instid1(VALU_DEP_3)
	v_lshlrev_b64 v[28:29], 1, v[49:50]
	v_add_nc_u32_e32 v49, s22, v30
	v_add_co_u32 v58, vcc_lo, s10, v35
	v_add_co_ci_u32_e32 v59, vcc_lo, s11, v36, vcc_lo
	v_lshlrev_b64 v[33:34], 1, v[49:50]
	v_add_co_u32 v60, vcc_lo, s10, v28
	v_add_co_ci_u32_e32 v61, vcc_lo, s11, v29, vcc_lo
	s_delay_alu instid0(VALU_DEP_3) | instskip(NEXT) | instid1(VALU_DEP_4)
	v_add_co_u32 v62, vcc_lo, s10, v33
	v_add_co_ci_u32_e32 v63, vcc_lo, s11, v34, vcc_lo
	s_clause 0xb
	global_load_u16 v35, v[37:38], off
	global_load_u16 v34, v[41:42], off
	;; [unrolled: 1-line block ×12, first 2 shown]
.LBB269_18:                             ;   in Loop: Header=BB269_8 Depth=1
	s_waitcnt lgkmcnt(0)
	v_add_f32_e32 v26, v26, v27
	s_waitcnt vmcnt(11)
	v_lshlrev_b32_e32 v27, 16, v35
	s_delay_alu instid0(VALU_DEP_1) | instskip(NEXT) | instid1(VALU_DEP_1)
	v_add_f32_e32 v27, v26, v27
	v_and_b32_e32 v26, 0x7f800000, v27
	s_delay_alu instid0(VALU_DEP_1) | instskip(SKIP_1) | instid1(SALU_CYCLE_1)
	v_cmp_ne_u32_e32 vcc_lo, 0x7f800000, v26
                                        ; implicit-def: $vgpr26
	s_and_saveexec_b32 s24, vcc_lo
	s_xor_b32 s24, exec_lo, s24
; %bb.19:                               ;   in Loop: Header=BB269_8 Depth=1
	v_bfe_u32 v26, v27, 16, 1
	s_delay_alu instid0(VALU_DEP_1)
	v_add3_u32 v26, v27, v26, 0x7fff
                                        ; implicit-def: $vgpr27
; %bb.20:                               ;   in Loop: Header=BB269_8 Depth=1
	s_and_not1_saveexec_b32 s24, s24
; %bb.21:                               ;   in Loop: Header=BB269_8 Depth=1
	v_and_b32_e32 v26, 0xffff, v27
	v_or_b32_e32 v35, 0x10000, v27
	s_delay_alu instid0(VALU_DEP_2) | instskip(NEXT) | instid1(VALU_DEP_2)
	v_cmp_eq_u32_e32 vcc_lo, 0, v26
	v_cndmask_b32_e32 v26, v35, v27, vcc_lo
; %bb.22:                               ;   in Loop: Header=BB269_8 Depth=1
	s_or_b32 exec_lo, exec_lo, s24
	s_waitcnt vmcnt(10)
	v_dual_add_f32 v0, v0, v1 :: v_dual_lshlrev_b32 v1, 16, v34
	s_mov_b32 s24, exec_lo
	s_delay_alu instid0(VALU_DEP_1) | instskip(NEXT) | instid1(VALU_DEP_1)
	v_add_f32_e32 v27, v0, v1
	v_dual_mov_b32 v49, v50 :: v_dual_and_b32 v34, 0x7f800000, v27
	s_delay_alu instid0(VALU_DEP_1) | instskip(NEXT) | instid1(VALU_DEP_1)
	v_lshlrev_b64 v[0:1], 1, v[48:49]
	v_add_co_u32 v0, vcc_lo, s12, v0
	s_delay_alu instid0(VALU_DEP_2)
	v_add_co_ci_u32_e32 v1, vcc_lo, s13, v1, vcc_lo
	global_store_d16_hi_b16 v[0:1], v26, off
                                        ; implicit-def: $vgpr26
	v_cmpx_ne_u32_e32 0x7f800000, v34
	s_xor_b32 s24, exec_lo, s24
; %bb.23:                               ;   in Loop: Header=BB269_8 Depth=1
	v_bfe_u32 v26, v27, 16, 1
	s_delay_alu instid0(VALU_DEP_1)
	v_add3_u32 v26, v27, v26, 0x7fff
                                        ; implicit-def: $vgpr27
; %bb.24:                               ;   in Loop: Header=BB269_8 Depth=1
	s_and_not1_saveexec_b32 s24, s24
; %bb.25:                               ;   in Loop: Header=BB269_8 Depth=1
	v_and_b32_e32 v26, 0xffff, v27
	v_or_b32_e32 v34, 0x10000, v27
	s_delay_alu instid0(VALU_DEP_2) | instskip(NEXT) | instid1(VALU_DEP_2)
	v_cmp_eq_u32_e32 vcc_lo, 0, v26
	v_cndmask_b32_e32 v26, v34, v27, vcc_lo
; %bb.26:                               ;   in Loop: Header=BB269_8 Depth=1
	s_or_b32 exec_lo, exec_lo, s24
	s_waitcnt vmcnt(9)
	v_dual_add_f32 v23, v23, v24 :: v_dual_lshlrev_b32 v24, 16, v33
	s_mov_b32 s24, exec_lo
	global_store_d16_hi_b16 v[0:1], v26, off offset:2
                                        ; implicit-def: $vgpr0
	v_add_f32_e32 v23, v23, v24
	s_delay_alu instid0(VALU_DEP_1) | instskip(NEXT) | instid1(VALU_DEP_1)
	v_and_b32_e32 v24, 0x7f800000, v23
	v_cmpx_ne_u32_e32 0x7f800000, v24
	s_xor_b32 s24, exec_lo, s24
; %bb.27:                               ;   in Loop: Header=BB269_8 Depth=1
	v_bfe_u32 v0, v23, 16, 1
	s_delay_alu instid0(VALU_DEP_1)
	v_add3_u32 v0, v23, v0, 0x7fff
                                        ; implicit-def: $vgpr23
; %bb.28:                               ;   in Loop: Header=BB269_8 Depth=1
	s_and_not1_saveexec_b32 s24, s24
; %bb.29:                               ;   in Loop: Header=BB269_8 Depth=1
	v_and_b32_e32 v0, 0xffff, v23
	v_or_b32_e32 v1, 0x10000, v23
	s_delay_alu instid0(VALU_DEP_2) | instskip(NEXT) | instid1(VALU_DEP_2)
	v_cmp_eq_u32_e32 vcc_lo, 0, v0
	v_cndmask_b32_e32 v0, v1, v23, vcc_lo
; %bb.30:                               ;   in Loop: Header=BB269_8 Depth=1
	s_or_b32 exec_lo, exec_lo, s24
	s_waitcnt vmcnt(8)
	v_dual_add_f32 v1, v20, v21 :: v_dual_lshlrev_b32 v20, 16, v32
	v_mov_b32_e32 v52, v50
	s_mov_b32 s24, exec_lo
	s_delay_alu instid0(VALU_DEP_2) | instskip(NEXT) | instid1(VALU_DEP_2)
	v_add_f32_e32 v1, v1, v20
	v_lshlrev_b64 v[20:21], 1, v[51:52]
	s_delay_alu instid0(VALU_DEP_2) | instskip(NEXT) | instid1(VALU_DEP_2)
	v_and_b32_e32 v23, 0x7f800000, v1
	v_add_co_u32 v20, vcc_lo, s12, v20
	s_delay_alu instid0(VALU_DEP_3)
	v_add_co_ci_u32_e32 v21, vcc_lo, s13, v21, vcc_lo
	global_store_d16_hi_b16 v[20:21], v0, off
                                        ; implicit-def: $vgpr0
	v_cmpx_ne_u32_e32 0x7f800000, v23
	s_xor_b32 s24, exec_lo, s24
; %bb.31:                               ;   in Loop: Header=BB269_8 Depth=1
	v_bfe_u32 v0, v1, 16, 1
	s_delay_alu instid0(VALU_DEP_1)
	v_add3_u32 v0, v1, v0, 0x7fff
                                        ; implicit-def: $vgpr1
; %bb.32:                               ;   in Loop: Header=BB269_8 Depth=1
	s_and_not1_saveexec_b32 s24, s24
; %bb.33:                               ;   in Loop: Header=BB269_8 Depth=1
	v_and_b32_e32 v0, 0xffff, v1
	v_or_b32_e32 v20, 0x10000, v1
	s_delay_alu instid0(VALU_DEP_2) | instskip(NEXT) | instid1(VALU_DEP_2)
	v_cmp_eq_u32_e32 vcc_lo, 0, v0
	v_cndmask_b32_e32 v0, v20, v1, vcc_lo
; %bb.34:                               ;   in Loop: Header=BB269_8 Depth=1
	s_or_b32 exec_lo, exec_lo, s24
	v_add_f32_e32 v1, v17, v18
	s_waitcnt vmcnt(7)
	v_lshlrev_b32_e32 v17, 16, v31
	v_add_nc_u32_e32 v49, s7, v48
	s_mov_b32 s24, exec_lo
	s_delay_alu instid0(VALU_DEP_2) | instskip(NEXT) | instid1(VALU_DEP_2)
	v_add_f32_e32 v1, v1, v17
	v_lshlrev_b64 v[17:18], 1, v[49:50]
	s_delay_alu instid0(VALU_DEP_2) | instskip(NEXT) | instid1(VALU_DEP_2)
	v_and_b32_e32 v20, 0x7f800000, v1
	v_add_co_u32 v17, vcc_lo, s12, v17
	s_delay_alu instid0(VALU_DEP_3)
	v_add_co_ci_u32_e32 v18, vcc_lo, s13, v18, vcc_lo
	global_store_d16_hi_b16 v[17:18], v0, off
                                        ; implicit-def: $vgpr0
	v_cmpx_ne_u32_e32 0x7f800000, v20
	s_xor_b32 s24, exec_lo, s24
; %bb.35:                               ;   in Loop: Header=BB269_8 Depth=1
	v_bfe_u32 v0, v1, 16, 1
	s_delay_alu instid0(VALU_DEP_1)
	v_add3_u32 v0, v1, v0, 0x7fff
                                        ; implicit-def: $vgpr1
; %bb.36:                               ;   in Loop: Header=BB269_8 Depth=1
	s_and_not1_saveexec_b32 s24, s24
; %bb.37:                               ;   in Loop: Header=BB269_8 Depth=1
	v_and_b32_e32 v0, 0xffff, v1
	v_or_b32_e32 v17, 0x10000, v1
	s_delay_alu instid0(VALU_DEP_2) | instskip(NEXT) | instid1(VALU_DEP_2)
	v_cmp_eq_u32_e32 vcc_lo, 0, v0
	v_cndmask_b32_e32 v0, v17, v1, vcc_lo
; %bb.38:                               ;   in Loop: Header=BB269_8 Depth=1
	s_or_b32 exec_lo, exec_lo, s24
	v_add_f32_e32 v1, v12, v13
	v_dual_mov_b32 v13, v50 :: v_dual_add_nc_u32 v12, 1, v49
	s_waitcnt vmcnt(6)
	v_lshlrev_b32_e32 v17, 16, v30
	s_mov_b32 s24, exec_lo
	s_delay_alu instid0(VALU_DEP_2) | instskip(NEXT) | instid1(VALU_DEP_2)
	v_lshlrev_b64 v[12:13], 1, v[12:13]
	v_add_f32_e32 v1, v1, v17
	s_delay_alu instid0(VALU_DEP_1) | instskip(NEXT) | instid1(VALU_DEP_3)
	v_and_b32_e32 v17, 0x7f800000, v1
	v_add_co_u32 v12, vcc_lo, s12, v12
	s_delay_alu instid0(VALU_DEP_4)
	v_add_co_ci_u32_e32 v13, vcc_lo, s13, v13, vcc_lo
	global_store_d16_hi_b16 v[12:13], v0, off
                                        ; implicit-def: $vgpr0
	v_cmpx_ne_u32_e32 0x7f800000, v17
	s_xor_b32 s24, exec_lo, s24
; %bb.39:                               ;   in Loop: Header=BB269_8 Depth=1
	v_bfe_u32 v0, v1, 16, 1
	s_delay_alu instid0(VALU_DEP_1)
	v_add3_u32 v0, v1, v0, 0x7fff
                                        ; implicit-def: $vgpr1
; %bb.40:                               ;   in Loop: Header=BB269_8 Depth=1
	s_and_not1_saveexec_b32 s24, s24
; %bb.41:                               ;   in Loop: Header=BB269_8 Depth=1
	v_and_b32_e32 v0, 0xffff, v1
	v_or_b32_e32 v12, 0x10000, v1
	s_delay_alu instid0(VALU_DEP_2) | instskip(NEXT) | instid1(VALU_DEP_2)
	v_cmp_eq_u32_e32 vcc_lo, 0, v0
	v_cndmask_b32_e32 v0, v12, v1, vcc_lo
; %bb.42:                               ;   in Loop: Header=BB269_8 Depth=1
	s_or_b32 exec_lo, exec_lo, s24
	v_add_f32_e32 v1, v8, v9
	v_dual_mov_b32 v9, v50 :: v_dual_add_nc_u32 v8, 2, v49
	s_waitcnt vmcnt(5)
	v_lshlrev_b32_e32 v12, 16, v29
	s_mov_b32 s24, exec_lo
	s_delay_alu instid0(VALU_DEP_2) | instskip(NEXT) | instid1(VALU_DEP_2)
	v_lshlrev_b64 v[8:9], 1, v[8:9]
	v_add_f32_e32 v1, v1, v12
	s_delay_alu instid0(VALU_DEP_1) | instskip(NEXT) | instid1(VALU_DEP_3)
	v_and_b32_e32 v12, 0x7f800000, v1
	v_add_co_u32 v8, vcc_lo, s12, v8
	s_delay_alu instid0(VALU_DEP_4)
	v_add_co_ci_u32_e32 v9, vcc_lo, s13, v9, vcc_lo
	global_store_d16_hi_b16 v[8:9], v0, off
                                        ; implicit-def: $vgpr0
	v_cmpx_ne_u32_e32 0x7f800000, v12
	s_xor_b32 s24, exec_lo, s24
; %bb.43:                               ;   in Loop: Header=BB269_8 Depth=1
	v_bfe_u32 v0, v1, 16, 1
	s_delay_alu instid0(VALU_DEP_1)
	v_add3_u32 v0, v1, v0, 0x7fff
                                        ; implicit-def: $vgpr1
; %bb.44:                               ;   in Loop: Header=BB269_8 Depth=1
	s_and_not1_saveexec_b32 s24, s24
; %bb.45:                               ;   in Loop: Header=BB269_8 Depth=1
	v_and_b32_e32 v0, 0xffff, v1
	v_or_b32_e32 v8, 0x10000, v1
	s_delay_alu instid0(VALU_DEP_2) | instskip(NEXT) | instid1(VALU_DEP_2)
	v_cmp_eq_u32_e32 vcc_lo, 0, v0
	v_cndmask_b32_e32 v0, v8, v1, vcc_lo
; %bb.46:                               ;   in Loop: Header=BB269_8 Depth=1
	s_or_b32 exec_lo, exec_lo, s24
	s_waitcnt vmcnt(4)
	v_dual_add_f32 v1, v14, v15 :: v_dual_lshlrev_b32 v8, 16, v28
	v_add_nc_u32_e32 v49, s7, v49
	s_mov_b32 s24, exec_lo
	s_delay_alu instid0(VALU_DEP_2) | instskip(NEXT) | instid1(VALU_DEP_2)
	v_add_f32_e32 v1, v1, v8
	v_lshlrev_b64 v[8:9], 1, v[49:50]
	s_delay_alu instid0(VALU_DEP_2) | instskip(NEXT) | instid1(VALU_DEP_2)
	v_and_b32_e32 v12, 0x7f800000, v1
	v_add_co_u32 v8, vcc_lo, s12, v8
	s_delay_alu instid0(VALU_DEP_3)
	v_add_co_ci_u32_e32 v9, vcc_lo, s13, v9, vcc_lo
	global_store_d16_hi_b16 v[8:9], v0, off
                                        ; implicit-def: $vgpr0
	v_cmpx_ne_u32_e32 0x7f800000, v12
	s_xor_b32 s24, exec_lo, s24
; %bb.47:                               ;   in Loop: Header=BB269_8 Depth=1
	v_bfe_u32 v0, v1, 16, 1
	s_delay_alu instid0(VALU_DEP_1)
	v_add3_u32 v0, v1, v0, 0x7fff
                                        ; implicit-def: $vgpr1
; %bb.48:                               ;   in Loop: Header=BB269_8 Depth=1
	s_and_not1_saveexec_b32 s24, s24
; %bb.49:                               ;   in Loop: Header=BB269_8 Depth=1
	v_and_b32_e32 v0, 0xffff, v1
	v_or_b32_e32 v8, 0x10000, v1
	s_delay_alu instid0(VALU_DEP_2) | instskip(NEXT) | instid1(VALU_DEP_2)
	v_cmp_eq_u32_e32 vcc_lo, 0, v0
	v_cndmask_b32_e32 v0, v8, v1, vcc_lo
; %bb.50:                               ;   in Loop: Header=BB269_8 Depth=1
	s_or_b32 exec_lo, exec_lo, s24
	v_dual_add_f32 v1, v10, v11 :: v_dual_add_nc_u32 v8, 1, v49
	s_waitcnt vmcnt(3)
	v_dual_mov_b32 v9, v50 :: v_dual_lshlrev_b32 v10, 16, v25
	s_mov_b32 s24, exec_lo
	s_delay_alu instid0(VALU_DEP_1) | instskip(NEXT) | instid1(VALU_DEP_2)
	v_add_f32_e32 v1, v1, v10
	v_lshlrev_b64 v[8:9], 1, v[8:9]
	s_delay_alu instid0(VALU_DEP_2) | instskip(NEXT) | instid1(VALU_DEP_2)
	v_and_b32_e32 v10, 0x7f800000, v1
	v_add_co_u32 v8, vcc_lo, s12, v8
	s_delay_alu instid0(VALU_DEP_3)
	v_add_co_ci_u32_e32 v9, vcc_lo, s13, v9, vcc_lo
	global_store_d16_hi_b16 v[8:9], v0, off
                                        ; implicit-def: $vgpr0
	v_cmpx_ne_u32_e32 0x7f800000, v10
	s_xor_b32 s24, exec_lo, s24
; %bb.51:                               ;   in Loop: Header=BB269_8 Depth=1
	v_bfe_u32 v0, v1, 16, 1
	s_delay_alu instid0(VALU_DEP_1)
	v_add3_u32 v0, v1, v0, 0x7fff
                                        ; implicit-def: $vgpr1
; %bb.52:                               ;   in Loop: Header=BB269_8 Depth=1
	s_and_not1_saveexec_b32 s24, s24
; %bb.53:                               ;   in Loop: Header=BB269_8 Depth=1
	v_and_b32_e32 v0, 0xffff, v1
	v_or_b32_e32 v8, 0x10000, v1
	s_delay_alu instid0(VALU_DEP_2) | instskip(NEXT) | instid1(VALU_DEP_2)
	v_cmp_eq_u32_e32 vcc_lo, 0, v0
	v_cndmask_b32_e32 v0, v8, v1, vcc_lo
; %bb.54:                               ;   in Loop: Header=BB269_8 Depth=1
	s_or_b32 exec_lo, exec_lo, s24
	v_dual_add_f32 v1, v6, v7 :: v_dual_add_nc_u32 v6, 2, v49
	s_waitcnt vmcnt(2)
	v_dual_mov_b32 v7, v50 :: v_dual_lshlrev_b32 v8, 16, v22
	s_mov_b32 s24, exec_lo
	s_delay_alu instid0(VALU_DEP_1) | instskip(NEXT) | instid1(VALU_DEP_2)
	v_add_f32_e32 v1, v1, v8
	v_lshlrev_b64 v[6:7], 1, v[6:7]
	s_delay_alu instid0(VALU_DEP_2) | instskip(NEXT) | instid1(VALU_DEP_2)
	v_and_b32_e32 v8, 0x7f800000, v1
	v_add_co_u32 v6, vcc_lo, s12, v6
	s_delay_alu instid0(VALU_DEP_3)
	v_add_co_ci_u32_e32 v7, vcc_lo, s13, v7, vcc_lo
	global_store_d16_hi_b16 v[6:7], v0, off
                                        ; implicit-def: $vgpr0
	v_cmpx_ne_u32_e32 0x7f800000, v8
	s_xor_b32 s24, exec_lo, s24
; %bb.55:                               ;   in Loop: Header=BB269_8 Depth=1
	v_bfe_u32 v0, v1, 16, 1
	s_delay_alu instid0(VALU_DEP_1)
	v_add3_u32 v0, v1, v0, 0x7fff
                                        ; implicit-def: $vgpr1
; %bb.56:                               ;   in Loop: Header=BB269_8 Depth=1
	s_and_not1_saveexec_b32 s24, s24
; %bb.57:                               ;   in Loop: Header=BB269_8 Depth=1
	v_and_b32_e32 v0, 0xffff, v1
	v_or_b32_e32 v6, 0x10000, v1
	s_delay_alu instid0(VALU_DEP_2) | instskip(NEXT) | instid1(VALU_DEP_2)
	v_cmp_eq_u32_e32 vcc_lo, 0, v0
	v_cndmask_b32_e32 v0, v6, v1, vcc_lo
; %bb.58:                               ;   in Loop: Header=BB269_8 Depth=1
	s_or_b32 exec_lo, exec_lo, s24
	s_waitcnt vmcnt(1)
	v_dual_add_f32 v1, v4, v5 :: v_dual_lshlrev_b32 v4, 16, v19
	v_add_nc_u32_e32 v49, s7, v49
	s_mov_b32 s24, exec_lo
	s_delay_alu instid0(VALU_DEP_2) | instskip(NEXT) | instid1(VALU_DEP_2)
	v_add_f32_e32 v1, v1, v4
	v_lshlrev_b64 v[4:5], 1, v[49:50]
	s_delay_alu instid0(VALU_DEP_2) | instskip(NEXT) | instid1(VALU_DEP_2)
	v_and_b32_e32 v6, 0x7f800000, v1
	v_add_co_u32 v4, vcc_lo, s12, v4
	s_delay_alu instid0(VALU_DEP_3)
	v_add_co_ci_u32_e32 v5, vcc_lo, s13, v5, vcc_lo
	global_store_d16_hi_b16 v[4:5], v0, off
                                        ; implicit-def: $vgpr0
	v_cmpx_ne_u32_e32 0x7f800000, v6
	s_xor_b32 s24, exec_lo, s24
; %bb.59:                               ;   in Loop: Header=BB269_8 Depth=1
	v_bfe_u32 v0, v1, 16, 1
	s_delay_alu instid0(VALU_DEP_1)
	v_add3_u32 v0, v1, v0, 0x7fff
                                        ; implicit-def: $vgpr1
; %bb.60:                               ;   in Loop: Header=BB269_8 Depth=1
	s_and_not1_saveexec_b32 s24, s24
; %bb.61:                               ;   in Loop: Header=BB269_8 Depth=1
	v_and_b32_e32 v0, 0xffff, v1
	v_or_b32_e32 v4, 0x10000, v1
	s_delay_alu instid0(VALU_DEP_2) | instskip(NEXT) | instid1(VALU_DEP_2)
	v_cmp_eq_u32_e32 vcc_lo, 0, v0
	v_cndmask_b32_e32 v0, v4, v1, vcc_lo
; %bb.62:                               ;   in Loop: Header=BB269_8 Depth=1
	s_or_b32 exec_lo, exec_lo, s24
	v_dual_add_f32 v1, v2, v3 :: v_dual_add_nc_u32 v2, 1, v49
	s_waitcnt vmcnt(0)
	v_dual_mov_b32 v3, v50 :: v_dual_lshlrev_b32 v4, 16, v16
	s_mov_b32 s24, exec_lo
	s_delay_alu instid0(VALU_DEP_1) | instskip(NEXT) | instid1(VALU_DEP_2)
	v_add_f32_e32 v1, v1, v4
	v_lshlrev_b64 v[2:3], 1, v[2:3]
	s_delay_alu instid0(VALU_DEP_2) | instskip(NEXT) | instid1(VALU_DEP_2)
	v_and_b32_e32 v4, 0x7f800000, v1
	v_add_co_u32 v2, vcc_lo, s12, v2
	s_delay_alu instid0(VALU_DEP_3)
	v_add_co_ci_u32_e32 v3, vcc_lo, s13, v3, vcc_lo
	global_store_d16_hi_b16 v[2:3], v0, off
                                        ; implicit-def: $vgpr0
	v_cmpx_ne_u32_e32 0x7f800000, v4
	s_xor_b32 s24, exec_lo, s24
; %bb.63:                               ;   in Loop: Header=BB269_8 Depth=1
	v_bfe_u32 v0, v1, 16, 1
	s_delay_alu instid0(VALU_DEP_1)
	v_add3_u32 v0, v1, v0, 0x7fff
                                        ; implicit-def: $vgpr1
; %bb.64:                               ;   in Loop: Header=BB269_8 Depth=1
	s_and_not1_saveexec_b32 s24, s24
	s_cbranch_execz .LBB269_6
; %bb.65:                               ;   in Loop: Header=BB269_8 Depth=1
	v_and_b32_e32 v0, 0xffff, v1
	v_or_b32_e32 v2, 0x10000, v1
	s_delay_alu instid0(VALU_DEP_2) | instskip(NEXT) | instid1(VALU_DEP_2)
	v_cmp_eq_u32_e32 vcc_lo, 0, v0
	v_cndmask_b32_e32 v0, v2, v1, vcc_lo
	s_branch .LBB269_6
.LBB269_66:
	s_nop 0
	s_sendmsg sendmsg(MSG_DEALLOC_VGPRS)
	s_endpgm
	.section	.rodata,"a",@progbits
	.p2align	6, 0x0
	.amdhsa_kernel _Z16wvSplitK_hf_sml_I14__hip_bfloat16Li64ELi3ELi16ELi8ELi2ELi4EEviiiiiiPKT_S3_S3_PS1_ii
		.amdhsa_group_segment_fixed_size 65536
		.amdhsa_private_segment_fixed_size 0
		.amdhsa_kernarg_size 64
		.amdhsa_user_sgpr_count 15
		.amdhsa_user_sgpr_dispatch_ptr 0
		.amdhsa_user_sgpr_queue_ptr 0
		.amdhsa_user_sgpr_kernarg_segment_ptr 1
		.amdhsa_user_sgpr_dispatch_id 0
		.amdhsa_user_sgpr_private_segment_size 0
		.amdhsa_wavefront_size32 1
		.amdhsa_uses_dynamic_stack 0
		.amdhsa_enable_private_segment 0
		.amdhsa_system_sgpr_workgroup_id_x 1
		.amdhsa_system_sgpr_workgroup_id_y 0
		.amdhsa_system_sgpr_workgroup_id_z 0
		.amdhsa_system_sgpr_workgroup_info 0
		.amdhsa_system_vgpr_workitem_id 1
		.amdhsa_next_free_vgpr 99
		.amdhsa_next_free_sgpr 26
		.amdhsa_reserve_vcc 1
		.amdhsa_float_round_mode_32 0
		.amdhsa_float_round_mode_16_64 0
		.amdhsa_float_denorm_mode_32 3
		.amdhsa_float_denorm_mode_16_64 3
		.amdhsa_dx10_clamp 1
		.amdhsa_ieee_mode 1
		.amdhsa_fp16_overflow 0
		.amdhsa_workgroup_processor_mode 1
		.amdhsa_memory_ordered 1
		.amdhsa_forward_progress 0
		.amdhsa_shared_vgpr_count 0
		.amdhsa_exception_fp_ieee_invalid_op 0
		.amdhsa_exception_fp_denorm_src 0
		.amdhsa_exception_fp_ieee_div_zero 0
		.amdhsa_exception_fp_ieee_overflow 0
		.amdhsa_exception_fp_ieee_underflow 0
		.amdhsa_exception_fp_ieee_inexact 0
		.amdhsa_exception_int_div_zero 0
	.end_amdhsa_kernel
	.section	.text._Z16wvSplitK_hf_sml_I14__hip_bfloat16Li64ELi3ELi16ELi8ELi2ELi4EEviiiiiiPKT_S3_S3_PS1_ii,"axG",@progbits,_Z16wvSplitK_hf_sml_I14__hip_bfloat16Li64ELi3ELi16ELi8ELi2ELi4EEviiiiiiPKT_S3_S3_PS1_ii,comdat
.Lfunc_end269:
	.size	_Z16wvSplitK_hf_sml_I14__hip_bfloat16Li64ELi3ELi16ELi8ELi2ELi4EEviiiiiiPKT_S3_S3_PS1_ii, .Lfunc_end269-_Z16wvSplitK_hf_sml_I14__hip_bfloat16Li64ELi3ELi16ELi8ELi2ELi4EEviiiiiiPKT_S3_S3_PS1_ii
                                        ; -- End function
	.section	.AMDGPU.csdata,"",@progbits
; Kernel info:
; codeLenInByte = 7048
; NumSgprs: 28
; NumVgprs: 99
; ScratchSize: 0
; MemoryBound: 0
; FloatMode: 240
; IeeeMode: 1
; LDSByteSize: 65536 bytes/workgroup (compile time only)
; SGPRBlocks: 3
; VGPRBlocks: 12
; NumSGPRsForWavesPerEU: 28
; NumVGPRsForWavesPerEU: 99
; Occupancy: 12
; WaveLimiterHint : 0
; COMPUTE_PGM_RSRC2:SCRATCH_EN: 0
; COMPUTE_PGM_RSRC2:USER_SGPR: 15
; COMPUTE_PGM_RSRC2:TRAP_HANDLER: 0
; COMPUTE_PGM_RSRC2:TGID_X_EN: 1
; COMPUTE_PGM_RSRC2:TGID_Y_EN: 0
; COMPUTE_PGM_RSRC2:TGID_Z_EN: 0
; COMPUTE_PGM_RSRC2:TIDIG_COMP_CNT: 1
	.section	.text._Z12wvSplitK_hf_I14__hip_bfloat16Li64ELi3ELi16ELi8ELi2ELi4EEviiiiiiPKT_S3_S3_PS1_ii,"axG",@progbits,_Z12wvSplitK_hf_I14__hip_bfloat16Li64ELi3ELi16ELi8ELi2ELi4EEviiiiiiPKT_S3_S3_PS1_ii,comdat
	.protected	_Z12wvSplitK_hf_I14__hip_bfloat16Li64ELi3ELi16ELi8ELi2ELi4EEviiiiiiPKT_S3_S3_PS1_ii ; -- Begin function _Z12wvSplitK_hf_I14__hip_bfloat16Li64ELi3ELi16ELi8ELi2ELi4EEviiiiiiPKT_S3_S3_PS1_ii
	.globl	_Z12wvSplitK_hf_I14__hip_bfloat16Li64ELi3ELi16ELi8ELi2ELi4EEviiiiiiPKT_S3_S3_PS1_ii
	.p2align	8
	.type	_Z12wvSplitK_hf_I14__hip_bfloat16Li64ELi3ELi16ELi8ELi2ELi4EEviiiiiiPKT_S3_S3_PS1_ii,@function
_Z12wvSplitK_hf_I14__hip_bfloat16Li64ELi3ELi16ELi8ELi2ELi4EEviiiiiiPKT_S3_S3_PS1_ii: ; @_Z12wvSplitK_hf_I14__hip_bfloat16Li64ELi3ELi16ELi8ELi2ELi4EEviiiiiiPKT_S3_S3_PS1_ii
; %bb.0:
	s_clause 0x1
	s_load_b64 s[18:19], s[0:1], 0x38
	s_load_b128 s[4:7], s[0:1], 0x0
	v_bfe_u32 v1, v0, 10, 10
	s_mov_b32 s8, 1
	s_delay_alu instid0(SALU_CYCLE_1) | instskip(SKIP_1) | instid1(SALU_CYCLE_1)
	s_mov_b32 s9, s8
	s_mov_b32 s10, s8
	v_mov_b32_e32 v58, s10
	v_dual_mov_b32 v56, s8 :: v_dual_mov_b32 v57, s9
	s_waitcnt lgkmcnt(0)
	v_mad_u64_u32 v[2:3], null, s15, s18, v[1:2]
	s_clause 0x1
	s_load_b64 s[12:13], s[0:1], 0x20
	s_load_b64 s[14:15], s[0:1], 0x10
	s_delay_alu instid0(VALU_DEP_1) | instskip(NEXT) | instid1(VALU_DEP_1)
	v_lshl_add_u32 v60, v2, 1, v2
	v_add_nc_u32_e32 v2, 3, v60
	v_cmp_gt_u32_e32 vcc_lo, s7, v60
	s_delay_alu instid0(VALU_DEP_2) | instskip(NEXT) | instid1(VALU_DEP_1)
	v_cmp_le_u32_e64 s2, s7, v2
	s_and_b32 s2, vcc_lo, s2
	s_delay_alu instid0(SALU_CYCLE_1)
	s_and_saveexec_b32 s11, s2
	s_cbranch_execz .LBB270_6
; %bb.1:
	v_dual_mov_b32 v58, s10 :: v_dual_mov_b32 v57, s9
	v_mov_b32_e32 v56, s8
	s_add_i32 s16, s7, -3
	s_mov_b32 s17, exec_lo
	v_cmpx_ne_u32_e64 s16, v60
	s_cbranch_execz .LBB270_5
; %bb.2:
	v_subrev_nc_u32_e32 v2, s16, v60
	s_mov_b32 s20, 0
	s_mov_b64 s[2:3], 0
	s_mov_b32 s9, s8
	s_mov_b32 s10, s8
	v_cmp_lt_u32_e32 vcc_lo, 1, v2
	v_cndmask_b32_e32 v2, 1, v2, vcc_lo
.LBB270_3:                              ; =>This Inner Loop Header: Depth=1
	s_cmp_lg_u32 s2, 2
	s_cselect_b32 s10, s10, 0
	s_cmp_lg_u32 s2, 1
	s_cselect_b32 s9, s9, 0
	;; [unrolled: 2-line block ×3, first 2 shown]
	s_add_u32 s2, s2, 1
	v_dual_mov_b32 v58, s10 :: v_dual_mov_b32 v57, s9
	v_cmp_eq_u32_e32 vcc_lo, s2, v2
	v_mov_b32_e32 v56, s8
	s_addc_u32 s3, s3, 0
	s_or_b32 s20, vcc_lo, s20
	s_delay_alu instid0(SALU_CYCLE_1)
	s_and_not1_b32 exec_lo, exec_lo, s20
	s_cbranch_execnz .LBB270_3
; %bb.4:
	s_or_b32 exec_lo, exec_lo, s20
	v_mov_b32_e32 v60, s16
.LBB270_5:
	s_or_b32 exec_lo, exec_lo, s17
.LBB270_6:
	s_delay_alu instid0(SALU_CYCLE_1)
	s_or_b32 exec_lo, exec_lo, s11
	s_load_b64 s[8:9], s[0:1], 0x28
	v_and_b32_e32 v0, 0x3ff, v0
	s_lshl_b32 s20, s6, 2
	s_mov_b32 s10, exec_lo
	s_min_u32 s3, s20, 0x8000
	s_delay_alu instid0(VALU_DEP_1) | instskip(NEXT) | instid1(VALU_DEP_1)
	v_lshlrev_b32_e32 v59, 3, v0
	v_lshl_add_u32 v4, v1, 9, v59
	s_delay_alu instid0(VALU_DEP_1)
	v_cmpx_gt_u32_e64 s3, v4
	s_cbranch_execz .LBB270_9
; %bb.7:
	v_lshlrev_b32_e32 v5, 10, v1
	v_lshlrev_b32_e32 v6, 4, v0
	s_mov_b32 s11, 0
	s_delay_alu instid0(VALU_DEP_1) | instskip(NEXT) | instid1(VALU_DEP_1)
	v_add_co_u32 v2, s2, v5, v6
	v_add_co_ci_u32_e64 v3, null, 0, 0, s2
	v_add_nc_u32_e32 v5, v5, v6
	s_waitcnt lgkmcnt(0)
	s_delay_alu instid0(VALU_DEP_3) | instskip(NEXT) | instid1(VALU_DEP_3)
	v_add_co_u32 v2, vcc_lo, s12, v2
	v_add_co_ci_u32_e32 v3, vcc_lo, s13, v3, vcc_lo
	.p2align	6
.LBB270_8:                              ; =>This Inner Loop Header: Depth=1
	global_load_b128 v[6:9], v[2:3], off
	v_add_nc_u32_e32 v4, 0x2000, v4
	v_add_co_u32 v2, vcc_lo, 0x4000, v2
	v_add_co_ci_u32_e32 v3, vcc_lo, 0, v3, vcc_lo
	s_delay_alu instid0(VALU_DEP_3) | instskip(NEXT) | instid1(VALU_DEP_1)
	v_cmp_le_u32_e64 s2, s3, v4
	s_or_b32 s11, s2, s11
	s_waitcnt vmcnt(0)
	ds_store_b128 v5, v[6:9]
	v_add_nc_u32_e32 v5, 0x4000, v5
	s_and_not1_b32 exec_lo, exec_lo, s11
	s_cbranch_execnz .LBB270_8
.LBB270_9:
	s_or_b32 exec_lo, exec_lo, s10
	v_cmp_gt_u32_e32 vcc_lo, s18, v1
	v_cmp_gt_u32_e64 s2, s7, v60
	s_waitcnt lgkmcnt(0)
	s_barrier
	buffer_gl0_inv
	s_and_b32 s2, vcc_lo, s2
	s_delay_alu instid0(SALU_CYCLE_1)
	s_and_saveexec_b32 s3, s2
	s_cbranch_execz .LBB270_132
; %bb.10:
	s_cmp_lg_u32 s4, 0
	v_mbcnt_lo_u32_b32 v2, -1, 0
	s_cselect_b32 s21, -1, 0
	s_add_i32 s22, s4, -8
	s_add_i32 s23, s7, -1
	s_cmp_lg_u64 s[8:9], 0
	s_clause 0x1
	s_load_b64 s[10:11], s[0:1], 0x18
	s_load_b64 s[16:17], s[0:1], 0x30
	s_cselect_b32 s24, -1, 0
	s_abs_i32 s2, s15
	v_cvt_f32_u32_e32 v3, s14
	v_cvt_f32_u32_e32 v1, s2
	s_sub_i32 s3, 0, s2
	v_cmp_eq_u32_e64 s0, 63, v0
	s_mul_i32 s26, s18, s19
	s_add_i32 s25, s7, -3
	v_rcp_iflag_f32_e32 v1, v1
	s_sub_i32 s18, 0, s14
	s_sub_i32 s19, 1, s2
	v_mad_u64_u32 v[63:64], null, s6, 3, v[59:60]
	s_mov_b32 s15, 0
	s_mul_i32 s26, s26, 3
	v_dual_mov_b32 v62, 0 :: v_dual_add_nc_u32 v79, s6, v59
	s_waitcnt_depctr 0xfff
	v_mul_f32_e32 v1, 0x4f7ffffe, v1
	s_delay_alu instid0(VALU_DEP_1) | instskip(NEXT) | instid1(VALU_DEP_1)
	v_cvt_u32_f32_e32 v1, v1
	v_readfirstlane_b32 s1, v1
	v_xor_b32_e32 v1, 16, v2
	s_delay_alu instid0(VALU_DEP_2) | instskip(NEXT) | instid1(VALU_DEP_1)
	s_mul_i32 s3, s3, s1
	v_cmp_gt_i32_e32 vcc_lo, 32, v1
	v_lshlrev_b32_e32 v78, 4, v0
	v_rcp_iflag_f32_e32 v0, v3
	s_mul_hi_u32 s3, s1, s3
	v_cndmask_b32_e32 v1, v2, v1, vcc_lo
	s_add_i32 s1, s1, s3
	s_cmp_lt_u32 s2, 2
	s_cselect_b32 s3, s19, 1
	s_delay_alu instid0(VALU_DEP_1)
	v_lshlrev_b32_e32 v80, 2, v1
	s_sub_i32 s19, s3, s2
	s_cmp_ge_u32 s3, s2
	s_waitcnt_depctr 0xfff
	v_mul_f32_e32 v0, 0x4f7ffffe, v0
	s_cselect_b32 s28, s19, s3
	s_lshr_b32 s3, s1, 31
	s_mul_hi_u32 s1, s1, 3
	s_mul_i32 s3, s3, s2
	v_cvt_u32_f32_e32 v0, v0
	s_sub_i32 s3, 2, s3
	s_mul_i32 s1, s1, s2
	s_sub_i32 s19, s3, s2
	s_cmp_ge_u32 s3, s2
	v_mul_lo_u32 v2, s18, v0
	s_cselect_b32 s3, s19, s3
	s_mul_i32 s28, s28, s14
	s_sub_i32 s18, s3, s2
	s_cmp_ge_u32 s3, s2
	s_cselect_b32 s29, s18, s3
	s_sub_i32 s1, 3, s1
	s_delay_alu instid0(VALU_DEP_1) | instskip(SKIP_4) | instid1(SALU_CYCLE_1)
	v_mul_hi_u32 v2, v0, v2
	s_sub_i32 s3, s1, s2
	s_cmp_ge_u32 s1, s2
	s_mul_i32 s29, s29, s14
	s_cselect_b32 s1, s3, s1
	s_sub_i32 s3, s1, s2
	s_cmp_ge_u32 s1, s2
	s_delay_alu instid0(VALU_DEP_1)
	v_add_nc_u32_e32 v81, v0, v2
	s_cselect_b32 s30, s3, s1
	s_lshl_b32 s27, s6, 1
	s_mul_i32 s30, s30, s14
	v_add_nc_u32_e32 v82, s27, v59
	s_mul_i32 s6, s6, 6
	s_branch .LBB270_13
.LBB270_11:                             ;   in Loop: Header=BB270_13 Depth=1
	s_or_b32 exec_lo, exec_lo, s33
	v_mov_b32_e32 v60, s25
.LBB270_12:                             ;   in Loop: Header=BB270_13 Depth=1
	s_or_b32 exec_lo, exec_lo, s31
	s_delay_alu instid0(VALU_DEP_1) | instskip(SKIP_1) | instid1(SALU_CYCLE_1)
	v_cmp_le_u32_e32 vcc_lo, s7, v60
	s_or_b32 s15, vcc_lo, s15
	s_and_not1_b32 exec_lo, exec_lo, s15
	s_cbranch_execz .LBB270_132
.LBB270_13:                             ; =>This Loop Header: Depth=1
                                        ;     Child Loop BB270_18 Depth 2
                                        ;     Child Loop BB270_130 Depth 2
	v_dual_mov_b32 v94, v62 :: v_dual_add_nc_u32 v65, 1, v60
	v_dual_mov_b32 v83, v62 :: v_dual_add_nc_u32 v64, 2, v60
	v_mov_b32_e32 v85, v62
	v_mov_b32_e32 v87, v62
	;; [unrolled: 1-line block ×10, first 2 shown]
	s_and_not1_b32 vcc_lo, exec_lo, s21
	s_cbranch_vccnz .LBB270_52
; %bb.14:                               ;   in Loop: Header=BB270_13 Depth=1
	v_min_u32_e32 v0, s23, v60
	s_waitcnt lgkmcnt(0)
	v_min_u32_e32 v1, s23, v65
	v_min_u32_e32 v2, s23, v64
	v_dual_mov_b32 v3, v62 :: v_dual_mov_b32 v90, 0
	v_mul_lo_u32 v61, v0, s5
	s_delay_alu instid0(VALU_DEP_4) | instskip(NEXT) | instid1(VALU_DEP_4)
	v_mul_lo_u32 v0, v1, s5
	v_mul_lo_u32 v2, v2, s5
	v_dual_mov_b32 v1, v62 :: v_dual_mov_b32 v88, 0
	v_dual_mov_b32 v84, v78 :: v_dual_mov_b32 v91, 0
	v_dual_mov_b32 v89, 0 :: v_dual_mov_b32 v92, 0
	v_lshlrev_b64 v[66:67], 1, v[61:62]
	s_delay_alu instid0(VALU_DEP_4)
	v_lshlrev_b64 v[68:69], 1, v[0:1]
	v_lshlrev_b64 v[70:71], 1, v[2:3]
	v_dual_mov_b32 v86, 0 :: v_dual_mov_b32 v93, 0
	v_dual_mov_b32 v95, 0 :: v_dual_mov_b32 v94, 0
	v_mov_b32_e32 v87, 0
	v_mov_b32_e32 v85, 0
	;; [unrolled: 1-line block ×3, first 2 shown]
	s_mov_b32 s1, 0
	s_branch .LBB270_18
.LBB270_15:                             ;   in Loop: Header=BB270_18 Depth=2
	s_or_b32 exec_lo, exec_lo, s18
.LBB270_16:                             ;   in Loop: Header=BB270_18 Depth=2
	s_delay_alu instid0(SALU_CYCLE_1)
	s_or_b32 exec_lo, exec_lo, s3
.LBB270_17:                             ;   in Loop: Header=BB270_18 Depth=2
	s_delay_alu instid0(SALU_CYCLE_1)
	s_or_b32 exec_lo, exec_lo, s2
	s_waitcnt vmcnt(0) lgkmcnt(0)
	v_and_b32_e32 v75, 0xffff0000, v48
	v_and_b32_e32 v73, 0xffff0000, v40
	;; [unrolled: 1-line block ×4, first 2 shown]
	v_lshlrev_b32_e32 v98, 16, v49
	v_and_b32_e32 v76, 0xffff0000, v36
	v_lshlrev_b32_e32 v74, 16, v42
	v_mul_f32_e32 v72, v75, v99
	v_lshlrev_b32_e32 v102, 16, v50
	v_and_b32_e32 v101, 0xffff0000, v50
	v_lshlrev_b32_e32 v61, 16, v45
	v_lshlrev_b32_e32 v100, 16, v44
	v_and_b32_e32 v77, 0xffff0000, v45
	v_lshlrev_b32_e32 v96, 16, v48
	v_and_b32_e32 v48, 0xffff0000, v46
	v_lshlrev_b32_e32 v44, 16, v46
	s_delay_alu instid0(VALU_DEP_4) | instskip(NEXT) | instid1(VALU_DEP_3)
	v_dual_mul_f32 v45, v97, v77 :: v_dual_and_b32 v50, 0xffff0000, v47
	v_dual_mul_f32 v46, v101, v48 :: v_dual_and_b32 v111, 0xffff0000, v55
	v_lshlrev_b32_e32 v110, 16, v54
	s_addk_i32 s1, 0x400
	s_delay_alu instid0(VALU_DEP_3) | instskip(NEXT) | instid1(VALU_DEP_3)
	v_dual_fmac_f32 v45, v98, v61 :: v_dual_fmac_f32 v72, v96, v100
	v_fmac_f32_e32 v46, v102, v44
	s_cmp_ge_u32 s1, s4
	v_lshlrev_b32_e32 v108, 16, v53
	v_add_nc_u32_e32 v84, 0x800, v84
	v_dual_add_f32 v49, v88, v72 :: v_dual_and_b32 v72, 0xffff0000, v41
	s_delay_alu instid0(VALU_DEP_1) | instskip(NEXT) | instid1(VALU_DEP_1)
	v_add_f32_e32 v45, v49, v45
	v_dual_add_f32 v104, v45, v46 :: v_dual_lshlrev_b32 v45, 16, v47
	v_mul_f32_e32 v106, v75, v76
	v_lshlrev_b32_e32 v47, 16, v36
	v_dual_mul_f32 v40, v75, v73 :: v_dual_lshlrev_b32 v49, 16, v40
	v_dual_mul_f32 v41, v97, v72 :: v_dual_lshlrev_b32 v46, 16, v41
	v_and_b32_e32 v88, 0xffff0000, v51
	s_delay_alu instid0(VALU_DEP_4) | instskip(NEXT) | instid1(VALU_DEP_4)
	v_dual_fmac_f32 v106, v96, v47 :: v_dual_and_b32 v75, 0xffff0000, v37
	v_dual_fmac_f32 v40, v96, v49 :: v_dual_lshlrev_b32 v103, 16, v51
	s_delay_alu instid0(VALU_DEP_2) | instskip(NEXT) | instid1(VALU_DEP_2)
	v_dual_mul_f32 v96, v97, v75 :: v_dual_and_b32 v51, 0xffff0000, v42
	v_dual_add_f32 v89, v89, v106 :: v_dual_add_f32 v40, v91, v40
	s_delay_alu instid0(VALU_DEP_2) | instskip(NEXT) | instid1(VALU_DEP_1)
	v_dual_mul_f32 v91, v101, v51 :: v_dual_lshlrev_b32 v106, 16, v52
	v_fmac_f32_e32 v91, v102, v74
	v_fmac_f32_e32 v41, v98, v46
	s_delay_alu instid0(VALU_DEP_1) | instskip(SKIP_4) | instid1(VALU_DEP_4)
	v_add_f32_e32 v107, v40, v41
	v_lshlrev_b32_e32 v42, 16, v37
	v_lshlrev_b32_e32 v37, 16, v38
	v_and_b32_e32 v41, 0xffff0000, v38
	v_dual_mul_f32 v105, v88, v50 :: v_dual_and_b32 v40, 0xffff0000, v43
	v_dual_add_f32 v91, v107, v91 :: v_dual_fmac_f32 v96, v98, v42
	s_delay_alu instid0(VALU_DEP_3) | instskip(NEXT) | instid1(VALU_DEP_3)
	v_mul_f32_e32 v38, v101, v41
	v_dual_fmac_f32 v105, v103, v45 :: v_dual_lshlrev_b32 v36, 16, v43
	s_delay_alu instid0(VALU_DEP_4) | instskip(NEXT) | instid1(VALU_DEP_3)
	v_mul_f32_e32 v43, v88, v40
	v_dual_add_f32 v89, v89, v96 :: v_dual_fmac_f32 v38, v102, v37
	s_delay_alu instid0(VALU_DEP_3) | instskip(NEXT) | instid1(VALU_DEP_3)
	v_dual_add_f32 v101, v104, v105 :: v_dual_and_b32 v96, 0xffff0000, v32
	v_fmac_f32_e32 v43, v103, v36
	s_delay_alu instid0(VALU_DEP_3) | instskip(SKIP_1) | instid1(VALU_DEP_3)
	v_dual_add_f32 v89, v89, v38 :: v_dual_and_b32 v104, 0xffff0000, v16
	v_and_b32_e32 v38, 0xffff0000, v39
	v_add_f32_e32 v91, v91, v43
	s_delay_alu instid0(VALU_DEP_2) | instskip(SKIP_1) | instid1(VALU_DEP_1)
	v_dual_mul_f32 v88, v88, v38 :: v_dual_lshlrev_b32 v43, 16, v32
	v_and_b32_e32 v105, 0xffff0000, v52
	v_dual_mul_f32 v32, v105, v96 :: v_dual_and_b32 v109, 0xffff0000, v54
	s_delay_alu instid0(VALU_DEP_1) | instskip(NEXT) | instid1(VALU_DEP_1)
	v_dual_fmac_f32 v32, v106, v43 :: v_dual_and_b32 v107, 0xffff0000, v53
	v_add_f32_e32 v32, v101, v32
	v_and_b32_e32 v101, 0xffff0000, v24
	v_lshlrev_b32_e32 v112, 16, v55
	v_lshlrev_b32_e32 v52, 16, v33
	v_and_b32_e32 v98, 0xffff0000, v34
	s_delay_alu instid0(VALU_DEP_1) | instskip(NEXT) | instid1(VALU_DEP_1)
	v_dual_mul_f32 v54, v109, v98 :: v_dual_and_b32 v97, 0xffff0000, v33
	v_mul_f32_e32 v33, v107, v97
	s_delay_alu instid0(VALU_DEP_1) | instskip(NEXT) | instid1(VALU_DEP_1)
	v_fmac_f32_e32 v33, v108, v52
	v_dual_add_f32 v102, v32, v33 :: v_dual_lshlrev_b32 v39, 16, v39
	v_and_b32_e32 v33, 0xffff0000, v35
	v_lshlrev_b32_e32 v32, 16, v35
	s_delay_alu instid0(VALU_DEP_3) | instskip(SKIP_1) | instid1(VALU_DEP_4)
	v_dual_fmac_f32 v88, v103, v39 :: v_dual_mul_f32 v103, v105, v101
	v_and_b32_e32 v35, 0xffff0000, v25
	v_mul_f32_e32 v55, v111, v33
	v_mul_f32_e32 v105, v105, v104
	s_delay_alu instid0(VALU_DEP_4) | instskip(NEXT) | instid1(VALU_DEP_4)
	v_add_f32_e32 v89, v89, v88
	v_mul_f32_e32 v113, v107, v35
	s_delay_alu instid0(VALU_DEP_4) | instskip(SKIP_3) | instid1(VALU_DEP_3)
	v_fmac_f32_e32 v55, v112, v32
	v_lshlrev_b32_e32 v53, 16, v34
	v_lshlrev_b32_e32 v34, 16, v24
	;; [unrolled: 1-line block ×3, first 2 shown]
	v_fmac_f32_e32 v54, v110, v53
	s_delay_alu instid0(VALU_DEP_3) | instskip(NEXT) | instid1(VALU_DEP_2)
	v_fmac_f32_e32 v103, v106, v34
	v_dual_fmac_f32 v113, v108, v24 :: v_dual_add_f32 v54, v102, v54
	s_delay_alu instid0(VALU_DEP_1) | instskip(NEXT) | instid1(VALU_DEP_3)
	v_add_f32_e32 v88, v54, v55
	v_add_f32_e32 v54, v91, v103
	v_lshlrev_b32_e32 v102, 16, v16
	v_and_b32_e32 v103, 0xffff0000, v17
	v_lshlrev_b32_e32 v55, 16, v17
	v_lshlrev_b32_e32 v16, 16, v27
	;; [unrolled: 1-line block ×3, first 2 shown]
	s_delay_alu instid0(VALU_DEP_4) | instskip(SKIP_3) | instid1(VALU_DEP_3)
	v_dual_fmac_f32 v105, v106, v102 :: v_dual_mul_f32 v106, v107, v103
	v_and_b32_e32 v25, 0xffff0000, v26
	v_dual_add_f32 v113, v54, v113 :: v_dual_lshlrev_b32 v26, 16, v26
	v_and_b32_e32 v54, 0xffff0000, v27
	v_dual_fmac_f32 v106, v108, v55 :: v_dual_mul_f32 v91, v109, v25
	v_and_b32_e32 v27, 0xffff0000, v18
	s_delay_alu instid0(VALU_DEP_3) | instskip(SKIP_2) | instid1(VALU_DEP_4)
	v_dual_mul_f32 v107, v111, v54 :: v_dual_lshlrev_b32 v18, 16, v19
	v_add_f32_e32 v89, v89, v105
	v_and_b32_e32 v105, 0xffff0000, v19
	v_dual_mul_f32 v108, v109, v27 :: v_dual_fmac_f32 v91, v110, v26
	v_and_b32_e32 v19, 0xffff0000, v29
	v_lshlrev_b32_e32 v29, 16, v29
	s_delay_alu instid0(VALU_DEP_3) | instskip(SKIP_2) | instid1(VALU_DEP_2)
	v_dual_fmac_f32 v108, v110, v17 :: v_dual_and_b32 v109, 0xffff0000, v28
	v_mul_f32_e32 v110, v111, v105
	v_dual_add_f32 v91, v113, v91 :: v_dual_lshlrev_b32 v28, 16, v28
	v_fmac_f32_e32 v110, v112, v18
	v_add_f32_e32 v89, v89, v106
	s_delay_alu instid0(VALU_DEP_1) | instskip(NEXT) | instid1(VALU_DEP_1)
	v_dual_add_f32 v89, v89, v108 :: v_dual_mul_f32 v108, v19, v77
	v_fmac_f32_e32 v108, v29, v61
	v_mul_f32_e32 v106, v109, v99
	s_delay_alu instid0(VALU_DEP_1) | instskip(NEXT) | instid1(VALU_DEP_1)
	v_fmac_f32_e32 v106, v28, v100
	v_dual_fmac_f32 v107, v112, v16 :: v_dual_add_f32 v90, v90, v106
	s_delay_alu instid0(VALU_DEP_1) | instskip(SKIP_1) | instid1(VALU_DEP_3)
	v_dual_add_f32 v91, v91, v107 :: v_dual_and_b32 v106, 0xffff0000, v30
	v_lshlrev_b32_e32 v30, 16, v30
	v_dual_add_f32 v89, v89, v110 :: v_dual_add_f32 v90, v90, v108
	v_and_b32_e32 v108, 0xffff0000, v31
	s_delay_alu instid0(VALU_DEP_4) | instskip(NEXT) | instid1(VALU_DEP_2)
	v_mul_f32_e32 v110, v106, v48
	v_mul_f32_e32 v112, v108, v50
	s_delay_alu instid0(VALU_DEP_2) | instskip(NEXT) | instid1(VALU_DEP_1)
	v_dual_fmac_f32 v110, v30, v44 :: v_dual_mul_f32 v107, v109, v73
	v_dual_mul_f32 v109, v109, v76 :: v_dual_add_f32 v90, v90, v110
	s_delay_alu instid0(VALU_DEP_1) | instskip(NEXT) | instid1(VALU_DEP_1)
	v_fmac_f32_e32 v109, v28, v47
	v_dual_add_f32 v86, v86, v109 :: v_dual_lshlrev_b32 v31, 16, v31
	s_delay_alu instid0(VALU_DEP_1) | instskip(SKIP_1) | instid1(VALU_DEP_2)
	v_fmac_f32_e32 v112, v31, v45
	v_fmac_f32_e32 v107, v28, v49
	v_dual_add_f32 v28, v90, v112 :: v_dual_and_b32 v109, 0xffff0000, v21
	s_delay_alu instid0(VALU_DEP_2) | instskip(SKIP_2) | instid1(VALU_DEP_3)
	v_dual_mul_f32 v111, v19, v72 :: v_dual_add_f32 v92, v92, v107
	v_mul_f32_e32 v107, v106, v51
	v_dual_mul_f32 v19, v19, v75 :: v_dual_and_b32 v90, 0xffff0000, v20
	v_dual_fmac_f32 v111, v29, v46 :: v_dual_lshlrev_b32 v20, 16, v20
	s_delay_alu instid0(VALU_DEP_3) | instskip(NEXT) | instid1(VALU_DEP_3)
	v_fmac_f32_e32 v107, v30, v74
	v_fmac_f32_e32 v19, v29, v42
	s_delay_alu instid0(VALU_DEP_3) | instskip(SKIP_1) | instid1(VALU_DEP_2)
	v_dual_mul_f32 v29, v90, v96 :: v_dual_add_f32 v92, v92, v111
	v_mul_f32_e32 v106, v106, v41
	v_add_f32_e32 v92, v92, v107
	s_delay_alu instid0(VALU_DEP_2) | instskip(SKIP_2) | instid1(VALU_DEP_3)
	v_dual_mul_f32 v107, v108, v40 :: v_dual_fmac_f32 v106, v30, v37
	v_dual_mul_f32 v108, v108, v38 :: v_dual_lshlrev_b32 v21, 16, v21
	v_and_b32_e32 v30, 0xffff0000, v22
	v_dual_fmac_f32 v107, v31, v36 :: v_dual_lshlrev_b32 v22, 16, v22
	s_delay_alu instid0(VALU_DEP_3) | instskip(SKIP_2) | instid1(VALU_DEP_1)
	v_fmac_f32_e32 v108, v31, v39
	v_fmac_f32_e32 v29, v20, v43
	v_dual_add_f32 v19, v86, v19 :: v_dual_mul_f32 v86, v109, v97
	v_fmac_f32_e32 v86, v21, v52
	s_delay_alu instid0(VALU_DEP_3) | instskip(NEXT) | instid1(VALU_DEP_3)
	v_dual_add_f32 v28, v28, v29 :: v_dual_mul_f32 v29, v30, v98
	v_add_f32_e32 v19, v19, v106
	s_delay_alu instid0(VALU_DEP_2) | instskip(NEXT) | instid1(VALU_DEP_3)
	v_add_f32_e32 v28, v28, v86
	v_dual_add_f32 v86, v92, v107 :: v_dual_fmac_f32 v29, v22, v53
	s_delay_alu instid0(VALU_DEP_3) | instskip(SKIP_1) | instid1(VALU_DEP_3)
	v_dual_add_f32 v19, v19, v108 :: v_dual_and_b32 v92, 0xffff0000, v23
	v_lshlrev_b32_e32 v23, 16, v23
	v_dual_mul_f32 v107, v90, v104 :: v_dual_add_f32 v28, v28, v29
	s_delay_alu instid0(VALU_DEP_3) | instskip(SKIP_1) | instid1(VALU_DEP_3)
	v_dual_mul_f32 v29, v109, v35 :: v_dual_mul_f32 v106, v92, v33
	v_mul_f32_e32 v31, v90, v101
	v_fmac_f32_e32 v107, v20, v102
	s_delay_alu instid0(VALU_DEP_3) | instskip(NEXT) | instid1(VALU_DEP_3)
	v_fmac_f32_e32 v29, v21, v24
	v_dual_fmac_f32 v106, v23, v32 :: v_dual_fmac_f32 v31, v20, v34
	v_mul_f32_e32 v20, v109, v103
	s_delay_alu instid0(VALU_DEP_2) | instskip(SKIP_1) | instid1(VALU_DEP_3)
	v_dual_add_f32 v90, v28, v106 :: v_dual_add_f32 v31, v86, v31
	v_mul_f32_e32 v86, v30, v25
	v_fmac_f32_e32 v20, v21, v55
	s_delay_alu instid0(VALU_DEP_2) | instskip(SKIP_3) | instid1(VALU_DEP_3)
	v_fmac_f32_e32 v86, v22, v26
	v_dual_mul_f32 v21, v30, v27 :: v_dual_mul_f32 v30, v92, v54
	v_add_f32_e32 v29, v31, v29
	v_add_f32_e32 v19, v19, v107
	v_dual_mul_f32 v31, v92, v105 :: v_dual_fmac_f32 v30, v23, v16
	s_delay_alu instid0(VALU_DEP_3) | instskip(SKIP_1) | instid1(VALU_DEP_2)
	v_dual_add_f32 v28, v29, v86 :: v_dual_and_b32 v29, 0xffff0000, v8
	v_lshlrev_b32_e32 v8, 16, v8
	v_dual_add_f32 v92, v28, v30 :: v_dual_add_f32 v19, v19, v20
	s_delay_alu instid0(VALU_DEP_3) | instskip(NEXT) | instid1(VALU_DEP_1)
	v_dual_mul_f32 v20, v29, v99 :: v_dual_fmac_f32 v21, v22, v17
	v_dual_fmac_f32 v20, v8, v100 :: v_dual_add_f32 v19, v19, v21
	s_delay_alu instid0(VALU_DEP_1) | instskip(SKIP_4) | instid1(VALU_DEP_4)
	v_add_f32_e32 v20, v93, v20
	v_dual_fmac_f32 v31, v23, v18 :: v_dual_and_b32 v22, 0xffff0000, v9
	v_and_b32_e32 v23, 0xffff0000, v10
	v_lshlrev_b32_e32 v10, 16, v10
	v_lshlrev_b32_e32 v9, 16, v9
	v_dual_mul_f32 v21, v22, v77 :: v_dual_add_f32 v86, v19, v31
	s_delay_alu instid0(VALU_DEP_4) | instskip(NEXT) | instid1(VALU_DEP_2)
	v_dual_mul_f32 v28, v23, v48 :: v_dual_mul_f32 v19, v29, v73
	v_dual_mul_f32 v30, v22, v72 :: v_dual_fmac_f32 v21, v9, v61
	s_delay_alu instid0(VALU_DEP_2) | instskip(NEXT) | instid1(VALU_DEP_2)
	v_dual_fmac_f32 v28, v10, v44 :: v_dual_fmac_f32 v19, v8, v49
	v_fmac_f32_e32 v30, v9, v46
	s_delay_alu instid0(VALU_DEP_3) | instskip(NEXT) | instid1(VALU_DEP_1)
	v_dual_add_f32 v20, v20, v21 :: v_dual_and_b32 v21, 0xffff0000, v11
	v_dual_add_f32 v20, v20, v28 :: v_dual_lshlrev_b32 v11, 16, v11
	v_mul_f32_e32 v28, v29, v76
	s_delay_alu instid0(VALU_DEP_3) | instskip(SKIP_2) | instid1(VALU_DEP_4)
	v_mul_f32_e32 v31, v21, v50
	v_add_f32_e32 v19, v95, v19
	v_mul_f32_e32 v29, v21, v40
	v_dual_mul_f32 v21, v21, v38 :: v_dual_fmac_f32 v28, v8, v47
	v_mul_f32_e32 v93, v23, v51
	v_dual_fmac_f32 v31, v11, v45 :: v_dual_mul_f32 v8, v22, v75
	v_dual_add_f32 v19, v19, v30 :: v_dual_and_b32 v22, 0xffff0000, v12
	s_delay_alu instid0(VALU_DEP_4) | instskip(NEXT) | instid1(VALU_DEP_3)
	v_add_f32_e32 v28, v94, v28
	v_dual_add_f32 v20, v20, v31 :: v_dual_fmac_f32 v93, v10, v74
	v_lshlrev_b32_e32 v12, 16, v12
	v_dual_fmac_f32 v8, v9, v42 :: v_dual_mul_f32 v9, v23, v41
	v_mul_f32_e32 v23, v22, v96
	s_delay_alu instid0(VALU_DEP_2) | instskip(NEXT) | instid1(VALU_DEP_3)
	v_dual_add_f32 v19, v19, v93 :: v_dual_add_f32 v8, v28, v8
	v_fmac_f32_e32 v9, v10, v37
	v_dual_fmac_f32 v29, v11, v36 :: v_dual_lshlrev_b32 v10, 16, v13
	s_delay_alu instid0(VALU_DEP_4) | instskip(NEXT) | instid1(VALU_DEP_3)
	v_fmac_f32_e32 v23, v12, v43
	v_add_f32_e32 v8, v8, v9
	s_delay_alu instid0(VALU_DEP_3) | instskip(SKIP_1) | instid1(VALU_DEP_4)
	v_add_f32_e32 v19, v19, v29
	v_and_b32_e32 v29, 0xffff0000, v13
	v_dual_add_f32 v9, v20, v23 :: v_dual_and_b32 v20, 0xffff0000, v14
	v_dual_fmac_f32 v21, v11, v39 :: v_dual_lshlrev_b32 v14, 16, v14
	s_delay_alu instid0(VALU_DEP_3) | instskip(NEXT) | instid1(VALU_DEP_1)
	v_mul_f32_e32 v28, v29, v35
	v_fmac_f32_e32 v28, v10, v24
	v_mul_f32_e32 v11, v22, v101
	v_dual_mul_f32 v13, v29, v97 :: v_dual_mul_f32 v22, v22, v104
	s_delay_alu instid0(VALU_DEP_2) | instskip(NEXT) | instid1(VALU_DEP_2)
	v_fmac_f32_e32 v11, v12, v34
	v_dual_fmac_f32 v13, v10, v52 :: v_dual_fmac_f32 v22, v12, v102
	v_mul_f32_e32 v12, v29, v103
	s_delay_alu instid0(VALU_DEP_3) | instskip(NEXT) | instid1(VALU_DEP_2)
	v_add_f32_e32 v11, v19, v11
	v_dual_add_f32 v9, v9, v13 :: v_dual_fmac_f32 v12, v10, v55
	s_delay_alu instid0(VALU_DEP_2) | instskip(NEXT) | instid1(VALU_DEP_1)
	v_dual_mul_f32 v10, v20, v27 :: v_dual_add_f32 v11, v11, v28
	v_fmac_f32_e32 v10, v14, v17
	v_mul_f32_e32 v19, v20, v25
	v_add_f32_e32 v21, v8, v21
	s_delay_alu instid0(VALU_DEP_2) | instskip(NEXT) | instid1(VALU_DEP_1)
	v_fmac_f32_e32 v19, v14, v26
	v_dual_mul_f32 v23, v20, v98 :: v_dual_add_f32 v8, v11, v19
	s_delay_alu instid0(VALU_DEP_3) | instskip(SKIP_4) | instid1(VALU_DEP_3)
	v_add_f32_e32 v11, v21, v22
	v_lshlrev_b32_e32 v19, 16, v0
	v_and_b32_e32 v13, 0xffff0000, v15
	v_and_b32_e32 v21, 0xffff0000, v1
	v_lshlrev_b32_e32 v15, 16, v15
	v_dual_add_f32 v11, v11, v12 :: v_dual_mul_f32 v30, v13, v33
	s_delay_alu instid0(VALU_DEP_3) | instskip(SKIP_2) | instid1(VALU_DEP_4)
	v_mul_f32_e32 v12, v21, v77
	v_dual_fmac_f32 v23, v14, v53 :: v_dual_and_b32 v14, 0xffff0000, v2
	v_lshlrev_b32_e32 v2, 16, v2
	v_fmac_f32_e32 v30, v15, v32
	s_delay_alu instid0(VALU_DEP_3) | instskip(NEXT) | instid1(VALU_DEP_4)
	v_dual_add_f32 v10, v11, v10 :: v_dual_add_f32 v9, v9, v23
	v_mul_f32_e32 v29, v14, v51
	v_mul_f32_e32 v22, v14, v48
	s_delay_alu instid0(VALU_DEP_3) | instskip(SKIP_1) | instid1(VALU_DEP_4)
	v_dual_mul_f32 v14, v14, v41 :: v_dual_add_f32 v93, v9, v30
	v_and_b32_e32 v9, 0xffff0000, v0
	v_fmac_f32_e32 v29, v2, v74
	s_delay_alu instid0(VALU_DEP_4) | instskip(NEXT) | instid1(VALU_DEP_4)
	v_fmac_f32_e32 v22, v2, v44
	v_fmac_f32_e32 v14, v2, v37
	v_and_b32_e32 v2, 0xffff0000, v6
	v_mul_f32_e32 v20, v9, v99
	v_lshlrev_b32_e32 v6, 16, v6
	s_delay_alu instid0(VALU_DEP_2) | instskip(NEXT) | instid1(VALU_DEP_1)
	v_fmac_f32_e32 v20, v19, v100
	v_dual_mul_f32 v0, v13, v54 :: v_dual_add_f32 v11, v87, v20
	v_mul_f32_e32 v20, v9, v73
	s_delay_alu instid0(VALU_DEP_2) | instskip(NEXT) | instid1(VALU_DEP_2)
	v_fmac_f32_e32 v0, v15, v16
	v_fmac_f32_e32 v20, v19, v49
	v_lshlrev_b32_e32 v1, 16, v1
	s_delay_alu instid0(VALU_DEP_3) | instskip(NEXT) | instid1(VALU_DEP_3)
	v_add_f32_e32 v95, v8, v0
	v_add_f32_e32 v20, v85, v20
	s_delay_alu instid0(VALU_DEP_3) | instskip(NEXT) | instid1(VALU_DEP_1)
	v_fmac_f32_e32 v12, v1, v61
	v_dual_add_f32 v11, v11, v12 :: v_dual_and_b32 v12, 0xffff0000, v3
	v_mul_f32_e32 v9, v9, v76
	v_mul_f32_e32 v13, v13, v105
	v_lshlrev_b32_e32 v3, 16, v3
	s_delay_alu instid0(VALU_DEP_4) | instskip(SKIP_4) | instid1(VALU_DEP_4)
	v_add_f32_e32 v11, v11, v22
	v_dual_mul_f32 v28, v12, v50 :: v_dual_mul_f32 v23, v21, v72
	v_mul_f32_e32 v22, v12, v40
	v_dual_mul_f32 v12, v12, v38 :: v_dual_fmac_f32 v9, v19, v47
	v_mul_f32_e32 v19, v21, v75
	v_dual_fmac_f32 v28, v3, v45 :: v_dual_and_b32 v21, 0xffff0000, v4
	v_fmac_f32_e32 v23, v1, v46
	v_fmac_f32_e32 v13, v15, v18
	s_delay_alu instid0(VALU_DEP_4)
	v_fmac_f32_e32 v19, v1, v42
	v_lshlrev_b32_e32 v1, 16, v4
	v_mul_f32_e32 v4, v21, v96
	v_fmac_f32_e32 v12, v3, v39
	v_dual_add_f32 v9, v83, v9 :: v_dual_add_f32 v20, v20, v23
	v_fmac_f32_e32 v22, v3, v36
	s_delay_alu instid0(VALU_DEP_2) | instskip(NEXT) | instid1(VALU_DEP_1)
	v_dual_add_f32 v94, v10, v13 :: v_dual_add_f32 v9, v9, v19
	v_add_f32_e32 v9, v9, v14
	v_mul_f32_e32 v14, v21, v104
	s_delay_alu instid0(VALU_DEP_2) | instskip(SKIP_4) | instid1(VALU_DEP_3)
	v_add_f32_e32 v9, v9, v12
	v_mul_f32_e32 v12, v21, v101
	v_dual_fmac_f32 v4, v1, v43 :: v_dual_and_b32 v23, 0xffff0000, v5
	v_add_f32_e32 v11, v11, v28
	v_dual_fmac_f32 v14, v1, v102 :: v_dual_lshlrev_b32 v5, 16, v5
	v_dual_fmac_f32 v12, v1, v34 :: v_dual_mul_f32 v19, v23, v97
	v_mul_f32_e32 v15, v23, v35
	s_delay_alu instid0(VALU_DEP_4) | instskip(SKIP_1) | instid1(VALU_DEP_3)
	v_add_f32_e32 v4, v11, v4
	v_dual_add_f32 v20, v20, v29 :: v_dual_mul_f32 v1, v23, v103
	v_fmac_f32_e32 v15, v5, v24
	v_fmac_f32_e32 v19, v5, v52
	s_delay_alu instid0(VALU_DEP_3) | instskip(NEXT) | instid1(VALU_DEP_2)
	v_fmac_f32_e32 v1, v5, v55
	v_add_f32_e32 v3, v4, v19
	v_add_f32_e32 v4, v20, v22
	s_delay_alu instid0(VALU_DEP_1) | instskip(SKIP_1) | instid1(VALU_DEP_2)
	v_add_f32_e32 v4, v4, v12
	v_mul_f32_e32 v12, v2, v25
	v_add_f32_e32 v4, v4, v15
	s_delay_alu instid0(VALU_DEP_2) | instskip(SKIP_2) | instid1(VALU_DEP_2)
	v_fmac_f32_e32 v12, v6, v26
	v_mul_f32_e32 v11, v2, v98
	v_mul_f32_e32 v2, v2, v27
	v_dual_add_f32 v4, v4, v12 :: v_dual_fmac_f32 v11, v6, v53
	s_delay_alu instid0(VALU_DEP_1) | instskip(SKIP_1) | instid1(VALU_DEP_1)
	v_dual_fmac_f32 v2, v6, v17 :: v_dual_add_f32 v3, v3, v11
	v_and_b32_e32 v11, 0xffff0000, v7
	v_dual_mul_f32 v6, v11, v105 :: v_dual_lshlrev_b32 v7, 16, v7
	v_add_f32_e32 v9, v9, v14
	v_mul_f32_e32 v19, v11, v33
	v_mul_f32_e32 v5, v11, v54
	s_delay_alu instid0(VALU_DEP_3) | instskip(NEXT) | instid1(VALU_DEP_3)
	v_dual_fmac_f32 v6, v7, v18 :: v_dual_add_f32 v1, v9, v1
	v_fmac_f32_e32 v19, v7, v32
	s_delay_alu instid0(VALU_DEP_3) | instskip(NEXT) | instid1(VALU_DEP_3)
	v_fmac_f32_e32 v5, v7, v16
	v_add_f32_e32 v1, v1, v2
	s_delay_alu instid0(VALU_DEP_3) | instskip(NEXT) | instid1(VALU_DEP_3)
	v_add_f32_e32 v87, v3, v19
	v_add_f32_e32 v85, v4, v5
	s_delay_alu instid0(VALU_DEP_3)
	v_add_f32_e32 v83, v1, v6
	s_cbranch_scc1 .LBB270_52
.LBB270_18:                             ;   Parent Loop BB270_13 Depth=1
                                        ; =>  This Inner Loop Header: Depth=2
	v_add_nc_u32_e32 v73, s1, v59
	s_waitcnt vmcnt(1)
	v_dual_mov_b32 v15, 0 :: v_dual_mov_b32 v14, 0
	v_dual_mov_b32 v13, 0 :: v_dual_mov_b32 v12, 0
	s_delay_alu instid0(VALU_DEP_3) | instskip(SKIP_3) | instid1(VALU_DEP_4)
	v_min_u32_e32 v61, s22, v73
	v_dual_mov_b32 v23, 0 :: v_dual_add_nc_u32 v72, 0x200, v73
	v_dual_mov_b32 v22, 0 :: v_dual_mov_b32 v21, 0
	v_mov_b32_e32 v20, 0
	v_lshlrev_b64 v[0:1], 1, v[61:62]
	s_delay_alu instid0(VALU_DEP_4) | instskip(SKIP_3) | instid1(VALU_DEP_4)
	v_min_u32_e32 v61, s22, v72
	v_dual_mov_b32 v55, 0 :: v_dual_mov_b32 v54, 0
	v_dual_mov_b32 v53, 0 :: v_dual_mov_b32 v52, 0
	s_waitcnt lgkmcnt(0)
	v_add_co_u32 v6, vcc_lo, s10, v0
	v_add_co_ci_u32_e32 v7, vcc_lo, s11, v1, vcc_lo
	v_lshlrev_b64 v[0:1], 1, v[61:62]
	s_delay_alu instid0(VALU_DEP_3) | instskip(NEXT) | instid1(VALU_DEP_3)
	v_add_co_u32 v2, vcc_lo, v6, v66
	v_add_co_ci_u32_e32 v3, vcc_lo, v7, v67, vcc_lo
	v_add_co_u32 v4, vcc_lo, v6, v68
	v_add_co_ci_u32_e32 v5, vcc_lo, v7, v69, vcc_lo
	s_waitcnt vmcnt(0)
	v_add_co_u32 v10, vcc_lo, s10, v0
	v_add_co_ci_u32_e32 v11, vcc_lo, s11, v1, vcc_lo
	v_add_co_u32 v0, vcc_lo, v6, v70
	v_add_co_ci_u32_e32 v1, vcc_lo, v7, v71, vcc_lo
	s_delay_alu instid0(VALU_DEP_4) | instskip(NEXT) | instid1(VALU_DEP_4)
	v_add_co_u32 v6, vcc_lo, v10, v66
	v_add_co_ci_u32_e32 v7, vcc_lo, v11, v67, vcc_lo
	v_add_co_u32 v8, vcc_lo, v10, v68
	v_add_co_ci_u32_e32 v9, vcc_lo, v11, v69, vcc_lo
	;; [unrolled: 2-line block ×3, first 2 shown]
	s_clause 0x5
	global_load_b128 v[44:47], v[2:3], off slc dlc
	global_load_b128 v[40:43], v[4:5], off slc dlc
	;; [unrolled: 1-line block ×6, first 2 shown]
	v_dual_mov_b32 v7, 0 :: v_dual_mov_b32 v6, 0
	v_cmp_gt_u32_e32 vcc_lo, s4, v73
	v_dual_mov_b32 v5, 0 :: v_dual_mov_b32 v4, 0
	v_dual_mov_b32 v3, 0 :: v_dual_mov_b32 v2, 0
	;; [unrolled: 1-line block ×9, first 2 shown]
	s_and_saveexec_b32 s2, vcc_lo
	s_cbranch_execz .LBB270_17
; %bb.19:                               ;   in Loop: Header=BB270_18 Depth=2
	s_mov_b32 s3, exec_lo
                                        ; implicit-def: $vgpr51
	v_cmpx_lt_u32_e32 0x7fff, v73
	s_xor_b32 s3, exec_lo, s3
	s_cbranch_execz .LBB270_21
; %bb.20:                               ;   in Loop: Header=BB270_18 Depth=2
	v_mov_b32_e32 v74, v62
	s_delay_alu instid0(VALU_DEP_1) | instskip(NEXT) | instid1(VALU_DEP_1)
	v_lshlrev_b64 v[0:1], 1, v[73:74]
	v_add_co_u32 v0, vcc_lo, s12, v0
	s_delay_alu instid0(VALU_DEP_2)
	v_add_co_ci_u32_e32 v1, vcc_lo, s13, v1, vcc_lo
	global_load_b128 v[48:51], v[0:1], off
.LBB270_21:                             ;   in Loop: Header=BB270_18 Depth=2
	s_and_not1_saveexec_b32 s3, s3
	s_cbranch_execz .LBB270_23
; %bb.22:                               ;   in Loop: Header=BB270_18 Depth=2
	s_waitcnt vmcnt(0)
	ds_load_b128 v[48:51], v84
.LBB270_23:                             ;   in Loop: Header=BB270_18 Depth=2
	s_or_b32 exec_lo, exec_lo, s3
	v_add_nc_u32_e32 v61, s1, v79
	s_mov_b32 s3, exec_lo
                                        ; implicit-def: $vgpr31
	s_delay_alu instid0(VALU_DEP_1)
	v_cmpx_lt_u32_e32 0x7fff, v61
	s_xor_b32 s3, exec_lo, s3
	s_cbranch_execz .LBB270_25
; %bb.24:                               ;   in Loop: Header=BB270_18 Depth=2
	v_lshlrev_b64 v[0:1], 1, v[61:62]
	s_delay_alu instid0(VALU_DEP_1) | instskip(NEXT) | instid1(VALU_DEP_2)
	v_add_co_u32 v0, vcc_lo, s12, v0
	v_add_co_ci_u32_e32 v1, vcc_lo, s13, v1, vcc_lo
	global_load_b128 v[28:31], v[0:1], off
.LBB270_25:                             ;   in Loop: Header=BB270_18 Depth=2
	s_and_not1_saveexec_b32 s3, s3
	s_cbranch_execz .LBB270_27
; %bb.26:                               ;   in Loop: Header=BB270_18 Depth=2
	v_add_nc_u32_e32 v0, s27, v84
	s_waitcnt vmcnt(0)
	ds_load_b128 v[28:31], v0
.LBB270_27:                             ;   in Loop: Header=BB270_18 Depth=2
	s_or_b32 exec_lo, exec_lo, s3
	v_add_nc_u32_e32 v76, s1, v82
	s_mov_b32 s3, exec_lo
                                        ; implicit-def: $vgpr11
	s_delay_alu instid0(VALU_DEP_1)
	v_cmpx_lt_u32_e32 0x7fff, v76
	s_xor_b32 s3, exec_lo, s3
	s_cbranch_execz .LBB270_29
; %bb.28:                               ;   in Loop: Header=BB270_18 Depth=2
	v_mov_b32_e32 v77, v62
	s_delay_alu instid0(VALU_DEP_1) | instskip(NEXT) | instid1(VALU_DEP_1)
	v_lshlrev_b64 v[0:1], 1, v[76:77]
	v_add_co_u32 v0, vcc_lo, s12, v0
	s_delay_alu instid0(VALU_DEP_2)
	v_add_co_ci_u32_e32 v1, vcc_lo, s13, v1, vcc_lo
	global_load_b128 v[8:11], v[0:1], off
.LBB270_29:                             ;   in Loop: Header=BB270_18 Depth=2
	s_and_not1_saveexec_b32 s3, s3
	s_cbranch_execz .LBB270_31
; %bb.30:                               ;   in Loop: Header=BB270_18 Depth=2
	v_add_nc_u32_e32 v0, s20, v84
	s_waitcnt vmcnt(0)
	ds_load_2addr_b32 v[8:9], v0 offset1:1
	ds_load_2addr_b32 v[10:11], v0 offset0:2 offset1:3
.LBB270_31:                             ;   in Loop: Header=BB270_18 Depth=2
	s_or_b32 exec_lo, exec_lo, s3
	v_add_nc_u32_e32 v74, s1, v63
	s_mov_b32 s3, exec_lo
                                        ; implicit-def: $vgpr3
	s_delay_alu instid0(VALU_DEP_1)
	v_cmpx_lt_u32_e32 0x7fff, v74
	s_xor_b32 s3, exec_lo, s3
	s_cbranch_execz .LBB270_33
; %bb.32:                               ;   in Loop: Header=BB270_18 Depth=2
	v_mov_b32_e32 v75, v62
	s_delay_alu instid0(VALU_DEP_1) | instskip(NEXT) | instid1(VALU_DEP_1)
	v_lshlrev_b64 v[0:1], 1, v[74:75]
	v_add_co_u32 v0, vcc_lo, s12, v0
	s_delay_alu instid0(VALU_DEP_2)
	v_add_co_ci_u32_e32 v1, vcc_lo, s13, v1, vcc_lo
	global_load_b128 v[0:3], v[0:1], off
.LBB270_33:                             ;   in Loop: Header=BB270_18 Depth=2
	s_and_not1_saveexec_b32 s3, s3
	s_cbranch_execz .LBB270_35
; %bb.34:                               ;   in Loop: Header=BB270_18 Depth=2
	s_waitcnt vmcnt(0)
	v_add_nc_u32_e32 v0, s6, v84
	ds_load_b128 v[0:3], v0
.LBB270_35:                             ;   in Loop: Header=BB270_18 Depth=2
	s_or_b32 exec_lo, exec_lo, s3
	v_dual_mov_b32 v7, 0 :: v_dual_mov_b32 v6, 0
	v_dual_mov_b32 v5, 0 :: v_dual_mov_b32 v4, 0
	;; [unrolled: 1-line block ×8, first 2 shown]
	s_mov_b32 s3, exec_lo
	v_cmpx_gt_u32_e64 s4, v72
	s_cbranch_execz .LBB270_16
; %bb.36:                               ;   in Loop: Header=BB270_18 Depth=2
	s_mov_b32 s18, exec_lo
                                        ; implicit-def: $vgpr55
	v_cmpx_lt_u32_e32 0x7fff, v72
	s_xor_b32 s18, exec_lo, s18
	s_cbranch_execz .LBB270_38
; %bb.37:                               ;   in Loop: Header=BB270_18 Depth=2
	v_mov_b32_e32 v73, v62
	s_delay_alu instid0(VALU_DEP_1) | instskip(NEXT) | instid1(VALU_DEP_1)
	v_lshlrev_b64 v[4:5], 1, v[72:73]
	v_add_co_u32 v4, vcc_lo, s12, v4
	s_delay_alu instid0(VALU_DEP_2)
	v_add_co_ci_u32_e32 v5, vcc_lo, s13, v5, vcc_lo
	global_load_b128 v[52:55], v[4:5], off
.LBB270_38:                             ;   in Loop: Header=BB270_18 Depth=2
	s_and_not1_saveexec_b32 s18, s18
	s_cbranch_execz .LBB270_40
; %bb.39:                               ;   in Loop: Header=BB270_18 Depth=2
	s_waitcnt vmcnt(0)
	ds_load_b128 v[52:55], v84 offset:1024
.LBB270_40:                             ;   in Loop: Header=BB270_18 Depth=2
	s_or_b32 exec_lo, exec_lo, s18
	v_add_nc_u32_e32 v61, 0x200, v61
	s_mov_b32 s18, exec_lo
                                        ; implicit-def: $vgpr23
	s_delay_alu instid0(VALU_DEP_1)
	v_cmpx_lt_u32_e32 0x7fff, v61
	s_xor_b32 s18, exec_lo, s18
	s_cbranch_execz .LBB270_42
; %bb.41:                               ;   in Loop: Header=BB270_18 Depth=2
	v_lshlrev_b64 v[4:5], 1, v[61:62]
	s_delay_alu instid0(VALU_DEP_1) | instskip(NEXT) | instid1(VALU_DEP_2)
	v_add_co_u32 v4, vcc_lo, s12, v4
	v_add_co_ci_u32_e32 v5, vcc_lo, s13, v5, vcc_lo
	global_load_b128 v[20:23], v[4:5], off
.LBB270_42:                             ;   in Loop: Header=BB270_18 Depth=2
	s_and_not1_saveexec_b32 s18, s18
	s_cbranch_execz .LBB270_44
; %bb.43:                               ;   in Loop: Header=BB270_18 Depth=2
	v_add_nc_u32_e32 v4, s27, v84
	s_waitcnt vmcnt(0)
	ds_load_b128 v[20:23], v4 offset:1024
.LBB270_44:                             ;   in Loop: Header=BB270_18 Depth=2
	s_or_b32 exec_lo, exec_lo, s18
	v_add_nc_u32_e32 v61, 0x200, v76
	s_mov_b32 s18, exec_lo
                                        ; implicit-def: $vgpr15
	s_delay_alu instid0(VALU_DEP_1)
	v_cmpx_lt_u32_e32 0x7fff, v61
	s_xor_b32 s18, exec_lo, s18
	s_cbranch_execz .LBB270_46
; %bb.45:                               ;   in Loop: Header=BB270_18 Depth=2
	v_lshlrev_b64 v[4:5], 1, v[61:62]
	s_delay_alu instid0(VALU_DEP_1) | instskip(NEXT) | instid1(VALU_DEP_2)
	v_add_co_u32 v4, vcc_lo, s12, v4
	v_add_co_ci_u32_e32 v5, vcc_lo, s13, v5, vcc_lo
	global_load_b128 v[12:15], v[4:5], off
.LBB270_46:                             ;   in Loop: Header=BB270_18 Depth=2
	s_and_not1_saveexec_b32 s18, s18
	s_cbranch_execz .LBB270_48
; %bb.47:                               ;   in Loop: Header=BB270_18 Depth=2
	v_add_nc_u32_e32 v4, s20, v84
	s_delay_alu instid0(VALU_DEP_1)
	v_add_nc_u32_e32 v5, 0x400, v4
	v_add_nc_u32_e32 v4, 0x408, v4
	s_waitcnt vmcnt(0)
	ds_load_2addr_b32 v[12:13], v5 offset1:1
	ds_load_2addr_b32 v[14:15], v4 offset1:1
.LBB270_48:                             ;   in Loop: Header=BB270_18 Depth=2
	s_or_b32 exec_lo, exec_lo, s18
	v_add_nc_u32_e32 v61, 0x200, v74
	s_mov_b32 s18, exec_lo
                                        ; implicit-def: $vgpr7
	s_delay_alu instid0(VALU_DEP_1)
	v_cmpx_lt_u32_e32 0x7fff, v61
	s_xor_b32 s18, exec_lo, s18
	s_cbranch_execz .LBB270_50
; %bb.49:                               ;   in Loop: Header=BB270_18 Depth=2
	v_lshlrev_b64 v[4:5], 1, v[61:62]
	s_delay_alu instid0(VALU_DEP_1) | instskip(NEXT) | instid1(VALU_DEP_2)
	v_add_co_u32 v4, vcc_lo, s12, v4
	v_add_co_ci_u32_e32 v5, vcc_lo, s13, v5, vcc_lo
	global_load_b128 v[4:7], v[4:5], off
.LBB270_50:                             ;   in Loop: Header=BB270_18 Depth=2
	s_and_not1_saveexec_b32 s18, s18
	s_cbranch_execz .LBB270_15
; %bb.51:                               ;   in Loop: Header=BB270_18 Depth=2
	s_waitcnt vmcnt(0)
	v_add_nc_u32_e32 v4, s6, v84
	ds_load_b128 v[4:7], v4 offset:1024
	s_branch .LBB270_15
.LBB270_52:                             ;   in Loop: Header=BB270_13 Depth=1
	s_delay_alu instid0(VALU_DEP_1)
	v_cvt_i32_f32_e32 v0, v88
	s_waitcnt lgkmcnt(0)
	v_cvt_i32_f32_e32 v1, v91
	v_cvt_i32_f32_e32 v2, v89
	;; [unrolled: 1-line block ×4, first 2 shown]
	v_cvt_f32_i32_dpp v0, v0 row_shr:8 row_mask:0xf bank_mask:0xf bound_ctrl:1
	v_cvt_f32_i32_dpp v1, v1 row_shr:8 row_mask:0xf bank_mask:0xf bound_ctrl:1
	v_cvt_i32_f32_e32 v5, v86
	v_cvt_f32_i32_dpp v2, v2 row_shr:8 row_mask:0xf bank_mask:0xf bound_ctrl:1
	v_cvt_f32_i32_dpp v3, v3 row_shr:8 row_mask:0xf bank_mask:0xf bound_ctrl:1
	s_delay_alu instid0(VALU_DEP_4) | instskip(SKIP_2) | instid1(VALU_DEP_4)
	v_dual_add_f32 v0, v88, v0 :: v_dual_add_f32 v1, v91, v1
	v_cvt_f32_i32_dpp v4, v4 row_shr:8 row_mask:0xf bank_mask:0xf bound_ctrl:1
	v_cvt_f32_i32_dpp v5, v5 row_shr:8 row_mask:0xf bank_mask:0xf bound_ctrl:1
	v_dual_add_f32 v2, v89, v2 :: v_dual_add_f32 v3, v90, v3
	s_delay_alu instid0(VALU_DEP_4) | instskip(SKIP_1) | instid1(VALU_DEP_4)
	v_cvt_i32_f32_e32 v7, v0
	v_cvt_i32_f32_e32 v8, v1
	v_dual_add_f32 v4, v92, v4 :: v_dual_add_f32 v5, v86, v5
	v_cvt_i32_f32_e32 v6, v93
	s_delay_alu instid0(VALU_DEP_4) | instskip(NEXT) | instid1(VALU_DEP_4)
	v_cvt_f32_i32_dpp v7, v7 row_shr:4 row_mask:0xf bank_mask:0xf bound_ctrl:1
	v_cvt_f32_i32_dpp v8, v8 row_shr:4 row_mask:0xf bank_mask:0xf bound_ctrl:1
	s_delay_alu instid0(VALU_DEP_4) | instskip(SKIP_2) | instid1(VALU_DEP_4)
	v_cvt_i32_f32_e32 v11, v4
	v_cvt_i32_f32_e32 v12, v5
	v_cvt_f32_i32_dpp v6, v6 row_shr:8 row_mask:0xf bank_mask:0xf bound_ctrl:1
	v_dual_add_f32 v0, v0, v7 :: v_dual_add_f32 v1, v1, v8
	v_cvt_i32_f32_e32 v7, v2
	v_cvt_i32_f32_e32 v8, v3
	v_cvt_f32_i32_dpp v11, v11 row_shr:4 row_mask:0xf bank_mask:0xf bound_ctrl:1
	s_delay_alu instid0(VALU_DEP_4)
	v_cvt_i32_f32_e32 v9, v0
	s_waitcnt vmcnt(0)
	v_cvt_i32_f32_e32 v10, v1
	v_cvt_f32_i32_dpp v7, v7 row_shr:4 row_mask:0xf bank_mask:0xf bound_ctrl:1
	v_cvt_f32_i32_dpp v8, v8 row_shr:4 row_mask:0xf bank_mask:0xf bound_ctrl:1
	v_add_f32_e32 v6, v93, v6
	v_cvt_f32_i32_dpp v9, v9 row_shr:2 row_mask:0xf bank_mask:0xf bound_ctrl:1
	v_cvt_f32_i32_dpp v10, v10 row_shr:2 row_mask:0xf bank_mask:0xf bound_ctrl:1
	s_delay_alu instid0(VALU_DEP_4) | instskip(NEXT) | instid1(VALU_DEP_4)
	v_add_f32_e32 v3, v3, v8
	v_cvt_i32_f32_e32 v13, v6
	s_delay_alu instid0(VALU_DEP_3) | instskip(SKIP_2) | instid1(VALU_DEP_4)
	v_dual_add_f32 v0, v0, v9 :: v_dual_add_f32 v1, v1, v10
	v_cvt_f32_i32_dpp v9, v12 row_shr:4 row_mask:0xf bank_mask:0xf bound_ctrl:1
	v_add_f32_e32 v2, v2, v7
	v_cvt_f32_i32_dpp v10, v13 row_shr:4 row_mask:0xf bank_mask:0xf bound_ctrl:1
	s_delay_alu instid0(VALU_DEP_4) | instskip(SKIP_3) | instid1(VALU_DEP_4)
	v_cvt_i32_f32_e32 v7, v0
	v_cvt_i32_f32_e32 v12, v1
	v_add_f32_e32 v5, v5, v9
	v_cvt_i32_f32_e32 v9, v2
	v_cvt_f32_i32_dpp v7, v7 row_shr:1 row_mask:0xf bank_mask:0xf bound_ctrl:1
	s_delay_alu instid0(VALU_DEP_4) | instskip(SKIP_2) | instid1(VALU_DEP_3)
	v_cvt_f32_i32_dpp v8, v12 row_shr:1 row_mask:0xf bank_mask:0xf bound_ctrl:1
	v_add_f32_e32 v6, v6, v10
	v_cvt_i32_f32_e32 v10, v3
	v_dual_add_f32 v27, v0, v7 :: v_dual_add_f32 v24, v1, v8
	v_cvt_i32_f32_e32 v1, v5
	v_cvt_f32_i32_dpp v8, v9 row_shr:2 row_mask:0xf bank_mask:0xf bound_ctrl:1
	s_delay_alu instid0(VALU_DEP_4) | instskip(SKIP_3) | instid1(VALU_DEP_4)
	v_cvt_f32_i32_dpp v9, v10 row_shr:2 row_mask:0xf bank_mask:0xf bound_ctrl:1
	v_add_f32_e32 v4, v4, v11
	v_cvt_i32_f32_e32 v7, v6
	v_cvt_f32_i32_dpp v1, v1 row_shr:2 row_mask:0xf bank_mask:0xf bound_ctrl:1
	v_dual_add_f32 v2, v2, v8 :: v_dual_add_f32 v3, v3, v9
	s_delay_alu instid0(VALU_DEP_4) | instskip(NEXT) | instid1(VALU_DEP_4)
	v_cvt_i32_f32_e32 v0, v4
	v_cvt_f32_i32_dpp v7, v7 row_shr:2 row_mask:0xf bank_mask:0xf bound_ctrl:1
	s_delay_alu instid0(VALU_DEP_4) | instskip(NEXT) | instid1(VALU_DEP_4)
	v_add_f32_e32 v1, v5, v1
	v_cvt_i32_f32_e32 v5, v2
	ds_bpermute_b32 v29, v80, v27
	v_cvt_f32_i32_dpp v0, v0 row_shr:2 row_mask:0xf bank_mask:0xf bound_ctrl:1
	v_cvt_i32_f32_e32 v8, v1
	v_cvt_f32_i32_dpp v5, v5 row_shr:1 row_mask:0xf bank_mask:0xf bound_ctrl:1
	s_delay_alu instid0(VALU_DEP_2) | instskip(NEXT) | instid1(VALU_DEP_2)
	v_cvt_f32_i32_dpp v8, v8 row_shr:1 row_mask:0xf bank_mask:0xf bound_ctrl:1
	v_add_f32_e32 v22, v2, v5
	v_cvt_i32_f32_e32 v2, v87
	s_delay_alu instid0(VALU_DEP_3) | instskip(SKIP_1) | instid1(VALU_DEP_3)
	v_add_f32_e32 v13, v1, v8
	v_cvt_i32_f32_e32 v1, v94
	v_cvt_f32_i32_dpp v2, v2 row_shr:8 row_mask:0xf bank_mask:0xf bound_ctrl:1
	ds_bpermute_b32 v23, v80, v22
	ds_bpermute_b32 v14, v80, v13
	v_cvt_f32_i32_dpp v1, v1 row_shr:8 row_mask:0xf bank_mask:0xf bound_ctrl:1
	s_delay_alu instid0(VALU_DEP_1) | instskip(SKIP_2) | instid1(VALU_DEP_3)
	v_dual_add_f32 v0, v4, v0 :: v_dual_add_f32 v1, v94, v1
	v_add_f32_e32 v4, v6, v7
	v_cvt_i32_f32_e32 v6, v3
	v_cvt_i32_f32_e32 v7, v0
	s_delay_alu instid0(VALU_DEP_2) | instskip(NEXT) | instid1(VALU_DEP_2)
	v_cvt_f32_i32_dpp v6, v6 row_shr:1 row_mask:0xf bank_mask:0xf bound_ctrl:1
	v_cvt_f32_i32_dpp v7, v7 row_shr:1 row_mask:0xf bank_mask:0xf bound_ctrl:1
	s_delay_alu instid0(VALU_DEP_2)
	v_add_f32_e32 v19, v3, v6
	v_cvt_i32_f32_e32 v6, v1
	v_cvt_i32_f32_e32 v3, v85
	ds_bpermute_b32 v25, v80, v24
	ds_bpermute_b32 v20, v80, v19
	v_cvt_f32_i32_dpp v6, v6 row_shr:4 row_mask:0xf bank_mask:0xf bound_ctrl:1
	v_cvt_f32_i32_dpp v3, v3 row_shr:8 row_mask:0xf bank_mask:0xf bound_ctrl:1
	s_delay_alu instid0(VALU_DEP_2) | instskip(SKIP_1) | instid1(VALU_DEP_3)
	v_add_f32_e32 v1, v1, v6
	v_cvt_i32_f32_e32 v9, v4
	v_add_f32_e32 v3, v85, v3
	s_delay_alu instid0(VALU_DEP_3) | instskip(NEXT) | instid1(VALU_DEP_3)
	v_cvt_i32_f32_e32 v6, v1
	v_cvt_f32_i32_dpp v9, v9 row_shr:1 row_mask:0xf bank_mask:0xf bound_ctrl:1
	s_delay_alu instid0(VALU_DEP_3) | instskip(NEXT) | instid1(VALU_DEP_3)
	v_cvt_i32_f32_e32 v10, v3
	v_cvt_f32_i32_dpp v6, v6 row_shr:2 row_mask:0xf bank_mask:0xf bound_ctrl:1
	s_delay_alu instid0(VALU_DEP_3) | instskip(SKIP_1) | instid1(VALU_DEP_4)
	v_add_f32_e32 v8, v4, v9
	v_cvt_i32_f32_e32 v4, v83
	v_cvt_f32_i32_dpp v10, v10 row_shr:4 row_mask:0xf bank_mask:0xf bound_ctrl:1
	v_add_f32_e32 v16, v0, v7
	v_cvt_i32_f32_e32 v0, v95
	ds_bpermute_b32 v9, v80, v8
	v_cvt_f32_i32_dpp v4, v4 row_shr:8 row_mask:0xf bank_mask:0xf bound_ctrl:1
	v_add_f32_e32 v3, v3, v10
	ds_bpermute_b32 v17, v80, v16
	v_cvt_f32_i32_dpp v0, v0 row_shr:8 row_mask:0xf bank_mask:0xf bound_ctrl:1
	v_dual_add_f32 v1, v1, v6 :: v_dual_add_f32 v4, v83, v4
	v_cvt_i32_f32_e32 v10, v3
	s_delay_alu instid0(VALU_DEP_3) | instskip(NEXT) | instid1(VALU_DEP_3)
	v_add_f32_e32 v0, v95, v0
	v_cvt_i32_f32_e32 v6, v1
	s_delay_alu instid0(VALU_DEP_4) | instskip(NEXT) | instid1(VALU_DEP_4)
	v_cvt_i32_f32_e32 v11, v4
	v_cvt_f32_i32_dpp v10, v10 row_shr:2 row_mask:0xf bank_mask:0xf bound_ctrl:1
	s_delay_alu instid0(VALU_DEP_4) | instskip(NEXT) | instid1(VALU_DEP_4)
	v_cvt_i32_f32_e32 v5, v0
	v_cvt_f32_i32_dpp v6, v6 row_shr:1 row_mask:0xf bank_mask:0xf bound_ctrl:1
	s_delay_alu instid0(VALU_DEP_4) | instskip(NEXT) | instid1(VALU_DEP_4)
	v_cvt_f32_i32_dpp v11, v11 row_shr:4 row_mask:0xf bank_mask:0xf bound_ctrl:1
	v_add_f32_e32 v3, v3, v10
	s_delay_alu instid0(VALU_DEP_4) | instskip(NEXT) | instid1(VALU_DEP_4)
	v_cvt_f32_i32_dpp v5, v5 row_shr:4 row_mask:0xf bank_mask:0xf bound_ctrl:1
	v_add_f32_e32 v6, v1, v6
	s_delay_alu instid0(VALU_DEP_4) | instskip(NEXT) | instid1(VALU_DEP_4)
	v_add_f32_e32 v4, v4, v11
	v_cvt_i32_f32_e32 v10, v3
	s_delay_alu instid0(VALU_DEP_4) | instskip(NEXT) | instid1(VALU_DEP_3)
	v_add_f32_e32 v0, v0, v5
	v_cvt_i32_f32_e32 v11, v4
	s_delay_alu instid0(VALU_DEP_3) | instskip(NEXT) | instid1(VALU_DEP_3)
	v_cvt_f32_i32_dpp v10, v10 row_shr:1 row_mask:0xf bank_mask:0xf bound_ctrl:1
	v_cvt_i32_f32_e32 v5, v0
	s_delay_alu instid0(VALU_DEP_3) | instskip(SKIP_1) | instid1(VALU_DEP_3)
	v_cvt_f32_i32_dpp v11, v11 row_shr:2 row_mask:0xf bank_mask:0xf bound_ctrl:1
	v_add_f32_e32 v2, v87, v2
	v_cvt_f32_i32_dpp v5, v5 row_shr:2 row_mask:0xf bank_mask:0xf bound_ctrl:1
	s_delay_alu instid0(VALU_DEP_1) | instskip(NEXT) | instid1(VALU_DEP_4)
	v_add_f32_e32 v0, v0, v5
	v_add_f32_e32 v5, v4, v11
	s_delay_alu instid0(VALU_DEP_4) | instskip(NEXT) | instid1(VALU_DEP_3)
	v_cvt_i32_f32_e32 v7, v2
	v_cvt_i32_f32_e32 v4, v0
	s_delay_alu instid0(VALU_DEP_3) | instskip(NEXT) | instid1(VALU_DEP_3)
	v_cvt_i32_f32_e32 v11, v5
	v_cvt_f32_i32_dpp v7, v7 row_shr:4 row_mask:0xf bank_mask:0xf bound_ctrl:1
	s_delay_alu instid0(VALU_DEP_3) | instskip(NEXT) | instid1(VALU_DEP_3)
	v_cvt_f32_i32_dpp v4, v4 row_shr:1 row_mask:0xf bank_mask:0xf bound_ctrl:1
	v_cvt_f32_i32_dpp v12, v11 row_shr:1 row_mask:0xf bank_mask:0xf bound_ctrl:1
	s_delay_alu instid0(VALU_DEP_2) | instskip(NEXT) | instid1(VALU_DEP_2)
	v_dual_add_f32 v2, v2, v7 :: v_dual_add_f32 v11, v0, v4
	v_add_f32_e32 v0, v5, v12
	s_delay_alu instid0(VALU_DEP_2) | instskip(SKIP_3) | instid1(VALU_DEP_1)
	v_cvt_i32_f32_e32 v7, v2
	ds_bpermute_b32 v12, v80, v11
	ds_bpermute_b32 v1, v80, v0
	v_cvt_f32_i32_dpp v7, v7 row_shr:2 row_mask:0xf bank_mask:0xf bound_ctrl:1
	v_add_f32_e32 v2, v2, v7
	s_delay_alu instid0(VALU_DEP_1) | instskip(NEXT) | instid1(VALU_DEP_1)
	v_cvt_i32_f32_e32 v7, v2
	v_cvt_f32_i32_dpp v7, v7 row_shr:1 row_mask:0xf bank_mask:0xf bound_ctrl:1
	s_delay_alu instid0(VALU_DEP_1)
	v_add_f32_e32 v4, v2, v7
	v_add_f32_e32 v2, v3, v10
	ds_bpermute_b32 v7, v80, v6
	ds_bpermute_b32 v5, v80, v4
	;; [unrolled: 1-line block ×3, first 2 shown]
	s_and_saveexec_b32 s18, s0
	s_cbranch_execz .LBB270_127
; %bb.53:                               ;   in Loop: Header=BB270_13 Depth=1
	v_dual_mov_b32 v35, 0 :: v_dual_mov_b32 v34, 0
	v_dual_mov_b32 v33, 0 :: v_dual_mov_b32 v32, 0
	;; [unrolled: 1-line block ×5, first 2 shown]
	v_mov_b32_e32 v18, 0
	v_mov_b32_e32 v10, 0
	s_and_not1_b32 vcc_lo, exec_lo, s24
	s_cbranch_vccnz .LBB270_55
; %bb.54:                               ;   in Loop: Header=BB270_13 Depth=1
	v_mul_hi_u32 v10, v60, v81
	v_mul_hi_u32 v15, v65, v81
	;; [unrolled: 1-line block ×3, first 2 shown]
	s_delay_alu instid0(VALU_DEP_3) | instskip(NEXT) | instid1(VALU_DEP_3)
	v_mul_lo_u32 v10, v10, s14
	v_mul_lo_u32 v15, v15, s14
	s_delay_alu instid0(VALU_DEP_3) | instskip(NEXT) | instid1(VALU_DEP_3)
	v_mul_lo_u32 v18, v18, s14
	v_sub_nc_u32_e32 v10, v60, v10
	s_delay_alu instid0(VALU_DEP_3) | instskip(NEXT) | instid1(VALU_DEP_3)
	v_sub_nc_u32_e32 v15, v65, v15
	v_sub_nc_u32_e32 v18, v64, v18
	s_delay_alu instid0(VALU_DEP_3) | instskip(SKIP_1) | instid1(VALU_DEP_4)
	v_subrev_nc_u32_e32 v21, s14, v10
	v_cmp_le_u32_e32 vcc_lo, s14, v10
	v_subrev_nc_u32_e32 v26, s14, v15
	s_delay_alu instid0(VALU_DEP_4) | instskip(NEXT) | instid1(VALU_DEP_4)
	v_subrev_nc_u32_e32 v28, s14, v18
	v_cndmask_b32_e32 v10, v10, v21, vcc_lo
	v_cmp_le_u32_e32 vcc_lo, s14, v15
	s_delay_alu instid0(VALU_DEP_4) | instskip(SKIP_1) | instid1(VALU_DEP_4)
	v_cndmask_b32_e32 v15, v15, v26, vcc_lo
	v_cmp_le_u32_e32 vcc_lo, s14, v18
	v_subrev_nc_u32_e32 v21, s14, v10
	s_delay_alu instid0(VALU_DEP_3) | instskip(SKIP_2) | instid1(VALU_DEP_2)
	v_subrev_nc_u32_e32 v26, s14, v15
	v_cndmask_b32_e32 v18, v18, v28, vcc_lo
	v_cmp_le_u32_e32 vcc_lo, s14, v10
	v_subrev_nc_u32_e32 v28, s14, v18
	v_cndmask_b32_e32 v61, v10, v21, vcc_lo
	v_cmp_le_u32_e32 vcc_lo, s14, v15
	v_mov_b32_e32 v31, v62
	v_dual_mov_b32 v37, v62 :: v_dual_cndmask_b32 v30, v15, v26
	v_cmp_le_u32_e32 vcc_lo, s14, v18
	v_mov_b32_e32 v35, v62
	v_mov_b32_e32 v45, v62
	s_delay_alu instid0(VALU_DEP_4) | instskip(SKIP_2) | instid1(VALU_DEP_2)
	v_lshlrev_b64 v[40:41], 1, v[30:31]
	v_cndmask_b32_e32 v32, v18, v28, vcc_lo
	v_add_nc_u32_e32 v36, s28, v30
	v_add_nc_u32_e32 v44, s28, v32
	v_lshlrev_b64 v[38:39], 1, v[61:62]
	v_dual_mov_b32 v33, v62 :: v_dual_add_nc_u32 v34, s28, v61
	s_delay_alu instid0(VALU_DEP_1) | instskip(NEXT) | instid1(VALU_DEP_3)
	v_lshlrev_b64 v[42:43], 1, v[32:33]
	v_add_co_u32 v38, vcc_lo, s8, v38
	s_delay_alu instid0(VALU_DEP_4) | instskip(NEXT) | instid1(VALU_DEP_4)
	v_add_co_ci_u32_e32 v39, vcc_lo, s9, v39, vcc_lo
	v_lshlrev_b64 v[33:34], 1, v[34:35]
	v_add_co_u32 v40, vcc_lo, s8, v40
	v_add_co_ci_u32_e32 v41, vcc_lo, s9, v41, vcc_lo
	v_add_co_u32 v42, vcc_lo, s8, v42
	v_add_co_ci_u32_e32 v43, vcc_lo, s9, v43, vcc_lo
	;; [unrolled: 2-line block ×3, first 2 shown]
	v_lshlrev_b64 v[33:34], 1, v[44:45]
	v_add_nc_u32_e32 v44, s29, v61
	v_lshlrev_b64 v[35:36], 1, v[36:37]
	v_add_nc_u32_e32 v61, s30, v61
	s_delay_alu instid0(VALU_DEP_2) | instskip(NEXT) | instid1(VALU_DEP_3)
	v_add_co_u32 v48, vcc_lo, s8, v35
	v_add_co_ci_u32_e32 v49, vcc_lo, s9, v36, vcc_lo
	v_lshlrev_b64 v[35:36], 1, v[44:45]
	v_add_nc_u32_e32 v44, s29, v30
	v_add_co_u32 v50, vcc_lo, s8, v33
	v_add_co_ci_u32_e32 v51, vcc_lo, s9, v34, vcc_lo
	s_delay_alu instid0(VALU_DEP_3) | instskip(SKIP_3) | instid1(VALU_DEP_3)
	v_lshlrev_b64 v[33:34], 1, v[44:45]
	v_add_nc_u32_e32 v44, s29, v32
	v_add_co_u32 v52, vcc_lo, s8, v35
	v_add_co_ci_u32_e32 v53, vcc_lo, s9, v36, vcc_lo
	v_lshlrev_b64 v[35:36], 1, v[44:45]
	v_add_co_u32 v44, vcc_lo, s8, v33
	v_add_co_ci_u32_e32 v45, vcc_lo, s9, v34, vcc_lo
	v_lshlrev_b64 v[33:34], 1, v[61:62]
	v_add_nc_u32_e32 v61, s30, v30
	v_add_co_u32 v54, vcc_lo, s8, v35
	v_add_co_ci_u32_e32 v55, vcc_lo, s9, v36, vcc_lo
	s_delay_alu instid0(VALU_DEP_3) | instskip(SKIP_3) | instid1(VALU_DEP_3)
	v_lshlrev_b64 v[30:31], 1, v[61:62]
	v_add_nc_u32_e32 v61, s30, v32
	v_add_co_u32 v36, vcc_lo, s8, v33
	v_add_co_ci_u32_e32 v37, vcc_lo, s9, v34, vcc_lo
	v_lshlrev_b64 v[32:33], 1, v[61:62]
	v_add_co_u32 v66, vcc_lo, s8, v30
	v_add_co_ci_u32_e32 v67, vcc_lo, s9, v31, vcc_lo
	s_delay_alu instid0(VALU_DEP_3) | instskip(NEXT) | instid1(VALU_DEP_4)
	v_add_co_u32 v68, vcc_lo, s8, v32
	v_add_co_ci_u32_e32 v69, vcc_lo, s9, v33, vcc_lo
	s_clause 0xb
	global_load_u16 v35, v[38:39], off
	global_load_u16 v34, v[40:41], off
	;; [unrolled: 1-line block ×12, first 2 shown]
.LBB270_55:                             ;   in Loop: Header=BB270_13 Depth=1
	v_cmp_ne_u32_e32 vcc_lo, 0, v56
	s_and_saveexec_b32 s2, vcc_lo
	s_cbranch_execnz .LBB270_67
; %bb.56:                               ;   in Loop: Header=BB270_13 Depth=1
	s_or_b32 exec_lo, exec_lo, s2
	v_cmp_ne_u32_e64 s1, 0, v57
	s_delay_alu instid0(VALU_DEP_1)
	s_and_saveexec_b32 s3, s1
	s_cbranch_execnz .LBB270_72
.LBB270_57:                             ;   in Loop: Header=BB270_13 Depth=1
	s_or_b32 exec_lo, exec_lo, s3
	v_cmp_ne_u32_e64 s2, 0, v58
	s_delay_alu instid0(VALU_DEP_1)
	s_and_saveexec_b32 s19, s2
	s_cbranch_execnz .LBB270_77
.LBB270_58:                             ;   in Loop: Header=BB270_13 Depth=1
	s_or_b32 exec_lo, exec_lo, s19
	v_add_nc_u32_e32 v61, s7, v60
	s_and_saveexec_b32 s19, vcc_lo
	s_cbranch_execnz .LBB270_82
.LBB270_59:                             ;   in Loop: Header=BB270_13 Depth=1
	s_or_b32 exec_lo, exec_lo, s19
	s_and_saveexec_b32 s19, s1
	s_cbranch_execnz .LBB270_87
.LBB270_60:                             ;   in Loop: Header=BB270_13 Depth=1
	s_or_b32 exec_lo, exec_lo, s19
	s_and_saveexec_b32 s19, s2
	s_cbranch_execnz .LBB270_92
.LBB270_61:                             ;   in Loop: Header=BB270_13 Depth=1
	s_or_b32 exec_lo, exec_lo, s19
	v_add_nc_u32_e32 v61, s7, v61
	s_and_saveexec_b32 s19, vcc_lo
	s_cbranch_execnz .LBB270_97
.LBB270_62:                             ;   in Loop: Header=BB270_13 Depth=1
	s_or_b32 exec_lo, exec_lo, s19
	s_and_saveexec_b32 s19, s1
	s_cbranch_execnz .LBB270_102
.LBB270_63:                             ;   in Loop: Header=BB270_13 Depth=1
	s_or_b32 exec_lo, exec_lo, s19
	s_and_saveexec_b32 s19, s2
	s_cbranch_execnz .LBB270_107
.LBB270_64:                             ;   in Loop: Header=BB270_13 Depth=1
	s_or_b32 exec_lo, exec_lo, s19
	v_add_nc_u32_e32 v61, s7, v61
	s_and_saveexec_b32 s3, vcc_lo
	s_cbranch_execnz .LBB270_112
.LBB270_65:                             ;   in Loop: Header=BB270_13 Depth=1
	s_or_b32 exec_lo, exec_lo, s3
	s_and_saveexec_b32 s3, s1
	s_cbranch_execnz .LBB270_117
.LBB270_66:                             ;   in Loop: Header=BB270_13 Depth=1
	s_or_b32 exec_lo, exec_lo, s3
	s_delay_alu instid0(SALU_CYCLE_1)
	s_and_b32 exec_lo, exec_lo, s2
	s_cbranch_execnz .LBB270_122
	s_branch .LBB270_127
.LBB270_67:                             ;   in Loop: Header=BB270_13 Depth=1
	s_waitcnt lgkmcnt(0)
	v_add_f32_e32 v27, v27, v29
	s_waitcnt vmcnt(11)
	v_lshlrev_b32_e32 v29, 16, v35
	s_delay_alu instid0(VALU_DEP_1) | instskip(NEXT) | instid1(VALU_DEP_1)
	v_add_f32_e32 v29, v27, v29
	v_and_b32_e32 v27, 0x7f800000, v29
	s_delay_alu instid0(VALU_DEP_1) | instskip(NEXT) | instid1(VALU_DEP_1)
	v_cmp_ne_u32_e64 s1, 0x7f800000, v27
                                        ; implicit-def: $vgpr27
	s_and_saveexec_b32 s3, s1
	s_delay_alu instid0(SALU_CYCLE_1)
	s_xor_b32 s1, exec_lo, s3
; %bb.68:                               ;   in Loop: Header=BB270_13 Depth=1
	v_bfe_u32 v27, v29, 16, 1
	s_delay_alu instid0(VALU_DEP_1)
	v_add3_u32 v27, v29, v27, 0x7fff
                                        ; implicit-def: $vgpr29
; %bb.69:                               ;   in Loop: Header=BB270_13 Depth=1
	s_and_not1_saveexec_b32 s3, s1
; %bb.70:                               ;   in Loop: Header=BB270_13 Depth=1
	v_and_b32_e32 v27, 0xffff, v29
	v_or_b32_e32 v35, 0x10000, v29
	s_delay_alu instid0(VALU_DEP_2) | instskip(NEXT) | instid1(VALU_DEP_1)
	v_cmp_eq_u32_e64 s1, 0, v27
	v_cndmask_b32_e64 v27, v35, v29, s1
; %bb.71:                               ;   in Loop: Header=BB270_13 Depth=1
	s_or_b32 exec_lo, exec_lo, s3
	v_mov_b32_e32 v61, v62
	s_delay_alu instid0(VALU_DEP_1) | instskip(NEXT) | instid1(VALU_DEP_1)
	v_lshlrev_b64 v[35:36], 1, v[60:61]
	v_add_co_u32 v35, s1, s16, v35
	s_delay_alu instid0(VALU_DEP_1) | instskip(SKIP_3) | instid1(VALU_DEP_1)
	v_add_co_ci_u32_e64 v36, s1, s17, v36, s1
	global_store_d16_hi_b16 v[35:36], v27, off
	s_or_b32 exec_lo, exec_lo, s2
	v_cmp_ne_u32_e64 s1, 0, v57
	s_and_saveexec_b32 s3, s1
	s_cbranch_execz .LBB270_57
.LBB270_72:                             ;   in Loop: Header=BB270_13 Depth=1
	s_waitcnt vmcnt(10) lgkmcnt(0)
	v_dual_add_f32 v24, v24, v25 :: v_dual_lshlrev_b32 v25, 16, v34
	s_delay_alu instid0(VALU_DEP_1) | instskip(NEXT) | instid1(VALU_DEP_1)
	v_add_f32_e32 v25, v24, v25
	v_and_b32_e32 v24, 0x7f800000, v25
	s_delay_alu instid0(VALU_DEP_1) | instskip(NEXT) | instid1(VALU_DEP_1)
	v_cmp_ne_u32_e64 s2, 0x7f800000, v24
                                        ; implicit-def: $vgpr24
	s_and_saveexec_b32 s19, s2
	s_delay_alu instid0(SALU_CYCLE_1)
	s_xor_b32 s2, exec_lo, s19
; %bb.73:                               ;   in Loop: Header=BB270_13 Depth=1
	v_bfe_u32 v24, v25, 16, 1
	s_delay_alu instid0(VALU_DEP_1)
	v_add3_u32 v24, v25, v24, 0x7fff
                                        ; implicit-def: $vgpr25
; %bb.74:                               ;   in Loop: Header=BB270_13 Depth=1
	s_and_not1_saveexec_b32 s19, s2
; %bb.75:                               ;   in Loop: Header=BB270_13 Depth=1
	v_and_b32_e32 v24, 0xffff, v25
	v_or_b32_e32 v27, 0x10000, v25
	s_delay_alu instid0(VALU_DEP_2) | instskip(NEXT) | instid1(VALU_DEP_1)
	v_cmp_eq_u32_e64 s2, 0, v24
	v_cndmask_b32_e64 v24, v27, v25, s2
; %bb.76:                               ;   in Loop: Header=BB270_13 Depth=1
	s_or_b32 exec_lo, exec_lo, s19
	v_mov_b32_e32 v66, v62
	s_delay_alu instid0(VALU_DEP_1) | instskip(NEXT) | instid1(VALU_DEP_1)
	v_lshlrev_b64 v[34:35], 1, v[65:66]
	v_add_co_u32 v34, s2, s16, v34
	s_delay_alu instid0(VALU_DEP_1) | instskip(SKIP_3) | instid1(VALU_DEP_1)
	v_add_co_ci_u32_e64 v35, s2, s17, v35, s2
	global_store_d16_hi_b16 v[34:35], v24, off
	s_or_b32 exec_lo, exec_lo, s3
	v_cmp_ne_u32_e64 s2, 0, v58
	s_and_saveexec_b32 s19, s2
	s_cbranch_execz .LBB270_58
.LBB270_77:                             ;   in Loop: Header=BB270_13 Depth=1
	s_waitcnt vmcnt(9) lgkmcnt(0)
	v_dual_add_f32 v22, v22, v23 :: v_dual_lshlrev_b32 v23, 16, v33
	s_delay_alu instid0(VALU_DEP_1) | instskip(NEXT) | instid1(VALU_DEP_1)
	v_add_f32_e32 v23, v22, v23
	v_and_b32_e32 v22, 0x7f800000, v23
	s_delay_alu instid0(VALU_DEP_1) | instskip(NEXT) | instid1(VALU_DEP_1)
	v_cmp_ne_u32_e64 s3, 0x7f800000, v22
                                        ; implicit-def: $vgpr22
	s_and_saveexec_b32 s31, s3
	s_delay_alu instid0(SALU_CYCLE_1)
	s_xor_b32 s3, exec_lo, s31
; %bb.78:                               ;   in Loop: Header=BB270_13 Depth=1
	v_bfe_u32 v22, v23, 16, 1
	s_delay_alu instid0(VALU_DEP_1)
	v_add3_u32 v22, v23, v22, 0x7fff
                                        ; implicit-def: $vgpr23
; %bb.79:                               ;   in Loop: Header=BB270_13 Depth=1
	s_and_not1_saveexec_b32 s31, s3
; %bb.80:                               ;   in Loop: Header=BB270_13 Depth=1
	v_and_b32_e32 v22, 0xffff, v23
	v_or_b32_e32 v24, 0x10000, v23
	s_delay_alu instid0(VALU_DEP_2) | instskip(NEXT) | instid1(VALU_DEP_1)
	v_cmp_eq_u32_e64 s3, 0, v22
	v_cndmask_b32_e64 v22, v24, v23, s3
; %bb.81:                               ;   in Loop: Header=BB270_13 Depth=1
	s_or_b32 exec_lo, exec_lo, s31
	v_mov_b32_e32 v65, v62
	s_delay_alu instid0(VALU_DEP_1) | instskip(NEXT) | instid1(VALU_DEP_1)
	v_lshlrev_b64 v[23:24], 1, v[64:65]
	v_add_co_u32 v23, s3, s16, v23
	s_delay_alu instid0(VALU_DEP_1)
	v_add_co_ci_u32_e64 v24, s3, s17, v24, s3
	global_store_d16_hi_b16 v[23:24], v22, off
	s_or_b32 exec_lo, exec_lo, s19
	v_add_nc_u32_e32 v61, s7, v60
	s_and_saveexec_b32 s19, vcc_lo
	s_cbranch_execz .LBB270_59
.LBB270_82:                             ;   in Loop: Header=BB270_13 Depth=1
	s_waitcnt lgkmcnt(0)
	v_add_f32_e32 v19, v19, v20
	s_waitcnt vmcnt(8)
	v_lshlrev_b32_e32 v20, 16, v32
	s_delay_alu instid0(VALU_DEP_1) | instskip(NEXT) | instid1(VALU_DEP_1)
	v_add_f32_e32 v20, v19, v20
	v_and_b32_e32 v19, 0x7f800000, v20
	s_delay_alu instid0(VALU_DEP_1) | instskip(NEXT) | instid1(VALU_DEP_1)
	v_cmp_ne_u32_e64 s3, 0x7f800000, v19
                                        ; implicit-def: $vgpr19
	s_and_saveexec_b32 s31, s3
	s_delay_alu instid0(SALU_CYCLE_1)
	s_xor_b32 s3, exec_lo, s31
; %bb.83:                               ;   in Loop: Header=BB270_13 Depth=1
	v_bfe_u32 v19, v20, 16, 1
	s_delay_alu instid0(VALU_DEP_1)
	v_add3_u32 v19, v20, v19, 0x7fff
                                        ; implicit-def: $vgpr20
; %bb.84:                               ;   in Loop: Header=BB270_13 Depth=1
	s_and_not1_saveexec_b32 s31, s3
; %bb.85:                               ;   in Loop: Header=BB270_13 Depth=1
	v_and_b32_e32 v19, 0xffff, v20
	v_or_b32_e32 v22, 0x10000, v20
	s_delay_alu instid0(VALU_DEP_2) | instskip(NEXT) | instid1(VALU_DEP_1)
	v_cmp_eq_u32_e64 s3, 0, v19
	v_cndmask_b32_e64 v19, v22, v20, s3
; %bb.86:                               ;   in Loop: Header=BB270_13 Depth=1
	s_or_b32 exec_lo, exec_lo, s31
	v_lshlrev_b64 v[22:23], 1, v[61:62]
	s_delay_alu instid0(VALU_DEP_1) | instskip(NEXT) | instid1(VALU_DEP_1)
	v_add_co_u32 v22, s3, s16, v22
	v_add_co_ci_u32_e64 v23, s3, s17, v23, s3
	global_store_d16_hi_b16 v[22:23], v19, off
	s_or_b32 exec_lo, exec_lo, s19
	s_and_saveexec_b32 s19, s1
	s_cbranch_execz .LBB270_60
.LBB270_87:                             ;   in Loop: Header=BB270_13 Depth=1
	s_waitcnt vmcnt(7) lgkmcnt(0)
	v_dual_add_f32 v16, v16, v17 :: v_dual_lshlrev_b32 v17, 16, v31
	s_delay_alu instid0(VALU_DEP_1) | instskip(NEXT) | instid1(VALU_DEP_1)
	v_add_f32_e32 v17, v16, v17
	v_and_b32_e32 v16, 0x7f800000, v17
	s_delay_alu instid0(VALU_DEP_1) | instskip(NEXT) | instid1(VALU_DEP_1)
	v_cmp_ne_u32_e64 s3, 0x7f800000, v16
                                        ; implicit-def: $vgpr16
	s_and_saveexec_b32 s31, s3
	s_delay_alu instid0(SALU_CYCLE_1)
	s_xor_b32 s3, exec_lo, s31
; %bb.88:                               ;   in Loop: Header=BB270_13 Depth=1
	v_bfe_u32 v16, v17, 16, 1
	s_delay_alu instid0(VALU_DEP_1)
	v_add3_u32 v16, v17, v16, 0x7fff
                                        ; implicit-def: $vgpr17
; %bb.89:                               ;   in Loop: Header=BB270_13 Depth=1
	s_and_not1_saveexec_b32 s31, s3
; %bb.90:                               ;   in Loop: Header=BB270_13 Depth=1
	v_and_b32_e32 v16, 0xffff, v17
	v_or_b32_e32 v19, 0x10000, v17
	s_delay_alu instid0(VALU_DEP_2) | instskip(NEXT) | instid1(VALU_DEP_1)
	v_cmp_eq_u32_e64 s3, 0, v16
	v_cndmask_b32_e64 v16, v19, v17, s3
; %bb.91:                               ;   in Loop: Header=BB270_13 Depth=1
	s_or_b32 exec_lo, exec_lo, s31
	v_dual_mov_b32 v20, v62 :: v_dual_add_nc_u32 v19, 1, v61
	s_delay_alu instid0(VALU_DEP_1) | instskip(NEXT) | instid1(VALU_DEP_1)
	v_lshlrev_b64 v[19:20], 1, v[19:20]
	v_add_co_u32 v19, s3, s16, v19
	s_delay_alu instid0(VALU_DEP_1)
	v_add_co_ci_u32_e64 v20, s3, s17, v20, s3
	global_store_d16_hi_b16 v[19:20], v16, off
	s_or_b32 exec_lo, exec_lo, s19
	s_and_saveexec_b32 s19, s2
	s_cbranch_execz .LBB270_61
.LBB270_92:                             ;   in Loop: Header=BB270_13 Depth=1
	s_waitcnt lgkmcnt(0)
	v_add_f32_e32 v13, v13, v14
	s_waitcnt vmcnt(6)
	v_lshlrev_b32_e32 v14, 16, v30
	s_delay_alu instid0(VALU_DEP_1) | instskip(NEXT) | instid1(VALU_DEP_1)
	v_add_f32_e32 v14, v13, v14
	v_and_b32_e32 v13, 0x7f800000, v14
	s_delay_alu instid0(VALU_DEP_1) | instskip(NEXT) | instid1(VALU_DEP_1)
	v_cmp_ne_u32_e64 s3, 0x7f800000, v13
                                        ; implicit-def: $vgpr13
	s_and_saveexec_b32 s31, s3
	s_delay_alu instid0(SALU_CYCLE_1)
	s_xor_b32 s3, exec_lo, s31
; %bb.93:                               ;   in Loop: Header=BB270_13 Depth=1
	v_bfe_u32 v13, v14, 16, 1
	s_delay_alu instid0(VALU_DEP_1)
	v_add3_u32 v13, v14, v13, 0x7fff
                                        ; implicit-def: $vgpr14
; %bb.94:                               ;   in Loop: Header=BB270_13 Depth=1
	s_and_not1_saveexec_b32 s31, s3
; %bb.95:                               ;   in Loop: Header=BB270_13 Depth=1
	v_and_b32_e32 v13, 0xffff, v14
	v_or_b32_e32 v16, 0x10000, v14
	s_delay_alu instid0(VALU_DEP_2) | instskip(NEXT) | instid1(VALU_DEP_1)
	v_cmp_eq_u32_e64 s3, 0, v13
	v_cndmask_b32_e64 v13, v16, v14, s3
; %bb.96:                               ;   in Loop: Header=BB270_13 Depth=1
	s_or_b32 exec_lo, exec_lo, s31
	v_dual_mov_b32 v17, v62 :: v_dual_add_nc_u32 v16, 2, v61
	s_delay_alu instid0(VALU_DEP_1) | instskip(NEXT) | instid1(VALU_DEP_1)
	v_lshlrev_b64 v[16:17], 1, v[16:17]
	v_add_co_u32 v16, s3, s16, v16
	s_delay_alu instid0(VALU_DEP_1)
	v_add_co_ci_u32_e64 v17, s3, s17, v17, s3
	global_store_d16_hi_b16 v[16:17], v13, off
	s_or_b32 exec_lo, exec_lo, s19
	v_add_nc_u32_e32 v61, s7, v61
	s_and_saveexec_b32 s19, vcc_lo
	s_cbranch_execz .LBB270_62
.LBB270_97:                             ;   in Loop: Header=BB270_13 Depth=1
	s_waitcnt vmcnt(5) lgkmcnt(0)
	v_dual_add_f32 v8, v8, v9 :: v_dual_lshlrev_b32 v9, 16, v28
	s_delay_alu instid0(VALU_DEP_1) | instskip(NEXT) | instid1(VALU_DEP_1)
	v_add_f32_e32 v9, v8, v9
	v_and_b32_e32 v8, 0x7f800000, v9
	s_delay_alu instid0(VALU_DEP_1) | instskip(NEXT) | instid1(VALU_DEP_1)
	v_cmp_ne_u32_e64 s3, 0x7f800000, v8
                                        ; implicit-def: $vgpr8
	s_and_saveexec_b32 s31, s3
	s_delay_alu instid0(SALU_CYCLE_1)
	s_xor_b32 s3, exec_lo, s31
; %bb.98:                               ;   in Loop: Header=BB270_13 Depth=1
	v_bfe_u32 v8, v9, 16, 1
	s_delay_alu instid0(VALU_DEP_1)
	v_add3_u32 v8, v9, v8, 0x7fff
                                        ; implicit-def: $vgpr9
; %bb.99:                               ;   in Loop: Header=BB270_13 Depth=1
	s_and_not1_saveexec_b32 s31, s3
; %bb.100:                              ;   in Loop: Header=BB270_13 Depth=1
	v_and_b32_e32 v8, 0xffff, v9
	v_or_b32_e32 v13, 0x10000, v9
	s_delay_alu instid0(VALU_DEP_2) | instskip(NEXT) | instid1(VALU_DEP_1)
	v_cmp_eq_u32_e64 s3, 0, v8
	v_cndmask_b32_e64 v8, v13, v9, s3
; %bb.101:                              ;   in Loop: Header=BB270_13 Depth=1
	s_or_b32 exec_lo, exec_lo, s31
	v_lshlrev_b64 v[13:14], 1, v[61:62]
	s_delay_alu instid0(VALU_DEP_1) | instskip(NEXT) | instid1(VALU_DEP_1)
	v_add_co_u32 v13, s3, s16, v13
	v_add_co_ci_u32_e64 v14, s3, s17, v14, s3
	global_store_d16_hi_b16 v[13:14], v8, off
	s_or_b32 exec_lo, exec_lo, s19
	s_and_saveexec_b32 s19, s1
	s_cbranch_execz .LBB270_63
.LBB270_102:                            ;   in Loop: Header=BB270_13 Depth=1
	s_waitcnt vmcnt(4) lgkmcnt(0)
	v_dual_add_f32 v8, v11, v12 :: v_dual_lshlrev_b32 v9, 16, v26
	s_delay_alu instid0(VALU_DEP_1) | instskip(NEXT) | instid1(VALU_DEP_1)
	v_add_f32_e32 v9, v8, v9
	v_and_b32_e32 v8, 0x7f800000, v9
	s_delay_alu instid0(VALU_DEP_1) | instskip(NEXT) | instid1(VALU_DEP_1)
	v_cmp_ne_u32_e64 s3, 0x7f800000, v8
                                        ; implicit-def: $vgpr8
	s_and_saveexec_b32 s31, s3
	s_delay_alu instid0(SALU_CYCLE_1)
	s_xor_b32 s3, exec_lo, s31
; %bb.103:                              ;   in Loop: Header=BB270_13 Depth=1
	v_bfe_u32 v8, v9, 16, 1
	s_delay_alu instid0(VALU_DEP_1)
	v_add3_u32 v8, v9, v8, 0x7fff
                                        ; implicit-def: $vgpr9
; %bb.104:                              ;   in Loop: Header=BB270_13 Depth=1
	s_and_not1_saveexec_b32 s31, s3
; %bb.105:                              ;   in Loop: Header=BB270_13 Depth=1
	v_and_b32_e32 v8, 0xffff, v9
	v_or_b32_e32 v11, 0x10000, v9
	s_delay_alu instid0(VALU_DEP_2) | instskip(NEXT) | instid1(VALU_DEP_1)
	v_cmp_eq_u32_e64 s3, 0, v8
	v_cndmask_b32_e64 v8, v11, v9, s3
; %bb.106:                              ;   in Loop: Header=BB270_13 Depth=1
	s_or_b32 exec_lo, exec_lo, s31
	v_dual_mov_b32 v12, v62 :: v_dual_add_nc_u32 v11, 1, v61
	s_delay_alu instid0(VALU_DEP_1) | instskip(NEXT) | instid1(VALU_DEP_1)
	v_lshlrev_b64 v[11:12], 1, v[11:12]
	v_add_co_u32 v11, s3, s16, v11
	s_delay_alu instid0(VALU_DEP_1)
	v_add_co_ci_u32_e64 v12, s3, s17, v12, s3
	global_store_d16_hi_b16 v[11:12], v8, off
	s_or_b32 exec_lo, exec_lo, s19
	s_and_saveexec_b32 s19, s2
	s_cbranch_execz .LBB270_64
.LBB270_107:                            ;   in Loop: Header=BB270_13 Depth=1
	s_waitcnt vmcnt(3) lgkmcnt(0)
	v_dual_add_f32 v6, v6, v7 :: v_dual_lshlrev_b32 v7, 16, v21
	s_delay_alu instid0(VALU_DEP_1) | instskip(NEXT) | instid1(VALU_DEP_1)
	v_add_f32_e32 v7, v6, v7
	v_and_b32_e32 v6, 0x7f800000, v7
	s_delay_alu instid0(VALU_DEP_1) | instskip(NEXT) | instid1(VALU_DEP_1)
	v_cmp_ne_u32_e64 s3, 0x7f800000, v6
                                        ; implicit-def: $vgpr6
	s_and_saveexec_b32 s31, s3
	s_delay_alu instid0(SALU_CYCLE_1)
	s_xor_b32 s3, exec_lo, s31
; %bb.108:                              ;   in Loop: Header=BB270_13 Depth=1
	v_bfe_u32 v6, v7, 16, 1
	s_delay_alu instid0(VALU_DEP_1)
	v_add3_u32 v6, v7, v6, 0x7fff
                                        ; implicit-def: $vgpr7
; %bb.109:                              ;   in Loop: Header=BB270_13 Depth=1
	s_and_not1_saveexec_b32 s31, s3
; %bb.110:                              ;   in Loop: Header=BB270_13 Depth=1
	v_and_b32_e32 v6, 0xffff, v7
	v_or_b32_e32 v8, 0x10000, v7
	s_delay_alu instid0(VALU_DEP_2) | instskip(NEXT) | instid1(VALU_DEP_1)
	v_cmp_eq_u32_e64 s3, 0, v6
	v_cndmask_b32_e64 v6, v8, v7, s3
; %bb.111:                              ;   in Loop: Header=BB270_13 Depth=1
	s_or_b32 exec_lo, exec_lo, s31
	v_dual_mov_b32 v8, v62 :: v_dual_add_nc_u32 v7, 2, v61
	s_delay_alu instid0(VALU_DEP_1) | instskip(NEXT) | instid1(VALU_DEP_1)
	v_lshlrev_b64 v[7:8], 1, v[7:8]
	v_add_co_u32 v7, s3, s16, v7
	s_delay_alu instid0(VALU_DEP_1)
	v_add_co_ci_u32_e64 v8, s3, s17, v8, s3
	global_store_d16_hi_b16 v[7:8], v6, off
	s_or_b32 exec_lo, exec_lo, s19
	v_add_nc_u32_e32 v61, s7, v61
	s_and_saveexec_b32 s3, vcc_lo
	s_cbranch_execz .LBB270_65
.LBB270_112:                            ;   in Loop: Header=BB270_13 Depth=1
	s_waitcnt vmcnt(2) lgkmcnt(0)
	v_dual_add_f32 v4, v4, v5 :: v_dual_lshlrev_b32 v5, 16, v18
	s_delay_alu instid0(VALU_DEP_1) | instskip(NEXT) | instid1(VALU_DEP_1)
	v_add_f32_e32 v5, v4, v5
	v_and_b32_e32 v4, 0x7f800000, v5
	s_delay_alu instid0(VALU_DEP_1) | instskip(SKIP_1) | instid1(SALU_CYCLE_1)
	v_cmp_ne_u32_e32 vcc_lo, 0x7f800000, v4
                                        ; implicit-def: $vgpr4
	s_and_saveexec_b32 s19, vcc_lo
	s_xor_b32 s19, exec_lo, s19
; %bb.113:                              ;   in Loop: Header=BB270_13 Depth=1
	v_bfe_u32 v4, v5, 16, 1
	s_delay_alu instid0(VALU_DEP_1)
	v_add3_u32 v4, v5, v4, 0x7fff
                                        ; implicit-def: $vgpr5
; %bb.114:                              ;   in Loop: Header=BB270_13 Depth=1
	s_and_not1_saveexec_b32 s19, s19
; %bb.115:                              ;   in Loop: Header=BB270_13 Depth=1
	v_and_b32_e32 v4, 0xffff, v5
	v_or_b32_e32 v6, 0x10000, v5
	s_delay_alu instid0(VALU_DEP_2) | instskip(NEXT) | instid1(VALU_DEP_2)
	v_cmp_eq_u32_e32 vcc_lo, 0, v4
	v_cndmask_b32_e32 v4, v6, v5, vcc_lo
; %bb.116:                              ;   in Loop: Header=BB270_13 Depth=1
	s_or_b32 exec_lo, exec_lo, s19
	v_lshlrev_b64 v[5:6], 1, v[61:62]
	s_delay_alu instid0(VALU_DEP_1) | instskip(NEXT) | instid1(VALU_DEP_2)
	v_add_co_u32 v5, vcc_lo, s16, v5
	v_add_co_ci_u32_e32 v6, vcc_lo, s17, v6, vcc_lo
	global_store_d16_hi_b16 v[5:6], v4, off
	s_or_b32 exec_lo, exec_lo, s3
	s_and_saveexec_b32 s3, s1
	s_cbranch_execz .LBB270_66
.LBB270_117:                            ;   in Loop: Header=BB270_13 Depth=1
	s_waitcnt lgkmcnt(0)
	v_add_f32_e32 v2, v2, v3
	s_waitcnt vmcnt(1)
	v_lshlrev_b32_e32 v3, 16, v15
	s_delay_alu instid0(VALU_DEP_1) | instskip(NEXT) | instid1(VALU_DEP_1)
	v_add_f32_e32 v3, v2, v3
	v_and_b32_e32 v2, 0x7f800000, v3
	s_delay_alu instid0(VALU_DEP_1) | instskip(SKIP_1) | instid1(SALU_CYCLE_1)
	v_cmp_ne_u32_e32 vcc_lo, 0x7f800000, v2
                                        ; implicit-def: $vgpr2
	s_and_saveexec_b32 s1, vcc_lo
	s_xor_b32 s1, exec_lo, s1
; %bb.118:                              ;   in Loop: Header=BB270_13 Depth=1
	v_bfe_u32 v2, v3, 16, 1
	s_delay_alu instid0(VALU_DEP_1)
	v_add3_u32 v2, v3, v2, 0x7fff
                                        ; implicit-def: $vgpr3
; %bb.119:                              ;   in Loop: Header=BB270_13 Depth=1
	s_and_not1_saveexec_b32 s1, s1
; %bb.120:                              ;   in Loop: Header=BB270_13 Depth=1
	v_and_b32_e32 v2, 0xffff, v3
	v_or_b32_e32 v4, 0x10000, v3
	s_delay_alu instid0(VALU_DEP_2) | instskip(NEXT) | instid1(VALU_DEP_2)
	v_cmp_eq_u32_e32 vcc_lo, 0, v2
	v_cndmask_b32_e32 v2, v4, v3, vcc_lo
; %bb.121:                              ;   in Loop: Header=BB270_13 Depth=1
	s_or_b32 exec_lo, exec_lo, s1
	v_dual_mov_b32 v4, v62 :: v_dual_add_nc_u32 v3, 1, v61
	s_delay_alu instid0(VALU_DEP_1) | instskip(NEXT) | instid1(VALU_DEP_1)
	v_lshlrev_b64 v[3:4], 1, v[3:4]
	v_add_co_u32 v3, vcc_lo, s16, v3
	s_delay_alu instid0(VALU_DEP_2) | instskip(SKIP_2) | instid1(SALU_CYCLE_1)
	v_add_co_ci_u32_e32 v4, vcc_lo, s17, v4, vcc_lo
	global_store_d16_hi_b16 v[3:4], v2, off
	s_or_b32 exec_lo, exec_lo, s3
	s_and_b32 exec_lo, exec_lo, s2
	s_cbranch_execz .LBB270_127
.LBB270_122:                            ;   in Loop: Header=BB270_13 Depth=1
	s_waitcnt vmcnt(0) lgkmcnt(0)
	v_dual_add_f32 v0, v0, v1 :: v_dual_lshlrev_b32 v1, 16, v10
	s_delay_alu instid0(VALU_DEP_1) | instskip(NEXT) | instid1(VALU_DEP_1)
	v_add_f32_e32 v1, v0, v1
	v_and_b32_e32 v0, 0x7f800000, v1
	s_delay_alu instid0(VALU_DEP_1) | instskip(SKIP_1) | instid1(SALU_CYCLE_1)
	v_cmp_ne_u32_e32 vcc_lo, 0x7f800000, v0
                                        ; implicit-def: $vgpr0
	s_and_saveexec_b32 s1, vcc_lo
	s_xor_b32 s1, exec_lo, s1
; %bb.123:                              ;   in Loop: Header=BB270_13 Depth=1
	v_bfe_u32 v0, v1, 16, 1
	s_delay_alu instid0(VALU_DEP_1)
	v_add3_u32 v0, v1, v0, 0x7fff
                                        ; implicit-def: $vgpr1
; %bb.124:                              ;   in Loop: Header=BB270_13 Depth=1
	s_and_not1_saveexec_b32 s1, s1
; %bb.125:                              ;   in Loop: Header=BB270_13 Depth=1
	v_and_b32_e32 v0, 0xffff, v1
	v_or_b32_e32 v2, 0x10000, v1
	s_delay_alu instid0(VALU_DEP_2) | instskip(NEXT) | instid1(VALU_DEP_2)
	v_cmp_eq_u32_e32 vcc_lo, 0, v0
	v_cndmask_b32_e32 v0, v2, v1, vcc_lo
; %bb.126:                              ;   in Loop: Header=BB270_13 Depth=1
	s_or_b32 exec_lo, exec_lo, s1
	v_add_nc_u32_e32 v61, 2, v61
	s_delay_alu instid0(VALU_DEP_1) | instskip(NEXT) | instid1(VALU_DEP_1)
	v_lshlrev_b64 v[1:2], 1, v[61:62]
	v_add_co_u32 v1, vcc_lo, s16, v1
	s_delay_alu instid0(VALU_DEP_2)
	v_add_co_ci_u32_e32 v2, vcc_lo, s17, v2, vcc_lo
	global_store_d16_hi_b16 v[1:2], v0, off
.LBB270_127:                            ;   in Loop: Header=BB270_13 Depth=1
	s_or_b32 exec_lo, exec_lo, s18
	v_add_nc_u32_e32 v60, s26, v60
	s_delay_alu instid0(VALU_DEP_1) | instskip(SKIP_1) | instid1(VALU_DEP_2)
	v_add_nc_u32_e32 v0, 3, v60
	v_cmp_gt_u32_e32 vcc_lo, s7, v60
	v_cmp_le_u32_e64 s1, s7, v0
	s_delay_alu instid0(VALU_DEP_1) | instskip(NEXT) | instid1(SALU_CYCLE_1)
	s_and_b32 s1, vcc_lo, s1
	s_and_saveexec_b32 s31, s1
	s_cbranch_execz .LBB270_12
; %bb.128:                              ;   in Loop: Header=BB270_13 Depth=1
	s_mov_b32 s33, exec_lo
	v_cmpx_ne_u32_e64 s25, v60
	s_cbranch_execz .LBB270_11
; %bb.129:                              ;   in Loop: Header=BB270_13 Depth=1
	v_subrev_nc_u32_e32 v0, s25, v60
	s_mov_b32 s34, 0
	s_mov_b64 s[18:19], 0
	s_delay_alu instid0(VALU_DEP_1)
	v_cmp_lt_u32_e32 vcc_lo, 1, v0
	v_cndmask_b32_e32 v0, 1, v0, vcc_lo
	.p2align	6
.LBB270_130:                            ;   Parent Loop BB270_13 Depth=1
                                        ; =>  This Inner Loop Header: Depth=2
	s_cmp_lg_u32 s18, 2
	s_cselect_b32 vcc_lo, -1, 0
	s_cmp_lg_u32 s18, 1
	v_cndmask_b32_e32 v58, 0, v58, vcc_lo
	s_cselect_b32 s1, -1, 0
	s_cmp_lg_u32 s18, 0
	v_cndmask_b32_e64 v57, 0, v57, s1
	s_cselect_b32 s2, -1, 0
	s_add_u32 s18, s18, 1
	v_cndmask_b32_e64 v56, 0, v56, s2
	v_cmp_eq_u32_e64 s3, s18, v0
	s_addc_u32 s19, s19, 0
	s_delay_alu instid0(VALU_DEP_1) | instskip(NEXT) | instid1(SALU_CYCLE_1)
	s_or_b32 s34, s3, s34
	s_and_not1_b32 exec_lo, exec_lo, s34
	s_cbranch_execnz .LBB270_130
; %bb.131:                              ;   in Loop: Header=BB270_13 Depth=1
	s_or_b32 exec_lo, exec_lo, s34
	s_branch .LBB270_11
.LBB270_132:
	s_nop 0
	s_sendmsg sendmsg(MSG_DEALLOC_VGPRS)
	s_endpgm
	.section	.rodata,"a",@progbits
	.p2align	6, 0x0
	.amdhsa_kernel _Z12wvSplitK_hf_I14__hip_bfloat16Li64ELi3ELi16ELi8ELi2ELi4EEviiiiiiPKT_S3_S3_PS1_ii
		.amdhsa_group_segment_fixed_size 65536
		.amdhsa_private_segment_fixed_size 0
		.amdhsa_kernarg_size 64
		.amdhsa_user_sgpr_count 15
		.amdhsa_user_sgpr_dispatch_ptr 0
		.amdhsa_user_sgpr_queue_ptr 0
		.amdhsa_user_sgpr_kernarg_segment_ptr 1
		.amdhsa_user_sgpr_dispatch_id 0
		.amdhsa_user_sgpr_private_segment_size 0
		.amdhsa_wavefront_size32 1
		.amdhsa_uses_dynamic_stack 0
		.amdhsa_enable_private_segment 0
		.amdhsa_system_sgpr_workgroup_id_x 1
		.amdhsa_system_sgpr_workgroup_id_y 0
		.amdhsa_system_sgpr_workgroup_id_z 0
		.amdhsa_system_sgpr_workgroup_info 0
		.amdhsa_system_vgpr_workitem_id 1
		.amdhsa_next_free_vgpr 114
		.amdhsa_next_free_sgpr 35
		.amdhsa_reserve_vcc 1
		.amdhsa_float_round_mode_32 0
		.amdhsa_float_round_mode_16_64 0
		.amdhsa_float_denorm_mode_32 3
		.amdhsa_float_denorm_mode_16_64 3
		.amdhsa_dx10_clamp 1
		.amdhsa_ieee_mode 1
		.amdhsa_fp16_overflow 0
		.amdhsa_workgroup_processor_mode 1
		.amdhsa_memory_ordered 1
		.amdhsa_forward_progress 0
		.amdhsa_shared_vgpr_count 0
		.amdhsa_exception_fp_ieee_invalid_op 0
		.amdhsa_exception_fp_denorm_src 0
		.amdhsa_exception_fp_ieee_div_zero 0
		.amdhsa_exception_fp_ieee_overflow 0
		.amdhsa_exception_fp_ieee_underflow 0
		.amdhsa_exception_fp_ieee_inexact 0
		.amdhsa_exception_int_div_zero 0
	.end_amdhsa_kernel
	.section	.text._Z12wvSplitK_hf_I14__hip_bfloat16Li64ELi3ELi16ELi8ELi2ELi4EEviiiiiiPKT_S3_S3_PS1_ii,"axG",@progbits,_Z12wvSplitK_hf_I14__hip_bfloat16Li64ELi3ELi16ELi8ELi2ELi4EEviiiiiiPKT_S3_S3_PS1_ii,comdat
.Lfunc_end270:
	.size	_Z12wvSplitK_hf_I14__hip_bfloat16Li64ELi3ELi16ELi8ELi2ELi4EEviiiiiiPKT_S3_S3_PS1_ii, .Lfunc_end270-_Z12wvSplitK_hf_I14__hip_bfloat16Li64ELi3ELi16ELi8ELi2ELi4EEviiiiiiPKT_S3_S3_PS1_ii
                                        ; -- End function
	.section	.AMDGPU.csdata,"",@progbits
; Kernel info:
; codeLenInByte = 8664
; NumSgprs: 37
; NumVgprs: 114
; ScratchSize: 0
; MemoryBound: 0
; FloatMode: 240
; IeeeMode: 1
; LDSByteSize: 65536 bytes/workgroup (compile time only)
; SGPRBlocks: 4
; VGPRBlocks: 14
; NumSGPRsForWavesPerEU: 37
; NumVGPRsForWavesPerEU: 114
; Occupancy: 12
; WaveLimiterHint : 0
; COMPUTE_PGM_RSRC2:SCRATCH_EN: 0
; COMPUTE_PGM_RSRC2:USER_SGPR: 15
; COMPUTE_PGM_RSRC2:TRAP_HANDLER: 0
; COMPUTE_PGM_RSRC2:TGID_X_EN: 1
; COMPUTE_PGM_RSRC2:TGID_Y_EN: 0
; COMPUTE_PGM_RSRC2:TGID_Z_EN: 0
; COMPUTE_PGM_RSRC2:TIDIG_COMP_CNT: 1
	.section	.text._Z16wvSplitK_hf_big_I14__hip_bfloat16Li64ELi3ELi16ELi8ELi2ELi4EEviiiiiiPKT_S3_S3_PS1_ii,"axG",@progbits,_Z16wvSplitK_hf_big_I14__hip_bfloat16Li64ELi3ELi16ELi8ELi2ELi4EEviiiiiiPKT_S3_S3_PS1_ii,comdat
	.protected	_Z16wvSplitK_hf_big_I14__hip_bfloat16Li64ELi3ELi16ELi8ELi2ELi4EEviiiiiiPKT_S3_S3_PS1_ii ; -- Begin function _Z16wvSplitK_hf_big_I14__hip_bfloat16Li64ELi3ELi16ELi8ELi2ELi4EEviiiiiiPKT_S3_S3_PS1_ii
	.globl	_Z16wvSplitK_hf_big_I14__hip_bfloat16Li64ELi3ELi16ELi8ELi2ELi4EEviiiiiiPKT_S3_S3_PS1_ii
	.p2align	8
	.type	_Z16wvSplitK_hf_big_I14__hip_bfloat16Li64ELi3ELi16ELi8ELi2ELi4EEviiiiiiPKT_S3_S3_PS1_ii,@function
_Z16wvSplitK_hf_big_I14__hip_bfloat16Li64ELi3ELi16ELi8ELi2ELi4EEviiiiiiPKT_S3_S3_PS1_ii: ; @_Z16wvSplitK_hf_big_I14__hip_bfloat16Li64ELi3ELi16ELi8ELi2ELi4EEviiiiiiPKT_S3_S3_PS1_ii
; %bb.0:
	s_load_b64 s[20:21], s[0:1], 0x38
	v_bfe_u32 v1, v0, 10, 10
	s_mov_b32 s2, exec_lo
	s_waitcnt lgkmcnt(0)
	s_delay_alu instid0(VALU_DEP_1)
	v_cmpx_gt_u32_e64 s20, v1
	s_cbranch_execz .LBB271_112
; %bb.1:
	s_load_b128 s[16:19], s[0:1], 0x0
	v_mad_u64_u32 v[2:3], null, s15, s20, v[1:2]
	s_mov_b32 s4, 1
	s_delay_alu instid0(SALU_CYCLE_1) | instskip(SKIP_1) | instid1(SALU_CYCLE_1)
	s_mov_b32 s5, s4
	s_mov_b32 s6, s4
	v_mov_b32_e32 v58, s6
	s_delay_alu instid0(VALU_DEP_2) | instskip(SKIP_1) | instid1(VALU_DEP_2)
	v_lshl_add_u32 v59, v2, 1, v2
	v_dual_mov_b32 v56, s4 :: v_dual_mov_b32 v57, s5
	v_add_nc_u32_e32 v2, 3, v59
	s_waitcnt lgkmcnt(0)
	v_cmp_gt_u32_e32 vcc_lo, s19, v59
	s_delay_alu instid0(VALU_DEP_2) | instskip(NEXT) | instid1(VALU_DEP_1)
	v_cmp_le_u32_e64 s2, s19, v2
	s_and_b32 s2, vcc_lo, s2
	s_delay_alu instid0(SALU_CYCLE_1)
	s_and_saveexec_b32 s7, s2
	s_cbranch_execz .LBB271_7
; %bb.2:
	v_dual_mov_b32 v58, s6 :: v_dual_mov_b32 v57, s5
	v_mov_b32_e32 v56, s4
	s_add_i32 s8, s19, -3
	s_mov_b32 s9, exec_lo
	v_cmpx_ne_u32_e64 s8, v59
	s_cbranch_execz .LBB271_6
; %bb.3:
	v_subrev_nc_u32_e32 v2, s8, v59
	s_mov_b32 s10, 0
	s_mov_b64 s[2:3], 0
	s_mov_b32 s5, s4
	s_mov_b32 s6, s4
	v_cmp_lt_u32_e32 vcc_lo, 1, v2
	v_cndmask_b32_e32 v2, 1, v2, vcc_lo
.LBB271_4:                              ; =>This Inner Loop Header: Depth=1
	s_cmp_lg_u32 s2, 2
	s_cselect_b32 s6, s6, 0
	s_cmp_lg_u32 s2, 1
	s_cselect_b32 s5, s5, 0
	;; [unrolled: 2-line block ×3, first 2 shown]
	s_add_u32 s2, s2, 1
	v_dual_mov_b32 v58, s6 :: v_dual_mov_b32 v57, s5
	v_cmp_eq_u32_e32 vcc_lo, s2, v2
	v_mov_b32_e32 v56, s4
	s_addc_u32 s3, s3, 0
	s_or_b32 s10, vcc_lo, s10
	s_delay_alu instid0(SALU_CYCLE_1)
	s_and_not1_b32 exec_lo, exec_lo, s10
	s_cbranch_execnz .LBB271_4
; %bb.5:
	s_or_b32 exec_lo, exec_lo, s10
	v_mov_b32_e32 v59, s8
.LBB271_6:
	s_or_b32 exec_lo, exec_lo, s9
.LBB271_7:
	s_delay_alu instid0(SALU_CYCLE_1)
	s_or_b32 exec_lo, exec_lo, s7
	s_mul_i32 s2, s20, 3
	s_abs_i32 s6, s19
	s_abs_i32 s3, s2
	s_mov_b32 s23, 0
	v_cvt_f32_u32_e32 v2, s3
	s_sub_i32 s5, 0, s3
	s_delay_alu instid0(VALU_DEP_1) | instskip(SKIP_2) | instid1(VALU_DEP_1)
	v_rcp_iflag_f32_e32 v2, v2
	s_waitcnt_depctr 0xfff
	v_mul_f32_e32 v2, 0x4f7ffffe, v2
	v_cvt_u32_f32_e32 v2, v2
	s_delay_alu instid0(VALU_DEP_1) | instskip(NEXT) | instid1(VALU_DEP_1)
	v_readfirstlane_b32 s4, v2
	s_mul_i32 s5, s5, s4
	s_delay_alu instid0(SALU_CYCLE_1) | instskip(NEXT) | instid1(SALU_CYCLE_1)
	s_mul_hi_u32 s5, s4, s5
	s_add_i32 s4, s4, s5
	s_ashr_i32 s5, s19, 31
	s_mul_hi_u32 s4, s6, s4
	s_delay_alu instid0(SALU_CYCLE_1) | instskip(NEXT) | instid1(SALU_CYCLE_1)
	s_mul_i32 s4, s4, s3
	s_sub_i32 s4, s6, s4
	s_delay_alu instid0(SALU_CYCLE_1) | instskip(SKIP_2) | instid1(SALU_CYCLE_1)
	s_sub_i32 s6, s4, s3
	s_cmp_ge_u32 s4, s3
	s_cselect_b32 s4, s6, s4
	s_sub_i32 s6, s4, s3
	s_cmp_ge_u32 s4, s3
	s_cselect_b32 s3, s6, s4
	s_add_i32 s4, s2, s19
	s_xor_b32 s3, s3, s5
	s_delay_alu instid0(SALU_CYCLE_1) | instskip(NEXT) | instid1(SALU_CYCLE_1)
	s_sub_i32 s3, s3, s5
	s_sub_i32 s4, s4, s3
	s_cmp_eq_u32 s3, 0
	s_cselect_b32 s22, s19, s4
	s_delay_alu instid0(SALU_CYCLE_1)
	v_cmp_gt_u32_e32 vcc_lo, s22, v59
	s_and_b32 exec_lo, exec_lo, vcc_lo
	s_cbranch_execz .LBB271_112
; %bb.8:
	s_load_b256 s[4:11], s[0:1], 0x10
	s_min_u32 s24, s18, 0x2000
	s_cmp_lg_u32 s16, 0
	s_load_b64 s[12:13], s[0:1], 0x30
	s_cselect_b32 s25, -1, 0
	s_cmp_lg_u32 s18, 0
	v_and_b32_e32 v0, 0x3ff, v0
	s_cselect_b32 s26, -1, 0
	s_lshl_b32 s27, s20, 9
	s_add_i32 s28, s16, -8
	s_add_i32 s29, s19, -1
	v_lshlrev_b32_e32 v72, 3, v0
	v_cmp_eq_u32_e64 s0, 63, v0
	v_lshlrev_b32_e32 v0, 4, v0
	v_mbcnt_lo_u32_b32 v71, -1, 0
	s_delay_alu instid0(VALU_DEP_4) | instskip(SKIP_1) | instid1(VALU_DEP_4)
	v_lshl_add_u32 v63, v1, 9, v72
	v_mov_b32_e32 v62, 0
	v_lshl_add_u32 v73, v1, 10, v0
	s_waitcnt lgkmcnt(0)
	s_cmp_lg_u64 s[10:11], 0
	v_add_nc_u32_e32 v75, s18, v63
	s_cselect_b32 s30, -1, 0
	s_abs_i32 s3, s5
	v_cvt_f32_u32_e32 v3, s4
	v_cvt_f32_u32_e32 v2, s3
	s_mul_i32 s5, s2, s21
	s_sub_i32 s2, 0, s3
	s_add_i32 s31, s19, -3
	v_rcp_iflag_f32_e32 v3, v3
	v_rcp_iflag_f32_e32 v2, v2
	s_sub_i32 s14, 0, s4
	s_sub_i32 s15, 1, s3
	v_mad_u64_u32 v[64:65], null, s18, 3, v[63:64]
	v_lshl_add_u32 v74, s18, 1, v63
	s_mul_i32 s21, s24, 6
	s_waitcnt_depctr 0xfff
	v_mul_f32_e32 v2, 0x4f7ffffe, v2
	s_delay_alu instid0(VALU_DEP_1) | instskip(NEXT) | instid1(VALU_DEP_1)
	v_cvt_u32_f32_e32 v2, v2
	v_readfirstlane_b32 s1, v2
	v_mul_f32_e32 v2, 0x4f7ffffe, v3
	s_delay_alu instid0(VALU_DEP_2) | instskip(NEXT) | instid1(VALU_DEP_1)
	s_mul_i32 s2, s2, s1
	v_cvt_u32_f32_e32 v0, v2
	s_mul_hi_u32 s2, s1, s2
	s_delay_alu instid0(SALU_CYCLE_1) | instskip(SKIP_1) | instid1(VALU_DEP_1)
	s_add_i32 s1, s1, s2
	s_cmp_lt_u32 s3, 2
	v_mul_lo_u32 v1, s14, v0
	s_cselect_b32 s2, s15, 1
	s_delay_alu instid0(SALU_CYCLE_1)
	s_sub_i32 s15, s2, s3
	s_cmp_ge_u32 s2, s3
	s_cselect_b32 s33, s15, s2
	s_lshr_b32 s2, s1, 31
	s_mul_hi_u32 s1, s1, 3
	s_mul_i32 s2, s2, s3
	s_mul_i32 s1, s1, s3
	s_sub_i32 s2, 2, s2
	v_mul_hi_u32 v1, v0, v1
	s_sub_i32 s14, s2, s3
	s_cmp_ge_u32 s2, s3
	s_mul_i32 s33, s33, s4
	s_cselect_b32 s2, s14, s2
	s_delay_alu instid0(SALU_CYCLE_1) | instskip(SKIP_1) | instid1(VALU_DEP_1)
	s_sub_i32 s14, s2, s3
	s_cmp_ge_u32 s2, s3
	v_add_nc_u32_e32 v76, v0, v1
	s_cselect_b32 s34, s14, s2
	s_sub_i32 s1, 3, s1
	s_mul_i32 s34, s34, s4
	s_sub_i32 s2, s1, s3
	s_cmp_ge_u32 s1, s3
	s_cselect_b32 s1, s2, s1
	s_delay_alu instid0(SALU_CYCLE_1)
	s_sub_i32 s2, s1, s3
	s_cmp_ge_u32 s1, s3
	s_cselect_b32 s38, s2, s1
	s_add_u32 s35, s12, 2
	s_addc_u32 s36, s13, 0
	s_lshl_b32 s20, s20, 10
	s_lshl_b32 s37, s24, 2
	s_mul_i32 s38, s38, s4
	s_lshl_b32 s39, s24, 1
	s_branch .LBB271_12
.LBB271_9:                              ;   in Loop: Header=BB271_12 Depth=1
	s_or_b32 exec_lo, exec_lo, s42
	v_mov_b32_e32 v59, s31
.LBB271_10:                             ;   in Loop: Header=BB271_12 Depth=1
	s_or_b32 exec_lo, exec_lo, s41
.LBB271_11:                             ;   in Loop: Header=BB271_12 Depth=1
	s_delay_alu instid0(SALU_CYCLE_1) | instskip(NEXT) | instid1(VALU_DEP_1)
	s_or_b32 exec_lo, exec_lo, s40
	v_cmp_le_u32_e32 vcc_lo, s22, v59
	s_or_b32 s23, vcc_lo, s23
	s_delay_alu instid0(SALU_CYCLE_1)
	s_and_not1_b32 exec_lo, exec_lo, s23
	s_cbranch_execz .LBB271_112
.LBB271_12:                             ; =>This Loop Header: Depth=1
                                        ;     Child Loop BB271_17 Depth 2
                                        ;       Child Loop BB271_22 Depth 3
                                        ;     Child Loop BB271_110 Depth 2
	v_mov_b32_e32 v60, v62
	v_mov_b32_e32 v77, v62
	;; [unrolled: 1-line block ×12, first 2 shown]
	s_and_not1_b32 vcc_lo, exec_lo, s25
	s_mov_b32 s3, 0
	s_cbranch_vccnz .LBB271_29
; %bb.13:                               ;   in Loop: Header=BB271_12 Depth=1
	v_add_nc_u32_e32 v0, 1, v59
	s_waitcnt lgkmcnt(3)
	v_dual_mov_b32 v84, 0 :: v_dual_add_nc_u32 v1, 2, v59
	v_min_u32_e32 v2, s29, v59
	s_waitcnt lgkmcnt(0)
	v_dual_mov_b32 v3, v62 :: v_dual_mov_b32 v86, 0
	s_delay_alu instid0(VALU_DEP_3)
	v_min_u32_e32 v4, s29, v1
	v_mov_b32_e32 v1, v62
	v_min_u32_e32 v0, s29, v0
	v_mul_lo_u32 v61, v2, s17
	v_cmp_gt_u32_e64 s1, s19, v59
	v_mul_lo_u32 v2, v4, s17
	v_dual_mov_b32 v87, 0 :: v_dual_mov_b32 v82, 0
	v_mul_lo_u32 v0, v0, s17
	v_dual_mov_b32 v81, 0 :: v_dual_mov_b32 v80, 0
	v_lshlrev_b64 v[65:66], 1, v[61:62]
	v_dual_mov_b32 v85, 0 :: v_dual_mov_b32 v78, 0
	v_lshlrev_b64 v[69:70], 1, v[2:3]
	;; [unrolled: 2-line block ×3, first 2 shown]
	v_mov_b32_e32 v79, 0
	v_mov_b32_e32 v77, 0
	s_mov_b32 s14, 0
	s_branch .LBB271_17
.LBB271_14:                             ;   in Loop: Header=BB271_17 Depth=2
	s_or_b32 exec_lo, exec_lo, s40
.LBB271_15:                             ;   in Loop: Header=BB271_17 Depth=2
	s_delay_alu instid0(SALU_CYCLE_1)
	s_or_b32 exec_lo, exec_lo, s15
	s_waitcnt lgkmcnt(3)
	v_and_b32_e32 v96, 0xffff0000, v55
	s_waitcnt vmcnt(5)
	v_and_b32_e32 v98, 0xffff0000, v51
	v_and_b32_e32 v89, 0xffff0000, v53
	;; [unrolled: 1-line block ×4, first 2 shown]
	s_delay_alu instid0(VALU_DEP_4)
	v_dual_mul_f32 v101, v96, v98 :: v_dual_lshlrev_b32 v52, 16, v52
	s_waitcnt vmcnt(4)
	v_and_b32_e32 v97, 0xffff0000, v45
	v_and_b32_e32 v88, 0xffff0000, v48
	v_lshlrev_b32_e32 v48, 16, v48
	v_dual_mul_f32 v94, v89, v91 :: v_dual_lshlrev_b32 v45, 16, v45
	s_delay_alu instid0(VALU_DEP_4) | instskip(NEXT) | instid1(VALU_DEP_4)
	v_mul_f32_e32 v99, v89, v97
	v_dual_mul_f32 v90, v61, v88 :: v_dual_lshlrev_b32 v53, 16, v53
	v_and_b32_e32 v100, 0xffff0000, v46
	v_and_b32_e32 v95, 0xffff0000, v44
	v_lshlrev_b32_e32 v44, 16, v44
	s_delay_alu instid0(VALU_DEP_4)
	v_fmac_f32_e32 v90, v52, v48
	v_dual_fmac_f32 v99, v53, v45 :: v_dual_and_b32 v92, 0xffff0000, v54
	v_and_b32_e32 v93, 0xffff0000, v50
	v_lshlrev_b32_e32 v55, 16, v55
	v_lshlrev_b32_e32 v46, 16, v46
	;; [unrolled: 1-line block ×5, first 2 shown]
	v_add_f32_e32 v84, v84, v90
	s_delay_alu instid0(VALU_DEP_4) | instskip(SKIP_3) | instid1(VALU_DEP_3)
	v_dual_mul_f32 v90, v92, v93 :: v_dual_fmac_f32 v101, v55, v51
	v_lshlrev_b32_e32 v49, 16, v49
	s_waitcnt lgkmcnt(2)
	v_and_b32_e32 v103, 0xffff0000, v42
	v_fmac_f32_e32 v90, v54, v50
	s_delay_alu instid0(VALU_DEP_3) | instskip(NEXT) | instid1(VALU_DEP_1)
	v_fmac_f32_e32 v94, v53, v49
	v_add_f32_e32 v84, v84, v94
	v_mul_f32_e32 v94, v61, v95
	s_delay_alu instid0(VALU_DEP_1) | instskip(NEXT) | instid1(VALU_DEP_1)
	v_fmac_f32_e32 v94, v52, v44
	v_dual_add_f32 v87, v87, v94 :: v_dual_mul_f32 v94, v92, v100
	s_delay_alu instid0(VALU_DEP_1) | instskip(SKIP_3) | instid1(VALU_DEP_3)
	v_dual_add_f32 v87, v87, v99 :: v_dual_fmac_f32 v94, v54, v46
	v_dual_add_f32 v84, v84, v90 :: v_dual_and_b32 v99, 0xffff0000, v47
	v_lshlrev_b32_e32 v47, 16, v47
	s_waitcnt vmcnt(3)
	v_dual_add_f32 v87, v87, v94 :: v_dual_and_b32 v94, 0xffff0000, v37
	s_delay_alu instid0(VALU_DEP_3) | instskip(SKIP_4) | instid1(VALU_DEP_1)
	v_add_f32_e32 v84, v84, v101
	v_lshlrev_b32_e32 v37, 16, v37
	v_and_b32_e32 v101, 0xffff0000, v38
	v_lshlrev_b32_e32 v38, 16, v38
	v_and_b32_e32 v90, 0xffff0000, v36
	v_dual_mul_f32 v61, v61, v90 :: v_dual_lshlrev_b32 v36, 16, v36
	s_delay_alu instid0(VALU_DEP_1) | instskip(SKIP_1) | instid1(VALU_DEP_2)
	v_dual_fmac_f32 v61, v52, v36 :: v_dual_mul_f32 v52, v89, v94
	v_mul_f32_e32 v89, v96, v99
	v_add_f32_e32 v61, v86, v61
	s_delay_alu instid0(VALU_DEP_2) | instskip(NEXT) | instid1(VALU_DEP_1)
	v_dual_fmac_f32 v52, v53, v37 :: v_dual_fmac_f32 v89, v55, v47
	v_dual_mul_f32 v53, v92, v101 :: v_dual_add_f32 v52, v61, v52
	v_and_b32_e32 v61, 0xffff0000, v41
	v_and_b32_e32 v86, 0xffff0000, v40
	v_lshlrev_b32_e32 v40, 16, v40
	v_lshlrev_b32_e32 v41, 16, v41
	s_delay_alu instid0(VALU_DEP_4) | instskip(NEXT) | instid1(VALU_DEP_4)
	v_dual_fmac_f32 v53, v54, v38 :: v_dual_mul_f32 v102, v61, v91
	v_mul_f32_e32 v92, v86, v88
	s_delay_alu instid0(VALU_DEP_2) | instskip(NEXT) | instid1(VALU_DEP_3)
	v_add_f32_e32 v52, v52, v53
	v_fmac_f32_e32 v102, v41, v49
	s_delay_alu instid0(VALU_DEP_3) | instskip(NEXT) | instid1(VALU_DEP_1)
	v_fmac_f32_e32 v92, v40, v48
	v_add_f32_e32 v82, v82, v92
	s_delay_alu instid0(VALU_DEP_1) | instskip(SKIP_3) | instid1(VALU_DEP_3)
	v_dual_add_f32 v53, v82, v102 :: v_dual_add_f32 v82, v87, v89
	v_dual_mul_f32 v89, v61, v97 :: v_dual_lshlrev_b32 v42, 16, v42
	v_and_b32_e32 v87, 0xffff0000, v43
	v_lshlrev_b32_e32 v43, 16, v43
	v_fmac_f32_e32 v89, v41, v45
	v_mul_f32_e32 v92, v103, v93
	s_delay_alu instid0(VALU_DEP_1) | instskip(SKIP_2) | instid1(VALU_DEP_2)
	v_fmac_f32_e32 v92, v42, v50
	v_and_b32_e32 v54, 0xffff0000, v39
	v_lshlrev_b32_e32 v39, 16, v39
	v_dual_add_f32 v53, v53, v92 :: v_dual_mul_f32 v96, v96, v54
	v_mul_f32_e32 v92, v87, v98
	s_delay_alu instid0(VALU_DEP_1) | instskip(NEXT) | instid1(VALU_DEP_3)
	v_fmac_f32_e32 v92, v43, v51
	v_fmac_f32_e32 v96, v55, v39
	v_mul_f32_e32 v55, v86, v95
	s_delay_alu instid0(VALU_DEP_3) | instskip(NEXT) | instid1(VALU_DEP_2)
	v_add_f32_e32 v53, v53, v92
	v_fmac_f32_e32 v55, v40, v44
	s_delay_alu instid0(VALU_DEP_1) | instskip(SKIP_1) | instid1(VALU_DEP_2)
	v_add_f32_e32 v55, v81, v55
	v_mul_f32_e32 v81, v103, v100
	v_dual_add_f32 v52, v52, v96 :: v_dual_add_f32 v55, v55, v89
	s_delay_alu instid0(VALU_DEP_2) | instskip(NEXT) | instid1(VALU_DEP_1)
	v_fmac_f32_e32 v81, v42, v46
	v_dual_mul_f32 v86, v86, v90 :: v_dual_add_f32 v55, v55, v81
	s_delay_alu instid0(VALU_DEP_1) | instskip(SKIP_2) | instid1(VALU_DEP_2)
	v_fmac_f32_e32 v86, v40, v36
	s_waitcnt lgkmcnt(1)
	v_dual_mul_f32 v40, v61, v94 :: v_dual_and_b32 v81, 0xffff0000, v32
	v_add_f32_e32 v61, v85, v86
	v_mul_f32_e32 v85, v87, v99
	v_mul_f32_e32 v86, v87, v54
	s_delay_alu instid0(VALU_DEP_2) | instskip(SKIP_1) | instid1(VALU_DEP_3)
	v_dual_fmac_f32 v85, v43, v47 :: v_dual_fmac_f32 v40, v41, v37
	v_mul_f32_e32 v41, v103, v101
	v_fmac_f32_e32 v86, v43, v39
	s_delay_alu instid0(VALU_DEP_3) | instskip(NEXT) | instid1(VALU_DEP_4)
	v_add_f32_e32 v43, v55, v85
	v_dual_add_f32 v40, v61, v40 :: v_dual_and_b32 v55, 0xffff0000, v34
	v_and_b32_e32 v61, 0xffff0000, v33
	v_dual_fmac_f32 v41, v42, v38 :: v_dual_lshlrev_b32 v32, 16, v32
	v_dual_mul_f32 v42, v81, v88 :: v_dual_lshlrev_b32 v33, 16, v33
	s_delay_alu instid0(VALU_DEP_4) | instskip(NEXT) | instid1(VALU_DEP_3)
	v_mul_f32_e32 v85, v55, v93
	v_dual_add_f32 v40, v40, v41 :: v_dual_mul_f32 v41, v61, v91
	s_delay_alu instid0(VALU_DEP_3) | instskip(NEXT) | instid1(VALU_DEP_2)
	v_fmac_f32_e32 v42, v32, v48
	v_dual_fmac_f32 v41, v33, v49 :: v_dual_lshlrev_b32 v34, 16, v34
	s_delay_alu instid0(VALU_DEP_2) | instskip(SKIP_1) | instid1(VALU_DEP_2)
	v_dual_add_f32 v42, v83, v42 :: v_dual_mul_f32 v83, v81, v95
	v_mul_f32_e32 v81, v81, v90
	v_fmac_f32_e32 v83, v32, v44
	s_delay_alu instid0(VALU_DEP_3) | instskip(SKIP_1) | instid1(VALU_DEP_3)
	v_dual_add_f32 v41, v42, v41 :: v_dual_add_f32 v40, v40, v86
	v_mul_f32_e32 v86, v61, v97
	v_dual_add_f32 v80, v80, v83 :: v_dual_mul_f32 v83, v55, v100
	v_dual_fmac_f32 v85, v34, v50 :: v_dual_and_b32 v42, 0xffff0000, v35
	s_delay_alu instid0(VALU_DEP_3) | instskip(SKIP_1) | instid1(VALU_DEP_3)
	v_dual_fmac_f32 v86, v33, v45 :: v_dual_lshlrev_b32 v35, 16, v35
	v_fmac_f32_e32 v81, v32, v36
	v_mul_f32_e32 v87, v42, v98
	s_delay_alu instid0(VALU_DEP_4) | instskip(SKIP_1) | instid1(VALU_DEP_3)
	v_add_f32_e32 v41, v41, v85
	v_dual_mul_f32 v85, v42, v99 :: v_dual_mul_f32 v32, v61, v94
	v_dual_add_f32 v80, v80, v86 :: v_dual_fmac_f32 v87, v35, v51
	v_fmac_f32_e32 v83, v34, v46
	v_mul_f32_e32 v42, v42, v54
	s_delay_alu instid0(VALU_DEP_4)
	v_fmac_f32_e32 v32, v33, v37
	v_add_f32_e32 v79, v79, v81
	v_mul_f32_e32 v33, v55, v101
	s_waitcnt lgkmcnt(0)
	v_and_b32_e32 v81, 0xffff0000, v29
	v_add_f32_e32 v41, v41, v87
	v_dual_fmac_f32 v42, v35, v39 :: v_dual_lshlrev_b32 v29, 16, v29
	s_delay_alu instid0(VALU_DEP_3) | instskip(SKIP_3) | instid1(VALU_DEP_4)
	v_dual_fmac_f32 v33, v34, v38 :: v_dual_mul_f32 v34, v81, v91
	v_dual_add_f32 v61, v80, v83 :: v_dual_add_f32 v32, v79, v32
	v_and_b32_e32 v80, 0xffff0000, v28
	v_lshlrev_b32_e32 v28, 16, v28
	v_dual_fmac_f32 v34, v29, v49 :: v_dual_fmac_f32 v85, v35, v47
	s_delay_alu instid0(VALU_DEP_4) | instskip(NEXT) | instid1(VALU_DEP_4)
	v_add_f32_e32 v32, v32, v33
	v_mul_f32_e32 v55, v80, v88
	s_delay_alu instid0(VALU_DEP_2) | instskip(NEXT) | instid1(VALU_DEP_2)
	v_dual_add_f32 v61, v61, v85 :: v_dual_add_f32 v32, v32, v42
	v_dual_fmac_f32 v55, v28, v48 :: v_dual_and_b32 v48, 0xffff0000, v30
	s_delay_alu instid0(VALU_DEP_1) | instskip(NEXT) | instid1(VALU_DEP_1)
	v_dual_add_f32 v33, v78, v55 :: v_dual_lshlrev_b32 v30, 16, v30
	v_dual_add_f32 v33, v33, v34 :: v_dual_and_b32 v34, 0xffff0000, v31
	s_delay_alu instid0(VALU_DEP_3) | instskip(SKIP_1) | instid1(VALU_DEP_3)
	v_mul_f32_e32 v49, v48, v93
	v_lshlrev_b32_e32 v31, 16, v31
	v_mul_f32_e32 v42, v34, v99
	s_delay_alu instid0(VALU_DEP_3) | instskip(SKIP_2) | instid1(VALU_DEP_3)
	v_fmac_f32_e32 v49, v30, v50
	v_mul_f32_e32 v50, v34, v98
	v_mul_f32_e32 v34, v34, v54
	v_dual_fmac_f32 v42, v31, v47 :: v_dual_add_f32 v33, v33, v49
	s_delay_alu instid0(VALU_DEP_3) | instskip(SKIP_4) | instid1(VALU_DEP_3)
	v_fmac_f32_e32 v50, v31, v51
	v_mul_f32_e32 v35, v80, v95
	v_mul_f32_e32 v49, v80, v90
	s_waitcnt vmcnt(2)
	v_dual_fmac_f32 v34, v31, v39 :: v_dual_and_b32 v47, 0xffff0000, v22
	v_dual_fmac_f32 v35, v28, v44 :: v_dual_lshlrev_b32 v22, 16, v22
	s_delay_alu instid0(VALU_DEP_3) | instskip(SKIP_2) | instid1(VALU_DEP_3)
	v_dual_mul_f32 v44, v81, v97 :: v_dual_fmac_f32 v49, v28, v36
	v_add_f32_e32 v28, v33, v50
	s_waitcnt vmcnt(0)
	v_dual_add_f32 v35, v77, v35 :: v_dual_and_b32 v50, 0xffff0000, v9
	s_delay_alu instid0(VALU_DEP_3) | instskip(SKIP_2) | instid1(VALU_DEP_3)
	v_fmac_f32_e32 v44, v29, v45
	v_add_f32_e32 v36, v60, v49
	v_mul_f32_e32 v45, v48, v100
	v_add_f32_e32 v35, v35, v44
	s_delay_alu instid0(VALU_DEP_2) | instskip(SKIP_1) | instid1(VALU_DEP_2)
	v_dual_fmac_f32 v45, v30, v46 :: v_dual_and_b32 v44, 0xffff0000, v24
	v_and_b32_e32 v46, 0xffff0000, v21
	v_dual_add_f32 v33, v35, v45 :: v_dual_lshlrev_b32 v24, 16, v24
	v_mul_f32_e32 v35, v81, v94
	v_and_b32_e32 v45, 0xffff0000, v20
	s_delay_alu instid0(VALU_DEP_2) | instskip(SKIP_1) | instid1(VALU_DEP_3)
	v_dual_fmac_f32 v35, v29, v37 :: v_dual_lshlrev_b32 v20, 16, v20
	v_mul_f32_e32 v29, v48, v101
	v_mul_f32_e32 v37, v44, v45
	s_delay_alu instid0(VALU_DEP_2) | instskip(SKIP_2) | instid1(VALU_DEP_2)
	v_fmac_f32_e32 v29, v30, v38
	v_and_b32_e32 v38, 0xffff0000, v26
	v_lshlrev_b32_e32 v26, 16, v26
	v_dual_mul_f32 v48, v38, v47 :: v_dual_fmac_f32 v37, v24, v20
	s_delay_alu instid0(VALU_DEP_1) | instskip(SKIP_1) | instid1(VALU_DEP_1)
	v_dual_fmac_f32 v48, v26, v22 :: v_dual_add_f32 v37, v84, v37
	v_dual_add_f32 v35, v36, v35 :: v_dual_and_b32 v36, 0xffff0000, v25
	v_dual_mul_f32 v30, v36, v46 :: v_dual_lshlrev_b32 v25, 16, v25
	v_dual_add_f32 v33, v33, v42 :: v_dual_and_b32 v42, 0xffff0000, v17
	v_lshlrev_b32_e32 v21, 16, v21
	v_lshlrev_b32_e32 v17, 16, v17
	s_delay_alu instid0(VALU_DEP_2) | instskip(NEXT) | instid1(VALU_DEP_1)
	v_fmac_f32_e32 v30, v25, v21
	v_dual_add_f32 v30, v37, v30 :: v_dual_and_b32 v37, 0xffff0000, v23
	s_delay_alu instid0(VALU_DEP_1) | instskip(SKIP_2) | instid1(VALU_DEP_2)
	v_dual_add_f32 v30, v30, v48 :: v_dual_lshlrev_b32 v23, 16, v23
	v_dual_mul_f32 v48, v36, v42 :: v_dual_and_b32 v31, 0xffff0000, v16
	v_dual_add_f32 v29, v35, v29 :: v_dual_lshlrev_b32 v16, 16, v16
	v_dual_fmac_f32 v48, v25, v17 :: v_dual_and_b32 v35, 0xffff0000, v27
	v_lshlrev_b32_e32 v27, 16, v27
	s_delay_alu instid0(VALU_DEP_4) | instskip(NEXT) | instid1(VALU_DEP_3)
	v_mul_f32_e32 v39, v44, v31
	v_mul_f32_e32 v49, v35, v37
	s_delay_alu instid0(VALU_DEP_1) | instskip(NEXT) | instid1(VALU_DEP_1)
	v_fmac_f32_e32 v49, v27, v23
	v_add_f32_e32 v84, v30, v49
	v_and_b32_e32 v30, 0xffff0000, v8
	v_lshlrev_b32_e32 v8, 16, v8
	v_fmac_f32_e32 v39, v24, v16
	v_add_f32_e32 v29, v29, v34
	s_delay_alu instid0(VALU_DEP_4) | instskip(NEXT) | instid1(VALU_DEP_3)
	v_mul_f32_e32 v44, v44, v30
	v_add_f32_e32 v34, v82, v39
	s_delay_alu instid0(VALU_DEP_2) | instskip(NEXT) | instid1(VALU_DEP_2)
	v_dual_fmac_f32 v44, v24, v8 :: v_dual_and_b32 v39, 0xffff0000, v18
	v_add_f32_e32 v34, v34, v48
	v_and_b32_e32 v48, 0xffff0000, v19
	v_mul_f32_e32 v24, v36, v50
	s_delay_alu instid0(VALU_DEP_4)
	v_add_f32_e32 v44, v52, v44
	v_and_b32_e32 v36, 0xffff0000, v10
	v_lshlrev_b32_e32 v18, 16, v18
	v_lshlrev_b32_e32 v19, 16, v19
	v_dual_mul_f32 v51, v35, v48 :: v_dual_lshlrev_b32 v10, 16, v10
	v_lshlrev_b32_e32 v9, 16, v9
	v_mul_f32_e32 v49, v38, v39
	s_delay_alu instid0(VALU_DEP_3) | instskip(NEXT) | instid1(VALU_DEP_1)
	v_dual_mul_f32 v38, v38, v36 :: v_dual_fmac_f32 v51, v27, v19
	v_fmac_f32_e32 v38, v26, v10
	s_delay_alu instid0(VALU_DEP_3) | instskip(NEXT) | instid1(VALU_DEP_1)
	v_dual_fmac_f32 v24, v25, v9 :: v_dual_fmac_f32 v49, v26, v18
	v_add_f32_e32 v24, v44, v24
	s_delay_alu instid0(VALU_DEP_2) | instskip(SKIP_3) | instid1(VALU_DEP_4)
	v_dual_add_f32 v34, v34, v49 :: v_dual_and_b32 v25, 0xffff0000, v12
	v_lshlrev_b32_e32 v12, 16, v12
	v_and_b32_e32 v44, 0xffff0000, v11
	v_and_b32_e32 v26, 0xffff0000, v13
	v_dual_add_f32 v24, v24, v38 :: v_dual_add_f32 v87, v34, v51
	v_dual_mul_f32 v34, v25, v45 :: v_dual_lshlrev_b32 v11, 16, v11
	s_delay_alu instid0(VALU_DEP_4) | instskip(NEXT) | instid1(VALU_DEP_4)
	v_mul_f32_e32 v35, v35, v44
	v_mul_f32_e32 v49, v26, v46
	;; [unrolled: 1-line block ×3, first 2 shown]
	s_delay_alu instid0(VALU_DEP_4) | instskip(NEXT) | instid1(VALU_DEP_1)
	v_dual_fmac_f32 v34, v12, v20 :: v_dual_lshlrev_b32 v13, 16, v13
	v_dual_fmac_f32 v35, v27, v11 :: v_dual_add_f32 v34, v53, v34
	s_delay_alu instid0(VALU_DEP_2) | instskip(SKIP_1) | instid1(VALU_DEP_2)
	v_dual_fmac_f32 v49, v13, v21 :: v_dual_and_b32 v38, 0xffff0000, v14
	v_dual_mul_f32 v27, v25, v31 :: v_dual_lshlrev_b32 v14, 16, v14
	v_dual_fmac_f32 v52, v13, v17 :: v_dual_mul_f32 v51, v38, v47
	s_delay_alu instid0(VALU_DEP_3) | instskip(SKIP_1) | instid1(VALU_DEP_3)
	v_dual_add_f32 v34, v34, v49 :: v_dual_and_b32 v49, 0xffff0000, v15
	v_dual_mul_f32 v25, v25, v30 :: v_dual_add_f32 v86, v24, v35
	v_fmac_f32_e32 v51, v14, v22
	v_fmac_f32_e32 v27, v12, v16
	s_delay_alu instid0(VALU_DEP_2) | instskip(SKIP_2) | instid1(VALU_DEP_4)
	v_dual_mul_f32 v53, v49, v37 :: v_dual_add_f32 v34, v34, v51
	v_lshlrev_b32_e32 v15, 16, v15
	v_dual_fmac_f32 v25, v12, v8 :: v_dual_mul_f32 v12, v26, v50
	v_dual_add_f32 v27, v43, v27 :: v_dual_mul_f32 v26, v49, v48
	v_mul_f32_e32 v43, v38, v39
	s_delay_alu instid0(VALU_DEP_3) | instskip(NEXT) | instid1(VALU_DEP_4)
	v_add_f32_e32 v25, v40, v25
	v_fmac_f32_e32 v12, v13, v9
	v_and_b32_e32 v35, 0xffff0000, v5
	v_lshlrev_b32_e32 v5, 16, v5
	v_mul_f32_e32 v13, v38, v36
	s_delay_alu instid0(VALU_DEP_4) | instskip(SKIP_2) | instid1(VALU_DEP_4)
	v_dual_fmac_f32 v43, v14, v18 :: v_dual_add_f32 v12, v25, v12
	v_fmac_f32_e32 v53, v15, v23
	v_mul_f32_e32 v25, v49, v44
	v_fmac_f32_e32 v13, v14, v10
	v_add_f32_e32 v27, v27, v52
	v_mul_f32_e32 v14, v35, v46
	v_mul_f32_e32 v38, v35, v42
	s_delay_alu instid0(VALU_DEP_4) | instskip(NEXT) | instid1(VALU_DEP_4)
	v_add_f32_e32 v12, v12, v13
	v_dual_add_f32 v24, v27, v43 :: v_dual_and_b32 v27, 0xffff0000, v4
	v_lshlrev_b32_e32 v4, 16, v4
	v_add_f32_e32 v82, v34, v53
	v_fmac_f32_e32 v26, v15, v19
	s_delay_alu instid0(VALU_DEP_1) | instskip(SKIP_1) | instid1(VALU_DEP_2)
	v_dual_mul_f32 v34, v27, v45 :: v_dual_add_f32 v81, v24, v26
	v_and_b32_e32 v24, 0xffff0000, v6
	v_fmac_f32_e32 v34, v4, v20
	v_mul_f32_e32 v26, v27, v31
	v_fmac_f32_e32 v14, v5, v21
	v_dual_fmac_f32 v25, v15, v11 :: v_dual_lshlrev_b32 v6, 16, v6
	s_delay_alu instid0(VALU_DEP_4) | instskip(NEXT) | instid1(VALU_DEP_4)
	v_dual_add_f32 v13, v41, v34 :: v_dual_mul_f32 v34, v24, v47
	v_fmac_f32_e32 v26, v4, v16
	v_mul_f32_e32 v41, v24, v39
	s_delay_alu instid0(VALU_DEP_4) | instskip(NEXT) | instid1(VALU_DEP_4)
	v_add_f32_e32 v85, v12, v25
	v_dual_add_f32 v13, v13, v14 :: v_dual_and_b32 v14, 0xffff0000, v7
	v_dual_fmac_f32 v34, v6, v22 :: v_dual_lshlrev_b32 v7, 16, v7
	v_add_f32_e32 v26, v61, v26
	v_dual_fmac_f32 v38, v5, v17 :: v_dual_fmac_f32 v41, v6, v18
	s_delay_alu instid0(VALU_DEP_3) | instskip(NEXT) | instid1(VALU_DEP_2)
	v_dual_mul_f32 v40, v14, v37 :: v_dual_add_f32 v13, v13, v34
	v_dual_add_f32 v15, v26, v38 :: v_dual_and_b32 v12, 0xffff0000, v0
	v_lshlrev_b32_e32 v0, 16, v0
	s_delay_alu instid0(VALU_DEP_3) | instskip(SKIP_2) | instid1(VALU_DEP_3)
	v_fmac_f32_e32 v40, v7, v23
	v_mul_f32_e32 v26, v27, v30
	v_dual_mul_f32 v27, v35, v50 :: v_dual_mul_f32 v24, v24, v36
	v_add_f32_e32 v83, v13, v40
	s_delay_alu instid0(VALU_DEP_3) | instskip(SKIP_2) | instid1(VALU_DEP_3)
	v_dual_add_f32 v13, v15, v41 :: v_dual_fmac_f32 v26, v4, v8
	v_dual_mul_f32 v4, v12, v45 :: v_dual_mul_f32 v15, v14, v48
	v_and_b32_e32 v25, 0xffff0000, v1
	v_dual_add_f32 v26, v32, v26 :: v_dual_lshlrev_b32 v1, 16, v1
	s_delay_alu instid0(VALU_DEP_3) | instskip(NEXT) | instid1(VALU_DEP_3)
	v_dual_fmac_f32 v4, v0, v20 :: v_dual_fmac_f32 v27, v5, v9
	v_dual_mul_f32 v20, v25, v46 :: v_dual_fmac_f32 v15, v7, v19
	s_delay_alu instid0(VALU_DEP_2) | instskip(SKIP_1) | instid1(VALU_DEP_3)
	v_dual_add_f32 v4, v28, v4 :: v_dual_and_b32 v5, 0xffff0000, v2
	v_lshlrev_b32_e32 v2, 16, v2
	v_fmac_f32_e32 v20, v1, v21
	s_delay_alu instid0(VALU_DEP_3) | instskip(SKIP_1) | instid1(VALU_DEP_2)
	v_dual_fmac_f32 v24, v6, v10 :: v_dual_mul_f32 v21, v5, v47
	v_mul_f32_e32 v6, v14, v44
	v_dual_add_f32 v80, v13, v15 :: v_dual_fmac_f32 v21, v2, v22
	s_delay_alu instid0(VALU_DEP_4)
	v_add_f32_e32 v4, v4, v20
	v_and_b32_e32 v20, 0xffff0000, v3
	v_lshlrev_b32_e32 v3, 16, v3
	v_fmac_f32_e32 v6, v7, v11
	v_mul_f32_e32 v7, v12, v31
	v_mul_f32_e32 v12, v12, v30
	s_delay_alu instid0(VALU_DEP_2) | instskip(SKIP_1) | instid1(VALU_DEP_3)
	v_dual_add_f32 v26, v26, v27 :: v_dual_fmac_f32 v7, v0, v16
	v_mul_f32_e32 v16, v25, v42
	v_fmac_f32_e32 v12, v0, v8
	v_mul_f32_e32 v0, v25, v50
	v_mul_f32_e32 v8, v5, v39
	v_add_f32_e32 v7, v33, v7
	v_fmac_f32_e32 v16, v1, v17
	v_add_f32_e32 v4, v4, v21
	v_fmac_f32_e32 v0, v1, v9
	v_mul_f32_e32 v1, v5, v36
	s_delay_alu instid0(VALU_DEP_1) | instskip(SKIP_1) | instid1(VALU_DEP_1)
	v_fmac_f32_e32 v1, v2, v10
	v_dual_add_f32 v14, v26, v24 :: v_dual_mul_f32 v21, v20, v37
	v_add_f32_e32 v79, v14, v6
	v_add_f32_e32 v5, v7, v16
	v_mul_f32_e32 v7, v20, v48
	s_delay_alu instid0(VALU_DEP_4) | instskip(NEXT) | instid1(VALU_DEP_2)
	v_fmac_f32_e32 v21, v3, v23
	v_dual_fmac_f32 v7, v3, v19 :: v_dual_add_f32 v12, v29, v12
	v_fmac_f32_e32 v8, v2, v18
	v_mul_f32_e32 v2, v20, v44
	s_delay_alu instid0(VALU_DEP_4) | instskip(NEXT) | instid1(VALU_DEP_4)
	v_add_f32_e32 v78, v4, v21
	v_add_f32_e32 v0, v12, v0
	s_delay_alu instid0(VALU_DEP_3) | instskip(NEXT) | instid1(VALU_DEP_1)
	v_dual_add_f32 v5, v5, v8 :: v_dual_fmac_f32 v2, v3, v11
	v_dual_add_f32 v0, v0, v1 :: v_dual_add_f32 v77, v5, v7
	s_delay_alu instid0(VALU_DEP_1)
	v_add_f32_e32 v60, v0, v2
.LBB271_16:                             ;   in Loop: Header=BB271_17 Depth=2
	s_or_b32 exec_lo, exec_lo, s2
	s_addk_i32 s14, 0x400
	s_delay_alu instid0(SALU_CYCLE_1)
	s_cmp_ge_u32 s14, s16
	s_cbranch_scc1 .LBB271_29
.LBB271_17:                             ;   Parent Loop BB271_12 Depth=1
                                        ; =>  This Loop Header: Depth=2
                                        ;       Child Loop BB271_22 Depth 3
	s_cmp_eq_u32 s14, 0
	s_cselect_b32 s15, -1, 0
	s_add_i32 s2, s3, s24
	s_delay_alu instid0(SALU_CYCLE_1) | instskip(SKIP_1) | instid1(SALU_CYCLE_1)
	s_cmp_eq_u32 s14, s2
	s_cselect_b32 s40, -1, 0
	s_or_b32 s40, s15, s40
	s_delay_alu instid0(SALU_CYCLE_1)
	s_and_not1_b32 vcc_lo, exec_lo, s40
	s_cbranch_vccz .LBB271_19
; %bb.18:                               ;   in Loop: Header=BB271_17 Depth=2
	s_and_saveexec_b32 s2, s1
	s_cbranch_execz .LBB271_16
	s_branch .LBB271_26
.LBB271_19:                             ;   in Loop: Header=BB271_17 Depth=2
	s_and_b32 s15, s15, exec_lo
	s_cselect_b32 s3, s3, s2
	s_and_not1_b32 vcc_lo, exec_lo, s26
	s_waitcnt vmcnt(0)
	s_waitcnt_vscnt null, 0x0
	s_barrier
	buffer_gl0_inv
	s_cbranch_vccnz .LBB271_25
; %bb.20:                               ;   in Loop: Header=BB271_17 Depth=2
	v_add_nc_u32_e32 v0, s3, v74
	v_dual_mov_b32 v4, v73 :: v_dual_add_nc_u32 v1, s3, v64
	v_add_nc_u32_e32 v2, s3, v75
	v_add_nc_u32_e32 v3, s3, v63
	s_mov_b32 s15, 0
	s_mov_b32 s40, 0
                                        ; implicit-def: $sgpr41
	s_branch .LBB271_22
.LBB271_21:                             ;   in Loop: Header=BB271_22 Depth=3
	s_or_b32 exec_lo, exec_lo, s2
	s_delay_alu instid0(SALU_CYCLE_1) | instskip(NEXT) | instid1(SALU_CYCLE_1)
	s_and_b32 s2, exec_lo, s41
	s_or_b32 s15, s2, s15
	s_delay_alu instid0(SALU_CYCLE_1)
	s_and_not1_b32 exec_lo, exec_lo, s15
	s_cbranch_execz .LBB271_24
.LBB271_22:                             ;   Parent Loop BB271_12 Depth=1
                                        ;     Parent Loop BB271_17 Depth=2
                                        ; =>    This Inner Loop Header: Depth=3
	s_delay_alu instid0(VALU_DEP_1) | instskip(SKIP_2) | instid1(VALU_DEP_2)
	v_add_nc_u32_e32 v61, s40, v3
	v_add_nc_u32_e32 v5, s40, v63
	s_or_b32 s41, s41, exec_lo
	v_cmp_gt_u32_e32 vcc_lo, s18, v61
	s_delay_alu instid0(VALU_DEP_2) | instskip(NEXT) | instid1(VALU_DEP_1)
	v_cmp_gt_u32_e64 s2, s24, v5
	s_and_b32 s42, s2, vcc_lo
	s_delay_alu instid0(SALU_CYCLE_1)
	s_and_saveexec_b32 s2, s42
	s_cbranch_execz .LBB271_21
; %bb.23:                               ;   in Loop: Header=BB271_22 Depth=3
	v_lshlrev_b64 v[5:6], 1, v[61:62]
	v_add_nc_u32_e32 v61, s40, v2
	v_add_nc_u32_e32 v21, s39, v4
	;; [unrolled: 1-line block ×3, first 2 shown]
	s_delay_alu instid0(VALU_DEP_3) | instskip(SKIP_3) | instid1(VALU_DEP_3)
	v_lshlrev_b64 v[7:8], 1, v[61:62]
	v_add_nc_u32_e32 v61, s40, v0
	v_add_co_u32 v5, vcc_lo, s8, v5
	v_add_co_ci_u32_e32 v6, vcc_lo, s9, v6, vcc_lo
	v_lshlrev_b64 v[13:14], 1, v[61:62]
	v_add_nc_u32_e32 v61, s40, v1
	v_add_co_u32 v9, vcc_lo, s8, v7
	v_add_co_ci_u32_e32 v10, vcc_lo, s9, v8, vcc_lo
	s_delay_alu instid0(VALU_DEP_3)
	v_lshlrev_b64 v[15:16], 1, v[61:62]
	v_add_co_u32 v13, vcc_lo, s8, v13
	v_add_co_ci_u32_e32 v14, vcc_lo, s9, v14, vcc_lo
	s_clause 0x1
	global_load_b128 v[5:8], v[5:6], off
	global_load_b128 v[9:12], v[9:10], off
	v_add_co_u32 v17, vcc_lo, s8, v15
	v_add_co_ci_u32_e32 v18, vcc_lo, s9, v16, vcc_lo
	s_clause 0x1
	global_load_b128 v[13:16], v[13:14], off
	global_load_b128 v[17:20], v[17:18], off
	s_add_i32 s40, s40, s27
	s_waitcnt vmcnt(3)
	ds_store_b128 v4, v[5:8]
	s_waitcnt vmcnt(2)
	ds_store_2addr_b64 v21, v[9:10], v[11:12] offset1:1
	s_cmp_ge_u32 s40, s24
	v_add_nc_u32_e32 v5, s21, v4
	s_cselect_b32 s42, -1, 0
	v_add_nc_u32_e32 v4, s20, v4
	s_and_not1_b32 s41, s41, exec_lo
	s_and_b32 s42, s42, exec_lo
	s_waitcnt vmcnt(1)
	ds_store_2addr_b32 v22, v13, v14 offset1:1
	ds_store_2addr_b32 v22, v15, v16 offset0:2 offset1:3
	s_or_b32 s41, s41, s42
	s_waitcnt vmcnt(0)
	ds_store_2addr_b64 v5, v[17:18], v[19:20] offset1:1
	s_branch .LBB271_21
.LBB271_24:                             ;   in Loop: Header=BB271_17 Depth=2
	s_or_b32 exec_lo, exec_lo, s15
.LBB271_25:                             ;   in Loop: Header=BB271_17 Depth=2
	s_waitcnt lgkmcnt(0)
	s_barrier
	buffer_gl0_inv
	s_and_saveexec_b32 s2, s1
	s_cbranch_execz .LBB271_16
.LBB271_26:                             ;   in Loop: Header=BB271_17 Depth=2
	s_waitcnt vmcnt(1)
	v_dual_mov_b32 v15, 0 :: v_dual_add_nc_u32 v88, s14, v72
	v_dual_mov_b32 v14, 0 :: v_dual_mov_b32 v13, 0
	v_mov_b32_e32 v12, 0
	s_delay_alu instid0(VALU_DEP_3) | instskip(SKIP_3) | instid1(VALU_DEP_4)
	v_min_u32_e32 v61, s28, v88
	v_add_nc_u32_e32 v89, 0x200, v88
	v_dual_mov_b32 v27, 0 :: v_dual_mov_b32 v26, 0
	v_dual_mov_b32 v25, 0 :: v_dual_mov_b32 v24, 0
	v_lshlrev_b64 v[0:1], 1, v[61:62]
	s_delay_alu instid0(VALU_DEP_4) | instskip(SKIP_2) | instid1(VALU_DEP_4)
	v_min_u32_e32 v61, s28, v89
	v_dual_mov_b32 v31, 0 :: v_dual_mov_b32 v30, 0
	v_dual_mov_b32 v29, 0 :: v_dual_mov_b32 v28, 0
	v_add_co_u32 v6, vcc_lo, s6, v0
	v_add_co_ci_u32_e32 v7, vcc_lo, s7, v1, vcc_lo
	v_lshlrev_b64 v[0:1], 1, v[61:62]
	s_delay_alu instid0(VALU_DEP_3) | instskip(NEXT) | instid1(VALU_DEP_3)
	v_add_co_u32 v2, vcc_lo, v6, v65
	v_add_co_ci_u32_e32 v3, vcc_lo, v7, v66, vcc_lo
	v_add_co_u32 v4, vcc_lo, v6, v67
	v_add_co_ci_u32_e32 v5, vcc_lo, v7, v68, vcc_lo
	s_waitcnt vmcnt(0)
	v_add_co_u32 v10, vcc_lo, s6, v0
	v_add_co_ci_u32_e32 v11, vcc_lo, s7, v1, vcc_lo
	v_add_co_u32 v0, vcc_lo, v6, v69
	v_add_co_ci_u32_e32 v1, vcc_lo, v7, v70, vcc_lo
	s_delay_alu instid0(VALU_DEP_4) | instskip(NEXT) | instid1(VALU_DEP_4)
	v_add_co_u32 v6, vcc_lo, v10, v65
	v_add_co_ci_u32_e32 v7, vcc_lo, v11, v66, vcc_lo
	v_add_co_u32 v8, vcc_lo, v10, v67
	v_add_co_ci_u32_e32 v9, vcc_lo, v11, v68, vcc_lo
	v_add_co_u32 v10, vcc_lo, v10, v69
	v_add_co_ci_u32_e32 v11, vcc_lo, v11, v70, vcc_lo
	s_clause 0x5
	global_load_b128 v[48:51], v[2:3], off slc dlc
	global_load_b128 v[44:47], v[4:5], off slc dlc
	;; [unrolled: 1-line block ×6, first 2 shown]
	v_mov_b32_e32 v3, 0
	v_cmp_gt_u32_e32 vcc_lo, s16, v88
	v_dual_mov_b32 v2, 0 :: v_dual_mov_b32 v1, 0
	v_dual_mov_b32 v0, 0 :: v_dual_mov_b32 v7, 0
	;; [unrolled: 1-line block ×9, first 2 shown]
	v_mov_b32_e32 v52, 0
	s_and_saveexec_b32 s15, vcc_lo
	s_cbranch_execz .LBB271_15
; %bb.27:                               ;   in Loop: Header=BB271_17 Depth=2
	v_subrev_nc_u32_e32 v0, s3, v88
	v_cmp_gt_u32_e32 vcc_lo, s16, v89
	v_dual_mov_b32 v12, 0 :: v_dual_mov_b32 v13, 0
	v_dual_mov_b32 v14, 0 :: v_dual_mov_b32 v15, 0
	s_delay_alu instid0(VALU_DEP_4) | instskip(SKIP_1) | instid1(VALU_DEP_2)
	v_dual_mov_b32 v24, 0 :: v_dual_lshlrev_b32 v91, 1, v0
	v_dual_mov_b32 v4, 0 :: v_dual_mov_b32 v5, 0
	v_dual_mov_b32 v25, 0 :: v_dual_add_nc_u32 v90, s39, v91
	v_dual_mov_b32 v6, 0 :: v_dual_mov_b32 v7, 0
	v_dual_mov_b32 v0, 0 :: v_dual_mov_b32 v1, 0
	s_delay_alu instid0(VALU_DEP_3) | instskip(SKIP_1) | instid1(VALU_DEP_2)
	v_dual_mov_b32 v27, 0 :: v_dual_add_nc_u32 v88, s39, v90
	v_dual_mov_b32 v2, 0 :: v_dual_mov_b32 v3, 0
	v_dual_mov_b32 v26, 0 :: v_dual_add_nc_u32 v61, s39, v88
	ds_load_b128 v[52:55], v91
	ds_load_b128 v[40:43], v90
	;; [unrolled: 1-line block ×4, first 2 shown]
	s_and_saveexec_b32 s40, vcc_lo
	s_cbranch_execz .LBB271_14
; %bb.28:                               ;   in Loop: Header=BB271_17 Depth=2
	ds_load_b128 v[24:27], v91 offset:1024
	ds_load_b128 v[12:15], v90 offset:1024
	;; [unrolled: 1-line block ×4, first 2 shown]
	s_branch .LBB271_14
.LBB271_29:                             ;   in Loop: Header=BB271_12 Depth=1
	s_mov_b32 s1, exec_lo
	v_cmpx_le_u32_e64 s19, v59
	s_xor_b32 s1, exec_lo, s1
; %bb.30:                               ;   in Loop: Header=BB271_12 Depth=1
	v_add_nc_u32_e32 v59, s5, v59
                                        ; implicit-def: $vgpr60
                                        ; implicit-def: $vgpr77
                                        ; implicit-def: $vgpr78
                                        ; implicit-def: $vgpr79
                                        ; implicit-def: $vgpr80
                                        ; implicit-def: $vgpr83
                                        ; implicit-def: $vgpr85
                                        ; implicit-def: $vgpr81
                                        ; implicit-def: $vgpr82
                                        ; implicit-def: $vgpr86
                                        ; implicit-def: $vgpr87
                                        ; implicit-def: $vgpr84
; %bb.31:                               ;   in Loop: Header=BB271_12 Depth=1
	s_and_not1_saveexec_b32 s40, s1
	s_cbranch_execz .LBB271_11
; %bb.32:                               ;   in Loop: Header=BB271_12 Depth=1
	v_cvt_i32_f32_e32 v0, v84
	s_waitcnt lgkmcnt(3)
	v_cvt_i32_f32_e32 v1, v87
	v_xor_b32_e32 v2, 16, v71
	s_waitcnt lgkmcnt(0)
	v_cvt_i32_f32_e32 v3, v86
	v_cvt_i32_f32_e32 v4, v82
	v_cvt_f32_i32_dpp v0, v0 row_shr:8 row_mask:0xf bank_mask:0xf bound_ctrl:1
	v_cvt_f32_i32_dpp v1, v1 row_shr:8 row_mask:0xf bank_mask:0xf bound_ctrl:1
	v_cmp_gt_i32_e32 vcc_lo, 32, v2
	v_cvt_i32_f32_e32 v7, v83
	v_cvt_i32_f32_e32 v5, v81
	s_delay_alu instid0(VALU_DEP_4) | instskip(SKIP_3) | instid1(VALU_DEP_4)
	v_dual_add_f32 v0, v84, v0 :: v_dual_add_f32 v1, v87, v1
	v_cvt_f32_i32_dpp v3, v3 row_shr:8 row_mask:0xf bank_mask:0xf bound_ctrl:1
	v_cvt_f32_i32_dpp v4, v4 row_shr:8 row_mask:0xf bank_mask:0xf bound_ctrl:1
	;; [unrolled: 1-line block ×3, first 2 shown]
	v_cvt_i32_f32_e32 v8, v0
	v_cvt_i32_f32_e32 v9, v1
	v_cvt_f32_i32_dpp v5, v5 row_shr:8 row_mask:0xf bank_mask:0xf bound_ctrl:1
	v_cvt_i32_f32_e32 v6, v85
	v_add_f32_e32 v7, v83, v7
	v_cvt_f32_i32_dpp v8, v8 row_shr:4 row_mask:0xf bank_mask:0xf bound_ctrl:1
	v_cvt_f32_i32_dpp v9, v9 row_shr:4 row_mask:0xf bank_mask:0xf bound_ctrl:1
	v_cndmask_b32_e32 v2, v71, v2, vcc_lo
	v_cvt_f32_i32_dpp v6, v6 row_shr:8 row_mask:0xf bank_mask:0xf bound_ctrl:1
	s_delay_alu instid0(VALU_DEP_3) | instskip(SKIP_1) | instid1(VALU_DEP_3)
	v_dual_add_f32 v0, v0, v8 :: v_dual_add_f32 v1, v1, v9
	s_waitcnt vmcnt(0)
	v_lshlrev_b32_e32 v10, 2, v2
	s_delay_alu instid0(VALU_DEP_2) | instskip(NEXT) | instid1(VALU_DEP_1)
	v_cvt_i32_f32_e32 v8, v1
	v_cvt_f32_i32_dpp v8, v8 row_shr:2 row_mask:0xf bank_mask:0xf bound_ctrl:1
	v_add_f32_e32 v2, v86, v3
	v_dual_add_f32 v3, v82, v4 :: v_dual_add_f32 v4, v81, v5
	v_cvt_i32_f32_e32 v5, v0
	s_delay_alu instid0(VALU_DEP_4) | instskip(NEXT) | instid1(VALU_DEP_4)
	v_add_f32_e32 v1, v1, v8
	v_cvt_i32_f32_e32 v9, v2
	s_delay_alu instid0(VALU_DEP_4) | instskip(NEXT) | instid1(VALU_DEP_4)
	v_cvt_i32_f32_e32 v11, v3
	v_cvt_f32_i32_dpp v5, v5 row_shr:2 row_mask:0xf bank_mask:0xf bound_ctrl:1
	s_delay_alu instid0(VALU_DEP_4) | instskip(NEXT) | instid1(VALU_DEP_4)
	v_cvt_i32_f32_e32 v14, v1
	v_cvt_f32_i32_dpp v8, v9 row_shr:4 row_mask:0xf bank_mask:0xf bound_ctrl:1
	s_delay_alu instid0(VALU_DEP_4) | instskip(SKIP_1) | instid1(VALU_DEP_4)
	v_cvt_f32_i32_dpp v9, v11 row_shr:4 row_mask:0xf bank_mask:0xf bound_ctrl:1
	v_add_f32_e32 v6, v85, v6
	v_cvt_f32_i32_dpp v14, v14 row_shr:1 row_mask:0xf bank_mask:0xf bound_ctrl:1
	s_delay_alu instid0(VALU_DEP_3) | instskip(SKIP_1) | instid1(VALU_DEP_4)
	v_add_f32_e32 v3, v3, v9
	v_add_f32_e32 v0, v0, v5
	v_cvt_i32_f32_e32 v13, v6
	v_cvt_i32_f32_e32 v5, v7
	s_delay_alu instid0(VALU_DEP_3) | instskip(NEXT) | instid1(VALU_DEP_3)
	v_cvt_i32_f32_e32 v11, v0
	v_cvt_f32_i32_dpp v13, v13 row_shr:4 row_mask:0xf bank_mask:0xf bound_ctrl:1
	s_delay_alu instid0(VALU_DEP_3) | instskip(SKIP_1) | instid1(VALU_DEP_4)
	v_cvt_f32_i32_dpp v5, v5 row_shr:4 row_mask:0xf bank_mask:0xf bound_ctrl:1
	v_add_f32_e32 v2, v2, v8
	v_cvt_f32_i32_dpp v11, v11 row_shr:1 row_mask:0xf bank_mask:0xf bound_ctrl:1
	s_delay_alu instid0(VALU_DEP_1)
	v_dual_add_f32 v27, v0, v11 :: v_dual_add_f32 v0, v6, v13
	v_cvt_i32_f32_e32 v6, v3
	v_cvt_i32_f32_e32 v12, v4
	ds_bpermute_b32 v28, v10, v27
	v_cvt_f32_i32_dpp v6, v6 row_shr:2 row_mask:0xf bank_mask:0xf bound_ctrl:1
	v_cvt_f32_i32_dpp v12, v12 row_shr:4 row_mask:0xf bank_mask:0xf bound_ctrl:1
	s_delay_alu instid0(VALU_DEP_2) | instskip(NEXT) | instid1(VALU_DEP_1)
	v_add_f32_e32 v3, v3, v6
	v_cvt_i32_f32_e32 v6, v3
	s_delay_alu instid0(VALU_DEP_1) | instskip(NEXT) | instid1(VALU_DEP_1)
	v_cvt_f32_i32_dpp v6, v6 row_shr:1 row_mask:0xf bank_mask:0xf bound_ctrl:1
	v_add_f32_e32 v19, v3, v6
	v_cvt_i32_f32_e32 v8, v0
	v_cvt_i32_f32_e32 v3, v77
	ds_bpermute_b32 v20, v10, v19
	v_cvt_f32_i32_dpp v8, v8 row_shr:2 row_mask:0xf bank_mask:0xf bound_ctrl:1
	v_cvt_f32_i32_dpp v3, v3 row_shr:8 row_mask:0xf bank_mask:0xf bound_ctrl:1
	s_delay_alu instid0(VALU_DEP_1) | instskip(NEXT) | instid1(VALU_DEP_1)
	v_dual_add_f32 v0, v0, v8 :: v_dual_add_f32 v3, v77, v3
	v_cvt_i32_f32_e32 v8, v0
	s_delay_alu instid0(VALU_DEP_2) | instskip(NEXT) | instid1(VALU_DEP_2)
	v_cvt_i32_f32_e32 v11, v3
	v_cvt_f32_i32_dpp v8, v8 row_shr:1 row_mask:0xf bank_mask:0xf bound_ctrl:1
	v_dual_add_f32 v24, v1, v14 :: v_dual_add_f32 v1, v7, v5
	v_cvt_i32_f32_e32 v5, v2
	s_delay_alu instid0(VALU_DEP_4) | instskip(NEXT) | instid1(VALU_DEP_4)
	v_cvt_f32_i32_dpp v11, v11 row_shr:4 row_mask:0xf bank_mask:0xf bound_ctrl:1
	v_add_f32_e32 v13, v0, v8
	v_cvt_i32_f32_e32 v0, v80
	v_cvt_i32_f32_e32 v9, v1
	v_cvt_f32_i32_dpp v5, v5 row_shr:2 row_mask:0xf bank_mask:0xf bound_ctrl:1
	ds_bpermute_b32 v25, v10, v24
	ds_bpermute_b32 v14, v10, v13
	v_cvt_f32_i32_dpp v0, v0 row_shr:8 row_mask:0xf bank_mask:0xf bound_ctrl:1
	v_cvt_f32_i32_dpp v9, v9 row_shr:2 row_mask:0xf bank_mask:0xf bound_ctrl:1
	v_add_f32_e32 v2, v2, v5
	v_dual_add_f32 v4, v4, v12 :: v_dual_add_f32 v3, v3, v11
	s_delay_alu instid0(VALU_DEP_3) | instskip(NEXT) | instid1(VALU_DEP_3)
	v_dual_add_f32 v0, v80, v0 :: v_dual_add_f32 v1, v1, v9
	v_cvt_i32_f32_e32 v5, v2
	s_delay_alu instid0(VALU_DEP_3) | instskip(NEXT) | instid1(VALU_DEP_4)
	v_cvt_i32_f32_e32 v7, v4
	v_cvt_i32_f32_e32 v11, v3
	s_delay_alu instid0(VALU_DEP_4) | instskip(NEXT) | instid1(VALU_DEP_4)
	v_cvt_i32_f32_e32 v9, v1
	v_cvt_f32_i32_dpp v5, v5 row_shr:1 row_mask:0xf bank_mask:0xf bound_ctrl:1
	s_delay_alu instid0(VALU_DEP_4) | instskip(NEXT) | instid1(VALU_DEP_4)
	v_cvt_f32_i32_dpp v7, v7 row_shr:2 row_mask:0xf bank_mask:0xf bound_ctrl:1
	v_cvt_f32_i32_dpp v11, v11 row_shr:2 row_mask:0xf bank_mask:0xf bound_ctrl:1
	s_delay_alu instid0(VALU_DEP_4) | instskip(NEXT) | instid1(VALU_DEP_4)
	v_cvt_f32_i32_dpp v9, v9 row_shr:1 row_mask:0xf bank_mask:0xf bound_ctrl:1
	v_add_f32_e32 v22, v2, v5
	v_cvt_i32_f32_e32 v5, v0
	v_cvt_i32_f32_e32 v2, v78
	s_delay_alu instid0(VALU_DEP_4) | instskip(SKIP_1) | instid1(VALU_DEP_4)
	v_dual_add_f32 v3, v3, v11 :: v_dual_add_f32 v8, v1, v9
	v_cvt_i32_f32_e32 v1, v79
	v_cvt_f32_i32_dpp v5, v5 row_shr:4 row_mask:0xf bank_mask:0xf bound_ctrl:1
	s_delay_alu instid0(VALU_DEP_4)
	v_cvt_f32_i32_dpp v2, v2 row_shr:8 row_mask:0xf bank_mask:0xf bound_ctrl:1
	ds_bpermute_b32 v23, v10, v22
	ds_bpermute_b32 v9, v10, v8
	v_cvt_f32_i32_dpp v1, v1 row_shr:8 row_mask:0xf bank_mask:0xf bound_ctrl:1
	v_add_f32_e32 v4, v4, v7
	v_add_f32_e32 v0, v0, v5
	v_cvt_i32_f32_e32 v11, v3
	s_delay_alu instid0(VALU_DEP_4) | instskip(NEXT) | instid1(VALU_DEP_4)
	v_add_f32_e32 v1, v79, v1
	v_cvt_i32_f32_e32 v7, v4
	s_delay_alu instid0(VALU_DEP_4) | instskip(NEXT) | instid1(VALU_DEP_4)
	v_cvt_i32_f32_e32 v5, v0
	v_cvt_f32_i32_dpp v15, v11 row_shr:1 row_mask:0xf bank_mask:0xf bound_ctrl:1
	s_delay_alu instid0(VALU_DEP_4) | instskip(NEXT) | instid1(VALU_DEP_4)
	v_cvt_i32_f32_e32 v6, v1
	v_cvt_f32_i32_dpp v7, v7 row_shr:1 row_mask:0xf bank_mask:0xf bound_ctrl:1
	s_delay_alu instid0(VALU_DEP_4) | instskip(NEXT) | instid1(VALU_DEP_3)
	v_cvt_f32_i32_dpp v5, v5 row_shr:2 row_mask:0xf bank_mask:0xf bound_ctrl:1
	v_cvt_f32_i32_dpp v6, v6 row_shr:4 row_mask:0xf bank_mask:0xf bound_ctrl:1
	s_delay_alu instid0(VALU_DEP_1) | instskip(NEXT) | instid1(VALU_DEP_1)
	v_dual_add_f32 v0, v0, v5 :: v_dual_add_f32 v1, v1, v6
	v_cvt_i32_f32_e32 v6, v1
	s_delay_alu instid0(VALU_DEP_1) | instskip(SKIP_2) | instid1(VALU_DEP_3)
	v_cvt_f32_i32_dpp v6, v6 row_shr:2 row_mask:0xf bank_mask:0xf bound_ctrl:1
	v_add_f32_e32 v16, v4, v7
	v_cvt_i32_f32_e32 v4, v60
	v_add_f32_e32 v1, v1, v6
	ds_bpermute_b32 v17, v10, v16
	v_cvt_f32_i32_dpp v4, v4 row_shr:8 row_mask:0xf bank_mask:0xf bound_ctrl:1
	v_cvt_i32_f32_e32 v6, v1
	s_delay_alu instid0(VALU_DEP_2) | instskip(NEXT) | instid1(VALU_DEP_2)
	v_add_f32_e32 v4, v60, v4
	v_cvt_f32_i32_dpp v6, v6 row_shr:1 row_mask:0xf bank_mask:0xf bound_ctrl:1
	s_delay_alu instid0(VALU_DEP_2) | instskip(NEXT) | instid1(VALU_DEP_2)
	v_cvt_i32_f32_e32 v12, v4
	v_add_f32_e32 v6, v1, v6
	s_delay_alu instid0(VALU_DEP_2) | instskip(NEXT) | instid1(VALU_DEP_1)
	v_cvt_f32_i32_dpp v12, v12 row_shr:4 row_mask:0xf bank_mask:0xf bound_ctrl:1
	v_add_f32_e32 v4, v4, v12
	s_delay_alu instid0(VALU_DEP_1) | instskip(NEXT) | instid1(VALU_DEP_1)
	v_cvt_i32_f32_e32 v12, v4
	v_cvt_f32_i32_dpp v12, v12 row_shr:2 row_mask:0xf bank_mask:0xf bound_ctrl:1
	s_delay_alu instid0(VALU_DEP_1) | instskip(NEXT) | instid1(VALU_DEP_1)
	v_dual_add_f32 v2, v78, v2 :: v_dual_add_f32 v5, v4, v12
	v_cvt_i32_f32_e32 v7, v2
	v_cvt_i32_f32_e32 v4, v0
	s_delay_alu instid0(VALU_DEP_3) | instskip(NEXT) | instid1(VALU_DEP_3)
	v_cvt_i32_f32_e32 v12, v5
	v_cvt_f32_i32_dpp v7, v7 row_shr:4 row_mask:0xf bank_mask:0xf bound_ctrl:1
	s_delay_alu instid0(VALU_DEP_3) | instskip(NEXT) | instid1(VALU_DEP_3)
	v_cvt_f32_i32_dpp v4, v4 row_shr:1 row_mask:0xf bank_mask:0xf bound_ctrl:1
	v_cvt_f32_i32_dpp v12, v12 row_shr:1 row_mask:0xf bank_mask:0xf bound_ctrl:1
	s_delay_alu instid0(VALU_DEP_2) | instskip(NEXT) | instid1(VALU_DEP_2)
	v_dual_add_f32 v2, v2, v7 :: v_dual_add_f32 v11, v0, v4
	v_add_f32_e32 v0, v5, v12
	s_delay_alu instid0(VALU_DEP_2) | instskip(SKIP_3) | instid1(VALU_DEP_1)
	v_cvt_i32_f32_e32 v7, v2
	ds_bpermute_b32 v12, v10, v11
	ds_bpermute_b32 v1, v10, v0
	v_cvt_f32_i32_dpp v7, v7 row_shr:2 row_mask:0xf bank_mask:0xf bound_ctrl:1
	v_add_f32_e32 v2, v2, v7
	s_delay_alu instid0(VALU_DEP_1) | instskip(NEXT) | instid1(VALU_DEP_1)
	v_cvt_i32_f32_e32 v7, v2
	v_cvt_f32_i32_dpp v7, v7 row_shr:1 row_mask:0xf bank_mask:0xf bound_ctrl:1
	s_delay_alu instid0(VALU_DEP_1)
	v_add_f32_e32 v4, v2, v7
	v_add_f32_e32 v2, v3, v15
	ds_bpermute_b32 v7, v10, v6
	ds_bpermute_b32 v5, v10, v4
	;; [unrolled: 1-line block ×3, first 2 shown]
	s_and_saveexec_b32 s14, s0
	s_cbranch_execz .LBB271_107
; %bb.33:                               ;   in Loop: Header=BB271_12 Depth=1
	v_dual_mov_b32 v35, 0 :: v_dual_mov_b32 v34, 0
	v_dual_mov_b32 v32, 0 :: v_dual_add_nc_u32 v61, 2, v59
	v_dual_mov_b32 v33, 0 :: v_dual_mov_b32 v30, 0
	v_dual_mov_b32 v31, 0 :: v_dual_mov_b32 v26, 0
	;; [unrolled: 1-line block ×4, first 2 shown]
	v_mov_b32_e32 v15, 0
	s_and_not1_b32 vcc_lo, exec_lo, s30
	s_cbranch_vccnz .LBB271_35
; %bb.34:                               ;   in Loop: Header=BB271_12 Depth=1
	v_mul_hi_u32 v15, v59, v76
	v_mul_hi_u32 v18, v61, v76
	v_mov_b32_e32 v49, v62
	s_delay_alu instid0(VALU_DEP_3) | instskip(NEXT) | instid1(VALU_DEP_3)
	v_mul_lo_u32 v15, v15, s4
	v_mul_lo_u32 v18, v18, s4
	s_delay_alu instid0(VALU_DEP_2) | instskip(NEXT) | instid1(VALU_DEP_2)
	v_sub_nc_u32_e32 v15, v59, v15
	v_sub_nc_u32_e32 v18, v61, v18
	s_delay_alu instid0(VALU_DEP_2) | instskip(SKIP_1) | instid1(VALU_DEP_3)
	v_cmp_le_u32_e32 vcc_lo, s4, v15
	v_add_nc_u32_e32 v10, 1, v59
	v_subrev_nc_u32_e32 v26, s4, v18
	s_delay_alu instid0(VALU_DEP_2) | instskip(NEXT) | instid1(VALU_DEP_1)
	v_mul_hi_u32 v21, v10, v76
	v_mul_lo_u32 v21, v21, s4
	s_delay_alu instid0(VALU_DEP_1) | instskip(SKIP_1) | instid1(VALU_DEP_2)
	v_sub_nc_u32_e32 v10, v10, v21
	v_subrev_nc_u32_e32 v21, s4, v15
	v_subrev_nc_u32_e32 v29, s4, v10
	s_delay_alu instid0(VALU_DEP_2) | instskip(SKIP_1) | instid1(VALU_DEP_2)
	v_cndmask_b32_e32 v15, v15, v21, vcc_lo
	v_cmp_le_u32_e32 vcc_lo, s4, v18
	v_subrev_nc_u32_e32 v21, s4, v15
	v_cndmask_b32_e32 v18, v18, v26, vcc_lo
	v_cmp_le_u32_e32 vcc_lo, s4, v10
	s_delay_alu instid0(VALU_DEP_2) | instskip(SKIP_3) | instid1(VALU_DEP_3)
	v_subrev_nc_u32_e32 v26, s4, v18
	v_cndmask_b32_e32 v10, v10, v29, vcc_lo
	v_cmp_le_u32_e32 vcc_lo, s4, v15
	v_mov_b32_e32 v30, v62
	v_subrev_nc_u32_e32 v31, s4, v10
	v_cndmask_b32_e32 v29, v15, v21, vcc_lo
	v_cmp_le_u32_e32 vcc_lo, s4, v18
	v_mov_b32_e32 v32, v62
	s_delay_alu instid0(VALU_DEP_3)
	v_dual_mov_b32 v34, v62 :: v_dual_add_nc_u32 v35, s33, v29
	v_cndmask_b32_e32 v33, v18, v26, vcc_lo
	v_cmp_le_u32_e32 vcc_lo, s4, v10
	v_mov_b32_e32 v36, v62
	v_lshlrev_b64 v[38:39], 1, v[29:30]
	v_add_nc_u32_e32 v46, s34, v29
	v_add_nc_u32_e32 v29, s38, v29
	v_cndmask_b32_e32 v31, v10, v31, vcc_lo
	v_lshlrev_b64 v[44:45], 1, v[35:36]
	v_mov_b32_e32 v35, v62
	v_add_co_u32 v38, vcc_lo, s10, v38
	s_delay_alu instid0(VALU_DEP_4)
	v_add_nc_u32_e32 v48, s34, v31
	v_add_nc_u32_e32 v36, s33, v31
	v_lshlrev_b64 v[40:41], 1, v[33:34]
	v_lshlrev_b64 v[42:43], 1, v[31:32]
	v_dual_mov_b32 v37, v62 :: v_dual_add_nc_u32 v34, s33, v33
	v_add_co_ci_u32_e32 v39, vcc_lo, s11, v39, vcc_lo
	s_delay_alu instid0(VALU_DEP_4) | instskip(SKIP_1) | instid1(VALU_DEP_4)
	v_add_co_u32 v40, vcc_lo, s10, v40
	v_add_co_ci_u32_e32 v41, vcc_lo, s11, v41, vcc_lo
	v_lshlrev_b64 v[36:37], 1, v[36:37]
	v_add_co_u32 v42, vcc_lo, s10, v42
	v_add_co_ci_u32_e32 v43, vcc_lo, s11, v43, vcc_lo
	v_add_co_u32 v44, vcc_lo, s10, v44
	v_lshlrev_b64 v[34:35], 1, v[34:35]
	v_add_co_ci_u32_e32 v45, vcc_lo, s11, v45, vcc_lo
	v_mov_b32_e32 v47, v62
	v_add_co_u32 v36, vcc_lo, s10, v36
	v_add_co_ci_u32_e32 v37, vcc_lo, s11, v37, vcc_lo
	v_add_co_u32 v50, vcc_lo, s10, v34
	v_add_co_ci_u32_e32 v51, vcc_lo, s11, v35, vcc_lo
	v_lshlrev_b64 v[34:35], 1, v[48:49]
	v_add_nc_u32_e32 v48, s34, v33
	v_lshlrev_b64 v[46:47], 1, v[46:47]
	v_lshlrev_b64 v[29:30], 1, v[29:30]
	v_add_nc_u32_e32 v31, s38, v31
	v_add_nc_u32_e32 v33, s38, v33
	v_lshlrev_b64 v[48:49], 1, v[48:49]
	v_add_co_u32 v46, vcc_lo, s10, v46
	v_add_co_ci_u32_e32 v47, vcc_lo, s11, v47, vcc_lo
	v_add_co_u32 v52, vcc_lo, s10, v34
	v_add_co_ci_u32_e32 v53, vcc_lo, s11, v35, vcc_lo
	v_add_co_u32 v48, vcc_lo, s10, v48
	v_mov_b32_e32 v34, v62
	v_add_co_ci_u32_e32 v49, vcc_lo, s11, v49, vcc_lo
	v_lshlrev_b64 v[31:32], 1, v[31:32]
	v_add_co_u32 v54, vcc_lo, s10, v29
	v_add_co_ci_u32_e32 v55, vcc_lo, s11, v30, vcc_lo
	v_lshlrev_b64 v[29:30], 1, v[33:34]
	s_delay_alu instid0(VALU_DEP_4) | instskip(SKIP_1) | instid1(VALU_DEP_3)
	v_add_co_u32 v65, vcc_lo, s10, v31
	v_add_co_ci_u32_e32 v66, vcc_lo, s11, v32, vcc_lo
	v_add_co_u32 v67, vcc_lo, s10, v29
	s_delay_alu instid0(VALU_DEP_4)
	v_add_co_ci_u32_e32 v68, vcc_lo, s11, v30, vcc_lo
	s_clause 0xb
	global_load_u16 v35, v[38:39], off
	global_load_u16 v34, v[42:43], off
	;; [unrolled: 1-line block ×12, first 2 shown]
.LBB271_35:                             ;   in Loop: Header=BB271_12 Depth=1
	v_cmp_ne_u32_e32 vcc_lo, 0, v56
	s_and_saveexec_b32 s2, vcc_lo
	s_cbranch_execnz .LBB271_47
; %bb.36:                               ;   in Loop: Header=BB271_12 Depth=1
	s_or_b32 exec_lo, exec_lo, s2
	v_cmp_ne_u32_e64 s1, 0, v57
	s_delay_alu instid0(VALU_DEP_1)
	s_and_saveexec_b32 s3, s1
	s_cbranch_execnz .LBB271_52
.LBB271_37:                             ;   in Loop: Header=BB271_12 Depth=1
	s_or_b32 exec_lo, exec_lo, s3
	v_cmp_ne_u32_e64 s2, 0, v58
	s_delay_alu instid0(VALU_DEP_1)
	s_and_saveexec_b32 s15, s2
	s_cbranch_execnz .LBB271_57
.LBB271_38:                             ;   in Loop: Header=BB271_12 Depth=1
	s_or_b32 exec_lo, exec_lo, s15
	v_add_nc_u32_e32 v61, s19, v59
	s_and_saveexec_b32 s15, vcc_lo
	s_cbranch_execnz .LBB271_62
.LBB271_39:                             ;   in Loop: Header=BB271_12 Depth=1
	s_or_b32 exec_lo, exec_lo, s15
	s_and_saveexec_b32 s15, s1
	s_cbranch_execnz .LBB271_67
.LBB271_40:                             ;   in Loop: Header=BB271_12 Depth=1
	s_or_b32 exec_lo, exec_lo, s15
	s_and_saveexec_b32 s15, s2
	s_cbranch_execnz .LBB271_72
.LBB271_41:                             ;   in Loop: Header=BB271_12 Depth=1
	s_or_b32 exec_lo, exec_lo, s15
	v_add_nc_u32_e32 v61, s19, v61
	s_and_saveexec_b32 s15, vcc_lo
	s_cbranch_execnz .LBB271_77
.LBB271_42:                             ;   in Loop: Header=BB271_12 Depth=1
	s_or_b32 exec_lo, exec_lo, s15
	s_and_saveexec_b32 s15, s1
	s_cbranch_execnz .LBB271_82
.LBB271_43:                             ;   in Loop: Header=BB271_12 Depth=1
	s_or_b32 exec_lo, exec_lo, s15
	s_and_saveexec_b32 s15, s2
	s_cbranch_execnz .LBB271_87
.LBB271_44:                             ;   in Loop: Header=BB271_12 Depth=1
	s_or_b32 exec_lo, exec_lo, s15
	v_add_nc_u32_e32 v61, s19, v61
	s_and_saveexec_b32 s3, vcc_lo
	s_cbranch_execnz .LBB271_92
.LBB271_45:                             ;   in Loop: Header=BB271_12 Depth=1
	s_or_b32 exec_lo, exec_lo, s3
	s_and_saveexec_b32 s3, s1
	s_cbranch_execnz .LBB271_97
.LBB271_46:                             ;   in Loop: Header=BB271_12 Depth=1
	s_or_b32 exec_lo, exec_lo, s3
	s_delay_alu instid0(SALU_CYCLE_1)
	s_and_b32 exec_lo, exec_lo, s2
	s_cbranch_execnz .LBB271_102
	s_branch .LBB271_107
.LBB271_47:                             ;   in Loop: Header=BB271_12 Depth=1
	s_waitcnt vmcnt(11) lgkmcnt(11)
	v_dual_add_f32 v27, v27, v28 :: v_dual_lshlrev_b32 v28, 16, v35
	s_delay_alu instid0(VALU_DEP_1) | instskip(NEXT) | instid1(VALU_DEP_1)
	v_add_f32_e32 v28, v27, v28
	v_and_b32_e32 v27, 0x7f800000, v28
	s_delay_alu instid0(VALU_DEP_1) | instskip(NEXT) | instid1(VALU_DEP_1)
	v_cmp_ne_u32_e64 s1, 0x7f800000, v27
                                        ; implicit-def: $vgpr27
	s_and_saveexec_b32 s3, s1
	s_delay_alu instid0(SALU_CYCLE_1)
	s_xor_b32 s1, exec_lo, s3
; %bb.48:                               ;   in Loop: Header=BB271_12 Depth=1
	v_bfe_u32 v27, v28, 16, 1
	s_delay_alu instid0(VALU_DEP_1)
	v_add3_u32 v27, v28, v27, 0x7fff
                                        ; implicit-def: $vgpr28
; %bb.49:                               ;   in Loop: Header=BB271_12 Depth=1
	s_and_not1_saveexec_b32 s3, s1
; %bb.50:                               ;   in Loop: Header=BB271_12 Depth=1
	v_and_b32_e32 v27, 0xffff, v28
	v_or_b32_e32 v35, 0x10000, v28
	s_delay_alu instid0(VALU_DEP_2) | instskip(NEXT) | instid1(VALU_DEP_1)
	v_cmp_eq_u32_e64 s1, 0, v27
	v_cndmask_b32_e64 v27, v35, v28, s1
; %bb.51:                               ;   in Loop: Header=BB271_12 Depth=1
	s_or_b32 exec_lo, exec_lo, s3
	v_mov_b32_e32 v60, v62
	s_delay_alu instid0(VALU_DEP_1) | instskip(NEXT) | instid1(VALU_DEP_1)
	v_lshlrev_b64 v[35:36], 1, v[59:60]
	v_add_co_u32 v35, s1, s12, v35
	s_delay_alu instid0(VALU_DEP_1) | instskip(SKIP_3) | instid1(VALU_DEP_1)
	v_add_co_ci_u32_e64 v36, s1, s13, v36, s1
	global_store_d16_hi_b16 v[35:36], v27, off
	s_or_b32 exec_lo, exec_lo, s2
	v_cmp_ne_u32_e64 s1, 0, v57
	s_and_saveexec_b32 s3, s1
	s_cbranch_execz .LBB271_37
.LBB271_52:                             ;   in Loop: Header=BB271_12 Depth=1
	s_waitcnt vmcnt(10) lgkmcnt(9)
	v_dual_add_f32 v24, v24, v25 :: v_dual_lshlrev_b32 v25, 16, v34
	s_delay_alu instid0(VALU_DEP_1) | instskip(NEXT) | instid1(VALU_DEP_1)
	v_add_f32_e32 v25, v24, v25
	v_and_b32_e32 v24, 0x7f800000, v25
	s_delay_alu instid0(VALU_DEP_1) | instskip(NEXT) | instid1(VALU_DEP_1)
	v_cmp_ne_u32_e64 s2, 0x7f800000, v24
                                        ; implicit-def: $vgpr24
	s_and_saveexec_b32 s15, s2
	s_delay_alu instid0(SALU_CYCLE_1)
	s_xor_b32 s2, exec_lo, s15
; %bb.53:                               ;   in Loop: Header=BB271_12 Depth=1
	v_bfe_u32 v24, v25, 16, 1
	s_delay_alu instid0(VALU_DEP_1)
	v_add3_u32 v24, v25, v24, 0x7fff
                                        ; implicit-def: $vgpr25
; %bb.54:                               ;   in Loop: Header=BB271_12 Depth=1
	s_and_not1_saveexec_b32 s15, s2
; %bb.55:                               ;   in Loop: Header=BB271_12 Depth=1
	v_and_b32_e32 v24, 0xffff, v25
	v_or_b32_e32 v27, 0x10000, v25
	s_delay_alu instid0(VALU_DEP_2) | instskip(NEXT) | instid1(VALU_DEP_1)
	v_cmp_eq_u32_e64 s2, 0, v24
	v_cndmask_b32_e64 v24, v27, v25, s2
; %bb.56:                               ;   in Loop: Header=BB271_12 Depth=1
	s_or_b32 exec_lo, exec_lo, s15
	v_mov_b32_e32 v60, v62
	s_delay_alu instid0(VALU_DEP_1) | instskip(NEXT) | instid1(VALU_DEP_1)
	v_lshlrev_b64 v[27:28], 1, v[59:60]
	v_add_co_u32 v27, s2, s35, v27
	s_delay_alu instid0(VALU_DEP_1) | instskip(SKIP_3) | instid1(VALU_DEP_1)
	v_add_co_ci_u32_e64 v28, s2, s36, v28, s2
	global_store_d16_hi_b16 v[27:28], v24, off
	s_or_b32 exec_lo, exec_lo, s3
	v_cmp_ne_u32_e64 s2, 0, v58
	s_and_saveexec_b32 s15, s2
	s_cbranch_execz .LBB271_38
.LBB271_57:                             ;   in Loop: Header=BB271_12 Depth=1
	s_waitcnt vmcnt(9) lgkmcnt(7)
	v_dual_add_f32 v22, v22, v23 :: v_dual_lshlrev_b32 v23, 16, v33
	s_delay_alu instid0(VALU_DEP_1) | instskip(NEXT) | instid1(VALU_DEP_1)
	v_add_f32_e32 v23, v22, v23
	v_and_b32_e32 v22, 0x7f800000, v23
	s_delay_alu instid0(VALU_DEP_1) | instskip(NEXT) | instid1(VALU_DEP_1)
	v_cmp_ne_u32_e64 s3, 0x7f800000, v22
                                        ; implicit-def: $vgpr22
	s_and_saveexec_b32 s41, s3
	s_delay_alu instid0(SALU_CYCLE_1)
	s_xor_b32 s3, exec_lo, s41
; %bb.58:                               ;   in Loop: Header=BB271_12 Depth=1
	v_bfe_u32 v22, v23, 16, 1
	s_delay_alu instid0(VALU_DEP_1)
	v_add3_u32 v22, v23, v22, 0x7fff
                                        ; implicit-def: $vgpr23
; %bb.59:                               ;   in Loop: Header=BB271_12 Depth=1
	s_and_not1_saveexec_b32 s41, s3
; %bb.60:                               ;   in Loop: Header=BB271_12 Depth=1
	v_and_b32_e32 v22, 0xffff, v23
	v_or_b32_e32 v24, 0x10000, v23
	s_delay_alu instid0(VALU_DEP_2) | instskip(NEXT) | instid1(VALU_DEP_1)
	v_cmp_eq_u32_e64 s3, 0, v22
	v_cndmask_b32_e64 v22, v24, v23, s3
; %bb.61:                               ;   in Loop: Header=BB271_12 Depth=1
	s_or_b32 exec_lo, exec_lo, s41
	v_lshlrev_b64 v[23:24], 1, v[61:62]
	s_delay_alu instid0(VALU_DEP_1) | instskip(NEXT) | instid1(VALU_DEP_1)
	v_add_co_u32 v23, s3, s12, v23
	v_add_co_ci_u32_e64 v24, s3, s13, v24, s3
	global_store_d16_hi_b16 v[23:24], v22, off
	s_or_b32 exec_lo, exec_lo, s15
	v_add_nc_u32_e32 v61, s19, v59
	s_and_saveexec_b32 s15, vcc_lo
	s_cbranch_execz .LBB271_39
.LBB271_62:                             ;   in Loop: Header=BB271_12 Depth=1
	s_waitcnt lgkmcnt(10)
	v_add_f32_e32 v19, v19, v20
	s_waitcnt vmcnt(8)
	v_lshlrev_b32_e32 v20, 16, v32
	s_delay_alu instid0(VALU_DEP_1) | instskip(NEXT) | instid1(VALU_DEP_1)
	v_add_f32_e32 v20, v19, v20
	v_and_b32_e32 v19, 0x7f800000, v20
	s_delay_alu instid0(VALU_DEP_1) | instskip(NEXT) | instid1(VALU_DEP_1)
	v_cmp_ne_u32_e64 s3, 0x7f800000, v19
                                        ; implicit-def: $vgpr19
	s_and_saveexec_b32 s41, s3
	s_delay_alu instid0(SALU_CYCLE_1)
	s_xor_b32 s3, exec_lo, s41
; %bb.63:                               ;   in Loop: Header=BB271_12 Depth=1
	v_bfe_u32 v19, v20, 16, 1
	s_delay_alu instid0(VALU_DEP_1)
	v_add3_u32 v19, v20, v19, 0x7fff
                                        ; implicit-def: $vgpr20
; %bb.64:                               ;   in Loop: Header=BB271_12 Depth=1
	s_and_not1_saveexec_b32 s41, s3
; %bb.65:                               ;   in Loop: Header=BB271_12 Depth=1
	v_and_b32_e32 v19, 0xffff, v20
	v_or_b32_e32 v22, 0x10000, v20
	s_delay_alu instid0(VALU_DEP_2) | instskip(NEXT) | instid1(VALU_DEP_1)
	v_cmp_eq_u32_e64 s3, 0, v19
	v_cndmask_b32_e64 v19, v22, v20, s3
; %bb.66:                               ;   in Loop: Header=BB271_12 Depth=1
	s_or_b32 exec_lo, exec_lo, s41
	s_waitcnt lgkmcnt(7)
	v_lshlrev_b64 v[22:23], 1, v[61:62]
	s_delay_alu instid0(VALU_DEP_1) | instskip(NEXT) | instid1(VALU_DEP_1)
	v_add_co_u32 v22, s3, s12, v22
	v_add_co_ci_u32_e64 v23, s3, s13, v23, s3
	global_store_d16_hi_b16 v[22:23], v19, off
	s_or_b32 exec_lo, exec_lo, s15
	s_and_saveexec_b32 s15, s1
	s_cbranch_execz .LBB271_40
.LBB271_67:                             ;   in Loop: Header=BB271_12 Depth=1
	s_waitcnt vmcnt(7) lgkmcnt(5)
	v_dual_add_f32 v16, v16, v17 :: v_dual_lshlrev_b32 v17, 16, v31
	s_delay_alu instid0(VALU_DEP_1) | instskip(NEXT) | instid1(VALU_DEP_1)
	v_add_f32_e32 v17, v16, v17
	v_and_b32_e32 v16, 0x7f800000, v17
	s_delay_alu instid0(VALU_DEP_1) | instskip(NEXT) | instid1(VALU_DEP_1)
	v_cmp_ne_u32_e64 s3, 0x7f800000, v16
                                        ; implicit-def: $vgpr16
	s_and_saveexec_b32 s41, s3
	s_delay_alu instid0(SALU_CYCLE_1)
	s_xor_b32 s3, exec_lo, s41
; %bb.68:                               ;   in Loop: Header=BB271_12 Depth=1
	v_bfe_u32 v16, v17, 16, 1
	s_delay_alu instid0(VALU_DEP_1)
	v_add3_u32 v16, v17, v16, 0x7fff
                                        ; implicit-def: $vgpr17
; %bb.69:                               ;   in Loop: Header=BB271_12 Depth=1
	s_and_not1_saveexec_b32 s41, s3
; %bb.70:                               ;   in Loop: Header=BB271_12 Depth=1
	v_and_b32_e32 v16, 0xffff, v17
	v_or_b32_e32 v19, 0x10000, v17
	s_delay_alu instid0(VALU_DEP_2) | instskip(NEXT) | instid1(VALU_DEP_1)
	v_cmp_eq_u32_e64 s3, 0, v16
	v_cndmask_b32_e64 v16, v19, v17, s3
; %bb.71:                               ;   in Loop: Header=BB271_12 Depth=1
	s_or_b32 exec_lo, exec_lo, s41
	v_dual_mov_b32 v20, v62 :: v_dual_add_nc_u32 v19, 1, v61
	s_delay_alu instid0(VALU_DEP_1) | instskip(NEXT) | instid1(VALU_DEP_1)
	v_lshlrev_b64 v[19:20], 1, v[19:20]
	v_add_co_u32 v19, s3, s12, v19
	s_delay_alu instid0(VALU_DEP_1)
	v_add_co_ci_u32_e64 v20, s3, s13, v20, s3
	global_store_d16_hi_b16 v[19:20], v16, off
	s_or_b32 exec_lo, exec_lo, s15
	s_and_saveexec_b32 s15, s2
	s_cbranch_execz .LBB271_41
.LBB271_72:                             ;   in Loop: Header=BB271_12 Depth=1
	s_waitcnt lgkmcnt(8)
	v_add_f32_e32 v13, v13, v14
	s_waitcnt vmcnt(6)
	v_lshlrev_b32_e32 v14, 16, v30
	s_delay_alu instid0(VALU_DEP_1) | instskip(NEXT) | instid1(VALU_DEP_1)
	v_add_f32_e32 v14, v13, v14
	v_and_b32_e32 v13, 0x7f800000, v14
	s_delay_alu instid0(VALU_DEP_1) | instskip(NEXT) | instid1(VALU_DEP_1)
	v_cmp_ne_u32_e64 s3, 0x7f800000, v13
                                        ; implicit-def: $vgpr13
	s_and_saveexec_b32 s41, s3
	s_delay_alu instid0(SALU_CYCLE_1)
	s_xor_b32 s3, exec_lo, s41
; %bb.73:                               ;   in Loop: Header=BB271_12 Depth=1
	v_bfe_u32 v13, v14, 16, 1
	s_delay_alu instid0(VALU_DEP_1)
	v_add3_u32 v13, v14, v13, 0x7fff
                                        ; implicit-def: $vgpr14
; %bb.74:                               ;   in Loop: Header=BB271_12 Depth=1
	s_and_not1_saveexec_b32 s41, s3
; %bb.75:                               ;   in Loop: Header=BB271_12 Depth=1
	v_and_b32_e32 v13, 0xffff, v14
	v_or_b32_e32 v16, 0x10000, v14
	s_delay_alu instid0(VALU_DEP_2) | instskip(NEXT) | instid1(VALU_DEP_1)
	v_cmp_eq_u32_e64 s3, 0, v13
	v_cndmask_b32_e64 v13, v16, v14, s3
; %bb.76:                               ;   in Loop: Header=BB271_12 Depth=1
	s_or_b32 exec_lo, exec_lo, s41
	s_waitcnt lgkmcnt(5)
	v_dual_mov_b32 v17, v62 :: v_dual_add_nc_u32 v16, 2, v61
	s_delay_alu instid0(VALU_DEP_1) | instskip(NEXT) | instid1(VALU_DEP_1)
	v_lshlrev_b64 v[16:17], 1, v[16:17]
	v_add_co_u32 v16, s3, s12, v16
	s_delay_alu instid0(VALU_DEP_1)
	v_add_co_ci_u32_e64 v17, s3, s13, v17, s3
	global_store_d16_hi_b16 v[16:17], v13, off
	s_or_b32 exec_lo, exec_lo, s15
	v_add_nc_u32_e32 v61, s19, v61
	s_and_saveexec_b32 s15, vcc_lo
	s_cbranch_execz .LBB271_42
.LBB271_77:                             ;   in Loop: Header=BB271_12 Depth=1
	s_waitcnt lgkmcnt(6)
	v_add_f32_e32 v8, v8, v9
	s_waitcnt vmcnt(5)
	v_lshlrev_b32_e32 v9, 16, v29
	s_delay_alu instid0(VALU_DEP_1) | instskip(NEXT) | instid1(VALU_DEP_1)
	v_add_f32_e32 v9, v8, v9
	v_and_b32_e32 v8, 0x7f800000, v9
	s_delay_alu instid0(VALU_DEP_1) | instskip(NEXT) | instid1(VALU_DEP_1)
	v_cmp_ne_u32_e64 s3, 0x7f800000, v8
                                        ; implicit-def: $vgpr8
	s_and_saveexec_b32 s41, s3
	s_delay_alu instid0(SALU_CYCLE_1)
	s_xor_b32 s3, exec_lo, s41
; %bb.78:                               ;   in Loop: Header=BB271_12 Depth=1
	v_bfe_u32 v8, v9, 16, 1
	s_delay_alu instid0(VALU_DEP_1)
	v_add3_u32 v8, v9, v8, 0x7fff
                                        ; implicit-def: $vgpr9
; %bb.79:                               ;   in Loop: Header=BB271_12 Depth=1
	s_and_not1_saveexec_b32 s41, s3
; %bb.80:                               ;   in Loop: Header=BB271_12 Depth=1
	v_and_b32_e32 v8, 0xffff, v9
	v_or_b32_e32 v13, 0x10000, v9
	s_delay_alu instid0(VALU_DEP_2) | instskip(NEXT) | instid1(VALU_DEP_1)
	v_cmp_eq_u32_e64 s3, 0, v8
	v_cndmask_b32_e64 v8, v13, v9, s3
; %bb.81:                               ;   in Loop: Header=BB271_12 Depth=1
	s_or_b32 exec_lo, exec_lo, s41
	v_lshlrev_b64 v[13:14], 1, v[61:62]
	s_delay_alu instid0(VALU_DEP_1) | instskip(NEXT) | instid1(VALU_DEP_1)
	v_add_co_u32 v13, s3, s12, v13
	v_add_co_ci_u32_e64 v14, s3, s13, v14, s3
	global_store_d16_hi_b16 v[13:14], v8, off
	s_or_b32 exec_lo, exec_lo, s15
	s_and_saveexec_b32 s15, s1
	s_cbranch_execz .LBB271_43
.LBB271_82:                             ;   in Loop: Header=BB271_12 Depth=1
	s_waitcnt vmcnt(4) lgkmcnt(4)
	v_dual_add_f32 v8, v11, v12 :: v_dual_lshlrev_b32 v9, 16, v26
	s_delay_alu instid0(VALU_DEP_1) | instskip(NEXT) | instid1(VALU_DEP_1)
	v_add_f32_e32 v9, v8, v9
	v_and_b32_e32 v8, 0x7f800000, v9
	s_delay_alu instid0(VALU_DEP_1) | instskip(NEXT) | instid1(VALU_DEP_1)
	v_cmp_ne_u32_e64 s3, 0x7f800000, v8
                                        ; implicit-def: $vgpr8
	s_and_saveexec_b32 s41, s3
	s_delay_alu instid0(SALU_CYCLE_1)
	s_xor_b32 s3, exec_lo, s41
; %bb.83:                               ;   in Loop: Header=BB271_12 Depth=1
	v_bfe_u32 v8, v9, 16, 1
	s_delay_alu instid0(VALU_DEP_1)
	v_add3_u32 v8, v9, v8, 0x7fff
                                        ; implicit-def: $vgpr9
; %bb.84:                               ;   in Loop: Header=BB271_12 Depth=1
	s_and_not1_saveexec_b32 s41, s3
; %bb.85:                               ;   in Loop: Header=BB271_12 Depth=1
	v_and_b32_e32 v8, 0xffff, v9
	v_or_b32_e32 v11, 0x10000, v9
	s_delay_alu instid0(VALU_DEP_2) | instskip(NEXT) | instid1(VALU_DEP_1)
	v_cmp_eq_u32_e64 s3, 0, v8
	v_cndmask_b32_e64 v8, v11, v9, s3
; %bb.86:                               ;   in Loop: Header=BB271_12 Depth=1
	s_or_b32 exec_lo, exec_lo, s41
	v_dual_mov_b32 v12, v62 :: v_dual_add_nc_u32 v11, 1, v61
	s_delay_alu instid0(VALU_DEP_1) | instskip(NEXT) | instid1(VALU_DEP_1)
	v_lshlrev_b64 v[11:12], 1, v[11:12]
	v_add_co_u32 v11, s3, s12, v11
	s_delay_alu instid0(VALU_DEP_1)
	v_add_co_ci_u32_e64 v12, s3, s13, v12, s3
	global_store_d16_hi_b16 v[11:12], v8, off
	s_or_b32 exec_lo, exec_lo, s15
	s_and_saveexec_b32 s15, s2
	s_cbranch_execz .LBB271_44
.LBB271_87:                             ;   in Loop: Header=BB271_12 Depth=1
	s_waitcnt vmcnt(3) lgkmcnt(2)
	v_dual_add_f32 v6, v6, v7 :: v_dual_lshlrev_b32 v7, 16, v21
	s_delay_alu instid0(VALU_DEP_1) | instskip(NEXT) | instid1(VALU_DEP_1)
	v_add_f32_e32 v7, v6, v7
	v_and_b32_e32 v6, 0x7f800000, v7
	s_delay_alu instid0(VALU_DEP_1) | instskip(NEXT) | instid1(VALU_DEP_1)
	v_cmp_ne_u32_e64 s3, 0x7f800000, v6
                                        ; implicit-def: $vgpr6
	s_and_saveexec_b32 s41, s3
	s_delay_alu instid0(SALU_CYCLE_1)
	s_xor_b32 s3, exec_lo, s41
; %bb.88:                               ;   in Loop: Header=BB271_12 Depth=1
	v_bfe_u32 v6, v7, 16, 1
	s_delay_alu instid0(VALU_DEP_1)
	v_add3_u32 v6, v7, v6, 0x7fff
                                        ; implicit-def: $vgpr7
; %bb.89:                               ;   in Loop: Header=BB271_12 Depth=1
	s_and_not1_saveexec_b32 s41, s3
; %bb.90:                               ;   in Loop: Header=BB271_12 Depth=1
	v_and_b32_e32 v6, 0xffff, v7
	v_or_b32_e32 v8, 0x10000, v7
	s_delay_alu instid0(VALU_DEP_2) | instskip(NEXT) | instid1(VALU_DEP_1)
	v_cmp_eq_u32_e64 s3, 0, v6
	v_cndmask_b32_e64 v6, v8, v7, s3
; %bb.91:                               ;   in Loop: Header=BB271_12 Depth=1
	s_or_b32 exec_lo, exec_lo, s41
	v_dual_mov_b32 v8, v62 :: v_dual_add_nc_u32 v7, 2, v61
	s_delay_alu instid0(VALU_DEP_1) | instskip(NEXT) | instid1(VALU_DEP_1)
	v_lshlrev_b64 v[7:8], 1, v[7:8]
	v_add_co_u32 v7, s3, s12, v7
	s_delay_alu instid0(VALU_DEP_1)
	v_add_co_ci_u32_e64 v8, s3, s13, v8, s3
	global_store_d16_hi_b16 v[7:8], v6, off
	s_or_b32 exec_lo, exec_lo, s15
	v_add_nc_u32_e32 v61, s19, v61
	s_and_saveexec_b32 s3, vcc_lo
	s_cbranch_execz .LBB271_45
.LBB271_92:                             ;   in Loop: Header=BB271_12 Depth=1
	s_waitcnt vmcnt(2) lgkmcnt(1)
	v_dual_add_f32 v4, v4, v5 :: v_dual_lshlrev_b32 v5, 16, v18
	s_delay_alu instid0(VALU_DEP_1) | instskip(NEXT) | instid1(VALU_DEP_1)
	v_add_f32_e32 v5, v4, v5
	v_and_b32_e32 v4, 0x7f800000, v5
	s_delay_alu instid0(VALU_DEP_1) | instskip(SKIP_1) | instid1(SALU_CYCLE_1)
	v_cmp_ne_u32_e32 vcc_lo, 0x7f800000, v4
                                        ; implicit-def: $vgpr4
	s_and_saveexec_b32 s15, vcc_lo
	s_xor_b32 s15, exec_lo, s15
; %bb.93:                               ;   in Loop: Header=BB271_12 Depth=1
	v_bfe_u32 v4, v5, 16, 1
	s_delay_alu instid0(VALU_DEP_1)
	v_add3_u32 v4, v5, v4, 0x7fff
                                        ; implicit-def: $vgpr5
; %bb.94:                               ;   in Loop: Header=BB271_12 Depth=1
	s_and_not1_saveexec_b32 s15, s15
; %bb.95:                               ;   in Loop: Header=BB271_12 Depth=1
	v_and_b32_e32 v4, 0xffff, v5
	v_or_b32_e32 v6, 0x10000, v5
	s_delay_alu instid0(VALU_DEP_2) | instskip(NEXT) | instid1(VALU_DEP_2)
	v_cmp_eq_u32_e32 vcc_lo, 0, v4
	v_cndmask_b32_e32 v4, v6, v5, vcc_lo
; %bb.96:                               ;   in Loop: Header=BB271_12 Depth=1
	s_or_b32 exec_lo, exec_lo, s15
	v_lshlrev_b64 v[5:6], 1, v[61:62]
	s_delay_alu instid0(VALU_DEP_1) | instskip(NEXT) | instid1(VALU_DEP_2)
	v_add_co_u32 v5, vcc_lo, s12, v5
	v_add_co_ci_u32_e32 v6, vcc_lo, s13, v6, vcc_lo
	global_store_d16_hi_b16 v[5:6], v4, off
	s_or_b32 exec_lo, exec_lo, s3
	s_and_saveexec_b32 s3, s1
	s_cbranch_execz .LBB271_46
.LBB271_97:                             ;   in Loop: Header=BB271_12 Depth=1
	s_waitcnt lgkmcnt(0)
	v_add_f32_e32 v2, v2, v3
	s_waitcnt vmcnt(1)
	v_lshlrev_b32_e32 v3, 16, v15
	s_delay_alu instid0(VALU_DEP_1) | instskip(NEXT) | instid1(VALU_DEP_1)
	v_add_f32_e32 v3, v2, v3
	v_and_b32_e32 v2, 0x7f800000, v3
	s_delay_alu instid0(VALU_DEP_1) | instskip(SKIP_1) | instid1(SALU_CYCLE_1)
	v_cmp_ne_u32_e32 vcc_lo, 0x7f800000, v2
                                        ; implicit-def: $vgpr2
	s_and_saveexec_b32 s1, vcc_lo
	s_xor_b32 s1, exec_lo, s1
; %bb.98:                               ;   in Loop: Header=BB271_12 Depth=1
	v_bfe_u32 v2, v3, 16, 1
	s_delay_alu instid0(VALU_DEP_1)
	v_add3_u32 v2, v3, v2, 0x7fff
                                        ; implicit-def: $vgpr3
; %bb.99:                               ;   in Loop: Header=BB271_12 Depth=1
	s_and_not1_saveexec_b32 s1, s1
; %bb.100:                              ;   in Loop: Header=BB271_12 Depth=1
	v_and_b32_e32 v2, 0xffff, v3
	v_or_b32_e32 v4, 0x10000, v3
	s_delay_alu instid0(VALU_DEP_2) | instskip(NEXT) | instid1(VALU_DEP_2)
	v_cmp_eq_u32_e32 vcc_lo, 0, v2
	v_cndmask_b32_e32 v2, v4, v3, vcc_lo
; %bb.101:                              ;   in Loop: Header=BB271_12 Depth=1
	s_or_b32 exec_lo, exec_lo, s1
	v_dual_mov_b32 v4, v62 :: v_dual_add_nc_u32 v3, 1, v61
	s_delay_alu instid0(VALU_DEP_1) | instskip(NEXT) | instid1(VALU_DEP_1)
	v_lshlrev_b64 v[3:4], 1, v[3:4]
	v_add_co_u32 v3, vcc_lo, s12, v3
	s_delay_alu instid0(VALU_DEP_2) | instskip(SKIP_2) | instid1(SALU_CYCLE_1)
	v_add_co_ci_u32_e32 v4, vcc_lo, s13, v4, vcc_lo
	global_store_d16_hi_b16 v[3:4], v2, off
	s_or_b32 exec_lo, exec_lo, s3
	s_and_b32 exec_lo, exec_lo, s2
	s_cbranch_execz .LBB271_107
.LBB271_102:                            ;   in Loop: Header=BB271_12 Depth=1
	s_waitcnt vmcnt(0) lgkmcnt(3)
	v_dual_add_f32 v0, v0, v1 :: v_dual_lshlrev_b32 v1, 16, v10
	s_delay_alu instid0(VALU_DEP_1) | instskip(NEXT) | instid1(VALU_DEP_1)
	v_add_f32_e32 v1, v0, v1
	v_and_b32_e32 v0, 0x7f800000, v1
	s_delay_alu instid0(VALU_DEP_1) | instskip(SKIP_1) | instid1(SALU_CYCLE_1)
	v_cmp_ne_u32_e32 vcc_lo, 0x7f800000, v0
                                        ; implicit-def: $vgpr0
	s_and_saveexec_b32 s1, vcc_lo
	s_xor_b32 s1, exec_lo, s1
; %bb.103:                              ;   in Loop: Header=BB271_12 Depth=1
	v_bfe_u32 v0, v1, 16, 1
	s_delay_alu instid0(VALU_DEP_1)
	v_add3_u32 v0, v1, v0, 0x7fff
                                        ; implicit-def: $vgpr1
; %bb.104:                              ;   in Loop: Header=BB271_12 Depth=1
	s_and_not1_saveexec_b32 s1, s1
; %bb.105:                              ;   in Loop: Header=BB271_12 Depth=1
	v_and_b32_e32 v0, 0xffff, v1
	v_or_b32_e32 v2, 0x10000, v1
	s_delay_alu instid0(VALU_DEP_2) | instskip(NEXT) | instid1(VALU_DEP_2)
	v_cmp_eq_u32_e32 vcc_lo, 0, v0
	v_cndmask_b32_e32 v0, v2, v1, vcc_lo
; %bb.106:                              ;   in Loop: Header=BB271_12 Depth=1
	s_or_b32 exec_lo, exec_lo, s1
	v_add_nc_u32_e32 v61, 2, v61
	s_delay_alu instid0(VALU_DEP_1) | instskip(NEXT) | instid1(VALU_DEP_1)
	v_lshlrev_b64 v[1:2], 1, v[61:62]
	v_add_co_u32 v1, vcc_lo, s12, v1
	s_delay_alu instid0(VALU_DEP_2)
	v_add_co_ci_u32_e32 v2, vcc_lo, s13, v2, vcc_lo
	global_store_d16_hi_b16 v[1:2], v0, off
.LBB271_107:                            ;   in Loop: Header=BB271_12 Depth=1
	s_or_b32 exec_lo, exec_lo, s14
	v_add_nc_u32_e32 v59, s5, v59
	s_delay_alu instid0(VALU_DEP_1) | instskip(SKIP_1) | instid1(VALU_DEP_2)
	v_add_nc_u32_e32 v0, 3, v59
	v_cmp_gt_u32_e32 vcc_lo, s19, v59
	v_cmp_le_u32_e64 s1, s19, v0
	s_delay_alu instid0(VALU_DEP_1) | instskip(NEXT) | instid1(SALU_CYCLE_1)
	s_and_b32 s1, vcc_lo, s1
	s_and_saveexec_b32 s41, s1
	s_cbranch_execz .LBB271_10
; %bb.108:                              ;   in Loop: Header=BB271_12 Depth=1
	s_mov_b32 s42, exec_lo
	v_cmpx_ne_u32_e64 s31, v59
	s_cbranch_execz .LBB271_9
; %bb.109:                              ;   in Loop: Header=BB271_12 Depth=1
	v_subrev_nc_u32_e32 v0, s31, v59
	s_mov_b32 s43, 0
	s_mov_b64 s[14:15], 0
	s_delay_alu instid0(VALU_DEP_1)
	v_cmp_lt_u32_e32 vcc_lo, 1, v0
	v_cndmask_b32_e32 v0, 1, v0, vcc_lo
	.p2align	6
.LBB271_110:                            ;   Parent Loop BB271_12 Depth=1
                                        ; =>  This Inner Loop Header: Depth=2
	s_cmp_lg_u32 s14, 2
	s_cselect_b32 vcc_lo, -1, 0
	s_cmp_lg_u32 s14, 1
	v_cndmask_b32_e32 v58, 0, v58, vcc_lo
	s_cselect_b32 s1, -1, 0
	s_cmp_lg_u32 s14, 0
	v_cndmask_b32_e64 v57, 0, v57, s1
	s_cselect_b32 s2, -1, 0
	s_add_u32 s14, s14, 1
	v_cndmask_b32_e64 v56, 0, v56, s2
	v_cmp_eq_u32_e64 s3, s14, v0
	s_addc_u32 s15, s15, 0
	s_delay_alu instid0(VALU_DEP_1) | instskip(NEXT) | instid1(SALU_CYCLE_1)
	s_or_b32 s43, s3, s43
	s_and_not1_b32 exec_lo, exec_lo, s43
	s_cbranch_execnz .LBB271_110
; %bb.111:                              ;   in Loop: Header=BB271_12 Depth=1
	s_or_b32 exec_lo, exec_lo, s43
	s_branch .LBB271_9
.LBB271_112:
	s_nop 0
	s_sendmsg sendmsg(MSG_DEALLOC_VGPRS)
	s_endpgm
	.section	.rodata,"a",@progbits
	.p2align	6, 0x0
	.amdhsa_kernel _Z16wvSplitK_hf_big_I14__hip_bfloat16Li64ELi3ELi16ELi8ELi2ELi4EEviiiiiiPKT_S3_S3_PS1_ii
		.amdhsa_group_segment_fixed_size 65536
		.amdhsa_private_segment_fixed_size 0
		.amdhsa_kernarg_size 64
		.amdhsa_user_sgpr_count 15
		.amdhsa_user_sgpr_dispatch_ptr 0
		.amdhsa_user_sgpr_queue_ptr 0
		.amdhsa_user_sgpr_kernarg_segment_ptr 1
		.amdhsa_user_sgpr_dispatch_id 0
		.amdhsa_user_sgpr_private_segment_size 0
		.amdhsa_wavefront_size32 1
		.amdhsa_uses_dynamic_stack 0
		.amdhsa_enable_private_segment 0
		.amdhsa_system_sgpr_workgroup_id_x 1
		.amdhsa_system_sgpr_workgroup_id_y 0
		.amdhsa_system_sgpr_workgroup_id_z 0
		.amdhsa_system_sgpr_workgroup_info 0
		.amdhsa_system_vgpr_workitem_id 1
		.amdhsa_next_free_vgpr 104
		.amdhsa_next_free_sgpr 44
		.amdhsa_reserve_vcc 1
		.amdhsa_float_round_mode_32 0
		.amdhsa_float_round_mode_16_64 0
		.amdhsa_float_denorm_mode_32 3
		.amdhsa_float_denorm_mode_16_64 3
		.amdhsa_dx10_clamp 1
		.amdhsa_ieee_mode 1
		.amdhsa_fp16_overflow 0
		.amdhsa_workgroup_processor_mode 1
		.amdhsa_memory_ordered 1
		.amdhsa_forward_progress 0
		.amdhsa_shared_vgpr_count 0
		.amdhsa_exception_fp_ieee_invalid_op 0
		.amdhsa_exception_fp_denorm_src 0
		.amdhsa_exception_fp_ieee_div_zero 0
		.amdhsa_exception_fp_ieee_overflow 0
		.amdhsa_exception_fp_ieee_underflow 0
		.amdhsa_exception_fp_ieee_inexact 0
		.amdhsa_exception_int_div_zero 0
	.end_amdhsa_kernel
	.section	.text._Z16wvSplitK_hf_big_I14__hip_bfloat16Li64ELi3ELi16ELi8ELi2ELi4EEviiiiiiPKT_S3_S3_PS1_ii,"axG",@progbits,_Z16wvSplitK_hf_big_I14__hip_bfloat16Li64ELi3ELi16ELi8ELi2ELi4EEviiiiiiPKT_S3_S3_PS1_ii,comdat
.Lfunc_end271:
	.size	_Z16wvSplitK_hf_big_I14__hip_bfloat16Li64ELi3ELi16ELi8ELi2ELi4EEviiiiiiPKT_S3_S3_PS1_ii, .Lfunc_end271-_Z16wvSplitK_hf_big_I14__hip_bfloat16Li64ELi3ELi16ELi8ELi2ELi4EEviiiiiiPKT_S3_S3_PS1_ii
                                        ; -- End function
	.section	.AMDGPU.csdata,"",@progbits
; Kernel info:
; codeLenInByte = 8516
; NumSgprs: 46
; NumVgprs: 104
; ScratchSize: 0
; MemoryBound: 0
; FloatMode: 240
; IeeeMode: 1
; LDSByteSize: 65536 bytes/workgroup (compile time only)
; SGPRBlocks: 5
; VGPRBlocks: 12
; NumSGPRsForWavesPerEU: 46
; NumVGPRsForWavesPerEU: 104
; Occupancy: 12
; WaveLimiterHint : 0
; COMPUTE_PGM_RSRC2:SCRATCH_EN: 0
; COMPUTE_PGM_RSRC2:USER_SGPR: 15
; COMPUTE_PGM_RSRC2:TRAP_HANDLER: 0
; COMPUTE_PGM_RSRC2:TGID_X_EN: 1
; COMPUTE_PGM_RSRC2:TGID_Y_EN: 0
; COMPUTE_PGM_RSRC2:TGID_Z_EN: 0
; COMPUTE_PGM_RSRC2:TIDIG_COMP_CNT: 1
	.section	.text._Z16wvSplitK_hf_sml_I14__hip_bfloat16Li64ELi4ELi16ELi8ELi1ELi4EEviiiiiiPKT_S3_S3_PS1_ii,"axG",@progbits,_Z16wvSplitK_hf_sml_I14__hip_bfloat16Li64ELi4ELi16ELi8ELi1ELi4EEviiiiiiPKT_S3_S3_PS1_ii,comdat
	.protected	_Z16wvSplitK_hf_sml_I14__hip_bfloat16Li64ELi4ELi16ELi8ELi1ELi4EEviiiiiiPKT_S3_S3_PS1_ii ; -- Begin function _Z16wvSplitK_hf_sml_I14__hip_bfloat16Li64ELi4ELi16ELi8ELi1ELi4EEviiiiiiPKT_S3_S3_PS1_ii
	.globl	_Z16wvSplitK_hf_sml_I14__hip_bfloat16Li64ELi4ELi16ELi8ELi1ELi4EEviiiiiiPKT_S3_S3_PS1_ii
	.p2align	8
	.type	_Z16wvSplitK_hf_sml_I14__hip_bfloat16Li64ELi4ELi16ELi8ELi1ELi4EEviiiiiiPKT_S3_S3_PS1_ii,@function
_Z16wvSplitK_hf_sml_I14__hip_bfloat16Li64ELi4ELi16ELi8ELi1ELi4EEviiiiiiPKT_S3_S3_PS1_ii: ; @_Z16wvSplitK_hf_sml_I14__hip_bfloat16Li64ELi4ELi16ELi8ELi1ELi4EEviiiiiiPKT_S3_S3_PS1_ii
; %bb.0:
	s_clause 0x2
	s_load_b128 s[4:7], s[0:1], 0x0
	s_load_b64 s[8:9], s[0:1], 0x10
	s_load_b64 s[10:11], s[0:1], 0x28
	v_and_b32_e32 v2, 0x3ff, v0
	v_bfe_u32 v3, v0, 10, 10
	s_mov_b32 s12, exec_lo
	s_delay_alu instid0(VALU_DEP_2) | instskip(NEXT) | instid1(VALU_DEP_1)
	v_lshlrev_b32_e32 v43, 3, v2
	v_lshl_add_u32 v4, v3, 9, v43
	s_waitcnt lgkmcnt(0)
	s_lshl_b32 s14, s6, 2
	s_delay_alu instid0(SALU_CYCLE_1)
	s_min_u32 s3, s14, 0x8000
	s_delay_alu instid0(VALU_DEP_1) | instid1(SALU_CYCLE_1)
	v_cmpx_gt_u32_e64 s3, v4
	s_cbranch_execz .LBB272_3
; %bb.1:
	s_load_b64 s[16:17], s[0:1], 0x20
	v_lshlrev_b32_e32 v5, 10, v3
	v_lshlrev_b32_e32 v6, 4, v2
	s_mov_b32 s13, 0
	s_delay_alu instid0(VALU_DEP_1) | instskip(NEXT) | instid1(VALU_DEP_1)
	v_add_co_u32 v0, s2, v5, v6
	v_add_co_ci_u32_e64 v1, null, 0, 0, s2
	v_add_nc_u32_e32 v5, v5, v6
	s_waitcnt lgkmcnt(0)
	s_delay_alu instid0(VALU_DEP_3) | instskip(NEXT) | instid1(VALU_DEP_3)
	v_add_co_u32 v0, vcc_lo, s16, v0
	v_add_co_ci_u32_e32 v1, vcc_lo, s17, v1, vcc_lo
	.p2align	6
.LBB272_2:                              ; =>This Inner Loop Header: Depth=1
	global_load_b128 v[6:9], v[0:1], off
	v_add_nc_u32_e32 v4, 0x2000, v4
	v_add_co_u32 v0, vcc_lo, 0x4000, v0
	v_add_co_ci_u32_e32 v1, vcc_lo, 0, v1, vcc_lo
	s_delay_alu instid0(VALU_DEP_3) | instskip(NEXT) | instid1(VALU_DEP_1)
	v_cmp_le_u32_e64 s2, s3, v4
	s_or_b32 s13, s2, s13
	s_waitcnt vmcnt(0)
	ds_store_b128 v5, v[6:9]
	v_add_nc_u32_e32 v5, 0x4000, v5
	s_and_not1_b32 exec_lo, exec_lo, s13
	s_cbranch_execnz .LBB272_2
.LBB272_3:
	s_or_b32 exec_lo, exec_lo, s12
	s_load_b64 s[16:17], s[0:1], 0x38
	s_waitcnt lgkmcnt(0)
	s_barrier
	buffer_gl0_inv
	s_mov_b32 s2, exec_lo
	v_cmpx_gt_u32_e64 s16, v3
	s_cbranch_execz .LBB272_80
; %bb.4:
	s_mul_i32 s15, s15, s16
	s_delay_alu instid0(SALU_CYCLE_1) | instskip(NEXT) | instid1(VALU_DEP_1)
	v_add_lshl_u32 v28, s15, v3, 2
	v_cmp_gt_u32_e32 vcc_lo, s7, v28
	s_and_b32 exec_lo, exec_lo, vcc_lo
	s_cbranch_execz .LBB272_80
; %bb.5:
	s_cmp_lg_u32 s4, 0
	v_mbcnt_lo_u32_b32 v3, -1, 0
	s_cselect_b32 s15, -1, 0
	s_add_i32 s18, s4, -8
	s_add_i32 s19, s7, -1
	s_cmp_lg_u64 s[10:11], 0
	v_cvt_f32_u32_e32 v1, s8
	s_cselect_b32 s20, -1, 0
	s_abs_i32 s21, s9
	s_mul_i32 s9, s16, s17
	v_cvt_f32_u32_e32 v0, s21
	v_rcp_iflag_f32_e32 v1, v1
	s_sub_i32 s17, 0, s21
	s_lshl_b32 s9, s9, 2
	s_sub_i32 s22, 0, s8
	v_rcp_iflag_f32_e32 v0, v0
	s_sub_i32 s23, 1, s21
	s_clause 0x1
	s_load_b64 s[2:3], s[0:1], 0x18
	s_load_b64 s[12:13], s[0:1], 0x30
	v_cmp_eq_u32_e64 s0, 63, v2
	v_lshlrev_b32_e32 v44, 4, v2
	s_mov_b32 s1, 0
	s_waitcnt_depctr 0xfff
	v_mul_f32_e32 v0, 0x4f7ffffe, v0
	s_delay_alu instid0(VALU_DEP_1) | instskip(NEXT) | instid1(VALU_DEP_1)
	v_cvt_u32_f32_e32 v0, v0
	v_readfirstlane_b32 s16, v0
	v_mul_f32_e32 v0, 0x4f7ffffe, v1
	v_xor_b32_e32 v1, 16, v3
	s_delay_alu instid0(VALU_DEP_3) | instskip(NEXT) | instid1(VALU_DEP_2)
	s_mul_i32 s17, s17, s16
	v_cvt_u32_f32_e32 v0, v0
	s_mul_hi_u32 s17, s16, s17
	s_delay_alu instid0(VALU_DEP_2)
	v_cmp_gt_i32_e32 vcc_lo, 32, v1
	s_add_i32 s17, s16, s17
	s_cmp_lt_u32 s21, 2
	v_mul_lo_u32 v4, s22, v0
	s_cselect_b32 s23, s23, 1
	v_cndmask_b32_e32 v1, v3, v1, vcc_lo
	s_sub_i32 s24, s23, s21
	s_cmp_ge_u32 s23, s21
	v_mov_b32_e32 v30, 0
	s_cselect_b32 s23, s24, s23
	v_lshlrev_b32_e32 v45, 2, v1
	s_lshr_b32 s24, s17, 31
	s_mul_hi_u32 s17, s17, 3
	s_mul_i32 s24, s24, s21
	s_mul_i32 s17, s17, s21
	s_sub_i32 s22, 2, s24
	v_mul_hi_u32 v2, v0, v4
	s_sub_i32 s24, s22, s21
	s_cmp_ge_u32 s22, s21
	s_mul_i32 s16, s6, 6
	s_cselect_b32 s22, s24, s22
	s_delay_alu instid0(SALU_CYCLE_1) | instskip(SKIP_1) | instid1(VALU_DEP_1)
	s_sub_i32 s24, s22, s21
	s_cmp_ge_u32 s22, s21
	v_add_nc_u32_e32 v46, v0, v2
	s_cselect_b32 s22, s24, s22
	s_sub_i32 s17, 3, s17
	s_delay_alu instid0(SALU_CYCLE_1)
	s_sub_i32 s24, s17, s21
	s_cmp_ge_u32 s17, s21
	s_cselect_b32 s24, s24, s17
	s_mul_i32 s17, s23, s8
	s_sub_i32 s25, s24, s21
	s_cmp_ge_u32 s24, s21
	s_mul_i32 s21, s22, s8
	s_cselect_b32 s23, s25, s24
	s_lshl_b32 s6, s6, 1
	s_mul_i32 s22, s23, s8
	s_branch .LBB272_8
.LBB272_6:                              ;   in Loop: Header=BB272_8 Depth=1
	s_or_b32 exec_lo, exec_lo, s24
	v_add_nc_u32_e32 v29, 3, v29
	s_delay_alu instid0(VALU_DEP_1) | instskip(NEXT) | instid1(VALU_DEP_1)
	v_lshlrev_b64 v[1:2], 1, v[29:30]
	v_add_co_u32 v1, vcc_lo, s12, v1
	s_delay_alu instid0(VALU_DEP_2)
	v_add_co_ci_u32_e32 v2, vcc_lo, s13, v2, vcc_lo
	global_store_d16_hi_b16 v[1:2], v0, off
.LBB272_7:                              ;   in Loop: Header=BB272_8 Depth=1
	s_or_b32 exec_lo, exec_lo, s23
	v_add_nc_u32_e32 v28, s9, v28
	s_delay_alu instid0(VALU_DEP_1) | instskip(SKIP_1) | instid1(SALU_CYCLE_1)
	v_cmp_le_u32_e32 vcc_lo, s7, v28
	s_or_b32 s1, vcc_lo, s1
	s_and_not1_b32 exec_lo, exec_lo, s1
	s_cbranch_execz .LBB272_80
.LBB272_8:                              ; =>This Loop Header: Depth=1
                                        ;     Child Loop BB272_11 Depth 2
	v_mov_b32_e32 v47, v30
	v_mov_b32_e32 v48, v30
	;; [unrolled: 1-line block ×16, first 2 shown]
	s_and_not1_b32 vcc_lo, exec_lo, s15
	s_cbranch_vccnz .LBB272_13
; %bb.9:                                ;   in Loop: Header=BB272_8 Depth=1
	v_or_b32_e32 v0, 1, v28
	s_waitcnt lgkmcnt(0)
	v_or_b32_e32 v1, 2, v28
	v_or_b32_e32 v2, 3, v28
	v_min_u32_e32 v3, s19, v28
	v_dual_mov_b32 v5, v30 :: v_dual_mov_b32 v62, 0
	v_min_u32_e32 v0, s19, v0
	v_min_u32_e32 v1, s19, v1
	;; [unrolled: 1-line block ×3, first 2 shown]
	v_mul_lo_u32 v29, v3, s5
	v_dual_mov_b32 v3, v30 :: v_dual_mov_b32 v60, 0
	v_mul_lo_u32 v0, v0, s5
	v_mul_lo_u32 v2, v1, s5
	;; [unrolled: 1-line block ×3, first 2 shown]
	v_dual_mov_b32 v1, v30 :: v_dual_mov_b32 v58, 0
	v_lshlrev_b64 v[31:32], 1, v[29:30]
	v_dual_mov_b32 v57, 0 :: v_dual_mov_b32 v56, 0
	s_delay_alu instid0(VALU_DEP_3)
	v_lshlrev_b64 v[33:34], 1, v[0:1]
	v_lshlrev_b64 v[35:36], 1, v[2:3]
	;; [unrolled: 1-line block ×3, first 2 shown]
	v_dual_mov_b32 v63, v44 :: v_dual_mov_b32 v52, 0
	v_dual_mov_b32 v61, 0 :: v_dual_mov_b32 v54, 0
	v_dual_mov_b32 v59, 0 :: v_dual_mov_b32 v50, 0
	v_dual_mov_b32 v55, 0 :: v_dual_mov_b32 v48, 0
	v_mov_b32_e32 v53, 0
	v_mov_b32_e32 v51, 0
	;; [unrolled: 1-line block ×4, first 2 shown]
	s_mov_b32 s23, 0
	s_branch .LBB272_11
.LBB272_10:                             ;   in Loop: Header=BB272_11 Depth=2
	s_or_b32 exec_lo, exec_lo, s24
	s_waitcnt lgkmcnt(4)
	v_and_b32_e32 v71, 0xffff0000, v27
	s_waitcnt vmcnt(3)
	v_and_b32_e32 v72, 0xffff0000, v23
	v_and_b32_e32 v66, 0xffff0000, v25
	;; [unrolled: 1-line block ×3, first 2 shown]
	v_lshlrev_b32_e32 v27, 16, v27
	s_waitcnt vmcnt(2)
	v_and_b32_e32 v75, 0xffff0000, v17
	v_mul_f32_e32 v73, v71, v72
	v_lshlrev_b32_e32 v17, 16, v17
	v_lshlrev_b32_e32 v23, 16, v23
	v_and_b32_e32 v64, 0xffff0000, v20
	s_waitcnt vmcnt(1)
	v_and_b32_e32 v80, 0xffff0000, v14
	v_lshlrev_b32_e32 v14, 16, v14
	v_add_nc_u32_e32 v63, 0x400, v63
	v_fmac_f32_e32 v73, v27, v23
	v_and_b32_e32 v67, 0xffff0000, v21
	v_and_b32_e32 v29, 0xffff0000, v24
	v_lshlrev_b32_e32 v24, 16, v24
	s_addk_i32 s23, 0x200
	s_delay_alu instid0(VALU_DEP_3)
	v_dual_mul_f32 v68, v66, v67 :: v_dual_and_b32 v69, 0xffff0000, v26
	v_lshlrev_b32_e32 v25, 16, v25
	v_lshlrev_b32_e32 v26, 16, v26
	;; [unrolled: 1-line block ×4, first 2 shown]
	v_mul_f32_e32 v20, v29, v64
	v_and_b32_e32 v78, 0xffff0000, v19
	s_cmp_ge_u32 s23, s4
	v_fmac_f32_e32 v68, v25, v21
	s_delay_alu instid0(VALU_DEP_3) | instskip(NEXT) | instid1(VALU_DEP_1)
	v_fmac_f32_e32 v20, v24, v65
	v_dual_add_f32 v57, v57, v20 :: v_dual_lshlrev_b32 v20, 16, v22
	s_delay_alu instid0(VALU_DEP_1) | instskip(SKIP_1) | instid1(VALU_DEP_1)
	v_add_f32_e32 v57, v57, v68
	v_and_b32_e32 v68, 0xffff0000, v16
	v_mul_f32_e32 v74, v29, v68
	v_mul_f32_e32 v22, v69, v70
	v_lshlrev_b32_e32 v16, 16, v16
	s_delay_alu instid0(VALU_DEP_2) | instskip(NEXT) | instid1(VALU_DEP_1)
	v_fmac_f32_e32 v22, v26, v20
	v_add_f32_e32 v22, v57, v22
	s_delay_alu instid0(VALU_DEP_1)
	v_add_f32_e32 v57, v22, v73
	v_and_b32_e32 v73, 0xffff0000, v12
	v_fmac_f32_e32 v74, v24, v16
	v_lshlrev_b32_e32 v12, 16, v12
	s_waitcnt vmcnt(0)
	v_and_b32_e32 v82, 0xffff0000, v5
	v_dual_mul_f32 v77, v29, v73 :: v_dual_and_b32 v22, 0xffff0000, v18
	v_add_f32_e32 v61, v61, v74
	s_delay_alu instid0(VALU_DEP_2) | instskip(SKIP_1) | instid1(VALU_DEP_2)
	v_dual_fmac_f32 v77, v24, v12 :: v_dual_mul_f32 v74, v69, v22
	v_mul_f32_e32 v76, v66, v75
	v_dual_add_f32 v58, v58, v77 :: v_dual_lshlrev_b32 v19, 16, v19
	v_mul_f32_e32 v77, v69, v80
	s_delay_alu instid0(VALU_DEP_3) | instskip(NEXT) | instid1(VALU_DEP_1)
	v_fmac_f32_e32 v76, v25, v17
	v_dual_add_f32 v61, v61, v76 :: v_dual_and_b32 v76, 0xffff0000, v13
	v_lshlrev_b32_e32 v18, 16, v18
	v_lshlrev_b32_e32 v13, 16, v13
	s_delay_alu instid0(VALU_DEP_3) | instskip(NEXT) | instid1(VALU_DEP_1)
	v_mul_f32_e32 v79, v66, v76
	v_dual_fmac_f32 v74, v26, v18 :: v_dual_fmac_f32 v79, v25, v13
	s_delay_alu instid0(VALU_DEP_1) | instskip(SKIP_2) | instid1(VALU_DEP_2)
	v_dual_add_f32 v61, v61, v74 :: v_dual_add_f32 v58, v58, v79
	v_and_b32_e32 v79, 0xffff0000, v15
	v_lshlrev_b32_e32 v15, 16, v15
	v_dual_mul_f32 v83, v71, v79 :: v_dual_and_b32 v74, 0xffff0000, v4
	v_fmac_f32_e32 v77, v26, v14
	v_mul_f32_e32 v81, v71, v78
	s_delay_alu instid0(VALU_DEP_3) | instskip(NEXT) | instid1(VALU_DEP_4)
	v_dual_fmac_f32 v83, v27, v15 :: v_dual_lshlrev_b32 v4, 16, v4
	v_mul_f32_e32 v29, v29, v74
	s_delay_alu instid0(VALU_DEP_3) | instskip(SKIP_1) | instid1(VALU_DEP_3)
	v_dual_fmac_f32 v81, v27, v19 :: v_dual_add_f32 v58, v58, v77
	v_lshlrev_b32_e32 v5, 16, v5
	v_dual_fmac_f32 v29, v24, v4 :: v_dual_mul_f32 v24, v66, v82
	s_delay_alu instid0(VALU_DEP_3) | instskip(NEXT) | instid1(VALU_DEP_2)
	v_dual_add_f32 v58, v58, v83 :: v_dual_add_f32 v61, v61, v81
	v_dual_add_f32 v29, v60, v29 :: v_dual_and_b32 v66, 0xffff0000, v6
	v_lshlrev_b32_e32 v6, 16, v6
	s_waitcnt lgkmcnt(3)
	v_dual_fmac_f32 v24, v25, v5 :: v_dual_and_b32 v25, 0xffff0000, v8
	s_delay_alu instid0(VALU_DEP_3) | instskip(NEXT) | instid1(VALU_DEP_2)
	v_mul_f32_e32 v60, v69, v66
	v_dual_add_f32 v24, v29, v24 :: v_dual_and_b32 v29, 0xffff0000, v7
	v_lshlrev_b32_e32 v7, 16, v7
	v_lshlrev_b32_e32 v8, 16, v8
	s_delay_alu instid0(VALU_DEP_4) | instskip(NEXT) | instid1(VALU_DEP_4)
	v_dual_mul_f32 v69, v25, v64 :: v_dual_fmac_f32 v60, v26, v6
	v_mul_f32_e32 v71, v71, v29
	v_and_b32_e32 v26, 0xffff0000, v9
	v_lshlrev_b32_e32 v9, 16, v9
	s_delay_alu instid0(VALU_DEP_4) | instskip(NEXT) | instid1(VALU_DEP_4)
	v_fmac_f32_e32 v69, v8, v65
	v_dual_add_f32 v24, v24, v60 :: v_dual_fmac_f32 v71, v27, v7
	v_and_b32_e32 v81, 0xffff0000, v10
	s_delay_alu instid0(VALU_DEP_3) | instskip(NEXT) | instid1(VALU_DEP_3)
	v_dual_add_f32 v27, v59, v69 :: v_dual_lshlrev_b32 v10, 16, v10
	v_dual_mul_f32 v69, v25, v68 :: v_dual_add_f32 v60, v24, v71
	v_and_b32_e32 v24, 0xffff0000, v11
	v_dual_mul_f32 v84, v26, v76 :: v_dual_lshlrev_b32 v11, 16, v11
	v_mul_f32_e32 v77, v26, v67
	s_delay_alu instid0(VALU_DEP_4)
	v_fmac_f32_e32 v69, v8, v16
	v_mul_f32_e32 v59, v81, v70
	v_mul_f32_e32 v83, v25, v73
	v_fmac_f32_e32 v84, v9, v13
	v_fmac_f32_e32 v77, v9, v21
	v_dual_mul_f32 v25, v25, v74 :: v_dual_add_f32 v62, v62, v69
	v_fmac_f32_e32 v59, v10, v20
	v_fmac_f32_e32 v83, v8, v12
	s_delay_alu instid0(VALU_DEP_4) | instskip(NEXT) | instid1(VALU_DEP_4)
	v_add_f32_e32 v27, v27, v77
	v_dual_fmac_f32 v25, v8, v4 :: v_dual_mul_f32 v8, v26, v82
	v_mul_f32_e32 v71, v24, v72
	v_mul_f32_e32 v69, v81, v22
	s_delay_alu instid0(VALU_DEP_3) | instskip(NEXT) | instid1(VALU_DEP_4)
	v_add_f32_e32 v25, v53, v25
	v_dual_fmac_f32 v8, v9, v5 :: v_dual_mul_f32 v77, v26, v75
	s_waitcnt lgkmcnt(2)
	v_dual_fmac_f32 v71, v11, v23 :: v_dual_and_b32 v26, 0xffff0000, v41
	s_delay_alu instid0(VALU_DEP_2) | instskip(NEXT) | instid1(VALU_DEP_3)
	v_dual_add_f32 v27, v27, v59 :: v_dual_add_f32 v8, v25, v8
	v_fmac_f32_e32 v77, v9, v17
	v_lshlrev_b32_e32 v25, 16, v42
	v_lshlrev_b32_e32 v9, 16, v41
	s_delay_alu instid0(VALU_DEP_4) | instskip(SKIP_3) | instid1(VALU_DEP_3)
	v_add_f32_e32 v59, v27, v71
	v_and_b32_e32 v71, 0xffff0000, v42
	v_dual_add_f32 v27, v62, v77 :: v_dual_mul_f32 v62, v81, v80
	v_mul_f32_e32 v41, v26, v64
	v_dual_fmac_f32 v69, v10, v18 :: v_dual_mul_f32 v42, v71, v67
	s_delay_alu instid0(VALU_DEP_3) | instskip(NEXT) | instid1(VALU_DEP_2)
	v_fmac_f32_e32 v62, v10, v14
	v_dual_fmac_f32 v42, v25, v21 :: v_dual_add_f32 v55, v55, v83
	s_delay_alu instid0(VALU_DEP_1) | instskip(NEXT) | instid1(VALU_DEP_1)
	v_add_f32_e32 v55, v55, v84
	v_add_f32_e32 v55, v55, v62
	v_mul_f32_e32 v62, v81, v66
	s_delay_alu instid0(VALU_DEP_1)
	v_fmac_f32_e32 v62, v10, v6
	s_waitcnt lgkmcnt(1)
	v_and_b32_e32 v10, 0xffff0000, v39
	v_lshlrev_b32_e32 v39, 16, v39
	v_fmac_f32_e32 v41, v9, v65
	v_mul_f32_e32 v53, v24, v79
	v_add_f32_e32 v8, v8, v62
	s_delay_alu instid0(VALU_DEP_3) | instskip(NEXT) | instid1(VALU_DEP_3)
	v_dual_add_f32 v41, v56, v41 :: v_dual_mul_f32 v56, v10, v70
	v_fmac_f32_e32 v53, v11, v15
	s_delay_alu instid0(VALU_DEP_2) | instskip(SKIP_4) | instid1(VALU_DEP_2)
	v_fmac_f32_e32 v56, v39, v20
	v_add_f32_e32 v27, v27, v69
	v_mul_f32_e32 v69, v24, v78
	v_mul_f32_e32 v24, v24, v29
	v_add_f32_e32 v55, v55, v53
	v_fmac_f32_e32 v24, v11, v7
	s_delay_alu instid0(VALU_DEP_1) | instskip(SKIP_3) | instid1(VALU_DEP_3)
	v_add_f32_e32 v53, v8, v24
	v_mul_f32_e32 v8, v26, v68
	v_and_b32_e32 v24, 0xffff0000, v40
	v_dual_fmac_f32 v69, v11, v19 :: v_dual_lshlrev_b32 v40, 16, v40
	v_fmac_f32_e32 v8, v9, v16
	s_delay_alu instid0(VALU_DEP_2)
	v_add_f32_e32 v62, v27, v69
	v_mul_f32_e32 v27, v26, v73
	v_mul_f32_e32 v26, v26, v74
	v_add_f32_e32 v11, v41, v42
	v_dual_mul_f32 v41, v71, v75 :: v_dual_mul_f32 v42, v24, v72
	v_add_f32_e32 v8, v52, v8
	v_dual_mul_f32 v52, v10, v22 :: v_dual_mul_f32 v69, v24, v79
	v_fmac_f32_e32 v26, v9, v4
	s_delay_alu instid0(VALU_DEP_4) | instskip(NEXT) | instid1(VALU_DEP_3)
	v_dual_fmac_f32 v42, v40, v23 :: v_dual_fmac_f32 v41, v25, v17
	v_dual_fmac_f32 v52, v39, v18 :: v_dual_fmac_f32 v69, v40, v15
	s_delay_alu instid0(VALU_DEP_3) | instskip(NEXT) | instid1(VALU_DEP_3)
	v_add_f32_e32 v26, v51, v26
	v_add_f32_e32 v8, v8, v41
	v_mul_f32_e32 v41, v24, v78
	v_mul_f32_e32 v24, v24, v29
	s_delay_alu instid0(VALU_DEP_3) | instskip(NEXT) | instid1(VALU_DEP_3)
	v_add_f32_e32 v8, v8, v52
	v_fmac_f32_e32 v41, v40, v19
	s_delay_alu instid0(VALU_DEP_3) | instskip(NEXT) | instid1(VALU_DEP_2)
	v_fmac_f32_e32 v24, v40, v7
	v_add_f32_e32 v52, v8, v41
	s_waitcnt lgkmcnt(0)
	v_and_b32_e32 v8, 0xffff0000, v0
	v_lshlrev_b32_e32 v0, 16, v0
	v_fmac_f32_e32 v27, v9, v12
	v_mul_f32_e32 v9, v71, v82
	v_add_f32_e32 v11, v11, v56
	s_delay_alu instid0(VALU_DEP_3) | instskip(NEXT) | instid1(VALU_DEP_3)
	v_dual_mul_f32 v56, v71, v76 :: v_dual_add_f32 v27, v54, v27
	v_dual_mul_f32 v54, v10, v80 :: v_dual_fmac_f32 v9, v25, v5
	v_mul_f32_e32 v10, v10, v66
	s_delay_alu instid0(VALU_DEP_3) | instskip(NEXT) | instid1(VALU_DEP_3)
	v_fmac_f32_e32 v56, v25, v13
	v_dual_fmac_f32 v54, v39, v14 :: v_dual_add_f32 v9, v26, v9
	s_delay_alu instid0(VALU_DEP_3) | instskip(SKIP_2) | instid1(VALU_DEP_3)
	v_fmac_f32_e32 v10, v39, v6
	v_and_b32_e32 v26, 0xffff0000, v3
	v_lshlrev_b32_e32 v3, 16, v3
	v_add_f32_e32 v9, v9, v10
	v_dual_add_f32 v27, v27, v56 :: v_dual_and_b32 v10, 0xffff0000, v2
	v_add_f32_e32 v56, v11, v42
	v_lshlrev_b32_e32 v2, 16, v2
	s_delay_alu instid0(VALU_DEP_3) | instskip(NEXT) | instid1(VALU_DEP_1)
	v_add_f32_e32 v27, v27, v54
	v_add_f32_e32 v54, v27, v69
	v_and_b32_e32 v27, 0xffff0000, v1
	v_lshlrev_b32_e32 v1, 16, v1
	v_mul_f32_e32 v11, v8, v64
	s_delay_alu instid0(VALU_DEP_3) | instskip(NEXT) | instid1(VALU_DEP_1)
	v_mul_f32_e32 v25, v27, v67
	v_fmac_f32_e32 v25, v1, v21
	v_mul_f32_e32 v21, v8, v68
	s_delay_alu instid0(VALU_DEP_1) | instskip(SKIP_1) | instid1(VALU_DEP_2)
	v_dual_fmac_f32 v21, v0, v16 :: v_dual_mul_f32 v16, v27, v75
	v_fmac_f32_e32 v11, v0, v65
	v_dual_fmac_f32 v16, v1, v17 :: v_dual_mul_f32 v17, v10, v22
	s_delay_alu instid0(VALU_DEP_1) | instskip(SKIP_1) | instid1(VALU_DEP_2)
	v_dual_fmac_f32 v17, v2, v18 :: v_dual_mul_f32 v18, v8, v73
	v_mul_f32_e32 v8, v8, v74
	v_fmac_f32_e32 v18, v0, v12
	s_delay_alu instid0(VALU_DEP_2) | instskip(NEXT) | instid1(VALU_DEP_2)
	v_fmac_f32_e32 v8, v0, v4
	v_add_f32_e32 v4, v48, v18
	s_delay_alu instid0(VALU_DEP_2) | instskip(SKIP_1) | instid1(VALU_DEP_2)
	v_dual_add_f32 v8, v47, v8 :: v_dual_add_f32 v21, v49, v21
	v_add_f32_e32 v51, v9, v24
	v_dual_add_f32 v16, v21, v16 :: v_dual_add_f32 v11, v50, v11
	s_delay_alu instid0(VALU_DEP_1) | instskip(NEXT) | instid1(VALU_DEP_2)
	v_add_f32_e32 v16, v16, v17
	v_add_f32_e32 v11, v11, v25
	v_mul_f32_e32 v25, v10, v70
	s_delay_alu instid0(VALU_DEP_1) | instskip(SKIP_1) | instid1(VALU_DEP_1)
	v_fmac_f32_e32 v25, v2, v20
	v_mul_f32_e32 v20, v26, v72
	v_fmac_f32_e32 v20, v3, v23
	v_mul_f32_e32 v12, v27, v76
	v_mul_f32_e32 v0, v27, v82
	s_delay_alu instid0(VALU_DEP_2) | instskip(NEXT) | instid1(VALU_DEP_2)
	v_fmac_f32_e32 v12, v1, v13
	v_dual_fmac_f32 v0, v1, v5 :: v_dual_mul_f32 v1, v10, v66
	v_mul_f32_e32 v13, v10, v80
	s_delay_alu instid0(VALU_DEP_3) | instskip(NEXT) | instid1(VALU_DEP_3)
	v_dual_mul_f32 v5, v26, v79 :: v_dual_add_f32 v4, v4, v12
	v_dual_add_f32 v0, v8, v0 :: v_dual_fmac_f32 v1, v2, v6
	s_delay_alu instid0(VALU_DEP_3) | instskip(NEXT) | instid1(VALU_DEP_3)
	v_fmac_f32_e32 v13, v2, v14
	v_dual_mul_f32 v2, v26, v29 :: v_dual_fmac_f32 v5, v3, v15
	s_delay_alu instid0(VALU_DEP_3) | instskip(SKIP_1) | instid1(VALU_DEP_4)
	v_add_f32_e32 v0, v0, v1
	v_add_f32_e32 v11, v11, v25
	v_dual_mul_f32 v17, v26, v78 :: v_dual_add_f32 v4, v4, v13
	s_delay_alu instid0(VALU_DEP_4) | instskip(NEXT) | instid1(VALU_DEP_3)
	v_fmac_f32_e32 v2, v3, v7
	v_add_f32_e32 v50, v11, v20
	s_delay_alu instid0(VALU_DEP_3) | instskip(NEXT) | instid1(VALU_DEP_3)
	v_dual_fmac_f32 v17, v3, v19 :: v_dual_add_f32 v48, v4, v5
	v_add_f32_e32 v47, v0, v2
	s_delay_alu instid0(VALU_DEP_2)
	v_add_f32_e32 v49, v16, v17
	s_cbranch_scc1 .LBB272_13
.LBB272_11:                             ;   Parent Loop BB272_8 Depth=1
                                        ; =>  This Inner Loop Header: Depth=2
	v_add_nc_u32_e32 v8, s23, v43
	v_dual_mov_b32 v40, 0 :: v_dual_mov_b32 v41, 0
	v_dual_mov_b32 v42, 0 :: v_dual_mov_b32 v11, 0
	s_delay_alu instid0(VALU_DEP_3) | instskip(SKIP_2) | instid1(VALU_DEP_3)
	v_min_u32_e32 v29, s18, v8
	v_dual_mov_b32 v10, 0 :: v_dual_mov_b32 v9, 0
	v_dual_mov_b32 v26, 0 :: v_dual_mov_b32 v25, 0
	v_lshlrev_b64 v[0:1], 1, v[29:30]
	v_dual_mov_b32 v24, 0 :: v_dual_mov_b32 v39, 0
	v_mov_b32_e32 v27, 0
	s_waitcnt lgkmcnt(0)
	s_delay_alu instid0(VALU_DEP_3) | instskip(NEXT) | instid1(VALU_DEP_4)
	v_add_co_u32 v6, vcc_lo, s2, v0
	v_add_co_ci_u32_e32 v7, vcc_lo, s3, v1, vcc_lo
	s_delay_alu instid0(VALU_DEP_2) | instskip(NEXT) | instid1(VALU_DEP_2)
	v_add_co_u32 v0, vcc_lo, v6, v31
	v_add_co_ci_u32_e32 v1, vcc_lo, v7, v32, vcc_lo
	v_add_co_u32 v2, vcc_lo, v6, v33
	v_add_co_ci_u32_e32 v3, vcc_lo, v7, v34, vcc_lo
	;; [unrolled: 2-line block ×4, first 2 shown]
	s_clause 0x3
	global_load_b128 v[20:23], v[0:1], off slc dlc
	global_load_b128 v[16:19], v[2:3], off slc dlc
	;; [unrolled: 1-line block ×4, first 2 shown]
	v_mov_b32_e32 v3, 0
	v_cmp_gt_u32_e32 vcc_lo, s4, v8
	v_dual_mov_b32 v2, 0 :: v_dual_mov_b32 v1, 0
	v_mov_b32_e32 v0, 0
	v_mov_b32_e32 v8, 0
	s_and_saveexec_b32 s24, vcc_lo
	s_cbranch_execz .LBB272_10
; %bb.12:                               ;   in Loop: Header=BB272_11 Depth=2
	v_add_nc_u32_e32 v0, s6, v63
	v_add_nc_u32_e32 v1, s14, v63
	;; [unrolled: 1-line block ×3, first 2 shown]
	ds_load_b128 v[24:27], v63
	ds_load_b128 v[8:11], v0
	ds_load_2addr_b32 v[41:42], v1 offset1:1
	ds_load_2addr_b32 v[39:40], v1 offset0:2 offset1:3
	ds_load_b128 v[0:3], v2
	s_branch .LBB272_10
.LBB272_13:                             ;   in Loop: Header=BB272_8 Depth=1
	; sched_barrier mask(0x00000000)
	s_delay_alu instid0(VALU_DEP_1)
	v_cvt_i32_f32_e32 v0, v57
	s_waitcnt lgkmcnt(0)
	v_cvt_i32_f32_e32 v1, v61
	v_cvt_i32_f32_e32 v2, v58
	;; [unrolled: 1-line block ×4, first 2 shown]
	v_cvt_f32_i32_dpp v0, v0 row_shr:8 row_mask:0xf bank_mask:0xf bound_ctrl:1
	v_cvt_f32_i32_dpp v1, v1 row_shr:8 row_mask:0xf bank_mask:0xf bound_ctrl:1
	v_cvt_f32_i32_dpp v2, v2 row_shr:8 row_mask:0xf bank_mask:0xf bound_ctrl:1
	v_cvt_f32_i32_dpp v3, v3 row_shr:8 row_mask:0xf bank_mask:0xf bound_ctrl:1
	v_cvt_i32_f32_e32 v5, v62
	v_add_f32_e32 v0, v57, v0
	v_cvt_f32_i32_dpp v4, v4 row_shr:8 row_mask:0xf bank_mask:0xf bound_ctrl:1
	v_dual_add_f32 v1, v61, v1 :: v_dual_add_f32 v2, v58, v2
	v_add_f32_e32 v3, v60, v3
	s_delay_alu instid0(VALU_DEP_4)
	v_cvt_i32_f32_e32 v6, v0
	v_cvt_f32_i32_dpp v5, v5 row_shr:8 row_mask:0xf bank_mask:0xf bound_ctrl:1
	v_add_f32_e32 v4, v59, v4
	v_cvt_i32_f32_e32 v7, v1
	v_cvt_i32_f32_e32 v8, v2
	v_cvt_f32_i32_dpp v6, v6 row_shr:4 row_mask:0xf bank_mask:0xf bound_ctrl:1
	v_add_f32_e32 v5, v62, v5
	v_cvt_i32_f32_e32 v9, v3
	v_cvt_i32_f32_e32 v10, v4
	s_delay_alu instid0(VALU_DEP_4)
	v_add_f32_e32 v0, v0, v6
	v_cvt_f32_i32_dpp v6, v7 row_shr:4 row_mask:0xf bank_mask:0xf bound_ctrl:1
	v_cvt_f32_i32_dpp v7, v8 row_shr:4 row_mask:0xf bank_mask:0xf bound_ctrl:1
	;; [unrolled: 1-line block ×3, first 2 shown]
	v_cvt_i32_f32_e32 v11, v5
	v_cvt_f32_i32_dpp v9, v10 row_shr:4 row_mask:0xf bank_mask:0xf bound_ctrl:1
	s_delay_alu instid0(VALU_DEP_4) | instskip(NEXT) | instid1(VALU_DEP_4)
	v_dual_add_f32 v1, v1, v6 :: v_dual_add_f32 v2, v2, v7
	v_add_f32_e32 v3, v3, v8
	v_cvt_i32_f32_e32 v10, v0
	v_cvt_f32_i32_dpp v11, v11 row_shr:4 row_mask:0xf bank_mask:0xf bound_ctrl:1
	s_delay_alu instid0(VALU_DEP_4)
	v_cvt_i32_f32_e32 v7, v1
	v_add_f32_e32 v4, v4, v9
	v_cvt_i32_f32_e32 v8, v2
	v_cvt_f32_i32_dpp v6, v10 row_shr:2 row_mask:0xf bank_mask:0xf bound_ctrl:1
	v_add_f32_e32 v5, v5, v11
	v_cvt_f32_i32_dpp v7, v7 row_shr:2 row_mask:0xf bank_mask:0xf bound_ctrl:1
	v_cvt_i32_f32_e32 v9, v4
	v_cvt_f32_i32_dpp v8, v8 row_shr:2 row_mask:0xf bank_mask:0xf bound_ctrl:1
	v_add_f32_e32 v0, v0, v6
	v_cvt_i32_f32_e32 v6, v3
	v_add_f32_e32 v1, v1, v7
	v_cvt_i32_f32_e32 v10, v5
	v_cvt_f32_i32_dpp v9, v9 row_shr:2 row_mask:0xf bank_mask:0xf bound_ctrl:1
	v_cvt_i32_f32_e32 v11, v0
	v_cvt_f32_i32_dpp v6, v6 row_shr:2 row_mask:0xf bank_mask:0xf bound_ctrl:1
	v_add_f32_e32 v2, v2, v8
	v_cvt_f32_i32_dpp v10, v10 row_shr:2 row_mask:0xf bank_mask:0xf bound_ctrl:1
	v_add_f32_e32 v4, v4, v9
	;; [unrolled: 2-line block ×3, first 2 shown]
	v_cvt_i32_f32_e32 v6, v2
	v_add_f32_e32 v5, v5, v10
	v_cvt_i32_f32_e32 v8, v4
	v_add_f32_e32 v37, v0, v11
	v_cvt_i32_f32_e32 v7, v3
	v_cvt_f32_i32_dpp v6, v6 row_shr:1 row_mask:0xf bank_mask:0xf bound_ctrl:1
	v_cvt_i32_f32_e32 v9, v5
	v_cvt_f32_i32_dpp v8, v8 row_shr:1 row_mask:0xf bank_mask:0xf bound_ctrl:1
	;; [unrolled: 2-line block ×3, first 2 shown]
	v_add_f32_e32 v34, v2, v6
	v_cvt_f32_i32_dpp v9, v9 row_shr:1 row_mask:0xf bank_mask:0xf bound_ctrl:1
	v_cvt_i32_f32_e32 v2, v55
	v_add_f32_e32 v23, v4, v8
	v_add_f32_e32 v31, v3, v7
	v_cvt_i32_f32_e32 v3, v53
	v_add_f32_e32 v18, v5, v9
	v_cvt_i32_f32_e32 v5, v52
	v_cvt_f32_i32_dpp v2, v2 row_shr:8 row_mask:0xf bank_mask:0xf bound_ctrl:1
	v_cvt_i32_f32_e32 v6, v54
	v_cvt_f32_i32_dpp v3, v3 row_shr:8 row_mask:0xf bank_mask:0xf bound_ctrl:1
	v_cvt_i32_f32_e32 v4, v56
	v_cvt_f32_i32_dpp v5, v5 row_shr:8 row_mask:0xf bank_mask:0xf bound_ctrl:1
	v_add_f32_e32 v2, v55, v2
	v_cvt_f32_i32_dpp v6, v6 row_shr:8 row_mask:0xf bank_mask:0xf bound_ctrl:1
	v_add_f32_e32 v3, v53, v3
	v_cvt_f32_i32_dpp v4, v4 row_shr:8 row_mask:0xf bank_mask:0xf bound_ctrl:1
	v_add_f32_e32 v5, v52, v5
	v_cvt_i32_f32_e32 v7, v2
	v_add_f32_e32 v6, v54, v6
	v_cvt_i32_f32_e32 v8, v3
	v_cvt_f32_i32_dpp v0, v0 row_shr:1 row_mask:0xf bank_mask:0xf bound_ctrl:1
	v_cvt_i32_f32_e32 v10, v5
	v_cvt_f32_i32_dpp v7, v7 row_shr:4 row_mask:0xf bank_mask:0xf bound_ctrl:1
	;; [unrolled: 2-line block ×3, first 2 shown]
	v_add_f32_e32 v0, v1, v0
	v_cvt_f32_i32_dpp v10, v10 row_shr:4 row_mask:0xf bank_mask:0xf bound_ctrl:1
	v_add_f32_e32 v4, v56, v4
	s_delay_alu instid0(VALU_DEP_4) | instskip(SKIP_1) | instid1(VALU_DEP_4)
	v_dual_add_f32 v2, v2, v7 :: v_dual_add_f32 v3, v3, v8
	v_cvt_f32_i32_dpp v11, v11 row_shr:4 row_mask:0xf bank_mask:0xf bound_ctrl:1
	v_add_f32_e32 v5, v5, v10
	s_delay_alu instid0(VALU_DEP_4) | instskip(NEXT) | instid1(VALU_DEP_4)
	v_cvt_i32_f32_e32 v9, v4
	v_cvt_i32_f32_e32 v7, v2
	;; [unrolled: 1-line block ×3, first 2 shown]
	ds_bpermute_b32 v38, v45, v37
	v_cvt_i32_f32_e32 v10, v5
	v_cvt_f32_i32_dpp v9, v9 row_shr:4 row_mask:0xf bank_mask:0xf bound_ctrl:1
	v_cvt_f32_i32_dpp v7, v7 row_shr:2 row_mask:0xf bank_mask:0xf bound_ctrl:1
	;; [unrolled: 1-line block ×3, first 2 shown]
	ds_bpermute_b32 v1, v45, v0
	v_cvt_f32_i32_dpp v10, v10 row_shr:2 row_mask:0xf bank_mask:0xf bound_ctrl:1
	v_add_f32_e32 v4, v4, v9
	v_dual_add_f32 v6, v6, v11 :: v_dual_add_f32 v3, v3, v8
	ds_bpermute_b32 v35, v45, v34
	v_add_f32_e32 v5, v5, v10
	v_cvt_i32_f32_e32 v9, v4
	v_cvt_i32_f32_e32 v11, v6
	;; [unrolled: 1-line block ×3, first 2 shown]
	ds_bpermute_b32 v32, v45, v31
	v_cvt_i32_f32_e32 v10, v5
	v_cvt_f32_i32_dpp v9, v9 row_shr:2 row_mask:0xf bank_mask:0xf bound_ctrl:1
	v_cvt_f32_i32_dpp v11, v11 row_shr:2 row_mask:0xf bank_mask:0xf bound_ctrl:1
	;; [unrolled: 1-line block ×3, first 2 shown]
	ds_bpermute_b32 v24, v45, v23
	v_cvt_f32_i32_dpp v10, v10 row_shr:1 row_mask:0xf bank_mask:0xf bound_ctrl:1
	ds_bpermute_b32 v19, v45, v18
	v_add_f32_e32 v20, v3, v8
	v_cvt_i32_f32_e32 v3, v50
	v_add_f32_e32 v12, v5, v10
	v_cvt_i32_f32_e32 v5, v48
	s_delay_alu instid0(VALU_DEP_3) | instskip(NEXT) | instid1(VALU_DEP_2)
	v_cvt_f32_i32_dpp v3, v3 row_shr:8 row_mask:0xf bank_mask:0xf bound_ctrl:1
	v_cvt_f32_i32_dpp v5, v5 row_shr:8 row_mask:0xf bank_mask:0xf bound_ctrl:1
	v_add_f32_e32 v2, v2, v7
	s_delay_alu instid0(VALU_DEP_3) | instskip(SKIP_4) | instid1(VALU_DEP_3)
	v_add_f32_e32 v3, v50, v3
	ds_bpermute_b32 v22, v45, v20
	v_add_f32_e32 v5, v48, v5
	v_cvt_i32_f32_e32 v7, v2
	v_cvt_i32_f32_e32 v10, v3
	;; [unrolled: 1-line block ×3, first 2 shown]
	s_delay_alu instid0(VALU_DEP_3) | instskip(SKIP_1) | instid1(VALU_DEP_4)
	v_cvt_f32_i32_dpp v7, v7 row_shr:1 row_mask:0xf bank_mask:0xf bound_ctrl:1
	v_add_f32_e32 v4, v4, v9
	v_cvt_f32_i32_dpp v10, v10 row_shr:4 row_mask:0xf bank_mask:0xf bound_ctrl:1
	v_add_f32_e32 v6, v6, v11
	;; [unrolled: 2-line block ×3, first 2 shown]
	v_cvt_i32_f32_e32 v9, v4
	v_add_f32_e32 v3, v3, v10
	v_cvt_i32_f32_e32 v11, v6
	v_cvt_i32_f32_e32 v2, v51
	v_add_f32_e32 v5, v5, v14
	v_cvt_f32_i32_dpp v9, v9 row_shr:1 row_mask:0xf bank_mask:0xf bound_ctrl:1
	v_cvt_i32_f32_e32 v10, v3
	v_cvt_f32_i32_dpp v11, v11 row_shr:1 row_mask:0xf bank_mask:0xf bound_ctrl:1
	v_cvt_f32_i32_dpp v2, v2 row_shr:8 row_mask:0xf bank_mask:0xf bound_ctrl:1
	v_cvt_i32_f32_e32 v14, v5
	v_add_f32_e32 v16, v4, v9
	v_cvt_i32_f32_e32 v4, v49
	v_cvt_f32_i32_dpp v10, v10 row_shr:2 row_mask:0xf bank_mask:0xf bound_ctrl:1
	v_add_f32_e32 v8, v6, v11
	v_cvt_i32_f32_e32 v6, v47
	v_add_f32_e32 v2, v51, v2
	v_cvt_f32_i32_dpp v4, v4 row_shr:8 row_mask:0xf bank_mask:0xf bound_ctrl:1
	v_add_f32_e32 v3, v3, v10
	v_cvt_f32_i32_dpp v14, v14 row_shr:2 row_mask:0xf bank_mask:0xf bound_ctrl:1
	v_cvt_f32_i32_dpp v6, v6 row_shr:8 row_mask:0xf bank_mask:0xf bound_ctrl:1
	v_cvt_i32_f32_e32 v7, v2
	v_add_f32_e32 v4, v49, v4
	v_cvt_i32_f32_e32 v10, v3
	v_add_f32_e32 v5, v5, v14
	v_add_f32_e32 v6, v47, v6
	v_cvt_f32_i32_dpp v7, v7 row_shr:4 row_mask:0xf bank_mask:0xf bound_ctrl:1
	v_cvt_i32_f32_e32 v11, v4
	v_cvt_f32_i32_dpp v10, v10 row_shr:1 row_mask:0xf bank_mask:0xf bound_ctrl:1
	v_cvt_i32_f32_e32 v14, v5
	v_cvt_i32_f32_e32 v15, v6
	v_add_f32_e32 v2, v2, v7
	v_cvt_f32_i32_dpp v11, v11 row_shr:4 row_mask:0xf bank_mask:0xf bound_ctrl:1
	v_add_f32_e32 v10, v3, v10
	v_cvt_f32_i32_dpp v21, v14 row_shr:1 row_mask:0xf bank_mask:0xf bound_ctrl:1
	v_cvt_f32_i32_dpp v15, v15 row_shr:4 row_mask:0xf bank_mask:0xf bound_ctrl:1
	v_cvt_i32_f32_e32 v7, v2
	v_add_f32_e32 v4, v4, v11
	ds_bpermute_b32 v27, v45, v25
	ds_bpermute_b32 v17, v45, v16
	v_add_f32_e32 v6, v6, v15
	v_cvt_f32_i32_dpp v7, v7 row_shr:2 row_mask:0xf bank_mask:0xf bound_ctrl:1
	v_cvt_i32_f32_e32 v11, v4
	ds_bpermute_b32 v9, v45, v8
	v_cvt_i32_f32_e32 v15, v6
	v_add_f32_e32 v2, v2, v7
	v_cvt_f32_i32_dpp v11, v11 row_shr:2 row_mask:0xf bank_mask:0xf bound_ctrl:1
	s_delay_alu instid0(VALU_DEP_3) | instskip(NEXT) | instid1(VALU_DEP_2)
	v_cvt_f32_i32_dpp v15, v15 row_shr:2 row_mask:0xf bank_mask:0xf bound_ctrl:1
	v_add_f32_e32 v4, v4, v11
	s_delay_alu instid0(VALU_DEP_2) | instskip(SKIP_1) | instid1(VALU_DEP_3)
	v_add_f32_e32 v7, v6, v15
	v_cvt_i32_f32_e32 v6, v2
	v_cvt_i32_f32_e32 v11, v4
	ds_bpermute_b32 v13, v45, v12
	v_cvt_i32_f32_e32 v15, v7
	v_cvt_f32_i32_dpp v6, v6 row_shr:1 row_mask:0xf bank_mask:0xf bound_ctrl:1
	v_cvt_f32_i32_dpp v11, v11 row_shr:1 row_mask:0xf bank_mask:0xf bound_ctrl:1
	s_delay_alu instid0(VALU_DEP_3) | instskip(NEXT) | instid1(VALU_DEP_3)
	v_cvt_f32_i32_dpp v15, v15 row_shr:1 row_mask:0xf bank_mask:0xf bound_ctrl:1
	v_add_f32_e32 v14, v2, v6
	s_delay_alu instid0(VALU_DEP_3)
	v_add_f32_e32 v6, v4, v11
	v_add_f32_e32 v4, v5, v21
	ds_bpermute_b32 v11, v45, v10
	v_add_f32_e32 v2, v7, v15
	ds_bpermute_b32 v15, v45, v14
	ds_bpermute_b32 v7, v45, v6
	;; [unrolled: 1-line block ×4, first 2 shown]
	s_and_saveexec_b32 s23, s0
	s_cbranch_execz .LBB272_7
; %bb.14:                               ;   in Loop: Header=BB272_8 Depth=1
	v_dual_mov_b32 v54, 0 :: v_dual_mov_b32 v53, 0
	v_dual_mov_b32 v52, 0 :: v_dual_mov_b32 v51, 0
	;; [unrolled: 1-line block ×8, first 2 shown]
	s_and_not1_b32 vcc_lo, exec_lo, s20
	s_cbranch_vccnz .LBB272_16
; %bb.15:                               ;   in Loop: Header=BB272_8 Depth=1
	v_mul_hi_u32 v21, v28, v46
	v_or_b32_e32 v26, 1, v28
	v_or_b32_e32 v29, 2, v28
	;; [unrolled: 1-line block ×3, first 2 shown]
	v_mov_b32_e32 v58, v30
	v_mov_b32_e32 v62, v30
	v_mul_hi_u32 v36, v26, v46
	v_mul_hi_u32 v39, v29, v46
	v_mul_lo_u32 v21, v21, s8
	v_mul_hi_u32 v40, v33, v46
	v_mov_b32_e32 v70, v30
	v_mul_lo_u32 v36, v36, s8
	v_mul_lo_u32 v39, v39, s8
	v_sub_nc_u32_e32 v21, v28, v21
	v_mul_lo_u32 v41, v40, s8
	s_delay_alu instid0(VALU_DEP_2)
	v_subrev_nc_u32_e32 v47, s8, v21
	v_sub_nc_u32_e32 v26, v26, v36
	v_cmp_le_u32_e32 vcc_lo, s8, v21
	v_mov_b32_e32 v40, v30
	v_sub_nc_u32_e32 v29, v29, v39
	v_sub_nc_u32_e32 v33, v33, v41
	v_subrev_nc_u32_e32 v36, s8, v26
	v_cndmask_b32_e32 v21, v21, v47, vcc_lo
	v_cmp_le_u32_e32 vcc_lo, s8, v26
	v_subrev_nc_u32_e32 v39, s8, v29
	v_subrev_nc_u32_e32 v41, s8, v33
	s_delay_alu instid0(VALU_DEP_4)
	v_subrev_nc_u32_e32 v47, s8, v21
	v_cndmask_b32_e32 v26, v26, v36, vcc_lo
	v_cmp_le_u32_e32 vcc_lo, s8, v29
	v_cndmask_b32_e32 v36, v29, v39, vcc_lo
	v_cmp_le_u32_e32 vcc_lo, s8, v33
	v_mov_b32_e32 v42, v30
	v_subrev_nc_u32_e32 v39, s8, v26
	v_cndmask_b32_e32 v33, v33, v41, vcc_lo
	v_cmp_le_u32_e32 vcc_lo, s8, v21
	v_dual_mov_b32 v48, v30 :: v_dual_cndmask_b32 v29, v21, v47
	v_cmp_le_u32_e32 vcc_lo, s8, v26
	s_delay_alu instid0(VALU_DEP_4) | instskip(NEXT) | instid1(VALU_DEP_3)
	v_subrev_nc_u32_e32 v47, s8, v33
	v_add_nc_u32_e32 v57, s17, v29
	v_subrev_nc_u32_e32 v21, s8, v36
	v_cndmask_b32_e32 v39, v26, v39, vcc_lo
	v_cmp_le_u32_e32 vcc_lo, s8, v36
	v_lshlrev_b64 v[49:50], 1, v[29:30]
	s_delay_alu instid0(VALU_DEP_3) | instskip(SKIP_3) | instid1(VALU_DEP_3)
	v_lshlrev_b64 v[51:52], 1, v[39:40]
	v_cndmask_b32_e32 v41, v36, v21, vcc_lo
	v_cmp_le_u32_e32 vcc_lo, s8, v33
	v_add_nc_u32_e32 v69, s21, v39
	v_lshlrev_b64 v[53:54], 1, v[41:42]
	v_cndmask_b32_e32 v47, v33, v47, vcc_lo
	v_add_co_u32 v49, vcc_lo, s10, v49
	v_add_co_ci_u32_e32 v50, vcc_lo, s11, v50, vcc_lo
	v_add_co_u32 v51, vcc_lo, s10, v51
	v_add_co_ci_u32_e32 v52, vcc_lo, s11, v52, vcc_lo
	v_lshlrev_b64 v[55:56], 1, v[47:48]
	v_add_co_u32 v59, vcc_lo, s10, v53
	v_add_co_ci_u32_e32 v60, vcc_lo, s11, v54, vcc_lo
	v_lshlrev_b64 v[53:54], 1, v[57:58]
	v_add_nc_u32_e32 v57, s17, v39
	v_add_co_u32 v55, vcc_lo, s10, v55
	v_add_nc_u32_e32 v61, s17, v41
	v_add_co_ci_u32_e32 v56, vcc_lo, s11, v56, vcc_lo
	s_delay_alu instid0(VALU_DEP_4)
	v_lshlrev_b64 v[57:58], 1, v[57:58]
	v_add_co_u32 v63, vcc_lo, s10, v53
	v_add_co_ci_u32_e32 v64, vcc_lo, s11, v54, vcc_lo
	v_lshlrev_b64 v[53:54], 1, v[61:62]
	v_add_nc_u32_e32 v61, s17, v47
	v_add_co_u32 v57, vcc_lo, s10, v57
	v_add_co_ci_u32_e32 v58, vcc_lo, s11, v58, vcc_lo
	s_delay_alu instid0(VALU_DEP_3) | instskip(SKIP_3) | instid1(VALU_DEP_4)
	v_lshlrev_b64 v[61:62], 1, v[61:62]
	v_add_co_u32 v65, vcc_lo, s10, v53
	v_add_co_ci_u32_e32 v66, vcc_lo, s11, v54, vcc_lo
	v_dual_mov_b32 v54, v30 :: v_dual_add_nc_u32 v53, s21, v29
	v_add_co_u32 v61, vcc_lo, s10, v61
	v_add_co_ci_u32_e32 v62, vcc_lo, s11, v62, vcc_lo
	s_delay_alu instid0(VALU_DEP_3)
	v_lshlrev_b64 v[67:68], 1, v[53:54]
	s_clause 0x7
	global_load_u16 v54, v[49:50], off
	global_load_u16 v53, v[51:52], off
	;; [unrolled: 1-line block ×8, first 2 shown]
	v_dual_mov_b32 v58, v30 :: v_dual_add_nc_u32 v57, s21, v41
	v_mov_b32_e32 v62, v30
	v_lshlrev_b64 v[55:56], 1, v[69:70]
	v_add_nc_u32_e32 v29, s22, v29
	v_add_nc_u32_e32 v61, s21, v47
	v_add_co_u32 v59, vcc_lo, s10, v67
	v_lshlrev_b64 v[57:58], 1, v[57:58]
	v_add_co_ci_u32_e32 v60, vcc_lo, s11, v68, vcc_lo
	v_lshlrev_b64 v[63:64], 1, v[29:30]
	v_add_nc_u32_e32 v29, s22, v39
	v_add_co_u32 v55, vcc_lo, s10, v55
	v_lshlrev_b64 v[61:62], 1, v[61:62]
	v_add_co_ci_u32_e32 v56, vcc_lo, s11, v56, vcc_lo
	v_add_co_u32 v57, vcc_lo, s10, v57
	v_lshlrev_b64 v[39:40], 1, v[29:30]
	v_add_nc_u32_e32 v29, s22, v41
	v_add_co_ci_u32_e32 v58, vcc_lo, s11, v58, vcc_lo
	v_add_co_u32 v61, vcc_lo, s10, v61
	v_add_co_ci_u32_e32 v62, vcc_lo, s11, v62, vcc_lo
	v_add_co_u32 v63, vcc_lo, s10, v63
	v_lshlrev_b64 v[65:66], 1, v[29:30]
	v_add_nc_u32_e32 v29, s22, v47
	v_add_co_ci_u32_e32 v64, vcc_lo, s11, v64, vcc_lo
	v_add_co_u32 v67, vcc_lo, s10, v39
	v_add_co_ci_u32_e32 v68, vcc_lo, s11, v40, vcc_lo
	s_delay_alu instid0(VALU_DEP_4) | instskip(SKIP_2) | instid1(VALU_DEP_3)
	v_lshlrev_b64 v[39:40], 1, v[29:30]
	v_add_co_u32 v65, vcc_lo, s10, v65
	v_add_co_ci_u32_e32 v66, vcc_lo, s11, v66, vcc_lo
	v_add_co_u32 v69, vcc_lo, s10, v39
	s_delay_alu instid0(VALU_DEP_4)
	v_add_co_ci_u32_e32 v70, vcc_lo, s11, v40, vcc_lo
	s_clause 0x7
	global_load_u16 v47, v[59:60], off
	global_load_u16 v41, v[55:56], off
	;; [unrolled: 1-line block ×8, first 2 shown]
.LBB272_16:                             ;   in Loop: Header=BB272_8 Depth=1
	s_waitcnt lgkmcnt(0)
	v_add_f32_e32 v29, v37, v38
	s_waitcnt vmcnt(15)
	v_lshlrev_b32_e32 v37, 16, v54
	s_delay_alu instid0(VALU_DEP_1) | instskip(NEXT) | instid1(VALU_DEP_1)
	v_add_f32_e32 v29, v29, v37
	v_and_b32_e32 v37, 0x7f800000, v29
	s_delay_alu instid0(VALU_DEP_1) | instskip(SKIP_1) | instid1(SALU_CYCLE_1)
	v_cmp_ne_u32_e32 vcc_lo, 0x7f800000, v37
                                        ; implicit-def: $vgpr37
	s_and_saveexec_b32 s24, vcc_lo
	s_xor_b32 s24, exec_lo, s24
; %bb.17:                               ;   in Loop: Header=BB272_8 Depth=1
	v_bfe_u32 v37, v29, 16, 1
	s_delay_alu instid0(VALU_DEP_1)
	v_add3_u32 v37, v29, v37, 0x7fff
                                        ; implicit-def: $vgpr29
; %bb.18:                               ;   in Loop: Header=BB272_8 Depth=1
	s_and_not1_saveexec_b32 s24, s24
; %bb.19:                               ;   in Loop: Header=BB272_8 Depth=1
	v_and_b32_e32 v37, 0xffff, v29
	v_or_b32_e32 v38, 0x10000, v29
	s_delay_alu instid0(VALU_DEP_2) | instskip(NEXT) | instid1(VALU_DEP_2)
	v_cmp_eq_u32_e32 vcc_lo, 0, v37
	v_cndmask_b32_e32 v37, v38, v29, vcc_lo
; %bb.20:                               ;   in Loop: Header=BB272_8 Depth=1
	s_or_b32 exec_lo, exec_lo, s24
	v_dual_add_f32 v0, v0, v1 :: v_dual_mov_b32 v29, v30
	s_waitcnt vmcnt(14)
	v_lshlrev_b32_e32 v1, 16, v53
	s_delay_alu instid0(VALU_DEP_1) | instskip(NEXT) | instid1(VALU_DEP_3)
	v_add_f32_e32 v38, v0, v1
	v_lshlrev_b64 v[0:1], 1, v[28:29]
	s_delay_alu instid0(VALU_DEP_2) | instskip(NEXT) | instid1(VALU_DEP_2)
	v_and_b32_e32 v29, 0x7f800000, v38
	v_add_co_u32 v0, vcc_lo, s12, v0
	s_delay_alu instid0(VALU_DEP_3) | instskip(NEXT) | instid1(VALU_DEP_3)
	v_add_co_ci_u32_e32 v1, vcc_lo, s13, v1, vcc_lo
	v_cmp_ne_u32_e32 vcc_lo, 0x7f800000, v29
                                        ; implicit-def: $vgpr29
	global_store_d16_hi_b16 v[0:1], v37, off
	s_and_saveexec_b32 s24, vcc_lo
	s_delay_alu instid0(SALU_CYCLE_1)
	s_xor_b32 s24, exec_lo, s24
; %bb.21:                               ;   in Loop: Header=BB272_8 Depth=1
	v_bfe_u32 v29, v38, 16, 1
	s_delay_alu instid0(VALU_DEP_1)
	v_add3_u32 v29, v38, v29, 0x7fff
                                        ; implicit-def: $vgpr38
; %bb.22:                               ;   in Loop: Header=BB272_8 Depth=1
	s_and_not1_saveexec_b32 s24, s24
; %bb.23:                               ;   in Loop: Header=BB272_8 Depth=1
	v_and_b32_e32 v29, 0xffff, v38
	v_or_b32_e32 v37, 0x10000, v38
	s_delay_alu instid0(VALU_DEP_2) | instskip(NEXT) | instid1(VALU_DEP_2)
	v_cmp_eq_u32_e32 vcc_lo, 0, v29
	v_cndmask_b32_e32 v29, v37, v38, vcc_lo
; %bb.24:                               ;   in Loop: Header=BB272_8 Depth=1
	s_or_b32 exec_lo, exec_lo, s24
	s_waitcnt vmcnt(13)
	v_dual_add_f32 v34, v34, v35 :: v_dual_lshlrev_b32 v35, 16, v52
	s_mov_b32 s24, exec_lo
	global_store_d16_hi_b16 v[0:1], v29, off offset:2
                                        ; implicit-def: $vgpr29
	v_add_f32_e32 v34, v34, v35
	s_delay_alu instid0(VALU_DEP_1) | instskip(NEXT) | instid1(VALU_DEP_1)
	v_and_b32_e32 v35, 0x7f800000, v34
	v_cmpx_ne_u32_e32 0x7f800000, v35
	s_xor_b32 s24, exec_lo, s24
; %bb.25:                               ;   in Loop: Header=BB272_8 Depth=1
	v_bfe_u32 v29, v34, 16, 1
	s_delay_alu instid0(VALU_DEP_1)
	v_add3_u32 v29, v34, v29, 0x7fff
                                        ; implicit-def: $vgpr34
; %bb.26:                               ;   in Loop: Header=BB272_8 Depth=1
	s_and_not1_saveexec_b32 s24, s24
; %bb.27:                               ;   in Loop: Header=BB272_8 Depth=1
	v_and_b32_e32 v29, 0xffff, v34
	v_or_b32_e32 v35, 0x10000, v34
	s_delay_alu instid0(VALU_DEP_2) | instskip(NEXT) | instid1(VALU_DEP_2)
	v_cmp_eq_u32_e32 vcc_lo, 0, v29
	v_cndmask_b32_e32 v29, v35, v34, vcc_lo
; %bb.28:                               ;   in Loop: Header=BB272_8 Depth=1
	s_or_b32 exec_lo, exec_lo, s24
	s_waitcnt vmcnt(12)
	v_dual_add_f32 v31, v31, v32 :: v_dual_lshlrev_b32 v32, 16, v51
	s_mov_b32 s24, exec_lo
	global_store_d16_hi_b16 v[0:1], v29, off offset:4
                                        ; implicit-def: $vgpr29
	v_add_f32_e32 v31, v31, v32
	s_delay_alu instid0(VALU_DEP_1) | instskip(NEXT) | instid1(VALU_DEP_1)
	v_and_b32_e32 v32, 0x7f800000, v31
	v_cmpx_ne_u32_e32 0x7f800000, v32
	s_xor_b32 s24, exec_lo, s24
; %bb.29:                               ;   in Loop: Header=BB272_8 Depth=1
	v_bfe_u32 v29, v31, 16, 1
	s_delay_alu instid0(VALU_DEP_1)
	v_add3_u32 v29, v31, v29, 0x7fff
                                        ; implicit-def: $vgpr31
; %bb.30:                               ;   in Loop: Header=BB272_8 Depth=1
	s_and_not1_saveexec_b32 s24, s24
; %bb.31:                               ;   in Loop: Header=BB272_8 Depth=1
	v_and_b32_e32 v29, 0xffff, v31
	v_or_b32_e32 v32, 0x10000, v31
	s_delay_alu instid0(VALU_DEP_2) | instskip(NEXT) | instid1(VALU_DEP_2)
	v_cmp_eq_u32_e32 vcc_lo, 0, v29
	v_cndmask_b32_e32 v29, v32, v31, vcc_lo
; %bb.32:                               ;   in Loop: Header=BB272_8 Depth=1
	s_or_b32 exec_lo, exec_lo, s24
	s_waitcnt vmcnt(11)
	v_dual_add_f32 v23, v23, v24 :: v_dual_lshlrev_b32 v24, 16, v50
	s_mov_b32 s24, exec_lo
	global_store_d16_hi_b16 v[0:1], v29, off offset:6
                                        ; implicit-def: $vgpr0
	v_add_f32_e32 v23, v23, v24
	s_delay_alu instid0(VALU_DEP_1) | instskip(NEXT) | instid1(VALU_DEP_1)
	v_and_b32_e32 v24, 0x7f800000, v23
	v_cmpx_ne_u32_e32 0x7f800000, v24
	s_xor_b32 s24, exec_lo, s24
; %bb.33:                               ;   in Loop: Header=BB272_8 Depth=1
	v_bfe_u32 v0, v23, 16, 1
	s_delay_alu instid0(VALU_DEP_1)
	v_add3_u32 v0, v23, v0, 0x7fff
                                        ; implicit-def: $vgpr23
; %bb.34:                               ;   in Loop: Header=BB272_8 Depth=1
	s_and_not1_saveexec_b32 s24, s24
; %bb.35:                               ;   in Loop: Header=BB272_8 Depth=1
	v_and_b32_e32 v0, 0xffff, v23
	v_or_b32_e32 v1, 0x10000, v23
	s_delay_alu instid0(VALU_DEP_2) | instskip(NEXT) | instid1(VALU_DEP_2)
	v_cmp_eq_u32_e32 vcc_lo, 0, v0
	v_cndmask_b32_e32 v0, v1, v23, vcc_lo
; %bb.36:                               ;   in Loop: Header=BB272_8 Depth=1
	s_or_b32 exec_lo, exec_lo, s24
	s_waitcnt vmcnt(10)
	v_dual_add_f32 v1, v18, v19 :: v_dual_lshlrev_b32 v18, 16, v49
	v_add_nc_u32_e32 v29, s7, v28
	s_mov_b32 s24, exec_lo
	s_delay_alu instid0(VALU_DEP_2) | instskip(NEXT) | instid1(VALU_DEP_2)
	v_add_f32_e32 v1, v1, v18
	v_lshlrev_b64 v[18:19], 1, v[29:30]
	s_delay_alu instid0(VALU_DEP_2) | instskip(NEXT) | instid1(VALU_DEP_2)
	v_and_b32_e32 v23, 0x7f800000, v1
	v_add_co_u32 v18, vcc_lo, s12, v18
	s_delay_alu instid0(VALU_DEP_3)
	v_add_co_ci_u32_e32 v19, vcc_lo, s13, v19, vcc_lo
	global_store_d16_hi_b16 v[18:19], v0, off
                                        ; implicit-def: $vgpr0
	v_cmpx_ne_u32_e32 0x7f800000, v23
	s_xor_b32 s24, exec_lo, s24
; %bb.37:                               ;   in Loop: Header=BB272_8 Depth=1
	v_bfe_u32 v0, v1, 16, 1
	s_delay_alu instid0(VALU_DEP_1)
	v_add3_u32 v0, v1, v0, 0x7fff
                                        ; implicit-def: $vgpr1
; %bb.38:                               ;   in Loop: Header=BB272_8 Depth=1
	s_and_not1_saveexec_b32 s24, s24
; %bb.39:                               ;   in Loop: Header=BB272_8 Depth=1
	v_and_b32_e32 v0, 0xffff, v1
	v_or_b32_e32 v18, 0x10000, v1
	s_delay_alu instid0(VALU_DEP_2) | instskip(NEXT) | instid1(VALU_DEP_2)
	v_cmp_eq_u32_e32 vcc_lo, 0, v0
	v_cndmask_b32_e32 v0, v18, v1, vcc_lo
; %bb.40:                               ;   in Loop: Header=BB272_8 Depth=1
	s_or_b32 exec_lo, exec_lo, s24
	v_dual_add_f32 v1, v25, v27 :: v_dual_add_nc_u32 v18, 1, v29
	v_mov_b32_e32 v19, v30
	s_waitcnt vmcnt(9)
	v_lshlrev_b32_e32 v23, 16, v48
	s_mov_b32 s24, exec_lo
	s_delay_alu instid0(VALU_DEP_2) | instskip(NEXT) | instid1(VALU_DEP_2)
	v_lshlrev_b64 v[18:19], 1, v[18:19]
	v_add_f32_e32 v1, v1, v23
	s_delay_alu instid0(VALU_DEP_1) | instskip(NEXT) | instid1(VALU_DEP_3)
	v_and_b32_e32 v23, 0x7f800000, v1
	v_add_co_u32 v18, vcc_lo, s12, v18
	s_delay_alu instid0(VALU_DEP_4)
	v_add_co_ci_u32_e32 v19, vcc_lo, s13, v19, vcc_lo
	global_store_d16_hi_b16 v[18:19], v0, off
                                        ; implicit-def: $vgpr0
	v_cmpx_ne_u32_e32 0x7f800000, v23
	s_xor_b32 s24, exec_lo, s24
; %bb.41:                               ;   in Loop: Header=BB272_8 Depth=1
	v_bfe_u32 v0, v1, 16, 1
	s_delay_alu instid0(VALU_DEP_1)
	v_add3_u32 v0, v1, v0, 0x7fff
                                        ; implicit-def: $vgpr1
; %bb.42:                               ;   in Loop: Header=BB272_8 Depth=1
	s_and_not1_saveexec_b32 s24, s24
; %bb.43:                               ;   in Loop: Header=BB272_8 Depth=1
	v_and_b32_e32 v0, 0xffff, v1
	v_or_b32_e32 v18, 0x10000, v1
	s_delay_alu instid0(VALU_DEP_2) | instskip(NEXT) | instid1(VALU_DEP_2)
	v_cmp_eq_u32_e32 vcc_lo, 0, v0
	v_cndmask_b32_e32 v0, v18, v1, vcc_lo
; %bb.44:                               ;   in Loop: Header=BB272_8 Depth=1
	s_or_b32 exec_lo, exec_lo, s24
	v_dual_add_f32 v1, v20, v22 :: v_dual_add_nc_u32 v18, 2, v29
	s_waitcnt vmcnt(8)
	v_dual_mov_b32 v19, v30 :: v_dual_lshlrev_b32 v20, 16, v42
	s_mov_b32 s24, exec_lo
	s_delay_alu instid0(VALU_DEP_1) | instskip(NEXT) | instid1(VALU_DEP_2)
	v_add_f32_e32 v1, v1, v20
	v_lshlrev_b64 v[18:19], 1, v[18:19]
	s_delay_alu instid0(VALU_DEP_2) | instskip(NEXT) | instid1(VALU_DEP_2)
	v_and_b32_e32 v20, 0x7f800000, v1
	v_add_co_u32 v18, vcc_lo, s12, v18
	s_delay_alu instid0(VALU_DEP_3)
	v_add_co_ci_u32_e32 v19, vcc_lo, s13, v19, vcc_lo
	global_store_d16_hi_b16 v[18:19], v0, off
                                        ; implicit-def: $vgpr0
	v_cmpx_ne_u32_e32 0x7f800000, v20
	s_xor_b32 s24, exec_lo, s24
; %bb.45:                               ;   in Loop: Header=BB272_8 Depth=1
	v_bfe_u32 v0, v1, 16, 1
	s_delay_alu instid0(VALU_DEP_1)
	v_add3_u32 v0, v1, v0, 0x7fff
                                        ; implicit-def: $vgpr1
; %bb.46:                               ;   in Loop: Header=BB272_8 Depth=1
	s_and_not1_saveexec_b32 s24, s24
; %bb.47:                               ;   in Loop: Header=BB272_8 Depth=1
	v_and_b32_e32 v0, 0xffff, v1
	v_or_b32_e32 v18, 0x10000, v1
	s_delay_alu instid0(VALU_DEP_2) | instskip(NEXT) | instid1(VALU_DEP_2)
	v_cmp_eq_u32_e32 vcc_lo, 0, v0
	v_cndmask_b32_e32 v0, v18, v1, vcc_lo
; %bb.48:                               ;   in Loop: Header=BB272_8 Depth=1
	s_or_b32 exec_lo, exec_lo, s24
	s_waitcnt vmcnt(7)
	v_dual_add_f32 v1, v16, v17 :: v_dual_lshlrev_b32 v18, 16, v47
	v_dual_mov_b32 v17, v30 :: v_dual_add_nc_u32 v16, 3, v29
	s_mov_b32 s24, exec_lo
	s_delay_alu instid0(VALU_DEP_2) | instskip(NEXT) | instid1(VALU_DEP_2)
	v_add_f32_e32 v1, v1, v18
	v_lshlrev_b64 v[16:17], 1, v[16:17]
	s_delay_alu instid0(VALU_DEP_2) | instskip(NEXT) | instid1(VALU_DEP_2)
	v_and_b32_e32 v18, 0x7f800000, v1
	v_add_co_u32 v16, vcc_lo, s12, v16
	s_delay_alu instid0(VALU_DEP_3)
	v_add_co_ci_u32_e32 v17, vcc_lo, s13, v17, vcc_lo
	global_store_d16_hi_b16 v[16:17], v0, off
                                        ; implicit-def: $vgpr16
	v_cmpx_ne_u32_e32 0x7f800000, v18
	s_xor_b32 s24, exec_lo, s24
; %bb.49:                               ;   in Loop: Header=BB272_8 Depth=1
	v_bfe_u32 v0, v1, 16, 1
	s_delay_alu instid0(VALU_DEP_1)
	v_add3_u32 v16, v1, v0, 0x7fff
                                        ; implicit-def: $vgpr1
; %bb.50:                               ;   in Loop: Header=BB272_8 Depth=1
	s_and_not1_saveexec_b32 s24, s24
; %bb.51:                               ;   in Loop: Header=BB272_8 Depth=1
	v_and_b32_e32 v0, 0xffff, v1
	v_or_b32_e32 v16, 0x10000, v1
	s_delay_alu instid0(VALU_DEP_2) | instskip(NEXT) | instid1(VALU_DEP_2)
	v_cmp_eq_u32_e32 vcc_lo, 0, v0
	v_cndmask_b32_e32 v16, v16, v1, vcc_lo
; %bb.52:                               ;   in Loop: Header=BB272_8 Depth=1
	s_or_b32 exec_lo, exec_lo, s24
	v_add_f32_e32 v0, v12, v13
	s_waitcnt vmcnt(6)
	v_lshlrev_b32_e32 v1, 16, v41
	v_add_nc_u32_e32 v29, s7, v29
	s_delay_alu instid0(VALU_DEP_2) | instskip(NEXT) | instid1(VALU_DEP_2)
	v_add_f32_e32 v12, v0, v1
	v_lshlrev_b64 v[0:1], 1, v[29:30]
	s_delay_alu instid0(VALU_DEP_2) | instskip(NEXT) | instid1(VALU_DEP_2)
	v_and_b32_e32 v13, 0x7f800000, v12
	v_add_co_u32 v0, vcc_lo, s12, v0
	s_delay_alu instid0(VALU_DEP_3) | instskip(NEXT) | instid1(VALU_DEP_3)
	v_add_co_ci_u32_e32 v1, vcc_lo, s13, v1, vcc_lo
	v_cmp_ne_u32_e32 vcc_lo, 0x7f800000, v13
                                        ; implicit-def: $vgpr13
	global_store_d16_hi_b16 v[0:1], v16, off
	s_and_saveexec_b32 s24, vcc_lo
	s_delay_alu instid0(SALU_CYCLE_1)
	s_xor_b32 s24, exec_lo, s24
; %bb.53:                               ;   in Loop: Header=BB272_8 Depth=1
	v_bfe_u32 v13, v12, 16, 1
	s_delay_alu instid0(VALU_DEP_1)
	v_add3_u32 v13, v12, v13, 0x7fff
                                        ; implicit-def: $vgpr12
; %bb.54:                               ;   in Loop: Header=BB272_8 Depth=1
	s_and_not1_saveexec_b32 s24, s24
; %bb.55:                               ;   in Loop: Header=BB272_8 Depth=1
	v_and_b32_e32 v13, 0xffff, v12
	v_or_b32_e32 v16, 0x10000, v12
	s_delay_alu instid0(VALU_DEP_2) | instskip(NEXT) | instid1(VALU_DEP_2)
	v_cmp_eq_u32_e32 vcc_lo, 0, v13
	v_cndmask_b32_e32 v13, v16, v12, vcc_lo
; %bb.56:                               ;   in Loop: Header=BB272_8 Depth=1
	s_or_b32 exec_lo, exec_lo, s24
	s_waitcnt vmcnt(5)
	v_dual_add_f32 v8, v8, v9 :: v_dual_lshlrev_b32 v9, 16, v40
	s_mov_b32 s24, exec_lo
	global_store_d16_hi_b16 v[0:1], v13, off offset:2
                                        ; implicit-def: $vgpr0
	v_add_f32_e32 v8, v8, v9
	s_delay_alu instid0(VALU_DEP_1) | instskip(NEXT) | instid1(VALU_DEP_1)
	v_and_b32_e32 v9, 0x7f800000, v8
	v_cmpx_ne_u32_e32 0x7f800000, v9
	s_xor_b32 s24, exec_lo, s24
; %bb.57:                               ;   in Loop: Header=BB272_8 Depth=1
	v_bfe_u32 v0, v8, 16, 1
	s_delay_alu instid0(VALU_DEP_1)
	v_add3_u32 v0, v8, v0, 0x7fff
                                        ; implicit-def: $vgpr8
; %bb.58:                               ;   in Loop: Header=BB272_8 Depth=1
	s_and_not1_saveexec_b32 s24, s24
; %bb.59:                               ;   in Loop: Header=BB272_8 Depth=1
	v_and_b32_e32 v0, 0xffff, v8
	v_or_b32_e32 v1, 0x10000, v8
	s_delay_alu instid0(VALU_DEP_2) | instskip(NEXT) | instid1(VALU_DEP_2)
	v_cmp_eq_u32_e32 vcc_lo, 0, v0
	v_cndmask_b32_e32 v0, v1, v8, vcc_lo
; %bb.60:                               ;   in Loop: Header=BB272_8 Depth=1
	s_or_b32 exec_lo, exec_lo, s24
	v_dual_add_f32 v1, v14, v15 :: v_dual_add_nc_u32 v8, 2, v29
	s_waitcnt vmcnt(4)
	v_dual_mov_b32 v9, v30 :: v_dual_lshlrev_b32 v12, 16, v39
	s_mov_b32 s24, exec_lo
	s_delay_alu instid0(VALU_DEP_1) | instskip(NEXT) | instid1(VALU_DEP_2)
	v_add_f32_e32 v1, v1, v12
	v_lshlrev_b64 v[8:9], 1, v[8:9]
	s_delay_alu instid0(VALU_DEP_2) | instskip(NEXT) | instid1(VALU_DEP_2)
	v_and_b32_e32 v12, 0x7f800000, v1
	v_add_co_u32 v8, vcc_lo, s12, v8
	s_delay_alu instid0(VALU_DEP_3)
	v_add_co_ci_u32_e32 v9, vcc_lo, s13, v9, vcc_lo
	global_store_d16_hi_b16 v[8:9], v0, off
                                        ; implicit-def: $vgpr0
	v_cmpx_ne_u32_e32 0x7f800000, v12
	s_xor_b32 s24, exec_lo, s24
; %bb.61:                               ;   in Loop: Header=BB272_8 Depth=1
	v_bfe_u32 v0, v1, 16, 1
	s_delay_alu instid0(VALU_DEP_1)
	v_add3_u32 v0, v1, v0, 0x7fff
                                        ; implicit-def: $vgpr1
; %bb.62:                               ;   in Loop: Header=BB272_8 Depth=1
	s_and_not1_saveexec_b32 s24, s24
; %bb.63:                               ;   in Loop: Header=BB272_8 Depth=1
	v_and_b32_e32 v0, 0xffff, v1
	v_or_b32_e32 v8, 0x10000, v1
	s_delay_alu instid0(VALU_DEP_2) | instskip(NEXT) | instid1(VALU_DEP_2)
	v_cmp_eq_u32_e32 vcc_lo, 0, v0
	v_cndmask_b32_e32 v0, v8, v1, vcc_lo
; %bb.64:                               ;   in Loop: Header=BB272_8 Depth=1
	s_or_b32 exec_lo, exec_lo, s24
	v_dual_add_f32 v1, v10, v11 :: v_dual_add_nc_u32 v8, 3, v29
	s_waitcnt vmcnt(3)
	v_dual_mov_b32 v9, v30 :: v_dual_lshlrev_b32 v10, 16, v36
	s_mov_b32 s24, exec_lo
	s_delay_alu instid0(VALU_DEP_1) | instskip(NEXT) | instid1(VALU_DEP_2)
	v_add_f32_e32 v1, v1, v10
	v_lshlrev_b64 v[8:9], 1, v[8:9]
	s_delay_alu instid0(VALU_DEP_2) | instskip(NEXT) | instid1(VALU_DEP_2)
	v_and_b32_e32 v10, 0x7f800000, v1
	v_add_co_u32 v8, vcc_lo, s12, v8
	s_delay_alu instid0(VALU_DEP_3)
	v_add_co_ci_u32_e32 v9, vcc_lo, s13, v9, vcc_lo
	global_store_d16_hi_b16 v[8:9], v0, off
                                        ; implicit-def: $vgpr0
	v_cmpx_ne_u32_e32 0x7f800000, v10
	s_xor_b32 s24, exec_lo, s24
; %bb.65:                               ;   in Loop: Header=BB272_8 Depth=1
	v_bfe_u32 v0, v1, 16, 1
	s_delay_alu instid0(VALU_DEP_1)
	v_add3_u32 v0, v1, v0, 0x7fff
                                        ; implicit-def: $vgpr1
; %bb.66:                               ;   in Loop: Header=BB272_8 Depth=1
	s_and_not1_saveexec_b32 s24, s24
; %bb.67:                               ;   in Loop: Header=BB272_8 Depth=1
	v_and_b32_e32 v0, 0xffff, v1
	v_or_b32_e32 v8, 0x10000, v1
	s_delay_alu instid0(VALU_DEP_2) | instskip(NEXT) | instid1(VALU_DEP_2)
	v_cmp_eq_u32_e32 vcc_lo, 0, v0
	v_cndmask_b32_e32 v0, v8, v1, vcc_lo
; %bb.68:                               ;   in Loop: Header=BB272_8 Depth=1
	s_or_b32 exec_lo, exec_lo, s24
	s_waitcnt vmcnt(2)
	v_dual_add_f32 v1, v6, v7 :: v_dual_lshlrev_b32 v6, 16, v33
	v_add_nc_u32_e32 v29, s7, v29
	s_mov_b32 s24, exec_lo
	s_delay_alu instid0(VALU_DEP_2) | instskip(NEXT) | instid1(VALU_DEP_2)
	v_add_f32_e32 v1, v1, v6
	v_lshlrev_b64 v[6:7], 1, v[29:30]
	s_delay_alu instid0(VALU_DEP_2) | instskip(NEXT) | instid1(VALU_DEP_2)
	v_and_b32_e32 v8, 0x7f800000, v1
	v_add_co_u32 v6, vcc_lo, s12, v6
	s_delay_alu instid0(VALU_DEP_3)
	v_add_co_ci_u32_e32 v7, vcc_lo, s13, v7, vcc_lo
	global_store_d16_hi_b16 v[6:7], v0, off
                                        ; implicit-def: $vgpr0
	v_cmpx_ne_u32_e32 0x7f800000, v8
	s_xor_b32 s24, exec_lo, s24
; %bb.69:                               ;   in Loop: Header=BB272_8 Depth=1
	v_bfe_u32 v0, v1, 16, 1
	s_delay_alu instid0(VALU_DEP_1)
	v_add3_u32 v0, v1, v0, 0x7fff
                                        ; implicit-def: $vgpr1
; %bb.70:                               ;   in Loop: Header=BB272_8 Depth=1
	s_and_not1_saveexec_b32 s24, s24
; %bb.71:                               ;   in Loop: Header=BB272_8 Depth=1
	v_and_b32_e32 v0, 0xffff, v1
	v_or_b32_e32 v6, 0x10000, v1
	s_delay_alu instid0(VALU_DEP_2) | instskip(NEXT) | instid1(VALU_DEP_2)
	v_cmp_eq_u32_e32 vcc_lo, 0, v0
	v_cndmask_b32_e32 v0, v6, v1, vcc_lo
; %bb.72:                               ;   in Loop: Header=BB272_8 Depth=1
	s_or_b32 exec_lo, exec_lo, s24
	s_waitcnt vmcnt(1)
	v_dual_add_f32 v1, v4, v5 :: v_dual_lshlrev_b32 v6, 16, v26
	v_dual_mov_b32 v5, v30 :: v_dual_add_nc_u32 v4, 1, v29
	s_mov_b32 s24, exec_lo
	s_delay_alu instid0(VALU_DEP_2) | instskip(NEXT) | instid1(VALU_DEP_2)
	v_add_f32_e32 v1, v1, v6
	v_lshlrev_b64 v[4:5], 1, v[4:5]
	s_delay_alu instid0(VALU_DEP_2) | instskip(NEXT) | instid1(VALU_DEP_2)
	v_and_b32_e32 v6, 0x7f800000, v1
	v_add_co_u32 v4, vcc_lo, s12, v4
	s_delay_alu instid0(VALU_DEP_3)
	v_add_co_ci_u32_e32 v5, vcc_lo, s13, v5, vcc_lo
	global_store_d16_hi_b16 v[4:5], v0, off
                                        ; implicit-def: $vgpr0
	v_cmpx_ne_u32_e32 0x7f800000, v6
	s_xor_b32 s24, exec_lo, s24
; %bb.73:                               ;   in Loop: Header=BB272_8 Depth=1
	v_bfe_u32 v0, v1, 16, 1
	s_delay_alu instid0(VALU_DEP_1)
	v_add3_u32 v0, v1, v0, 0x7fff
                                        ; implicit-def: $vgpr1
; %bb.74:                               ;   in Loop: Header=BB272_8 Depth=1
	s_and_not1_saveexec_b32 s24, s24
; %bb.75:                               ;   in Loop: Header=BB272_8 Depth=1
	v_and_b32_e32 v0, 0xffff, v1
	v_or_b32_e32 v4, 0x10000, v1
	s_delay_alu instid0(VALU_DEP_2) | instskip(NEXT) | instid1(VALU_DEP_2)
	v_cmp_eq_u32_e32 vcc_lo, 0, v0
	v_cndmask_b32_e32 v0, v4, v1, vcc_lo
; %bb.76:                               ;   in Loop: Header=BB272_8 Depth=1
	s_or_b32 exec_lo, exec_lo, s24
	v_dual_add_f32 v1, v2, v3 :: v_dual_add_nc_u32 v2, 2, v29
	s_waitcnt vmcnt(0)
	v_dual_mov_b32 v3, v30 :: v_dual_lshlrev_b32 v4, 16, v21
	s_mov_b32 s24, exec_lo
	s_delay_alu instid0(VALU_DEP_1) | instskip(NEXT) | instid1(VALU_DEP_2)
	v_add_f32_e32 v1, v1, v4
	v_lshlrev_b64 v[2:3], 1, v[2:3]
	s_delay_alu instid0(VALU_DEP_2) | instskip(NEXT) | instid1(VALU_DEP_2)
	v_and_b32_e32 v4, 0x7f800000, v1
	v_add_co_u32 v2, vcc_lo, s12, v2
	s_delay_alu instid0(VALU_DEP_3)
	v_add_co_ci_u32_e32 v3, vcc_lo, s13, v3, vcc_lo
	global_store_d16_hi_b16 v[2:3], v0, off
                                        ; implicit-def: $vgpr0
	v_cmpx_ne_u32_e32 0x7f800000, v4
	s_xor_b32 s24, exec_lo, s24
; %bb.77:                               ;   in Loop: Header=BB272_8 Depth=1
	v_bfe_u32 v0, v1, 16, 1
	s_delay_alu instid0(VALU_DEP_1)
	v_add3_u32 v0, v1, v0, 0x7fff
                                        ; implicit-def: $vgpr1
; %bb.78:                               ;   in Loop: Header=BB272_8 Depth=1
	s_and_not1_saveexec_b32 s24, s24
	s_cbranch_execz .LBB272_6
; %bb.79:                               ;   in Loop: Header=BB272_8 Depth=1
	v_and_b32_e32 v0, 0xffff, v1
	v_or_b32_e32 v2, 0x10000, v1
	s_delay_alu instid0(VALU_DEP_2) | instskip(NEXT) | instid1(VALU_DEP_2)
	v_cmp_eq_u32_e32 vcc_lo, 0, v0
	v_cndmask_b32_e32 v0, v2, v1, vcc_lo
	s_branch .LBB272_6
.LBB272_80:
	s_nop 0
	s_sendmsg sendmsg(MSG_DEALLOC_VGPRS)
	s_endpgm
	.section	.rodata,"a",@progbits
	.p2align	6, 0x0
	.amdhsa_kernel _Z16wvSplitK_hf_sml_I14__hip_bfloat16Li64ELi4ELi16ELi8ELi1ELi4EEviiiiiiPKT_S3_S3_PS1_ii
		.amdhsa_group_segment_fixed_size 65536
		.amdhsa_private_segment_fixed_size 0
		.amdhsa_kernarg_size 64
		.amdhsa_user_sgpr_count 15
		.amdhsa_user_sgpr_dispatch_ptr 0
		.amdhsa_user_sgpr_queue_ptr 0
		.amdhsa_user_sgpr_kernarg_segment_ptr 1
		.amdhsa_user_sgpr_dispatch_id 0
		.amdhsa_user_sgpr_private_segment_size 0
		.amdhsa_wavefront_size32 1
		.amdhsa_uses_dynamic_stack 0
		.amdhsa_enable_private_segment 0
		.amdhsa_system_sgpr_workgroup_id_x 1
		.amdhsa_system_sgpr_workgroup_id_y 0
		.amdhsa_system_sgpr_workgroup_id_z 0
		.amdhsa_system_sgpr_workgroup_info 0
		.amdhsa_system_vgpr_workitem_id 1
		.amdhsa_next_free_vgpr 85
		.amdhsa_next_free_sgpr 26
		.amdhsa_reserve_vcc 1
		.amdhsa_float_round_mode_32 0
		.amdhsa_float_round_mode_16_64 0
		.amdhsa_float_denorm_mode_32 3
		.amdhsa_float_denorm_mode_16_64 3
		.amdhsa_dx10_clamp 1
		.amdhsa_ieee_mode 1
		.amdhsa_fp16_overflow 0
		.amdhsa_workgroup_processor_mode 1
		.amdhsa_memory_ordered 1
		.amdhsa_forward_progress 0
		.amdhsa_shared_vgpr_count 0
		.amdhsa_exception_fp_ieee_invalid_op 0
		.amdhsa_exception_fp_denorm_src 0
		.amdhsa_exception_fp_ieee_div_zero 0
		.amdhsa_exception_fp_ieee_overflow 0
		.amdhsa_exception_fp_ieee_underflow 0
		.amdhsa_exception_fp_ieee_inexact 0
		.amdhsa_exception_int_div_zero 0
	.end_amdhsa_kernel
	.section	.text._Z16wvSplitK_hf_sml_I14__hip_bfloat16Li64ELi4ELi16ELi8ELi1ELi4EEviiiiiiPKT_S3_S3_PS1_ii,"axG",@progbits,_Z16wvSplitK_hf_sml_I14__hip_bfloat16Li64ELi4ELi16ELi8ELi1ELi4EEviiiiiiPKT_S3_S3_PS1_ii,comdat
.Lfunc_end272:
	.size	_Z16wvSplitK_hf_sml_I14__hip_bfloat16Li64ELi4ELi16ELi8ELi1ELi4EEviiiiiiPKT_S3_S3_PS1_ii, .Lfunc_end272-_Z16wvSplitK_hf_sml_I14__hip_bfloat16Li64ELi4ELi16ELi8ELi1ELi4EEviiiiiiPKT_S3_S3_PS1_ii
                                        ; -- End function
	.section	.AMDGPU.csdata,"",@progbits
; Kernel info:
; codeLenInByte = 6896
; NumSgprs: 28
; NumVgprs: 85
; ScratchSize: 0
; MemoryBound: 0
; FloatMode: 240
; IeeeMode: 1
; LDSByteSize: 65536 bytes/workgroup (compile time only)
; SGPRBlocks: 3
; VGPRBlocks: 10
; NumSGPRsForWavesPerEU: 28
; NumVGPRsForWavesPerEU: 85
; Occupancy: 16
; WaveLimiterHint : 0
; COMPUTE_PGM_RSRC2:SCRATCH_EN: 0
; COMPUTE_PGM_RSRC2:USER_SGPR: 15
; COMPUTE_PGM_RSRC2:TRAP_HANDLER: 0
; COMPUTE_PGM_RSRC2:TGID_X_EN: 1
; COMPUTE_PGM_RSRC2:TGID_Y_EN: 0
; COMPUTE_PGM_RSRC2:TGID_Z_EN: 0
; COMPUTE_PGM_RSRC2:TIDIG_COMP_CNT: 1
	.section	.text._Z12wvSplitK_hf_I14__hip_bfloat16Li64ELi4ELi16ELi8ELi1ELi4EEviiiiiiPKT_S3_S3_PS1_ii,"axG",@progbits,_Z12wvSplitK_hf_I14__hip_bfloat16Li64ELi4ELi16ELi8ELi1ELi4EEviiiiiiPKT_S3_S3_PS1_ii,comdat
	.protected	_Z12wvSplitK_hf_I14__hip_bfloat16Li64ELi4ELi16ELi8ELi1ELi4EEviiiiiiPKT_S3_S3_PS1_ii ; -- Begin function _Z12wvSplitK_hf_I14__hip_bfloat16Li64ELi4ELi16ELi8ELi1ELi4EEviiiiiiPKT_S3_S3_PS1_ii
	.globl	_Z12wvSplitK_hf_I14__hip_bfloat16Li64ELi4ELi16ELi8ELi1ELi4EEviiiiiiPKT_S3_S3_PS1_ii
	.p2align	8
	.type	_Z12wvSplitK_hf_I14__hip_bfloat16Li64ELi4ELi16ELi8ELi1ELi4EEviiiiiiPKT_S3_S3_PS1_ii,@function
_Z12wvSplitK_hf_I14__hip_bfloat16Li64ELi4ELi16ELi8ELi1ELi4EEviiiiiiPKT_S3_S3_PS1_ii: ; @_Z12wvSplitK_hf_I14__hip_bfloat16Li64ELi4ELi16ELi8ELi1ELi4EEviiiiiiPKT_S3_S3_PS1_ii
; %bb.0:
	s_clause 0x1
	s_load_b64 s[20:21], s[0:1], 0x38
	s_load_b128 s[8:11], s[0:1], 0x0
	v_bfe_u32 v7, v0, 10, 10
	s_clause 0x1
	s_load_b64 s[12:13], s[0:1], 0x20
	s_load_b64 s[16:17], s[0:1], 0x10
	s_mov_b32 s4, 1
	s_delay_alu instid0(SALU_CYCLE_1) | instskip(SKIP_4) | instid1(SALU_CYCLE_1)
	s_mov_b32 s5, s4
	s_mov_b32 s6, s4
	;; [unrolled: 1-line block ×3, first 2 shown]
	s_waitcnt lgkmcnt(0)
	s_mul_i32 s15, s15, s20
	v_add_lshl_u32 v37, s15, v7, 2
	s_delay_alu instid0(VALU_DEP_1) | instskip(SKIP_1) | instid1(VALU_DEP_2)
	v_add_nc_u32_e32 v1, 4, v37
	v_cmp_gt_u32_e32 vcc_lo, s11, v37
	v_cmp_le_u32_e64 s2, s11, v1
	v_dual_mov_b32 v1, s4 :: v_dual_mov_b32 v4, s7
	v_dual_mov_b32 v2, s5 :: v_dual_mov_b32 v3, s6
	s_delay_alu instid0(VALU_DEP_3) | instskip(NEXT) | instid1(SALU_CYCLE_1)
	s_and_b32 s2, vcc_lo, s2
	s_and_saveexec_b32 s14, s2
	s_cbranch_execz .LBB273_6
; %bb.1:
	v_dual_mov_b32 v1, s4 :: v_dual_mov_b32 v2, s5
	v_dual_mov_b32 v3, s6 :: v_dual_mov_b32 v4, s7
	s_add_i32 s15, s11, -4
	s_mov_b32 s18, exec_lo
	v_cmpx_ne_u32_e64 s15, v37
	s_cbranch_execz .LBB273_5
; %bb.2:
	v_subrev_nc_u32_e32 v1, s15, v37
	s_mov_b32 s19, 0
	s_mov_b64 s[2:3], 0
	s_mov_b32 s5, s4
	s_mov_b32 s6, s4
	v_cmp_lt_u32_e32 vcc_lo, 1, v1
	s_mov_b32 s7, s4
	v_cndmask_b32_e32 v5, 1, v1, vcc_lo
	.p2align	6
.LBB273_3:                              ; =>This Inner Loop Header: Depth=1
	s_cmp_lg_u32 s2, 3
	s_cselect_b32 s7, s7, 0
	s_cmp_lg_u32 s2, 2
	s_cselect_b32 s6, s6, 0
	;; [unrolled: 2-line block ×4, first 2 shown]
	s_add_u32 s2, s2, 1
	v_dual_mov_b32 v1, s4 :: v_dual_mov_b32 v2, s5
	v_cmp_eq_u32_e32 vcc_lo, s2, v5
	v_dual_mov_b32 v3, s6 :: v_dual_mov_b32 v4, s7
	s_addc_u32 s3, s3, 0
	s_or_b32 s19, vcc_lo, s19
	s_delay_alu instid0(SALU_CYCLE_1)
	s_and_not1_b32 exec_lo, exec_lo, s19
	s_cbranch_execnz .LBB273_3
; %bb.4:
	s_or_b32 exec_lo, exec_lo, s19
	v_mov_b32_e32 v37, s15
.LBB273_5:
	s_or_b32 exec_lo, exec_lo, s18
.LBB273_6:
	s_delay_alu instid0(SALU_CYCLE_1)
	s_or_b32 exec_lo, exec_lo, s14
	s_load_b64 s[6:7], s[0:1], 0x28
	v_and_b32_e32 v8, 0x3ff, v0
	s_lshl_b32 s22, s10, 2
	s_mov_b32 s4, exec_lo
	s_min_u32 s3, s22, 0x8000
	s_delay_alu instid0(VALU_DEP_1) | instskip(NEXT) | instid1(VALU_DEP_1)
	v_lshlrev_b32_e32 v0, 3, v8
	v_lshl_add_u32 v9, v7, 9, v0
	s_delay_alu instid0(VALU_DEP_1)
	v_cmpx_gt_u32_e64 s3, v9
	s_cbranch_execz .LBB273_9
; %bb.7:
	v_lshlrev_b32_e32 v10, 10, v7
	v_lshlrev_b32_e32 v11, 4, v8
	s_mov_b32 s5, 0
	s_delay_alu instid0(VALU_DEP_1) | instskip(NEXT) | instid1(VALU_DEP_1)
	v_add_co_u32 v5, s2, v10, v11
	v_add_co_ci_u32_e64 v6, null, 0, 0, s2
	v_add_nc_u32_e32 v10, v10, v11
	s_delay_alu instid0(VALU_DEP_3) | instskip(NEXT) | instid1(VALU_DEP_3)
	v_add_co_u32 v5, vcc_lo, s12, v5
	v_add_co_ci_u32_e32 v6, vcc_lo, s13, v6, vcc_lo
	.p2align	6
.LBB273_8:                              ; =>This Inner Loop Header: Depth=1
	global_load_b128 v[11:14], v[5:6], off
	v_add_nc_u32_e32 v9, 0x2000, v9
	v_add_co_u32 v5, vcc_lo, 0x4000, v5
	v_add_co_ci_u32_e32 v6, vcc_lo, 0, v6, vcc_lo
	s_delay_alu instid0(VALU_DEP_3) | instskip(NEXT) | instid1(VALU_DEP_1)
	v_cmp_le_u32_e64 s2, s3, v9
	s_or_b32 s5, s2, s5
	s_waitcnt vmcnt(0)
	ds_store_b128 v10, v[11:14]
	v_add_nc_u32_e32 v10, 0x4000, v10
	s_and_not1_b32 exec_lo, exec_lo, s5
	s_cbranch_execnz .LBB273_8
.LBB273_9:
	s_or_b32 exec_lo, exec_lo, s4
	v_cmp_gt_u32_e32 vcc_lo, s20, v7
	v_cmp_gt_u32_e64 s2, s11, v37
	s_waitcnt lgkmcnt(0)
	s_barrier
	buffer_gl0_inv
	s_and_b32 s2, vcc_lo, s2
	s_delay_alu instid0(SALU_CYCLE_1)
	s_and_saveexec_b32 s3, s2
	s_cbranch_execz .LBB273_138
; %bb.10:
	s_cmp_lg_u32 s8, 0
	s_clause 0x1
	s_load_b64 s[14:15], s[0:1], 0x18
	s_load_b64 s[18:19], s[0:1], 0x30
	s_cselect_b32 s23, -1, 0
	s_add_i32 s24, s8, -8
	s_add_i32 s25, s11, -1
	s_cmp_lg_u64 s[6:7], 0
	s_mul_i32 s1, s20, s21
	s_cselect_b32 s26, -1, 0
	s_abs_i32 s2, s17
	v_mbcnt_lo_u32_b32 v6, -1, 0
	v_cvt_f32_u32_e32 v5, s2
	v_cvt_f32_u32_e32 v7, s16
	s_lshl_b32 s20, s1, 2
	s_sub_i32 s1, 0, s2
	s_add_i32 s21, s11, -4
	v_rcp_iflag_f32_e32 v5, v5
	s_sub_i32 s4, 0, s16
	s_sub_i32 s5, 1, s2
	v_mad_u64_u32 v[40:41], null, s10, 3, v[0:1]
	v_cmp_eq_u32_e64 s0, 63, v8
	v_add_nc_u32_e32 v55, s10, v0
	v_lshlrev_b32_e32 v54, 4, v8
	s_mov_b32 s17, 0
	s_waitcnt_depctr 0xfff
	v_mul_f32_e32 v5, 0x4f7ffffe, v5
	s_delay_alu instid0(VALU_DEP_1) | instskip(NEXT) | instid1(VALU_DEP_1)
	v_cvt_u32_f32_e32 v5, v5
	v_readfirstlane_b32 s3, v5
	v_rcp_iflag_f32_e32 v5, v7
	v_xor_b32_e32 v7, 16, v6
	s_delay_alu instid0(VALU_DEP_2) | instskip(NEXT) | instid1(SALU_CYCLE_1)
	s_mul_i32 s1, s1, s3
	s_mul_hi_u32 s1, s3, s1
	s_delay_alu instid0(VALU_DEP_1)
	v_cmp_gt_i32_e32 vcc_lo, 32, v7
	s_add_i32 s3, s3, s1
	s_cmp_lt_u32 s2, 2
	v_mov_b32_e32 v39, 0
	s_cselect_b32 s1, s5, 1
	v_cndmask_b32_e32 v6, v6, v7, vcc_lo
	s_sub_i32 s5, s1, s2
	s_cmp_ge_u32 s1, s2
	s_waitcnt_depctr 0xfff
	v_mul_f32_e32 v5, 0x4f7ffffe, v5
	s_cselect_b32 s28, s5, s1
	v_lshlrev_b32_e32 v56, 2, v6
	s_lshr_b32 s1, s3, 31
	s_mul_hi_u32 s3, s3, 3
	s_mul_i32 s1, s1, s2
	v_cvt_u32_f32_e32 v5, v5
	s_sub_i32 s1, 2, s1
	s_mul_i32 s3, s3, s2
	s_sub_i32 s5, s1, s2
	s_cmp_ge_u32 s1, s2
	v_mul_lo_u32 v7, s4, v5
	s_cselect_b32 s1, s5, s1
	s_mul_i32 s28, s28, s16
	s_sub_i32 s4, s1, s2
	s_cmp_ge_u32 s1, s2
	s_cselect_b32 s29, s4, s1
	s_sub_i32 s1, 3, s3
	s_delay_alu instid0(VALU_DEP_1) | instskip(SKIP_4) | instid1(SALU_CYCLE_1)
	v_mul_hi_u32 v7, v5, v7
	s_sub_i32 s3, s1, s2
	s_cmp_ge_u32 s1, s2
	s_mul_i32 s29, s29, s16
	s_cselect_b32 s1, s3, s1
	s_sub_i32 s3, s1, s2
	s_cmp_ge_u32 s1, s2
	s_delay_alu instid0(VALU_DEP_1)
	v_add_nc_u32_e32 v57, v5, v7
	s_cselect_b32 s30, s3, s1
	s_lshl_b32 s27, s10, 1
	s_mul_i32 s30, s30, s16
	v_add_nc_u32_e32 v58, s27, v0
	s_mul_i32 s10, s10, 6
	s_branch .LBB273_13
.LBB273_11:                             ;   in Loop: Header=BB273_13 Depth=1
	s_or_b32 exec_lo, exec_lo, s33
	v_mov_b32_e32 v37, s21
.LBB273_12:                             ;   in Loop: Header=BB273_13 Depth=1
	s_or_b32 exec_lo, exec_lo, s31
	s_delay_alu instid0(VALU_DEP_1) | instskip(SKIP_1) | instid1(SALU_CYCLE_1)
	v_cmp_le_u32_e32 vcc_lo, s11, v37
	s_or_b32 s17, vcc_lo, s17
	s_and_not1_b32 exec_lo, exec_lo, s17
	s_cbranch_execz .LBB273_138
.LBB273_13:                             ; =>This Loop Header: Depth=1
                                        ;     Child Loop BB273_17 Depth 2
                                        ;     Child Loop BB273_136 Depth 2
	s_waitcnt vmcnt(11)
	v_dual_mov_b32 v60, v39 :: v_dual_add_nc_u32 v43, 1, v37
	s_waitcnt vmcnt(10)
	v_dual_mov_b32 v59, v39 :: v_dual_add_nc_u32 v42, 2, v37
	v_dual_mov_b32 v62, v39 :: v_dual_add_nc_u32 v41, 3, v37
	v_mov_b32_e32 v61, v39
	v_mov_b32_e32 v63, v39
	;; [unrolled: 1-line block ×13, first 2 shown]
	s_and_not1_b32 vcc_lo, exec_lo, s23
	s_cbranch_vccnz .LBB273_34
; %bb.14:                               ;   in Loop: Header=BB273_13 Depth=1
	v_min_u32_e32 v5, s25, v37
	s_waitcnt lgkmcnt(0)
	v_min_u32_e32 v6, s25, v43
	v_min_u32_e32 v7, s25, v42
	;; [unrolled: 1-line block ×3, first 2 shown]
	v_dual_mov_b32 v10, v39 :: v_dual_mov_b32 v73, 0
	v_mul_lo_u32 v38, v5, s9
	v_mul_lo_u32 v5, v6, s9
	;; [unrolled: 1-line block ×4, first 2 shown]
	v_dual_mov_b32 v6, v39 :: v_dual_mov_b32 v69, 0
	v_dual_mov_b32 v8, v39 :: v_dual_mov_b32 v75, v54
	v_lshlrev_b64 v[44:45], 1, v[38:39]
	s_waitcnt vmcnt(5)
	s_delay_alu instid0(VALU_DEP_3)
	v_lshlrev_b64 v[46:47], 1, v[5:6]
	v_dual_mov_b32 v70, 0 :: v_dual_mov_b32 v71, 0
	v_lshlrev_b64 v[48:49], 1, v[7:8]
	v_lshlrev_b64 v[50:51], 1, v[9:10]
	v_dual_mov_b32 v72, 0 :: v_dual_mov_b32 v67, 0
	v_dual_mov_b32 v74, 0 :: v_dual_mov_b32 v65, 0
	;; [unrolled: 1-line block ×5, first 2 shown]
	v_mov_b32_e32 v62, 0
	v_mov_b32_e32 v60, 0
	s_mov_b32 s1, 0
	s_branch .LBB273_17
.LBB273_15:                             ;   in Loop: Header=BB273_17 Depth=2
	s_or_b32 exec_lo, exec_lo, s3
.LBB273_16:                             ;   in Loop: Header=BB273_17 Depth=2
	s_delay_alu instid0(SALU_CYCLE_1)
	s_or_b32 exec_lo, exec_lo, s2
	s_waitcnt vmcnt(3)
	v_and_b32_e32 v77, 0xffff0000, v30
	v_and_b32_e32 v80, 0xffff0000, v31
	s_waitcnt vmcnt(2)
	v_and_b32_e32 v85, 0xffff0000, v26
	s_waitcnt vmcnt(0) lgkmcnt(0)
	v_and_b32_e32 v79, 0xffff0000, v35
	v_and_b32_e32 v38, 0xffff0000, v33
	;; [unrolled: 1-line block ×3, first 2 shown]
	v_lshlrev_b32_e32 v53, 16, v29
	v_lshlrev_b32_e32 v34, 16, v34
	;; [unrolled: 1-line block ×3, first 2 shown]
	s_delay_alu instid0(VALU_DEP_4)
	v_dual_mul_f32 v78, v76, v77 :: v_dual_lshlrev_b32 v35, 16, v35
	v_lshlrev_b32_e32 v33, 16, v33
	v_lshlrev_b32_e32 v26, 16, v26
	v_add_nc_u32_e32 v75, 0x400, v75
	s_addk_i32 s1, 0x200
	v_fmac_f32_e32 v78, v34, v30
	v_and_b32_e32 v52, 0xffff0000, v29
	s_cmp_ge_u32 s1, s8
	v_and_b32_e32 v88, 0xffff0000, v28
	v_lshlrev_b32_e32 v28, 16, v28
	s_delay_alu instid0(VALU_DEP_3) | instskip(SKIP_1) | instid1(VALU_DEP_2)
	v_dual_mul_f32 v29, v38, v52 :: v_dual_and_b32 v92, 0xffff0000, v14
	v_dual_mul_f32 v86, v76, v85 :: v_dual_and_b32 v81, 0xffff0000, v36
	v_dual_fmac_f32 v29, v33, v53 :: v_dual_lshlrev_b32 v14, 16, v14
	s_delay_alu instid0(VALU_DEP_1) | instskip(SKIP_2) | instid1(VALU_DEP_3)
	v_dual_fmac_f32 v86, v34, v26 :: v_dual_add_f32 v69, v69, v29
	v_lshlrev_b32_e32 v29, 16, v31
	v_mul_f32_e32 v31, v79, v80
	v_add_f32_e32 v69, v69, v78
	s_delay_alu instid0(VALU_DEP_2) | instskip(NEXT) | instid1(VALU_DEP_1)
	v_dual_fmac_f32 v31, v35, v29 :: v_dual_and_b32 v82, 0xffff0000, v32
	v_dual_add_f32 v31, v69, v31 :: v_dual_lshlrev_b32 v32, 16, v32
	s_delay_alu instid0(VALU_DEP_2) | instskip(SKIP_1) | instid1(VALU_DEP_1)
	v_dual_mul_f32 v83, v81, v82 :: v_dual_and_b32 v78, 0xffff0000, v25
	v_lshlrev_b32_e32 v36, 16, v36
	v_dual_mul_f32 v84, v38, v78 :: v_dual_fmac_f32 v83, v36, v32
	s_delay_alu instid0(VALU_DEP_1) | instskip(SKIP_2) | instid1(VALU_DEP_2)
	v_add_f32_e32 v69, v31, v83
	v_and_b32_e32 v83, 0xffff0000, v17
	v_lshlrev_b32_e32 v17, 16, v17
	v_mul_f32_e32 v87, v38, v83
	s_delay_alu instid0(VALU_DEP_1) | instskip(NEXT) | instid1(VALU_DEP_1)
	v_fmac_f32_e32 v87, v33, v17
	v_add_f32_e32 v70, v70, v87
	v_and_b32_e32 v31, 0xffff0000, v27
	v_lshlrev_b32_e32 v27, 16, v27
	v_lshlrev_b32_e32 v25, 16, v25
	s_delay_alu instid0(VALU_DEP_1) | instskip(NEXT) | instid1(VALU_DEP_1)
	v_fmac_f32_e32 v84, v33, v25
	v_add_f32_e32 v73, v73, v84
	s_delay_alu instid0(VALU_DEP_1) | instskip(SKIP_2) | instid1(VALU_DEP_2)
	v_add_f32_e32 v73, v73, v86
	v_and_b32_e32 v86, 0xffff0000, v18
	v_lshlrev_b32_e32 v18, 16, v18
	v_mul_f32_e32 v89, v76, v86
	s_delay_alu instid0(VALU_DEP_1) | instskip(NEXT) | instid1(VALU_DEP_1)
	v_fmac_f32_e32 v89, v34, v18
	v_add_f32_e32 v70, v70, v89
	v_mul_f32_e32 v84, v79, v31
	v_dual_mul_f32 v91, v81, v88 :: v_dual_and_b32 v90, 0xffff0000, v19
	s_delay_alu instid0(VALU_DEP_2) | instskip(NEXT) | instid1(VALU_DEP_2)
	v_fmac_f32_e32 v84, v35, v27
	v_mul_f32_e32 v87, v79, v90
	s_delay_alu instid0(VALU_DEP_3) | instskip(NEXT) | instid1(VALU_DEP_3)
	v_fmac_f32_e32 v91, v36, v28
	v_dual_add_f32 v73, v73, v84 :: v_dual_and_b32 v84, 0xffff0000, v13
	v_lshlrev_b32_e32 v13, 16, v13
	s_delay_alu instid0(VALU_DEP_2) | instskip(NEXT) | instid1(VALU_DEP_1)
	v_dual_add_f32 v73, v73, v91 :: v_dual_mul_f32 v38, v38, v84
	v_dual_fmac_f32 v38, v33, v13 :: v_dual_mul_f32 v33, v76, v92
	v_and_b32_e32 v76, 0xffff0000, v15
	v_lshlrev_b32_e32 v19, 16, v19
	s_delay_alu instid0(VALU_DEP_3) | instskip(NEXT) | instid1(VALU_DEP_3)
	v_dual_add_f32 v38, v72, v38 :: v_dual_lshlrev_b32 v15, 16, v15
	v_dual_fmac_f32 v33, v34, v14 :: v_dual_mul_f32 v72, v79, v76
	v_and_b32_e32 v89, 0xffff0000, v20
	v_lshlrev_b32_e32 v20, 16, v20
	v_and_b32_e32 v34, 0xffff0000, v21
	s_delay_alu instid0(VALU_DEP_4) | instskip(NEXT) | instid1(VALU_DEP_4)
	v_dual_add_f32 v33, v38, v33 :: v_dual_fmac_f32 v72, v35, v15
	v_dual_mul_f32 v93, v81, v89 :: v_dual_and_b32 v38, 0xffff0000, v16
	s_delay_alu instid0(VALU_DEP_3) | instskip(SKIP_2) | instid1(VALU_DEP_4)
	v_mul_f32_e32 v79, v34, v52
	v_lshlrev_b32_e32 v16, 16, v16
	v_and_b32_e32 v91, 0xffff0000, v23
	v_fmac_f32_e32 v93, v36, v20
	v_fmac_f32_e32 v87, v35, v19
	v_and_b32_e32 v35, 0xffff0000, v22
	v_lshlrev_b32_e32 v22, 16, v22
	s_delay_alu instid0(VALU_DEP_3) | instskip(NEXT) | instid1(VALU_DEP_3)
	v_dual_mul_f32 v81, v81, v38 :: v_dual_add_f32 v70, v70, v87
	v_mul_f32_e32 v87, v35, v77
	s_delay_alu instid0(VALU_DEP_2) | instskip(NEXT) | instid1(VALU_DEP_2)
	v_dual_fmac_f32 v81, v36, v16 :: v_dual_add_f32 v70, v70, v93
	v_fmac_f32_e32 v87, v22, v30
	v_lshlrev_b32_e32 v21, 16, v21
	v_mul_f32_e32 v93, v34, v83
	s_delay_alu instid0(VALU_DEP_2) | instskip(NEXT) | instid1(VALU_DEP_1)
	v_fmac_f32_e32 v79, v21, v53
	v_dual_add_f32 v36, v71, v79 :: v_dual_mul_f32 v79, v34, v78
	v_mul_f32_e32 v34, v34, v84
	s_delay_alu instid0(VALU_DEP_2) | instskip(NEXT) | instid1(VALU_DEP_2)
	v_add_f32_e32 v36, v36, v87
	v_dual_fmac_f32 v34, v21, v13 :: v_dual_lshlrev_b32 v23, 16, v23
	s_delay_alu instid0(VALU_DEP_4) | instskip(SKIP_2) | instid1(VALU_DEP_4)
	v_fmac_f32_e32 v79, v21, v25
	v_mul_f32_e32 v71, v91, v80
	v_fmac_f32_e32 v93, v21, v17
	v_add_f32_e32 v34, v65, v34
	s_delay_alu instid0(VALU_DEP_4) | instskip(NEXT) | instid1(VALU_DEP_4)
	v_dual_add_f32 v74, v74, v79 :: v_dual_mul_f32 v87, v35, v85
	v_fmac_f32_e32 v71, v23, v29
	v_mul_f32_e32 v94, v35, v86
	s_delay_alu instid0(VALU_DEP_3) | instskip(NEXT) | instid1(VALU_DEP_3)
	v_fmac_f32_e32 v87, v22, v26
	v_dual_add_f32 v33, v33, v72 :: v_dual_add_f32 v36, v36, v71
	s_delay_alu instid0(VALU_DEP_3) | instskip(NEXT) | instid1(VALU_DEP_2)
	v_fmac_f32_e32 v94, v22, v18
	v_dual_add_f32 v72, v33, v81 :: v_dual_and_b32 v33, 0xffff0000, v24
	s_delay_alu instid0(VALU_DEP_1) | instskip(NEXT) | instid1(VALU_DEP_1)
	v_dual_mul_f32 v81, v33, v82 :: v_dual_lshlrev_b32 v24, 16, v24
	v_fmac_f32_e32 v81, v24, v32
	s_delay_alu instid0(VALU_DEP_1)
	v_add_f32_e32 v71, v36, v81
	v_and_b32_e32 v81, 0xffff0000, v10
	v_mul_f32_e32 v21, v35, v92
	v_and_b32_e32 v35, 0xffff0000, v9
	v_lshlrev_b32_e32 v10, 16, v10
	v_lshlrev_b32_e32 v9, 16, v9
	s_delay_alu instid0(VALU_DEP_3) | instskip(NEXT) | instid1(VALU_DEP_1)
	v_dual_fmac_f32 v21, v22, v14 :: v_dual_mul_f32 v22, v35, v52
	v_add_f32_e32 v21, v34, v21
	s_delay_alu instid0(VALU_DEP_2) | instskip(SKIP_3) | instid1(VALU_DEP_4)
	v_fmac_f32_e32 v22, v9, v53
	v_mul_f32_e32 v34, v81, v77
	v_add_f32_e32 v36, v74, v87
	v_mul_f32_e32 v74, v91, v90
	v_add_f32_e32 v22, v68, v22
	s_delay_alu instid0(VALU_DEP_4) | instskip(NEXT) | instid1(VALU_DEP_3)
	v_dual_fmac_f32 v34, v10, v30 :: v_dual_mul_f32 v79, v91, v31
	v_dual_fmac_f32 v74, v23, v19 :: v_dual_mul_f32 v65, v33, v89
	s_delay_alu instid0(VALU_DEP_2) | instskip(NEXT) | instid1(VALU_DEP_2)
	v_dual_add_f32 v22, v22, v34 :: v_dual_fmac_f32 v79, v23, v27
	v_dual_mul_f32 v34, v81, v85 :: v_dual_fmac_f32 v65, v24, v20
	s_delay_alu instid0(VALU_DEP_2) | instskip(SKIP_1) | instid1(VALU_DEP_2)
	v_dual_add_f32 v36, v36, v79 :: v_dual_mul_f32 v79, v33, v88
	v_mul_f32_e32 v33, v33, v38
	v_dual_fmac_f32 v34, v10, v26 :: v_dual_fmac_f32 v79, v24, v28
	v_add_f32_e32 v67, v67, v93
	s_delay_alu instid0(VALU_DEP_3) | instskip(SKIP_1) | instid1(VALU_DEP_3)
	v_fmac_f32_e32 v33, v24, v16
	v_and_b32_e32 v24, 0xffff0000, v12
	v_dual_add_f32 v67, v67, v94 :: v_dual_lshlrev_b32 v12, 16, v12
	s_delay_alu instid0(VALU_DEP_1) | instskip(SKIP_1) | instid1(VALU_DEP_1)
	v_add_f32_e32 v67, v67, v74
	v_mul_f32_e32 v74, v91, v76
	v_fmac_f32_e32 v74, v23, v15
	v_and_b32_e32 v23, 0xffff0000, v11
	s_delay_alu instid0(VALU_DEP_1) | instskip(NEXT) | instid1(VALU_DEP_1)
	v_dual_mul_f32 v68, v23, v80 :: v_dual_lshlrev_b32 v11, 16, v11
	v_fmac_f32_e32 v68, v11, v29
	s_delay_alu instid0(VALU_DEP_1) | instskip(SKIP_3) | instid1(VALU_DEP_3)
	v_dual_add_f32 v22, v22, v68 :: v_dual_add_f32 v21, v21, v74
	v_mul_f32_e32 v68, v81, v86
	v_add_f32_e32 v74, v36, v79
	v_mul_f32_e32 v36, v24, v82
	v_dual_mul_f32 v79, v24, v89 :: v_dual_fmac_f32 v68, v10, v18
	s_delay_alu instid0(VALU_DEP_2) | instskip(NEXT) | instid1(VALU_DEP_2)
	v_fmac_f32_e32 v36, v12, v32
	v_fmac_f32_e32 v79, v12, v20
	v_add_f32_e32 v67, v67, v65
	v_add_f32_e32 v65, v21, v33
	v_mul_f32_e32 v21, v35, v78
	s_delay_alu instid0(VALU_DEP_1) | instskip(NEXT) | instid1(VALU_DEP_1)
	v_fmac_f32_e32 v21, v9, v25
	v_dual_add_f32 v21, v64, v21 :: v_dual_mul_f32 v64, v23, v31
	s_delay_alu instid0(VALU_DEP_1) | instskip(NEXT) | instid1(VALU_DEP_1)
	v_dual_add_f32 v21, v21, v34 :: v_dual_mul_f32 v34, v24, v88
	v_fmac_f32_e32 v34, v12, v28
	s_delay_alu instid0(VALU_DEP_3) | instskip(NEXT) | instid1(VALU_DEP_1)
	v_fmac_f32_e32 v64, v11, v27
	v_add_f32_e32 v21, v21, v64
	s_delay_alu instid0(VALU_DEP_1) | instskip(SKIP_3) | instid1(VALU_DEP_3)
	v_dual_add_f32 v64, v21, v34 :: v_dual_and_b32 v21, 0xffff0000, v5
	v_mul_f32_e32 v33, v35, v83
	v_lshlrev_b32_e32 v5, 16, v5
	v_dual_mul_f32 v35, v35, v84 :: v_dual_and_b32 v34, 0xffff0000, v6
	v_dual_fmac_f32 v33, v9, v17 :: v_dual_lshlrev_b32 v6, 16, v6
	s_delay_alu instid0(VALU_DEP_2) | instskip(SKIP_1) | instid1(VALU_DEP_1)
	v_fmac_f32_e32 v35, v9, v13
	v_mul_f32_e32 v9, v81, v92
	v_dual_fmac_f32 v9, v10, v14 :: v_dual_mul_f32 v10, v23, v76
	s_delay_alu instid0(VALU_DEP_1) | instskip(SKIP_1) | instid1(VALU_DEP_1)
	v_dual_fmac_f32 v10, v11, v15 :: v_dual_add_f32 v33, v66, v33
	v_dual_mul_f32 v66, v23, v90 :: v_dual_mul_f32 v23, v34, v77
	v_dual_fmac_f32 v66, v11, v19 :: v_dual_mul_f32 v11, v24, v38
	s_delay_alu instid0(VALU_DEP_2) | instskip(SKIP_4) | instid1(VALU_DEP_4)
	v_fmac_f32_e32 v23, v6, v30
	v_mul_f32_e32 v24, v21, v78
	v_add_f32_e32 v33, v33, v68
	v_add_f32_e32 v68, v22, v36
	v_mul_f32_e32 v22, v21, v52
	v_dual_fmac_f32 v11, v12, v16 :: v_dual_fmac_f32 v24, v5, v25
	v_and_b32_e32 v25, 0xffff0000, v8
	v_lshlrev_b32_e32 v8, 16, v8
	s_delay_alu instid0(VALU_DEP_4) | instskip(NEXT) | instid1(VALU_DEP_4)
	v_fmac_f32_e32 v22, v5, v53
	v_add_f32_e32 v24, v61, v24
	s_delay_alu instid0(VALU_DEP_2) | instskip(NEXT) | instid1(VALU_DEP_1)
	v_add_f32_e32 v22, v62, v22
	v_add_f32_e32 v12, v22, v23
	v_dual_mul_f32 v22, v34, v85 :: v_dual_add_f32 v33, v33, v66
	s_delay_alu instid0(VALU_DEP_1) | instskip(NEXT) | instid1(VALU_DEP_2)
	v_fmac_f32_e32 v22, v6, v26
	v_add_f32_e32 v66, v33, v79
	s_delay_alu instid0(VALU_DEP_2) | instskip(SKIP_2) | instid1(VALU_DEP_3)
	v_dual_add_f32 v22, v24, v22 :: v_dual_add_f32 v33, v63, v35
	v_mul_f32_e32 v24, v21, v83
	v_mul_f32_e32 v21, v21, v84
	v_add_f32_e32 v9, v33, v9
	s_delay_alu instid0(VALU_DEP_3) | instskip(NEXT) | instid1(VALU_DEP_3)
	v_dual_fmac_f32 v24, v5, v17 :: v_dual_mul_f32 v17, v34, v86
	v_fmac_f32_e32 v21, v5, v13
	v_mul_f32_e32 v5, v34, v92
	s_delay_alu instid0(VALU_DEP_4) | instskip(NEXT) | instid1(VALU_DEP_4)
	v_dual_add_f32 v9, v9, v10 :: v_dual_and_b32 v10, 0xffff0000, v7
	v_add_f32_e32 v13, v60, v24
	v_fmac_f32_e32 v17, v6, v18
	s_delay_alu instid0(VALU_DEP_4) | instskip(NEXT) | instid1(VALU_DEP_4)
	v_fmac_f32_e32 v5, v6, v14
	v_dual_add_f32 v21, v59, v21 :: v_dual_mul_f32 v6, v10, v76
	v_mul_f32_e32 v23, v10, v80
	v_mul_f32_e32 v26, v10, v31
	;; [unrolled: 1-line block ×3, first 2 shown]
	v_dual_add_f32 v10, v13, v17 :: v_dual_lshlrev_b32 v7, 16, v7
	v_mul_f32_e32 v13, v25, v89
	s_delay_alu instid0(VALU_DEP_2) | instskip(NEXT) | instid1(VALU_DEP_1)
	v_dual_add_f32 v5, v21, v5 :: v_dual_fmac_f32 v18, v7, v19
	v_dual_fmac_f32 v13, v8, v20 :: v_dual_add_f32 v10, v10, v18
	v_fmac_f32_e32 v23, v7, v29
	v_fmac_f32_e32 v26, v7, v27
	v_fmac_f32_e32 v6, v7, v15
	s_delay_alu instid0(VALU_DEP_4) | instskip(NEXT) | instid1(VALU_DEP_4)
	v_dual_add_f32 v63, v9, v11 :: v_dual_add_f32 v60, v10, v13
	v_dual_mul_f32 v29, v25, v82 :: v_dual_add_f32 v12, v12, v23
	v_mul_f32_e32 v23, v25, v88
	v_mul_f32_e32 v7, v25, v38
	s_delay_alu instid0(VALU_DEP_3) | instskip(SKIP_1) | instid1(VALU_DEP_4)
	v_dual_add_f32 v22, v22, v26 :: v_dual_fmac_f32 v29, v8, v32
	v_add_f32_e32 v5, v5, v6
	v_fmac_f32_e32 v23, v8, v28
	s_delay_alu instid0(VALU_DEP_4) | instskip(NEXT) | instid1(VALU_DEP_2)
	v_fmac_f32_e32 v7, v8, v16
	v_dual_add_f32 v62, v12, v29 :: v_dual_add_f32 v61, v22, v23
	s_delay_alu instid0(VALU_DEP_2)
	v_add_f32_e32 v59, v5, v7
	s_cbranch_scc1 .LBB273_34
.LBB273_17:                             ;   Parent Loop BB273_13 Depth=1
                                        ; =>  This Inner Loop Header: Depth=2
	v_add_nc_u32_e32 v52, s1, v0
	v_dual_mov_b32 v24, 0 :: v_dual_mov_b32 v21, 0
	s_waitcnt vmcnt(1)
	v_dual_mov_b32 v22, 0 :: v_dual_mov_b32 v35, 0
	s_delay_alu instid0(VALU_DEP_3) | instskip(SKIP_3) | instid1(VALU_DEP_3)
	v_min_u32_e32 v38, s24, v52
	v_dual_mov_b32 v36, 0 :: v_dual_mov_b32 v33, 0
	v_mov_b32_e32 v34, 0
	s_mov_b32 s2, exec_lo
	v_lshlrev_b64 v[5:6], 1, v[38:39]
	v_mov_b32_e32 v23, 0
	s_waitcnt lgkmcnt(0)
	s_delay_alu instid0(VALU_DEP_2) | instskip(NEXT) | instid1(VALU_DEP_3)
	v_add_co_u32 v11, vcc_lo, s14, v5
	v_add_co_ci_u32_e32 v12, vcc_lo, s15, v6, vcc_lo
	s_delay_alu instid0(VALU_DEP_2) | instskip(NEXT) | instid1(VALU_DEP_2)
	v_add_co_u32 v5, vcc_lo, v11, v44
	v_add_co_ci_u32_e32 v6, vcc_lo, v12, v45, vcc_lo
	v_add_co_u32 v7, vcc_lo, v11, v46
	v_add_co_ci_u32_e32 v8, vcc_lo, v12, v47, vcc_lo
	v_add_co_u32 v9, vcc_lo, v11, v48
	v_add_co_ci_u32_e32 v10, vcc_lo, v12, v49, vcc_lo
	v_add_co_u32 v11, vcc_lo, v11, v50
	v_add_co_ci_u32_e32 v12, vcc_lo, v12, v51, vcc_lo
	s_clause 0x3
	global_load_b128 v[29:32], v[5:6], off slc dlc
	global_load_b128 v[25:28], v[7:8], off slc dlc
	;; [unrolled: 1-line block ×4, first 2 shown]
	v_dual_mov_b32 v8, 0 :: v_dual_mov_b32 v5, 0
	v_dual_mov_b32 v7, 0 :: v_dual_mov_b32 v6, 0
	;; [unrolled: 1-line block ×4, first 2 shown]
	v_cmpx_gt_u32_e64 s8, v52
	s_cbranch_execz .LBB273_16
; %bb.18:                               ;   in Loop: Header=BB273_17 Depth=2
	s_mov_b32 s3, exec_lo
                                        ; implicit-def: $vgpr36
	v_cmpx_lt_u32_e32 0x7fff, v52
	s_xor_b32 s3, exec_lo, s3
	s_cbranch_execz .LBB273_20
; %bb.19:                               ;   in Loop: Header=BB273_17 Depth=2
	v_mov_b32_e32 v53, v39
	s_delay_alu instid0(VALU_DEP_1) | instskip(NEXT) | instid1(VALU_DEP_1)
	v_lshlrev_b64 v[5:6], 1, v[52:53]
	v_add_co_u32 v5, vcc_lo, s12, v5
	s_delay_alu instid0(VALU_DEP_2)
	v_add_co_ci_u32_e32 v6, vcc_lo, s13, v6, vcc_lo
	global_load_b128 v[33:36], v[5:6], off
.LBB273_20:                             ;   in Loop: Header=BB273_17 Depth=2
	s_and_not1_saveexec_b32 s3, s3
	s_cbranch_execz .LBB273_22
; %bb.21:                               ;   in Loop: Header=BB273_17 Depth=2
	s_waitcnt vmcnt(0)
	ds_load_b128 v[33:36], v75
.LBB273_22:                             ;   in Loop: Header=BB273_17 Depth=2
	s_or_b32 exec_lo, exec_lo, s3
	v_add_nc_u32_e32 v38, s1, v55
	s_mov_b32 s3, exec_lo
                                        ; implicit-def: $vgpr24
	s_delay_alu instid0(VALU_DEP_1)
	v_cmpx_lt_u32_e32 0x7fff, v38
	s_xor_b32 s3, exec_lo, s3
	s_cbranch_execz .LBB273_24
; %bb.23:                               ;   in Loop: Header=BB273_17 Depth=2
	v_lshlrev_b64 v[5:6], 1, v[38:39]
	s_delay_alu instid0(VALU_DEP_1) | instskip(NEXT) | instid1(VALU_DEP_2)
	v_add_co_u32 v5, vcc_lo, s12, v5
	v_add_co_ci_u32_e32 v6, vcc_lo, s13, v6, vcc_lo
	global_load_b128 v[21:24], v[5:6], off
.LBB273_24:                             ;   in Loop: Header=BB273_17 Depth=2
	s_and_not1_saveexec_b32 s3, s3
	s_cbranch_execz .LBB273_26
; %bb.25:                               ;   in Loop: Header=BB273_17 Depth=2
	v_add_nc_u32_e32 v5, s27, v75
	s_waitcnt vmcnt(0)
	ds_load_b128 v[21:24], v5
.LBB273_26:                             ;   in Loop: Header=BB273_17 Depth=2
	s_or_b32 exec_lo, exec_lo, s3
	v_add_nc_u32_e32 v38, s1, v58
	s_mov_b32 s3, exec_lo
                                        ; implicit-def: $vgpr12
	s_delay_alu instid0(VALU_DEP_1)
	v_cmpx_lt_u32_e32 0x7fff, v38
	s_xor_b32 s3, exec_lo, s3
	s_cbranch_execz .LBB273_28
; %bb.27:                               ;   in Loop: Header=BB273_17 Depth=2
	v_lshlrev_b64 v[5:6], 1, v[38:39]
	s_delay_alu instid0(VALU_DEP_1) | instskip(NEXT) | instid1(VALU_DEP_2)
	v_add_co_u32 v5, vcc_lo, s12, v5
	v_add_co_ci_u32_e32 v6, vcc_lo, s13, v6, vcc_lo
	global_load_b128 v[9:12], v[5:6], off
.LBB273_28:                             ;   in Loop: Header=BB273_17 Depth=2
	s_and_not1_saveexec_b32 s3, s3
	s_cbranch_execz .LBB273_30
; %bb.29:                               ;   in Loop: Header=BB273_17 Depth=2
	v_add_nc_u32_e32 v5, s22, v75
	s_waitcnt vmcnt(0)
	ds_load_2addr_b32 v[9:10], v5 offset1:1
	ds_load_2addr_b32 v[11:12], v5 offset0:2 offset1:3
.LBB273_30:                             ;   in Loop: Header=BB273_17 Depth=2
	s_or_b32 exec_lo, exec_lo, s3
	v_add_nc_u32_e32 v38, s1, v40
	s_mov_b32 s3, exec_lo
                                        ; implicit-def: $vgpr8
	s_delay_alu instid0(VALU_DEP_1)
	v_cmpx_lt_u32_e32 0x7fff, v38
	s_xor_b32 s3, exec_lo, s3
	s_cbranch_execz .LBB273_32
; %bb.31:                               ;   in Loop: Header=BB273_17 Depth=2
	v_lshlrev_b64 v[5:6], 1, v[38:39]
	s_delay_alu instid0(VALU_DEP_1) | instskip(NEXT) | instid1(VALU_DEP_2)
	v_add_co_u32 v5, vcc_lo, s12, v5
	v_add_co_ci_u32_e32 v6, vcc_lo, s13, v6, vcc_lo
	global_load_b128 v[5:8], v[5:6], off
.LBB273_32:                             ;   in Loop: Header=BB273_17 Depth=2
	s_and_not1_saveexec_b32 s3, s3
	s_cbranch_execz .LBB273_15
; %bb.33:                               ;   in Loop: Header=BB273_17 Depth=2
	s_waitcnt vmcnt(0)
	v_add_nc_u32_e32 v5, s10, v75
	ds_load_b128 v[5:8], v5
	s_branch .LBB273_15
.LBB273_34:                             ;   in Loop: Header=BB273_13 Depth=1
	s_delay_alu instid0(VALU_DEP_1)
	v_cvt_i32_f32_e32 v5, v69
	s_waitcnt lgkmcnt(0)
	v_cvt_i32_f32_e32 v6, v73
	v_cvt_i32_f32_e32 v7, v70
	;; [unrolled: 1-line block ×4, first 2 shown]
	v_cvt_f32_i32_dpp v5, v5 row_shr:8 row_mask:0xf bank_mask:0xf bound_ctrl:1
	v_cvt_f32_i32_dpp v6, v6 row_shr:8 row_mask:0xf bank_mask:0xf bound_ctrl:1
	;; [unrolled: 1-line block ×4, first 2 shown]
	v_cvt_i32_f32_e32 v10, v74
	v_add_f32_e32 v5, v69, v5
	v_cvt_f32_i32_dpp v9, v9 row_shr:8 row_mask:0xf bank_mask:0xf bound_ctrl:1
	v_dual_add_f32 v6, v73, v6 :: v_dual_add_f32 v7, v70, v7
	v_add_f32_e32 v8, v72, v8
	s_delay_alu instid0(VALU_DEP_4)
	v_cvt_i32_f32_e32 v11, v5
	v_cvt_f32_i32_dpp v10, v10 row_shr:8 row_mask:0xf bank_mask:0xf bound_ctrl:1
	v_add_f32_e32 v9, v71, v9
	v_cvt_i32_f32_e32 v12, v6
	v_cvt_i32_f32_e32 v13, v7
	v_cvt_f32_i32_dpp v11, v11 row_shr:4 row_mask:0xf bank_mask:0xf bound_ctrl:1
	v_add_f32_e32 v10, v74, v10
	v_cvt_i32_f32_e32 v14, v8
	v_cvt_i32_f32_e32 v15, v9
	s_delay_alu instid0(VALU_DEP_4)
	v_add_f32_e32 v5, v5, v11
	v_cvt_f32_i32_dpp v11, v12 row_shr:4 row_mask:0xf bank_mask:0xf bound_ctrl:1
	v_cvt_f32_i32_dpp v12, v13 row_shr:4 row_mask:0xf bank_mask:0xf bound_ctrl:1
	;; [unrolled: 1-line block ×4, first 2 shown]
	v_cvt_i32_f32_e32 v16, v10
	s_delay_alu instid0(VALU_DEP_4) | instskip(NEXT) | instid1(VALU_DEP_4)
	v_dual_add_f32 v6, v6, v11 :: v_dual_add_f32 v7, v7, v12
	v_add_f32_e32 v8, v8, v13
	v_cvt_i32_f32_e32 v15, v5
	s_delay_alu instid0(VALU_DEP_4) | instskip(NEXT) | instid1(VALU_DEP_4)
	v_cvt_f32_i32_dpp v16, v16 row_shr:4 row_mask:0xf bank_mask:0xf bound_ctrl:1
	v_cvt_i32_f32_e32 v12, v6
	v_cvt_i32_f32_e32 v13, v7
	v_add_f32_e32 v9, v9, v14
	v_cvt_f32_i32_dpp v11, v15 row_shr:2 row_mask:0xf bank_mask:0xf bound_ctrl:1
	v_add_f32_e32 v10, v10, v16
	v_cvt_f32_i32_dpp v12, v12 row_shr:2 row_mask:0xf bank_mask:0xf bound_ctrl:1
	v_cvt_f32_i32_dpp v13, v13 row_shr:2 row_mask:0xf bank_mask:0xf bound_ctrl:1
	v_cvt_i32_f32_e32 v14, v9
	v_add_f32_e32 v5, v5, v11
	v_cvt_i32_f32_e32 v11, v8
	v_add_f32_e32 v6, v6, v12
	v_cvt_i32_f32_e32 v15, v10
	v_cvt_f32_i32_dpp v14, v14 row_shr:2 row_mask:0xf bank_mask:0xf bound_ctrl:1
	v_cvt_i32_f32_e32 v16, v5
	v_cvt_f32_i32_dpp v11, v11 row_shr:2 row_mask:0xf bank_mask:0xf bound_ctrl:1
	v_add_f32_e32 v7, v7, v13
	v_cvt_f32_i32_dpp v15, v15 row_shr:2 row_mask:0xf bank_mask:0xf bound_ctrl:1
	s_delay_alu instid0(VALU_DEP_4) | instskip(NEXT) | instid1(VALU_DEP_4)
	v_cvt_f32_i32_dpp v16, v16 row_shr:1 row_mask:0xf bank_mask:0xf bound_ctrl:1
	v_add_f32_e32 v8, v8, v11
	s_delay_alu instid0(VALU_DEP_4) | instskip(NEXT) | instid1(VALU_DEP_3)
	v_cvt_i32_f32_e32 v11, v7
	v_add_f32_e32 v49, v5, v16
	s_delay_alu instid0(VALU_DEP_3) | instskip(NEXT) | instid1(VALU_DEP_3)
	v_cvt_i32_f32_e32 v12, v8
	v_cvt_f32_i32_dpp v11, v11 row_shr:1 row_mask:0xf bank_mask:0xf bound_ctrl:1
	v_add_f32_e32 v9, v9, v14
	s_delay_alu instid0(VALU_DEP_3) | instskip(NEXT) | instid1(VALU_DEP_3)
	v_cvt_f32_i32_dpp v12, v12 row_shr:1 row_mask:0xf bank_mask:0xf bound_ctrl:1
	v_add_f32_e32 v36, v7, v11
	s_delay_alu instid0(VALU_DEP_3)
	v_cvt_i32_f32_e32 v13, v9
	v_cvt_i32_f32_e32 v7, v68
	ds_bpermute_b32 v45, v56, v36
	v_cvt_f32_i32_dpp v13, v13 row_shr:1 row_mask:0xf bank_mask:0xf bound_ctrl:1
	v_add_f32_e32 v5, v10, v15
	v_cvt_i32_f32_e32 v10, v6
	v_cvt_f32_i32_dpp v7, v7 row_shr:8 row_mask:0xf bank_mask:0xf bound_ctrl:1
	s_delay_alu instid0(VALU_DEP_4) | instskip(NEXT) | instid1(VALU_DEP_4)
	v_add_f32_e32 v30, v9, v13
	v_cvt_i32_f32_e32 v14, v5
	s_delay_alu instid0(VALU_DEP_4)
	v_cvt_f32_i32_dpp v10, v10 row_shr:1 row_mask:0xf bank_mask:0xf bound_ctrl:1
	v_cvt_i32_f32_e32 v9, v66
	ds_bpermute_b32 v31, v56, v30
	v_cvt_f32_i32_dpp v14, v14 row_shr:1 row_mask:0xf bank_mask:0xf bound_ctrl:1
	v_add_f32_e32 v44, v6, v10
	v_cvt_i32_f32_e32 v6, v65
	v_cvt_f32_i32_dpp v9, v9 row_shr:8 row_mask:0xf bank_mask:0xf bound_ctrl:1
	ds_bpermute_b32 v50, v56, v49
	ds_bpermute_b32 v47, v56, v44
	v_cvt_f32_i32_dpp v6, v6 row_shr:8 row_mask:0xf bank_mask:0xf bound_ctrl:1
	v_add_f32_e32 v33, v8, v12
	v_cvt_i32_f32_e32 v8, v64
	s_delay_alu instid0(VALU_DEP_3)
	v_add_f32_e32 v6, v65, v6
	ds_bpermute_b32 v34, v56, v33
	v_cvt_f32_i32_dpp v8, v8 row_shr:8 row_mask:0xf bank_mask:0xf bound_ctrl:1
	v_add_f32_e32 v25, v5, v14
	v_cvt_i32_f32_e32 v5, v67
	v_cvt_i32_f32_e32 v11, v6
	s_delay_alu instid0(VALU_DEP_4) | instskip(SKIP_4) | instid1(VALU_DEP_2)
	v_add_f32_e32 v8, v64, v8
	ds_bpermute_b32 v26, v56, v25
	v_cvt_f32_i32_dpp v5, v5 row_shr:8 row_mask:0xf bank_mask:0xf bound_ctrl:1
	v_cvt_f32_i32_dpp v11, v11 row_shr:4 row_mask:0xf bank_mask:0xf bound_ctrl:1
	v_cvt_i32_f32_e32 v13, v8
	v_dual_add_f32 v5, v67, v5 :: v_dual_add_f32 v6, v6, v11
	s_delay_alu instid0(VALU_DEP_2) | instskip(NEXT) | instid1(VALU_DEP_2)
	v_cvt_f32_i32_dpp v13, v13 row_shr:4 row_mask:0xf bank_mask:0xf bound_ctrl:1
	v_cvt_i32_f32_e32 v10, v5
	s_delay_alu instid0(VALU_DEP_3) | instskip(NEXT) | instid1(VALU_DEP_3)
	v_cvt_i32_f32_e32 v11, v6
	v_add_f32_e32 v8, v8, v13
	s_delay_alu instid0(VALU_DEP_3) | instskip(NEXT) | instid1(VALU_DEP_3)
	v_cvt_f32_i32_dpp v10, v10 row_shr:4 row_mask:0xf bank_mask:0xf bound_ctrl:1
	v_cvt_f32_i32_dpp v11, v11 row_shr:2 row_mask:0xf bank_mask:0xf bound_ctrl:1
	s_delay_alu instid0(VALU_DEP_3) | instskip(NEXT) | instid1(VALU_DEP_2)
	v_cvt_i32_f32_e32 v13, v8
	v_dual_add_f32 v5, v5, v10 :: v_dual_add_f32 v6, v6, v11
	s_delay_alu instid0(VALU_DEP_2) | instskip(NEXT) | instid1(VALU_DEP_2)
	v_cvt_f32_i32_dpp v13, v13 row_shr:2 row_mask:0xf bank_mask:0xf bound_ctrl:1
	v_cvt_i32_f32_e32 v10, v5
	s_delay_alu instid0(VALU_DEP_3) | instskip(NEXT) | instid1(VALU_DEP_3)
	v_cvt_i32_f32_e32 v11, v6
	v_add_f32_e32 v8, v8, v13
	s_delay_alu instid0(VALU_DEP_3) | instskip(NEXT) | instid1(VALU_DEP_3)
	v_cvt_f32_i32_dpp v10, v10 row_shr:2 row_mask:0xf bank_mask:0xf bound_ctrl:1
	v_cvt_f32_i32_dpp v11, v11 row_shr:1 row_mask:0xf bank_mask:0xf bound_ctrl:1
	s_delay_alu instid0(VALU_DEP_3) | instskip(NEXT) | instid1(VALU_DEP_3)
	v_cvt_i32_f32_e32 v13, v8
	v_add_f32_e32 v5, v5, v10
	s_delay_alu instid0(VALU_DEP_3) | instskip(SKIP_1) | instid1(VALU_DEP_4)
	v_add_f32_e32 v23, v6, v11
	v_cvt_i32_f32_e32 v6, v62
	v_cvt_f32_i32_dpp v13, v13 row_shr:1 row_mask:0xf bank_mask:0xf bound_ctrl:1
	s_delay_alu instid0(VALU_DEP_4) | instskip(NEXT) | instid1(VALU_DEP_3)
	v_cvt_i32_f32_e32 v10, v5
	v_cvt_f32_i32_dpp v6, v6 row_shr:8 row_mask:0xf bank_mask:0xf bound_ctrl:1
	s_delay_alu instid0(VALU_DEP_2) | instskip(NEXT) | instid1(VALU_DEP_2)
	v_cvt_f32_i32_dpp v10, v10 row_shr:1 row_mask:0xf bank_mask:0xf bound_ctrl:1
	v_dual_add_f32 v7, v68, v7 :: v_dual_add_f32 v6, v62, v6
	s_delay_alu instid0(VALU_DEP_2) | instskip(NEXT) | instid1(VALU_DEP_2)
	v_add_f32_e32 v28, v5, v10
	v_cvt_i32_f32_e32 v12, v7
	s_delay_alu instid0(VALU_DEP_3)
	v_cvt_i32_f32_e32 v11, v6
	v_cvt_i32_f32_e32 v5, v63
	ds_bpermute_b32 v29, v56, v28
	v_cvt_f32_i32_dpp v12, v12 row_shr:4 row_mask:0xf bank_mask:0xf bound_ctrl:1
	v_cvt_f32_i32_dpp v11, v11 row_shr:4 row_mask:0xf bank_mask:0xf bound_ctrl:1
	v_cvt_f32_i32_dpp v5, v5 row_shr:8 row_mask:0xf bank_mask:0xf bound_ctrl:1
	s_delay_alu instid0(VALU_DEP_2) | instskip(NEXT) | instid1(VALU_DEP_1)
	v_dual_add_f32 v7, v7, v12 :: v_dual_add_f32 v6, v6, v11
	v_cvt_i32_f32_e32 v12, v7
	s_delay_alu instid0(VALU_DEP_2) | instskip(NEXT) | instid1(VALU_DEP_2)
	v_cvt_i32_f32_e32 v11, v6
	v_cvt_f32_i32_dpp v12, v12 row_shr:2 row_mask:0xf bank_mask:0xf bound_ctrl:1
	s_delay_alu instid0(VALU_DEP_2) | instskip(SKIP_2) | instid1(VALU_DEP_3)
	v_cvt_f32_i32_dpp v11, v11 row_shr:2 row_mask:0xf bank_mask:0xf bound_ctrl:1
	v_add_f32_e32 v17, v8, v13
	v_cvt_i32_f32_e32 v8, v60
	v_dual_add_f32 v7, v7, v12 :: v_dual_add_f32 v6, v6, v11
	ds_bpermute_b32 v18, v56, v17
	v_cvt_f32_i32_dpp v8, v8 row_shr:8 row_mask:0xf bank_mask:0xf bound_ctrl:1
	v_cvt_i32_f32_e32 v12, v7
	v_cvt_i32_f32_e32 v11, v6
	s_delay_alu instid0(VALU_DEP_3) | instskip(NEXT) | instid1(VALU_DEP_3)
	v_add_f32_e32 v8, v60, v8
	v_cvt_f32_i32_dpp v12, v12 row_shr:1 row_mask:0xf bank_mask:0xf bound_ctrl:1
	v_add_f32_e32 v9, v66, v9
	s_delay_alu instid0(VALU_DEP_4) | instskip(NEXT) | instid1(VALU_DEP_4)
	v_cvt_f32_i32_dpp v11, v11 row_shr:1 row_mask:0xf bank_mask:0xf bound_ctrl:1
	v_cvt_i32_f32_e32 v15, v8
	s_delay_alu instid0(VALU_DEP_4) | instskip(NEXT) | instid1(VALU_DEP_4)
	v_add_f32_e32 v20, v7, v12
	v_cvt_i32_f32_e32 v14, v9
	v_cvt_i32_f32_e32 v7, v61
	s_delay_alu instid0(VALU_DEP_4) | instskip(SKIP_4) | instid1(VALU_DEP_2)
	v_cvt_f32_i32_dpp v15, v15 row_shr:4 row_mask:0xf bank_mask:0xf bound_ctrl:1
	v_add_f32_e32 v11, v6, v11
	ds_bpermute_b32 v21, v56, v20
	v_cvt_f32_i32_dpp v14, v14 row_shr:4 row_mask:0xf bank_mask:0xf bound_ctrl:1
	v_cvt_f32_i32_dpp v7, v7 row_shr:8 row_mask:0xf bank_mask:0xf bound_ctrl:1
	v_dual_add_f32 v8, v8, v15 :: v_dual_add_f32 v9, v9, v14
	s_delay_alu instid0(VALU_DEP_2) | instskip(NEXT) | instid1(VALU_DEP_2)
	v_add_f32_e32 v7, v61, v7
	v_cvt_i32_f32_e32 v15, v8
	s_delay_alu instid0(VALU_DEP_3) | instskip(NEXT) | instid1(VALU_DEP_3)
	v_cvt_i32_f32_e32 v14, v9
	v_cvt_i32_f32_e32 v12, v7
	s_delay_alu instid0(VALU_DEP_3) | instskip(SKIP_1) | instid1(VALU_DEP_4)
	v_cvt_f32_i32_dpp v15, v15 row_shr:2 row_mask:0xf bank_mask:0xf bound_ctrl:1
	v_add_f32_e32 v5, v63, v5
	v_cvt_f32_i32_dpp v14, v14 row_shr:2 row_mask:0xf bank_mask:0xf bound_ctrl:1
	s_delay_alu instid0(VALU_DEP_4) | instskip(NEXT) | instid1(VALU_DEP_4)
	v_cvt_f32_i32_dpp v12, v12 row_shr:4 row_mask:0xf bank_mask:0xf bound_ctrl:1
	v_add_f32_e32 v8, v8, v15
	s_delay_alu instid0(VALU_DEP_4) | instskip(NEXT) | instid1(VALU_DEP_4)
	v_cvt_i32_f32_e32 v10, v5
	v_add_f32_e32 v9, v9, v14
	s_delay_alu instid0(VALU_DEP_4) | instskip(NEXT) | instid1(VALU_DEP_4)
	v_add_f32_e32 v7, v7, v12
	v_cvt_i32_f32_e32 v15, v8
	s_delay_alu instid0(VALU_DEP_4) | instskip(NEXT) | instid1(VALU_DEP_4)
	v_cvt_f32_i32_dpp v10, v10 row_shr:4 row_mask:0xf bank_mask:0xf bound_ctrl:1
	v_cvt_i32_f32_e32 v14, v9
	s_delay_alu instid0(VALU_DEP_4)
	v_cvt_i32_f32_e32 v12, v7
	s_waitcnt vmcnt(0)
	v_cvt_f32_i32_dpp v19, v15 row_shr:1 row_mask:0xf bank_mask:0xf bound_ctrl:1
	v_add_f32_e32 v5, v5, v10
	v_cvt_f32_i32_dpp v14, v14 row_shr:1 row_mask:0xf bank_mask:0xf bound_ctrl:1
	v_cvt_f32_i32_dpp v12, v12 row_shr:2 row_mask:0xf bank_mask:0xf bound_ctrl:1
	s_delay_alu instid0(VALU_DEP_3) | instskip(NEXT) | instid1(VALU_DEP_3)
	v_cvt_i32_f32_e32 v10, v5
	v_add_f32_e32 v13, v9, v14
	v_cvt_i32_f32_e32 v9, v59
	s_delay_alu instid0(VALU_DEP_4) | instskip(NEXT) | instid1(VALU_DEP_4)
	v_add_f32_e32 v7, v7, v12
	v_cvt_f32_i32_dpp v10, v10 row_shr:2 row_mask:0xf bank_mask:0xf bound_ctrl:1
	ds_bpermute_b32 v14, v56, v13
	v_cvt_f32_i32_dpp v9, v9 row_shr:8 row_mask:0xf bank_mask:0xf bound_ctrl:1
	v_cvt_i32_f32_e32 v12, v7
	v_add_f32_e32 v5, v5, v10
	s_delay_alu instid0(VALU_DEP_3) | instskip(NEXT) | instid1(VALU_DEP_3)
	v_add_f32_e32 v9, v59, v9
	v_cvt_f32_i32_dpp v12, v12 row_shr:1 row_mask:0xf bank_mask:0xf bound_ctrl:1
	s_delay_alu instid0(VALU_DEP_2) | instskip(NEXT) | instid1(VALU_DEP_1)
	v_cvt_i32_f32_e32 v16, v9
	v_cvt_f32_i32_dpp v16, v16 row_shr:4 row_mask:0xf bank_mask:0xf bound_ctrl:1
	s_delay_alu instid0(VALU_DEP_1) | instskip(NEXT) | instid1(VALU_DEP_1)
	v_add_f32_e32 v9, v9, v16
	v_cvt_i32_f32_e32 v16, v9
	s_delay_alu instid0(VALU_DEP_1) | instskip(NEXT) | instid1(VALU_DEP_1)
	v_cvt_f32_i32_dpp v16, v16 row_shr:2 row_mask:0xf bank_mask:0xf bound_ctrl:1
	v_add_f32_e32 v10, v9, v16
	ds_bpermute_b32 v24, v56, v23
	v_cvt_i32_f32_e32 v9, v5
	v_cvt_i32_f32_e32 v16, v10
	s_delay_alu instid0(VALU_DEP_2) | instskip(NEXT) | instid1(VALU_DEP_2)
	v_cvt_f32_i32_dpp v9, v9 row_shr:1 row_mask:0xf bank_mask:0xf bound_ctrl:1
	v_cvt_f32_i32_dpp v16, v16 row_shr:1 row_mask:0xf bank_mask:0xf bound_ctrl:1
	s_delay_alu instid0(VALU_DEP_2) | instskip(SKIP_2) | instid1(VALU_DEP_4)
	v_add_f32_e32 v15, v5, v9
	v_add_f32_e32 v9, v7, v12
	;; [unrolled: 1-line block ×4, first 2 shown]
	ds_bpermute_b32 v12, v56, v11
	ds_bpermute_b32 v16, v56, v15
	;; [unrolled: 1-line block ×5, first 2 shown]
	s_and_saveexec_b32 s5, s0
	s_cbranch_execz .LBB273_133
; %bb.35:                               ;   in Loop: Header=BB273_13 Depth=1
	v_dual_mov_b32 v64, 0 :: v_dual_mov_b32 v63, 0
	v_dual_mov_b32 v62, 0 :: v_dual_mov_b32 v61, 0
	;; [unrolled: 1-line block ×8, first 2 shown]
	s_and_not1_b32 vcc_lo, exec_lo, s26
	s_cbranch_vccnz .LBB273_37
; %bb.36:                               ;   in Loop: Header=BB273_13 Depth=1
	v_mul_hi_u32 v19, v37, v57
	v_mul_hi_u32 v22, v43, v57
	;; [unrolled: 1-line block ×4, first 2 shown]
	v_mov_b32_e32 v71, v39
	v_mov_b32_e32 v75, v39
	;; [unrolled: 1-line block ×3, first 2 shown]
	v_mul_lo_u32 v19, v19, s16
	v_mul_lo_u32 v22, v22, s16
	;; [unrolled: 1-line block ×4, first 2 shown]
	s_delay_alu instid0(VALU_DEP_4) | instskip(NEXT) | instid1(VALU_DEP_4)
	v_sub_nc_u32_e32 v19, v37, v19
	v_sub_nc_u32_e32 v22, v43, v22
	s_delay_alu instid0(VALU_DEP_4) | instskip(NEXT) | instid1(VALU_DEP_4)
	v_sub_nc_u32_e32 v32, v41, v32
	v_sub_nc_u32_e32 v27, v42, v27
	s_delay_alu instid0(VALU_DEP_4)
	v_subrev_nc_u32_e32 v35, s16, v19
	v_cmp_le_u32_e32 vcc_lo, s16, v19
	v_subrev_nc_u32_e32 v38, s16, v22
	v_subrev_nc_u32_e32 v48, s16, v32
	;; [unrolled: 1-line block ×3, first 2 shown]
	v_cndmask_b32_e32 v19, v19, v35, vcc_lo
	v_cmp_le_u32_e32 vcc_lo, s16, v22
	v_dual_mov_b32 v53, v39 :: v_dual_cndmask_b32 v22, v22, v38
	v_cmp_le_u32_e32 vcc_lo, s16, v27
	v_cndmask_b32_e32 v27, v27, v46, vcc_lo
	v_cmp_le_u32_e32 vcc_lo, s16, v32
	s_delay_alu instid0(VALU_DEP_4) | instskip(SKIP_4) | instid1(VALU_DEP_4)
	v_subrev_nc_u32_e32 v46, s16, v22
	v_cndmask_b32_e32 v32, v32, v48, vcc_lo
	v_subrev_nc_u32_e32 v35, s16, v19
	v_cmp_le_u32_e32 vcc_lo, s16, v19
	v_subrev_nc_u32_e32 v48, s16, v27
	v_subrev_nc_u32_e32 v51, s16, v32
	s_delay_alu instid0(VALU_DEP_4) | instskip(SKIP_2) | instid1(VALU_DEP_3)
	v_cndmask_b32_e32 v38, v19, v35, vcc_lo
	v_cmp_le_u32_e32 vcc_lo, s16, v22
	v_mov_b32_e32 v68, v39
	v_lshlrev_b64 v[59:60], 1, v[38:39]
	v_cndmask_b32_e32 v52, v22, v46, vcc_lo
	v_cmp_le_u32_e32 vcc_lo, s16, v27
	v_dual_cndmask_b32 v65, v27, v48 :: v_dual_add_nc_u32 v70, s28, v38
	v_cmp_le_u32_e32 vcc_lo, s16, v32
	v_mov_b32_e32 v66, v39
	v_lshlrev_b64 v[61:62], 1, v[52:53]
	v_add_nc_u32_e32 v82, s29, v52
	v_dual_cndmask_b32 v67, v32, v51 :: v_dual_add_nc_u32 v74, s28, v65
	s_delay_alu instid0(VALU_DEP_4)
	v_lshlrev_b64 v[63:64], 1, v[65:66]
	v_add_co_u32 v59, vcc_lo, s6, v59
	v_add_co_ci_u32_e32 v60, vcc_lo, s7, v60, vcc_lo
	v_add_co_u32 v61, vcc_lo, s6, v61
	v_add_co_ci_u32_e32 v62, vcc_lo, s7, v62, vcc_lo
	v_lshlrev_b64 v[68:69], 1, v[67:68]
	v_add_co_u32 v72, vcc_lo, s6, v63
	v_add_co_ci_u32_e32 v73, vcc_lo, s7, v64, vcc_lo
	v_lshlrev_b64 v[63:64], 1, v[70:71]
	v_add_nc_u32_e32 v70, s28, v52
	v_add_co_u32 v68, vcc_lo, s6, v68
	v_add_co_ci_u32_e32 v69, vcc_lo, s7, v69, vcc_lo
	s_delay_alu instid0(VALU_DEP_3)
	v_lshlrev_b64 v[70:71], 1, v[70:71]
	v_add_co_u32 v76, vcc_lo, s6, v63
	v_add_co_ci_u32_e32 v77, vcc_lo, s7, v64, vcc_lo
	v_lshlrev_b64 v[63:64], 1, v[74:75]
	v_add_nc_u32_e32 v74, s28, v67
	v_add_co_u32 v70, vcc_lo, s6, v70
	v_add_co_ci_u32_e32 v71, vcc_lo, s7, v71, vcc_lo
	s_delay_alu instid0(VALU_DEP_3) | instskip(SKIP_3) | instid1(VALU_DEP_4)
	v_lshlrev_b64 v[74:75], 1, v[74:75]
	v_add_co_u32 v78, vcc_lo, s6, v63
	v_add_co_ci_u32_e32 v79, vcc_lo, s7, v64, vcc_lo
	v_dual_mov_b32 v64, v39 :: v_dual_add_nc_u32 v63, s29, v38
	v_add_co_u32 v74, vcc_lo, s6, v74
	v_add_co_ci_u32_e32 v75, vcc_lo, s7, v75, vcc_lo
	s_delay_alu instid0(VALU_DEP_3)
	v_lshlrev_b64 v[80:81], 1, v[63:64]
	s_clause 0x7
	global_load_u16 v64, v[59:60], off
	global_load_u16 v63, v[61:62], off
	;; [unrolled: 1-line block ×8, first 2 shown]
	v_dual_mov_b32 v75, v39 :: v_dual_add_nc_u32 v70, s29, v65
	v_mov_b32_e32 v71, v39
	v_lshlrev_b64 v[68:69], 1, v[82:83]
	v_add_nc_u32_e32 v74, s29, v67
	v_add_nc_u32_e32 v38, s30, v38
	v_add_co_u32 v72, vcc_lo, s6, v80
	v_lshlrev_b64 v[70:71], 1, v[70:71]
	v_add_co_ci_u32_e32 v73, vcc_lo, s7, v81, vcc_lo
	v_add_co_u32 v68, vcc_lo, s6, v68
	v_lshlrev_b64 v[74:75], 1, v[74:75]
	v_lshlrev_b64 v[76:77], 1, v[38:39]
	v_add_nc_u32_e32 v38, s30, v52
	v_add_co_ci_u32_e32 v69, vcc_lo, s7, v69, vcc_lo
	v_add_co_u32 v70, vcc_lo, s6, v70
	v_add_co_ci_u32_e32 v71, vcc_lo, s7, v71, vcc_lo
	v_add_co_u32 v74, vcc_lo, s6, v74
	v_lshlrev_b64 v[78:79], 1, v[38:39]
	v_add_nc_u32_e32 v38, s30, v65
	v_add_co_ci_u32_e32 v75, vcc_lo, s7, v75, vcc_lo
	v_add_co_u32 v65, vcc_lo, s6, v76
	v_add_co_ci_u32_e32 v66, vcc_lo, s7, v77, vcc_lo
	s_delay_alu instid0(VALU_DEP_4) | instskip(SKIP_3) | instid1(VALU_DEP_3)
	v_lshlrev_b64 v[76:77], 1, v[38:39]
	v_add_nc_u32_e32 v38, s30, v67
	v_add_co_u32 v78, vcc_lo, s6, v78
	v_add_co_ci_u32_e32 v79, vcc_lo, s7, v79, vcc_lo
	v_lshlrev_b64 v[80:81], 1, v[38:39]
	v_add_co_u32 v76, vcc_lo, s6, v76
	v_add_co_ci_u32_e32 v77, vcc_lo, s7, v77, vcc_lo
	s_delay_alu instid0(VALU_DEP_3) | instskip(NEXT) | instid1(VALU_DEP_4)
	v_add_co_u32 v80, vcc_lo, s6, v80
	v_add_co_ci_u32_e32 v81, vcc_lo, s7, v81, vcc_lo
	s_clause 0x7
	global_load_u16 v52, v[72:73], off
	global_load_u16 v48, v[68:69], off
	;; [unrolled: 1-line block ×8, first 2 shown]
.LBB273_37:                             ;   in Loop: Header=BB273_13 Depth=1
	v_cmp_ne_u32_e32 vcc_lo, 0, v1
	s_and_saveexec_b32 s2, vcc_lo
	s_cbranch_execnz .LBB273_53
; %bb.38:                               ;   in Loop: Header=BB273_13 Depth=1
	s_or_b32 exec_lo, exec_lo, s2
	v_cmp_ne_u32_e64 s1, 0, v2
	s_delay_alu instid0(VALU_DEP_1)
	s_and_saveexec_b32 s3, s1
	s_cbranch_execnz .LBB273_58
.LBB273_39:                             ;   in Loop: Header=BB273_13 Depth=1
	s_or_b32 exec_lo, exec_lo, s3
	v_cmp_ne_u32_e64 s2, 0, v3
	s_delay_alu instid0(VALU_DEP_1)
	s_and_saveexec_b32 s4, s2
	s_cbranch_execnz .LBB273_63
.LBB273_40:                             ;   in Loop: Header=BB273_13 Depth=1
	s_or_b32 exec_lo, exec_lo, s4
	v_cmp_ne_u32_e64 s3, 0, v4
	s_delay_alu instid0(VALU_DEP_1)
	s_and_saveexec_b32 s31, s3
	s_cbranch_execnz .LBB273_68
.LBB273_41:                             ;   in Loop: Header=BB273_13 Depth=1
	s_or_b32 exec_lo, exec_lo, s31
	v_add_nc_u32_e32 v38, s11, v37
	s_and_saveexec_b32 s31, vcc_lo
	s_cbranch_execnz .LBB273_73
.LBB273_42:                             ;   in Loop: Header=BB273_13 Depth=1
	s_or_b32 exec_lo, exec_lo, s31
	s_and_saveexec_b32 s31, s1
	s_cbranch_execnz .LBB273_78
.LBB273_43:                             ;   in Loop: Header=BB273_13 Depth=1
	s_or_b32 exec_lo, exec_lo, s31
	s_and_saveexec_b32 s31, s2
	s_cbranch_execnz .LBB273_83
.LBB273_44:                             ;   in Loop: Header=BB273_13 Depth=1
	s_or_b32 exec_lo, exec_lo, s31
	s_and_saveexec_b32 s31, s3
	s_cbranch_execnz .LBB273_88
.LBB273_45:                             ;   in Loop: Header=BB273_13 Depth=1
	s_or_b32 exec_lo, exec_lo, s31
	v_add_nc_u32_e32 v38, s11, v38
	s_and_saveexec_b32 s31, vcc_lo
	s_cbranch_execnz .LBB273_93
.LBB273_46:                             ;   in Loop: Header=BB273_13 Depth=1
	s_or_b32 exec_lo, exec_lo, s31
	s_and_saveexec_b32 s31, s1
	s_cbranch_execnz .LBB273_98
.LBB273_47:                             ;   in Loop: Header=BB273_13 Depth=1
	s_or_b32 exec_lo, exec_lo, s31
	s_and_saveexec_b32 s31, s2
	s_cbranch_execnz .LBB273_103
.LBB273_48:                             ;   in Loop: Header=BB273_13 Depth=1
	s_or_b32 exec_lo, exec_lo, s31
	s_and_saveexec_b32 s31, s3
	s_cbranch_execnz .LBB273_108
.LBB273_49:                             ;   in Loop: Header=BB273_13 Depth=1
	s_or_b32 exec_lo, exec_lo, s31
	v_add_nc_u32_e32 v38, s11, v38
	s_and_saveexec_b32 s4, vcc_lo
	s_cbranch_execnz .LBB273_113
.LBB273_50:                             ;   in Loop: Header=BB273_13 Depth=1
	s_or_b32 exec_lo, exec_lo, s4
	s_and_saveexec_b32 s4, s1
	s_cbranch_execnz .LBB273_118
.LBB273_51:                             ;   in Loop: Header=BB273_13 Depth=1
	s_or_b32 exec_lo, exec_lo, s4
	s_and_saveexec_b32 s1, s2
	s_cbranch_execnz .LBB273_123
.LBB273_52:                             ;   in Loop: Header=BB273_13 Depth=1
	s_or_b32 exec_lo, exec_lo, s1
	s_delay_alu instid0(SALU_CYCLE_1)
	s_and_b32 exec_lo, exec_lo, s3
	s_cbranch_execnz .LBB273_128
	s_branch .LBB273_133
.LBB273_53:                             ;   in Loop: Header=BB273_13 Depth=1
	s_waitcnt vmcnt(15) lgkmcnt(0)
	v_dual_add_f32 v38, v49, v50 :: v_dual_lshlrev_b32 v49, 16, v64
	s_delay_alu instid0(VALU_DEP_1) | instskip(NEXT) | instid1(VALU_DEP_1)
	v_add_f32_e32 v38, v38, v49
	v_and_b32_e32 v49, 0x7f800000, v38
	s_delay_alu instid0(VALU_DEP_1) | instskip(NEXT) | instid1(VALU_DEP_1)
	v_cmp_ne_u32_e64 s1, 0x7f800000, v49
                                        ; implicit-def: $vgpr49
	s_and_saveexec_b32 s3, s1
	s_delay_alu instid0(SALU_CYCLE_1)
	s_xor_b32 s1, exec_lo, s3
; %bb.54:                               ;   in Loop: Header=BB273_13 Depth=1
	v_bfe_u32 v49, v38, 16, 1
	s_delay_alu instid0(VALU_DEP_1)
	v_add3_u32 v49, v38, v49, 0x7fff
                                        ; implicit-def: $vgpr38
; %bb.55:                               ;   in Loop: Header=BB273_13 Depth=1
	s_and_not1_saveexec_b32 s3, s1
; %bb.56:                               ;   in Loop: Header=BB273_13 Depth=1
	v_and_b32_e32 v49, 0xffff, v38
	v_or_b32_e32 v50, 0x10000, v38
	s_delay_alu instid0(VALU_DEP_2) | instskip(NEXT) | instid1(VALU_DEP_1)
	v_cmp_eq_u32_e64 s1, 0, v49
	v_cndmask_b32_e64 v49, v50, v38, s1
; %bb.57:                               ;   in Loop: Header=BB273_13 Depth=1
	s_or_b32 exec_lo, exec_lo, s3
	v_mov_b32_e32 v38, v39
	s_delay_alu instid0(VALU_DEP_1) | instskip(NEXT) | instid1(VALU_DEP_1)
	v_lshlrev_b64 v[64:65], 1, v[37:38]
	v_add_co_u32 v64, s1, s18, v64
	s_delay_alu instid0(VALU_DEP_1) | instskip(SKIP_3) | instid1(VALU_DEP_1)
	v_add_co_ci_u32_e64 v65, s1, s19, v65, s1
	global_store_d16_hi_b16 v[64:65], v49, off
	s_or_b32 exec_lo, exec_lo, s2
	v_cmp_ne_u32_e64 s1, 0, v2
	s_and_saveexec_b32 s3, s1
	s_cbranch_execz .LBB273_39
.LBB273_58:                             ;   in Loop: Header=BB273_13 Depth=1
	s_waitcnt lgkmcnt(0)
	v_add_f32_e32 v38, v44, v47
	s_waitcnt vmcnt(14)
	v_lshlrev_b32_e32 v44, 16, v63
	s_delay_alu instid0(VALU_DEP_1) | instskip(NEXT) | instid1(VALU_DEP_1)
	v_add_f32_e32 v44, v38, v44
	v_and_b32_e32 v38, 0x7f800000, v44
	s_delay_alu instid0(VALU_DEP_1) | instskip(NEXT) | instid1(VALU_DEP_1)
	v_cmp_ne_u32_e64 s2, 0x7f800000, v38
                                        ; implicit-def: $vgpr38
	s_and_saveexec_b32 s4, s2
	s_delay_alu instid0(SALU_CYCLE_1)
	s_xor_b32 s2, exec_lo, s4
; %bb.59:                               ;   in Loop: Header=BB273_13 Depth=1
	v_bfe_u32 v38, v44, 16, 1
	s_delay_alu instid0(VALU_DEP_1)
	v_add3_u32 v38, v44, v38, 0x7fff
                                        ; implicit-def: $vgpr44
; %bb.60:                               ;   in Loop: Header=BB273_13 Depth=1
	s_and_not1_saveexec_b32 s4, s2
; %bb.61:                               ;   in Loop: Header=BB273_13 Depth=1
	v_and_b32_e32 v38, 0xffff, v44
	v_or_b32_e32 v47, 0x10000, v44
	s_delay_alu instid0(VALU_DEP_2) | instskip(NEXT) | instid1(VALU_DEP_1)
	v_cmp_eq_u32_e64 s2, 0, v38
	v_cndmask_b32_e64 v38, v47, v44, s2
; %bb.62:                               ;   in Loop: Header=BB273_13 Depth=1
	s_or_b32 exec_lo, exec_lo, s4
	v_mov_b32_e32 v44, v39
	s_delay_alu instid0(VALU_DEP_1) | instskip(NEXT) | instid1(VALU_DEP_1)
	v_lshlrev_b64 v[43:44], 1, v[43:44]
	v_add_co_u32 v43, s2, s18, v43
	s_delay_alu instid0(VALU_DEP_1) | instskip(SKIP_3) | instid1(VALU_DEP_1)
	v_add_co_ci_u32_e64 v44, s2, s19, v44, s2
	global_store_d16_hi_b16 v[43:44], v38, off
	s_or_b32 exec_lo, exec_lo, s3
	v_cmp_ne_u32_e64 s2, 0, v3
	s_and_saveexec_b32 s4, s2
	s_cbranch_execz .LBB273_40
.LBB273_63:                             ;   in Loop: Header=BB273_13 Depth=1
	s_waitcnt lgkmcnt(0)
	v_add_f32_e32 v36, v36, v45
	s_waitcnt vmcnt(13)
	v_lshlrev_b32_e32 v38, 16, v62
	s_delay_alu instid0(VALU_DEP_1) | instskip(NEXT) | instid1(VALU_DEP_1)
	v_add_f32_e32 v38, v36, v38
	v_and_b32_e32 v36, 0x7f800000, v38
	s_delay_alu instid0(VALU_DEP_1) | instskip(NEXT) | instid1(VALU_DEP_1)
	v_cmp_ne_u32_e64 s3, 0x7f800000, v36
                                        ; implicit-def: $vgpr36
	s_and_saveexec_b32 s31, s3
	s_delay_alu instid0(SALU_CYCLE_1)
	s_xor_b32 s3, exec_lo, s31
; %bb.64:                               ;   in Loop: Header=BB273_13 Depth=1
	v_bfe_u32 v36, v38, 16, 1
	s_delay_alu instid0(VALU_DEP_1)
	v_add3_u32 v36, v38, v36, 0x7fff
                                        ; implicit-def: $vgpr38
; %bb.65:                               ;   in Loop: Header=BB273_13 Depth=1
	s_and_not1_saveexec_b32 s31, s3
; %bb.66:                               ;   in Loop: Header=BB273_13 Depth=1
	v_and_b32_e32 v36, 0xffff, v38
	v_or_b32_e32 v43, 0x10000, v38
	s_delay_alu instid0(VALU_DEP_2) | instskip(NEXT) | instid1(VALU_DEP_1)
	v_cmp_eq_u32_e64 s3, 0, v36
	v_cndmask_b32_e64 v36, v43, v38, s3
; %bb.67:                               ;   in Loop: Header=BB273_13 Depth=1
	s_or_b32 exec_lo, exec_lo, s31
	v_mov_b32_e32 v43, v39
	s_delay_alu instid0(VALU_DEP_1) | instskip(NEXT) | instid1(VALU_DEP_1)
	v_lshlrev_b64 v[42:43], 1, v[42:43]
	v_add_co_u32 v42, s3, s18, v42
	s_delay_alu instid0(VALU_DEP_1) | instskip(SKIP_3) | instid1(VALU_DEP_1)
	v_add_co_ci_u32_e64 v43, s3, s19, v43, s3
	global_store_d16_hi_b16 v[42:43], v36, off
	s_or_b32 exec_lo, exec_lo, s4
	v_cmp_ne_u32_e64 s3, 0, v4
	s_and_saveexec_b32 s31, s3
	s_cbranch_execz .LBB273_41
.LBB273_68:                             ;   in Loop: Header=BB273_13 Depth=1
	s_waitcnt vmcnt(12) lgkmcnt(0)
	v_dual_add_f32 v33, v33, v34 :: v_dual_lshlrev_b32 v34, 16, v61
	s_delay_alu instid0(VALU_DEP_1) | instskip(NEXT) | instid1(VALU_DEP_1)
	v_add_f32_e32 v34, v33, v34
	v_and_b32_e32 v33, 0x7f800000, v34
	s_delay_alu instid0(VALU_DEP_1) | instskip(NEXT) | instid1(VALU_DEP_1)
	v_cmp_ne_u32_e64 s4, 0x7f800000, v33
                                        ; implicit-def: $vgpr33
	s_and_saveexec_b32 s33, s4
	s_delay_alu instid0(SALU_CYCLE_1)
	s_xor_b32 s4, exec_lo, s33
; %bb.69:                               ;   in Loop: Header=BB273_13 Depth=1
	v_bfe_u32 v33, v34, 16, 1
	s_delay_alu instid0(VALU_DEP_1)
	v_add3_u32 v33, v34, v33, 0x7fff
                                        ; implicit-def: $vgpr34
; %bb.70:                               ;   in Loop: Header=BB273_13 Depth=1
	s_and_not1_saveexec_b32 s33, s4
; %bb.71:                               ;   in Loop: Header=BB273_13 Depth=1
	v_and_b32_e32 v33, 0xffff, v34
	v_or_b32_e32 v36, 0x10000, v34
	s_delay_alu instid0(VALU_DEP_2) | instskip(NEXT) | instid1(VALU_DEP_1)
	v_cmp_eq_u32_e64 s4, 0, v33
	v_cndmask_b32_e64 v33, v36, v34, s4
; %bb.72:                               ;   in Loop: Header=BB273_13 Depth=1
	s_or_b32 exec_lo, exec_lo, s33
	v_mov_b32_e32 v42, v39
	s_delay_alu instid0(VALU_DEP_1) | instskip(NEXT) | instid1(VALU_DEP_1)
	v_lshlrev_b64 v[41:42], 1, v[41:42]
	v_add_co_u32 v41, s4, s18, v41
	s_delay_alu instid0(VALU_DEP_1)
	v_add_co_ci_u32_e64 v42, s4, s19, v42, s4
	global_store_d16_hi_b16 v[41:42], v33, off
	s_or_b32 exec_lo, exec_lo, s31
	v_add_nc_u32_e32 v38, s11, v37
	s_and_saveexec_b32 s31, vcc_lo
	s_cbranch_execz .LBB273_42
.LBB273_73:                             ;   in Loop: Header=BB273_13 Depth=1
	s_waitcnt vmcnt(11) lgkmcnt(0)
	v_dual_add_f32 v30, v30, v31 :: v_dual_lshlrev_b32 v31, 16, v60
	s_delay_alu instid0(VALU_DEP_1) | instskip(NEXT) | instid1(VALU_DEP_1)
	v_add_f32_e32 v31, v30, v31
	v_and_b32_e32 v30, 0x7f800000, v31
	s_delay_alu instid0(VALU_DEP_1) | instskip(NEXT) | instid1(VALU_DEP_1)
	v_cmp_ne_u32_e64 s4, 0x7f800000, v30
                                        ; implicit-def: $vgpr30
	s_and_saveexec_b32 s33, s4
	s_delay_alu instid0(SALU_CYCLE_1)
	s_xor_b32 s4, exec_lo, s33
; %bb.74:                               ;   in Loop: Header=BB273_13 Depth=1
	v_bfe_u32 v30, v31, 16, 1
	s_delay_alu instid0(VALU_DEP_1)
	v_add3_u32 v30, v31, v30, 0x7fff
                                        ; implicit-def: $vgpr31
; %bb.75:                               ;   in Loop: Header=BB273_13 Depth=1
	s_and_not1_saveexec_b32 s33, s4
; %bb.76:                               ;   in Loop: Header=BB273_13 Depth=1
	v_and_b32_e32 v30, 0xffff, v31
	v_or_b32_e32 v33, 0x10000, v31
	s_delay_alu instid0(VALU_DEP_2) | instskip(NEXT) | instid1(VALU_DEP_1)
	v_cmp_eq_u32_e64 s4, 0, v30
	v_cndmask_b32_e64 v30, v33, v31, s4
; %bb.77:                               ;   in Loop: Header=BB273_13 Depth=1
	s_or_b32 exec_lo, exec_lo, s33
	v_lshlrev_b64 v[33:34], 1, v[38:39]
	s_delay_alu instid0(VALU_DEP_1) | instskip(NEXT) | instid1(VALU_DEP_1)
	v_add_co_u32 v33, s4, s18, v33
	v_add_co_ci_u32_e64 v34, s4, s19, v34, s4
	global_store_d16_hi_b16 v[33:34], v30, off
	s_or_b32 exec_lo, exec_lo, s31
	s_and_saveexec_b32 s31, s1
	s_cbranch_execz .LBB273_43
.LBB273_78:                             ;   in Loop: Header=BB273_13 Depth=1
	s_waitcnt vmcnt(10) lgkmcnt(0)
	v_dual_add_f32 v25, v25, v26 :: v_dual_lshlrev_b32 v26, 16, v59
	s_delay_alu instid0(VALU_DEP_1) | instskip(NEXT) | instid1(VALU_DEP_1)
	v_add_f32_e32 v26, v25, v26
	v_and_b32_e32 v25, 0x7f800000, v26
	s_delay_alu instid0(VALU_DEP_1) | instskip(NEXT) | instid1(VALU_DEP_1)
	v_cmp_ne_u32_e64 s4, 0x7f800000, v25
                                        ; implicit-def: $vgpr25
	s_and_saveexec_b32 s33, s4
	s_delay_alu instid0(SALU_CYCLE_1)
	s_xor_b32 s4, exec_lo, s33
; %bb.79:                               ;   in Loop: Header=BB273_13 Depth=1
	v_bfe_u32 v25, v26, 16, 1
	s_delay_alu instid0(VALU_DEP_1)
	v_add3_u32 v25, v26, v25, 0x7fff
                                        ; implicit-def: $vgpr26
; %bb.80:                               ;   in Loop: Header=BB273_13 Depth=1
	s_and_not1_saveexec_b32 s33, s4
; %bb.81:                               ;   in Loop: Header=BB273_13 Depth=1
	v_and_b32_e32 v25, 0xffff, v26
	v_or_b32_e32 v30, 0x10000, v26
	s_delay_alu instid0(VALU_DEP_2) | instskip(NEXT) | instid1(VALU_DEP_1)
	v_cmp_eq_u32_e64 s4, 0, v25
	v_cndmask_b32_e64 v25, v30, v26, s4
; %bb.82:                               ;   in Loop: Header=BB273_13 Depth=1
	s_or_b32 exec_lo, exec_lo, s33
	v_dual_mov_b32 v31, v39 :: v_dual_add_nc_u32 v30, 1, v38
	s_delay_alu instid0(VALU_DEP_1) | instskip(NEXT) | instid1(VALU_DEP_1)
	v_lshlrev_b64 v[30:31], 1, v[30:31]
	v_add_co_u32 v30, s4, s18, v30
	s_delay_alu instid0(VALU_DEP_1)
	v_add_co_ci_u32_e64 v31, s4, s19, v31, s4
	global_store_d16_hi_b16 v[30:31], v25, off
	s_or_b32 exec_lo, exec_lo, s31
	s_and_saveexec_b32 s31, s2
	s_cbranch_execz .LBB273_44
.LBB273_83:                             ;   in Loop: Header=BB273_13 Depth=1
	s_waitcnt lgkmcnt(0)
	v_add_f32_e32 v25, v28, v29
	s_waitcnt vmcnt(9)
	v_lshlrev_b32_e32 v26, 16, v53
	s_delay_alu instid0(VALU_DEP_1) | instskip(NEXT) | instid1(VALU_DEP_1)
	v_add_f32_e32 v26, v25, v26
	v_and_b32_e32 v25, 0x7f800000, v26
	s_delay_alu instid0(VALU_DEP_1) | instskip(NEXT) | instid1(VALU_DEP_1)
	v_cmp_ne_u32_e64 s4, 0x7f800000, v25
                                        ; implicit-def: $vgpr25
	s_and_saveexec_b32 s33, s4
	s_delay_alu instid0(SALU_CYCLE_1)
	s_xor_b32 s4, exec_lo, s33
; %bb.84:                               ;   in Loop: Header=BB273_13 Depth=1
	v_bfe_u32 v25, v26, 16, 1
	s_delay_alu instid0(VALU_DEP_1)
	v_add3_u32 v25, v26, v25, 0x7fff
                                        ; implicit-def: $vgpr26
; %bb.85:                               ;   in Loop: Header=BB273_13 Depth=1
	s_and_not1_saveexec_b32 s33, s4
; %bb.86:                               ;   in Loop: Header=BB273_13 Depth=1
	v_and_b32_e32 v25, 0xffff, v26
	v_or_b32_e32 v28, 0x10000, v26
	s_delay_alu instid0(VALU_DEP_2) | instskip(NEXT) | instid1(VALU_DEP_1)
	v_cmp_eq_u32_e64 s4, 0, v25
	v_cndmask_b32_e64 v25, v28, v26, s4
; %bb.87:                               ;   in Loop: Header=BB273_13 Depth=1
	s_or_b32 exec_lo, exec_lo, s33
	v_dual_mov_b32 v29, v39 :: v_dual_add_nc_u32 v28, 2, v38
	s_delay_alu instid0(VALU_DEP_1) | instskip(NEXT) | instid1(VALU_DEP_1)
	v_lshlrev_b64 v[28:29], 1, v[28:29]
	v_add_co_u32 v28, s4, s18, v28
	s_delay_alu instid0(VALU_DEP_1)
	v_add_co_ci_u32_e64 v29, s4, s19, v29, s4
	global_store_d16_hi_b16 v[28:29], v25, off
	s_or_b32 exec_lo, exec_lo, s31
	s_and_saveexec_b32 s31, s3
	s_cbranch_execz .LBB273_45
.LBB273_88:                             ;   in Loop: Header=BB273_13 Depth=1
	s_waitcnt vmcnt(8) lgkmcnt(0)
	v_dual_add_f32 v23, v23, v24 :: v_dual_lshlrev_b32 v24, 16, v51
	s_delay_alu instid0(VALU_DEP_1) | instskip(NEXT) | instid1(VALU_DEP_1)
	v_add_f32_e32 v24, v23, v24
	v_and_b32_e32 v23, 0x7f800000, v24
	s_delay_alu instid0(VALU_DEP_1) | instskip(NEXT) | instid1(VALU_DEP_1)
	v_cmp_ne_u32_e64 s4, 0x7f800000, v23
                                        ; implicit-def: $vgpr23
	s_and_saveexec_b32 s33, s4
	s_delay_alu instid0(SALU_CYCLE_1)
	s_xor_b32 s4, exec_lo, s33
; %bb.89:                               ;   in Loop: Header=BB273_13 Depth=1
	v_bfe_u32 v23, v24, 16, 1
	s_delay_alu instid0(VALU_DEP_1)
	v_add3_u32 v23, v24, v23, 0x7fff
                                        ; implicit-def: $vgpr24
; %bb.90:                               ;   in Loop: Header=BB273_13 Depth=1
	s_and_not1_saveexec_b32 s33, s4
; %bb.91:                               ;   in Loop: Header=BB273_13 Depth=1
	v_and_b32_e32 v23, 0xffff, v24
	v_or_b32_e32 v25, 0x10000, v24
	s_delay_alu instid0(VALU_DEP_2) | instskip(NEXT) | instid1(VALU_DEP_1)
	v_cmp_eq_u32_e64 s4, 0, v23
	v_cndmask_b32_e64 v23, v25, v24, s4
; %bb.92:                               ;   in Loop: Header=BB273_13 Depth=1
	s_or_b32 exec_lo, exec_lo, s33
	v_dual_mov_b32 v25, v39 :: v_dual_add_nc_u32 v24, 3, v38
	s_delay_alu instid0(VALU_DEP_1) | instskip(NEXT) | instid1(VALU_DEP_1)
	v_lshlrev_b64 v[24:25], 1, v[24:25]
	v_add_co_u32 v24, s4, s18, v24
	s_delay_alu instid0(VALU_DEP_1)
	v_add_co_ci_u32_e64 v25, s4, s19, v25, s4
	global_store_d16_hi_b16 v[24:25], v23, off
	s_or_b32 exec_lo, exec_lo, s31
	v_add_nc_u32_e32 v38, s11, v38
	s_and_saveexec_b32 s31, vcc_lo
	s_cbranch_execz .LBB273_46
.LBB273_93:                             ;   in Loop: Header=BB273_13 Depth=1
	s_waitcnt vmcnt(7) lgkmcnt(0)
	v_dual_add_f32 v20, v20, v21 :: v_dual_lshlrev_b32 v21, 16, v52
	s_delay_alu instid0(VALU_DEP_1) | instskip(NEXT) | instid1(VALU_DEP_1)
	v_add_f32_e32 v21, v20, v21
	v_and_b32_e32 v20, 0x7f800000, v21
	s_delay_alu instid0(VALU_DEP_1) | instskip(NEXT) | instid1(VALU_DEP_1)
	v_cmp_ne_u32_e64 s4, 0x7f800000, v20
                                        ; implicit-def: $vgpr20
	s_and_saveexec_b32 s33, s4
	s_delay_alu instid0(SALU_CYCLE_1)
	s_xor_b32 s4, exec_lo, s33
; %bb.94:                               ;   in Loop: Header=BB273_13 Depth=1
	v_bfe_u32 v20, v21, 16, 1
	s_delay_alu instid0(VALU_DEP_1)
	v_add3_u32 v20, v21, v20, 0x7fff
                                        ; implicit-def: $vgpr21
; %bb.95:                               ;   in Loop: Header=BB273_13 Depth=1
	s_and_not1_saveexec_b32 s33, s4
; %bb.96:                               ;   in Loop: Header=BB273_13 Depth=1
	v_and_b32_e32 v20, 0xffff, v21
	v_or_b32_e32 v23, 0x10000, v21
	s_delay_alu instid0(VALU_DEP_2) | instskip(NEXT) | instid1(VALU_DEP_1)
	v_cmp_eq_u32_e64 s4, 0, v20
	v_cndmask_b32_e64 v20, v23, v21, s4
; %bb.97:                               ;   in Loop: Header=BB273_13 Depth=1
	s_or_b32 exec_lo, exec_lo, s33
	v_lshlrev_b64 v[23:24], 1, v[38:39]
	s_delay_alu instid0(VALU_DEP_1) | instskip(NEXT) | instid1(VALU_DEP_1)
	v_add_co_u32 v23, s4, s18, v23
	v_add_co_ci_u32_e64 v24, s4, s19, v24, s4
	global_store_d16_hi_b16 v[23:24], v20, off
	s_or_b32 exec_lo, exec_lo, s31
	s_and_saveexec_b32 s31, s1
	s_cbranch_execz .LBB273_47
.LBB273_98:                             ;   in Loop: Header=BB273_13 Depth=1
	s_waitcnt vmcnt(6) lgkmcnt(0)
	v_dual_add_f32 v17, v17, v18 :: v_dual_lshlrev_b32 v18, 16, v48
	s_delay_alu instid0(VALU_DEP_1) | instskip(NEXT) | instid1(VALU_DEP_1)
	v_add_f32_e32 v18, v17, v18
	v_and_b32_e32 v17, 0x7f800000, v18
	s_delay_alu instid0(VALU_DEP_1) | instskip(NEXT) | instid1(VALU_DEP_1)
	v_cmp_ne_u32_e64 s4, 0x7f800000, v17
                                        ; implicit-def: $vgpr17
	s_and_saveexec_b32 s33, s4
	s_delay_alu instid0(SALU_CYCLE_1)
	s_xor_b32 s4, exec_lo, s33
; %bb.99:                               ;   in Loop: Header=BB273_13 Depth=1
	v_bfe_u32 v17, v18, 16, 1
	s_delay_alu instid0(VALU_DEP_1)
	v_add3_u32 v17, v18, v17, 0x7fff
                                        ; implicit-def: $vgpr18
; %bb.100:                              ;   in Loop: Header=BB273_13 Depth=1
	s_and_not1_saveexec_b32 s33, s4
; %bb.101:                              ;   in Loop: Header=BB273_13 Depth=1
	v_and_b32_e32 v17, 0xffff, v18
	v_or_b32_e32 v20, 0x10000, v18
	s_delay_alu instid0(VALU_DEP_2) | instskip(NEXT) | instid1(VALU_DEP_1)
	v_cmp_eq_u32_e64 s4, 0, v17
	v_cndmask_b32_e64 v17, v20, v18, s4
; %bb.102:                              ;   in Loop: Header=BB273_13 Depth=1
	s_or_b32 exec_lo, exec_lo, s33
	v_dual_mov_b32 v21, v39 :: v_dual_add_nc_u32 v20, 1, v38
	s_delay_alu instid0(VALU_DEP_1) | instskip(NEXT) | instid1(VALU_DEP_1)
	v_lshlrev_b64 v[20:21], 1, v[20:21]
	v_add_co_u32 v20, s4, s18, v20
	s_delay_alu instid0(VALU_DEP_1)
	v_add_co_ci_u32_e64 v21, s4, s19, v21, s4
	global_store_d16_hi_b16 v[20:21], v17, off
	s_or_b32 exec_lo, exec_lo, s31
	s_and_saveexec_b32 s31, s2
	s_cbranch_execz .LBB273_48
.LBB273_103:                            ;   in Loop: Header=BB273_13 Depth=1
	s_waitcnt lgkmcnt(0)
	v_add_f32_e32 v13, v13, v14
	s_waitcnt vmcnt(5)
	v_lshlrev_b32_e32 v14, 16, v46
	s_delay_alu instid0(VALU_DEP_1) | instskip(NEXT) | instid1(VALU_DEP_1)
	v_add_f32_e32 v14, v13, v14
	v_and_b32_e32 v13, 0x7f800000, v14
	s_delay_alu instid0(VALU_DEP_1) | instskip(NEXT) | instid1(VALU_DEP_1)
	v_cmp_ne_u32_e64 s4, 0x7f800000, v13
                                        ; implicit-def: $vgpr13
	s_and_saveexec_b32 s33, s4
	s_delay_alu instid0(SALU_CYCLE_1)
	s_xor_b32 s4, exec_lo, s33
; %bb.104:                              ;   in Loop: Header=BB273_13 Depth=1
	v_bfe_u32 v13, v14, 16, 1
	s_delay_alu instid0(VALU_DEP_1)
	v_add3_u32 v13, v14, v13, 0x7fff
                                        ; implicit-def: $vgpr14
; %bb.105:                              ;   in Loop: Header=BB273_13 Depth=1
	s_and_not1_saveexec_b32 s33, s4
; %bb.106:                              ;   in Loop: Header=BB273_13 Depth=1
	v_and_b32_e32 v13, 0xffff, v14
	v_or_b32_e32 v17, 0x10000, v14
	s_delay_alu instid0(VALU_DEP_2) | instskip(NEXT) | instid1(VALU_DEP_1)
	v_cmp_eq_u32_e64 s4, 0, v13
	v_cndmask_b32_e64 v13, v17, v14, s4
; %bb.107:                              ;   in Loop: Header=BB273_13 Depth=1
	s_or_b32 exec_lo, exec_lo, s33
	v_dual_mov_b32 v18, v39 :: v_dual_add_nc_u32 v17, 2, v38
	s_delay_alu instid0(VALU_DEP_1) | instskip(NEXT) | instid1(VALU_DEP_1)
	v_lshlrev_b64 v[17:18], 1, v[17:18]
	v_add_co_u32 v17, s4, s18, v17
	s_delay_alu instid0(VALU_DEP_1)
	v_add_co_ci_u32_e64 v18, s4, s19, v18, s4
	global_store_d16_hi_b16 v[17:18], v13, off
	s_or_b32 exec_lo, exec_lo, s31
	s_and_saveexec_b32 s31, s3
	s_cbranch_execz .LBB273_49
.LBB273_108:                            ;   in Loop: Header=BB273_13 Depth=1
	s_waitcnt vmcnt(4) lgkmcnt(0)
	v_dual_add_f32 v13, v15, v16 :: v_dual_lshlrev_b32 v14, 16, v35
	s_delay_alu instid0(VALU_DEP_1) | instskip(NEXT) | instid1(VALU_DEP_1)
	v_add_f32_e32 v14, v13, v14
	v_and_b32_e32 v13, 0x7f800000, v14
	s_delay_alu instid0(VALU_DEP_1) | instskip(NEXT) | instid1(VALU_DEP_1)
	v_cmp_ne_u32_e64 s4, 0x7f800000, v13
                                        ; implicit-def: $vgpr13
	s_and_saveexec_b32 s33, s4
	s_delay_alu instid0(SALU_CYCLE_1)
	s_xor_b32 s4, exec_lo, s33
; %bb.109:                              ;   in Loop: Header=BB273_13 Depth=1
	v_bfe_u32 v13, v14, 16, 1
	s_delay_alu instid0(VALU_DEP_1)
	v_add3_u32 v13, v14, v13, 0x7fff
                                        ; implicit-def: $vgpr14
; %bb.110:                              ;   in Loop: Header=BB273_13 Depth=1
	s_and_not1_saveexec_b32 s33, s4
; %bb.111:                              ;   in Loop: Header=BB273_13 Depth=1
	v_and_b32_e32 v13, 0xffff, v14
	v_or_b32_e32 v15, 0x10000, v14
	s_delay_alu instid0(VALU_DEP_2) | instskip(NEXT) | instid1(VALU_DEP_1)
	v_cmp_eq_u32_e64 s4, 0, v13
	v_cndmask_b32_e64 v13, v15, v14, s4
; %bb.112:                              ;   in Loop: Header=BB273_13 Depth=1
	s_or_b32 exec_lo, exec_lo, s33
	v_dual_mov_b32 v15, v39 :: v_dual_add_nc_u32 v14, 3, v38
	s_delay_alu instid0(VALU_DEP_1) | instskip(NEXT) | instid1(VALU_DEP_1)
	v_lshlrev_b64 v[14:15], 1, v[14:15]
	v_add_co_u32 v14, s4, s18, v14
	s_delay_alu instid0(VALU_DEP_1)
	v_add_co_ci_u32_e64 v15, s4, s19, v15, s4
	global_store_d16_hi_b16 v[14:15], v13, off
	s_or_b32 exec_lo, exec_lo, s31
	v_add_nc_u32_e32 v38, s11, v38
	s_and_saveexec_b32 s4, vcc_lo
	s_cbranch_execz .LBB273_50
.LBB273_113:                            ;   in Loop: Header=BB273_13 Depth=1
	s_waitcnt lgkmcnt(0)
	v_add_f32_e32 v11, v11, v12
	s_waitcnt vmcnt(3)
	v_lshlrev_b32_e32 v12, 16, v32
	s_delay_alu instid0(VALU_DEP_1) | instskip(NEXT) | instid1(VALU_DEP_1)
	v_add_f32_e32 v12, v11, v12
	v_and_b32_e32 v11, 0x7f800000, v12
	s_delay_alu instid0(VALU_DEP_1) | instskip(SKIP_1) | instid1(SALU_CYCLE_1)
	v_cmp_ne_u32_e32 vcc_lo, 0x7f800000, v11
                                        ; implicit-def: $vgpr11
	s_and_saveexec_b32 s31, vcc_lo
	s_xor_b32 s31, exec_lo, s31
; %bb.114:                              ;   in Loop: Header=BB273_13 Depth=1
	v_bfe_u32 v11, v12, 16, 1
	s_delay_alu instid0(VALU_DEP_1)
	v_add3_u32 v11, v12, v11, 0x7fff
                                        ; implicit-def: $vgpr12
; %bb.115:                              ;   in Loop: Header=BB273_13 Depth=1
	s_and_not1_saveexec_b32 s31, s31
; %bb.116:                              ;   in Loop: Header=BB273_13 Depth=1
	v_and_b32_e32 v11, 0xffff, v12
	v_or_b32_e32 v13, 0x10000, v12
	s_delay_alu instid0(VALU_DEP_2) | instskip(NEXT) | instid1(VALU_DEP_2)
	v_cmp_eq_u32_e32 vcc_lo, 0, v11
	v_cndmask_b32_e32 v11, v13, v12, vcc_lo
; %bb.117:                              ;   in Loop: Header=BB273_13 Depth=1
	s_or_b32 exec_lo, exec_lo, s31
	v_lshlrev_b64 v[12:13], 1, v[38:39]
	s_delay_alu instid0(VALU_DEP_1) | instskip(NEXT) | instid1(VALU_DEP_2)
	v_add_co_u32 v12, vcc_lo, s18, v12
	v_add_co_ci_u32_e32 v13, vcc_lo, s19, v13, vcc_lo
	global_store_d16_hi_b16 v[12:13], v11, off
	s_or_b32 exec_lo, exec_lo, s4
	s_and_saveexec_b32 s4, s1
	s_cbranch_execz .LBB273_51
.LBB273_118:                            ;   in Loop: Header=BB273_13 Depth=1
	s_waitcnt vmcnt(2) lgkmcnt(0)
	v_dual_add_f32 v9, v9, v10 :: v_dual_lshlrev_b32 v10, 16, v27
	s_delay_alu instid0(VALU_DEP_1) | instskip(NEXT) | instid1(VALU_DEP_1)
	v_add_f32_e32 v10, v9, v10
	v_and_b32_e32 v9, 0x7f800000, v10
	s_delay_alu instid0(VALU_DEP_1) | instskip(SKIP_1) | instid1(SALU_CYCLE_1)
	v_cmp_ne_u32_e32 vcc_lo, 0x7f800000, v9
                                        ; implicit-def: $vgpr9
	s_and_saveexec_b32 s1, vcc_lo
	s_xor_b32 s1, exec_lo, s1
; %bb.119:                              ;   in Loop: Header=BB273_13 Depth=1
	v_bfe_u32 v9, v10, 16, 1
	s_delay_alu instid0(VALU_DEP_1)
	v_add3_u32 v9, v10, v9, 0x7fff
                                        ; implicit-def: $vgpr10
; %bb.120:                              ;   in Loop: Header=BB273_13 Depth=1
	s_and_not1_saveexec_b32 s1, s1
; %bb.121:                              ;   in Loop: Header=BB273_13 Depth=1
	v_and_b32_e32 v9, 0xffff, v10
	v_or_b32_e32 v11, 0x10000, v10
	s_delay_alu instid0(VALU_DEP_2) | instskip(NEXT) | instid1(VALU_DEP_2)
	v_cmp_eq_u32_e32 vcc_lo, 0, v9
	v_cndmask_b32_e32 v9, v11, v10, vcc_lo
; %bb.122:                              ;   in Loop: Header=BB273_13 Depth=1
	s_or_b32 exec_lo, exec_lo, s1
	v_dual_mov_b32 v11, v39 :: v_dual_add_nc_u32 v10, 1, v38
	s_delay_alu instid0(VALU_DEP_1) | instskip(NEXT) | instid1(VALU_DEP_1)
	v_lshlrev_b64 v[10:11], 1, v[10:11]
	v_add_co_u32 v10, vcc_lo, s18, v10
	s_delay_alu instid0(VALU_DEP_2)
	v_add_co_ci_u32_e32 v11, vcc_lo, s19, v11, vcc_lo
	global_store_d16_hi_b16 v[10:11], v9, off
	s_or_b32 exec_lo, exec_lo, s4
	s_and_saveexec_b32 s1, s2
	s_cbranch_execz .LBB273_52
.LBB273_123:                            ;   in Loop: Header=BB273_13 Depth=1
	s_waitcnt vmcnt(1) lgkmcnt(0)
	v_dual_add_f32 v7, v7, v8 :: v_dual_lshlrev_b32 v8, 16, v22
	s_delay_alu instid0(VALU_DEP_1) | instskip(NEXT) | instid1(VALU_DEP_1)
	v_add_f32_e32 v8, v7, v8
	v_and_b32_e32 v7, 0x7f800000, v8
	s_delay_alu instid0(VALU_DEP_1) | instskip(SKIP_1) | instid1(SALU_CYCLE_1)
	v_cmp_ne_u32_e32 vcc_lo, 0x7f800000, v7
                                        ; implicit-def: $vgpr7
	s_and_saveexec_b32 s2, vcc_lo
	s_xor_b32 s2, exec_lo, s2
; %bb.124:                              ;   in Loop: Header=BB273_13 Depth=1
	v_bfe_u32 v7, v8, 16, 1
	s_delay_alu instid0(VALU_DEP_1)
	v_add3_u32 v7, v8, v7, 0x7fff
                                        ; implicit-def: $vgpr8
; %bb.125:                              ;   in Loop: Header=BB273_13 Depth=1
	s_and_not1_saveexec_b32 s2, s2
; %bb.126:                              ;   in Loop: Header=BB273_13 Depth=1
	v_and_b32_e32 v7, 0xffff, v8
	v_or_b32_e32 v9, 0x10000, v8
	s_delay_alu instid0(VALU_DEP_2) | instskip(NEXT) | instid1(VALU_DEP_2)
	v_cmp_eq_u32_e32 vcc_lo, 0, v7
	v_cndmask_b32_e32 v7, v9, v8, vcc_lo
; %bb.127:                              ;   in Loop: Header=BB273_13 Depth=1
	s_or_b32 exec_lo, exec_lo, s2
	v_dual_mov_b32 v9, v39 :: v_dual_add_nc_u32 v8, 2, v38
	s_delay_alu instid0(VALU_DEP_1) | instskip(NEXT) | instid1(VALU_DEP_1)
	v_lshlrev_b64 v[8:9], 1, v[8:9]
	v_add_co_u32 v8, vcc_lo, s18, v8
	s_delay_alu instid0(VALU_DEP_2) | instskip(SKIP_2) | instid1(SALU_CYCLE_1)
	v_add_co_ci_u32_e32 v9, vcc_lo, s19, v9, vcc_lo
	global_store_d16_hi_b16 v[8:9], v7, off
	s_or_b32 exec_lo, exec_lo, s1
	s_and_b32 exec_lo, exec_lo, s3
	s_cbranch_execz .LBB273_133
.LBB273_128:                            ;   in Loop: Header=BB273_13 Depth=1
	s_waitcnt vmcnt(0) lgkmcnt(0)
	v_dual_add_f32 v5, v5, v6 :: v_dual_lshlrev_b32 v6, 16, v19
	s_delay_alu instid0(VALU_DEP_1) | instskip(NEXT) | instid1(VALU_DEP_1)
	v_add_f32_e32 v6, v5, v6
	v_and_b32_e32 v5, 0x7f800000, v6
	s_delay_alu instid0(VALU_DEP_1) | instskip(SKIP_1) | instid1(SALU_CYCLE_1)
	v_cmp_ne_u32_e32 vcc_lo, 0x7f800000, v5
                                        ; implicit-def: $vgpr5
	s_and_saveexec_b32 s1, vcc_lo
	s_xor_b32 s1, exec_lo, s1
; %bb.129:                              ;   in Loop: Header=BB273_13 Depth=1
	v_bfe_u32 v5, v6, 16, 1
	s_delay_alu instid0(VALU_DEP_1)
	v_add3_u32 v5, v6, v5, 0x7fff
                                        ; implicit-def: $vgpr6
; %bb.130:                              ;   in Loop: Header=BB273_13 Depth=1
	s_and_not1_saveexec_b32 s1, s1
; %bb.131:                              ;   in Loop: Header=BB273_13 Depth=1
	v_and_b32_e32 v5, 0xffff, v6
	v_or_b32_e32 v7, 0x10000, v6
	s_delay_alu instid0(VALU_DEP_2) | instskip(NEXT) | instid1(VALU_DEP_2)
	v_cmp_eq_u32_e32 vcc_lo, 0, v5
	v_cndmask_b32_e32 v5, v7, v6, vcc_lo
; %bb.132:                              ;   in Loop: Header=BB273_13 Depth=1
	s_or_b32 exec_lo, exec_lo, s1
	v_add_nc_u32_e32 v38, 3, v38
	s_delay_alu instid0(VALU_DEP_1) | instskip(NEXT) | instid1(VALU_DEP_1)
	v_lshlrev_b64 v[6:7], 1, v[38:39]
	v_add_co_u32 v6, vcc_lo, s18, v6
	s_delay_alu instid0(VALU_DEP_2)
	v_add_co_ci_u32_e32 v7, vcc_lo, s19, v7, vcc_lo
	global_store_d16_hi_b16 v[6:7], v5, off
.LBB273_133:                            ;   in Loop: Header=BB273_13 Depth=1
	s_or_b32 exec_lo, exec_lo, s5
	v_add_nc_u32_e32 v37, s20, v37
	s_delay_alu instid0(VALU_DEP_1) | instskip(SKIP_1) | instid1(VALU_DEP_2)
	v_add_nc_u32_e32 v5, 4, v37
	v_cmp_gt_u32_e32 vcc_lo, s11, v37
	v_cmp_le_u32_e64 s1, s11, v5
	s_delay_alu instid0(VALU_DEP_1) | instskip(NEXT) | instid1(SALU_CYCLE_1)
	s_and_b32 s1, vcc_lo, s1
	s_and_saveexec_b32 s31, s1
	s_cbranch_execz .LBB273_12
; %bb.134:                              ;   in Loop: Header=BB273_13 Depth=1
	s_mov_b32 s33, exec_lo
	v_cmpx_ne_u32_e64 s21, v37
	s_cbranch_execz .LBB273_11
; %bb.135:                              ;   in Loop: Header=BB273_13 Depth=1
	v_subrev_nc_u32_e32 v5, s21, v37
	s_mov_b32 s34, 0
	s_mov_b64 s[4:5], 0
	s_delay_alu instid0(VALU_DEP_1)
	v_cmp_lt_u32_e32 vcc_lo, 1, v5
	v_cndmask_b32_e32 v5, 1, v5, vcc_lo
	.p2align	6
.LBB273_136:                            ;   Parent Loop BB273_13 Depth=1
                                        ; =>  This Inner Loop Header: Depth=2
	s_cmp_lg_u32 s4, 3
	s_cselect_b32 vcc_lo, -1, 0
	s_cmp_lg_u32 s4, 2
	v_cndmask_b32_e32 v4, 0, v4, vcc_lo
	s_cselect_b32 s1, -1, 0
	s_cmp_lg_u32 s4, 1
	v_cndmask_b32_e64 v3, 0, v3, s1
	s_cselect_b32 s2, -1, 0
	s_cmp_lg_u32 s4, 0
	v_cndmask_b32_e64 v2, 0, v2, s2
	s_cselect_b32 s3, -1, 0
	s_add_u32 s4, s4, 1
	v_cndmask_b32_e64 v1, 0, v1, s3
	v_cmp_eq_u32_e32 vcc_lo, s4, v5
	s_addc_u32 s5, s5, 0
	s_or_b32 s34, vcc_lo, s34
	s_delay_alu instid0(SALU_CYCLE_1)
	s_and_not1_b32 exec_lo, exec_lo, s34
	s_cbranch_execnz .LBB273_136
; %bb.137:                              ;   in Loop: Header=BB273_13 Depth=1
	s_or_b32 exec_lo, exec_lo, s34
	s_branch .LBB273_11
.LBB273_138:
	s_nop 0
	s_sendmsg sendmsg(MSG_DEALLOC_VGPRS)
	s_endpgm
	.section	.rodata,"a",@progbits
	.p2align	6, 0x0
	.amdhsa_kernel _Z12wvSplitK_hf_I14__hip_bfloat16Li64ELi4ELi16ELi8ELi1ELi4EEviiiiiiPKT_S3_S3_PS1_ii
		.amdhsa_group_segment_fixed_size 65536
		.amdhsa_private_segment_fixed_size 0
		.amdhsa_kernarg_size 64
		.amdhsa_user_sgpr_count 15
		.amdhsa_user_sgpr_dispatch_ptr 0
		.amdhsa_user_sgpr_queue_ptr 0
		.amdhsa_user_sgpr_kernarg_segment_ptr 1
		.amdhsa_user_sgpr_dispatch_id 0
		.amdhsa_user_sgpr_private_segment_size 0
		.amdhsa_wavefront_size32 1
		.amdhsa_uses_dynamic_stack 0
		.amdhsa_enable_private_segment 0
		.amdhsa_system_sgpr_workgroup_id_x 1
		.amdhsa_system_sgpr_workgroup_id_y 0
		.amdhsa_system_sgpr_workgroup_id_z 0
		.amdhsa_system_sgpr_workgroup_info 0
		.amdhsa_system_vgpr_workitem_id 1
		.amdhsa_next_free_vgpr 95
		.amdhsa_next_free_sgpr 35
		.amdhsa_reserve_vcc 1
		.amdhsa_float_round_mode_32 0
		.amdhsa_float_round_mode_16_64 0
		.amdhsa_float_denorm_mode_32 3
		.amdhsa_float_denorm_mode_16_64 3
		.amdhsa_dx10_clamp 1
		.amdhsa_ieee_mode 1
		.amdhsa_fp16_overflow 0
		.amdhsa_workgroup_processor_mode 1
		.amdhsa_memory_ordered 1
		.amdhsa_forward_progress 0
		.amdhsa_shared_vgpr_count 0
		.amdhsa_exception_fp_ieee_invalid_op 0
		.amdhsa_exception_fp_denorm_src 0
		.amdhsa_exception_fp_ieee_div_zero 0
		.amdhsa_exception_fp_ieee_overflow 0
		.amdhsa_exception_fp_ieee_underflow 0
		.amdhsa_exception_fp_ieee_inexact 0
		.amdhsa_exception_int_div_zero 0
	.end_amdhsa_kernel
	.section	.text._Z12wvSplitK_hf_I14__hip_bfloat16Li64ELi4ELi16ELi8ELi1ELi4EEviiiiiiPKT_S3_S3_PS1_ii,"axG",@progbits,_Z12wvSplitK_hf_I14__hip_bfloat16Li64ELi4ELi16ELi8ELi1ELi4EEviiiiiiPKT_S3_S3_PS1_ii,comdat
.Lfunc_end273:
	.size	_Z12wvSplitK_hf_I14__hip_bfloat16Li64ELi4ELi16ELi8ELi1ELi4EEviiiiiiPKT_S3_S3_PS1_ii, .Lfunc_end273-_Z12wvSplitK_hf_I14__hip_bfloat16Li64ELi4ELi16ELi8ELi1ELi4EEviiiiiiPKT_S3_S3_PS1_ii
                                        ; -- End function
	.section	.AMDGPU.csdata,"",@progbits
; Kernel info:
; codeLenInByte = 8672
; NumSgprs: 37
; NumVgprs: 95
; ScratchSize: 0
; MemoryBound: 0
; FloatMode: 240
; IeeeMode: 1
; LDSByteSize: 65536 bytes/workgroup (compile time only)
; SGPRBlocks: 4
; VGPRBlocks: 11
; NumSGPRsForWavesPerEU: 37
; NumVGPRsForWavesPerEU: 95
; Occupancy: 16
; WaveLimiterHint : 0
; COMPUTE_PGM_RSRC2:SCRATCH_EN: 0
; COMPUTE_PGM_RSRC2:USER_SGPR: 15
; COMPUTE_PGM_RSRC2:TRAP_HANDLER: 0
; COMPUTE_PGM_RSRC2:TGID_X_EN: 1
; COMPUTE_PGM_RSRC2:TGID_Y_EN: 0
; COMPUTE_PGM_RSRC2:TGID_Z_EN: 0
; COMPUTE_PGM_RSRC2:TIDIG_COMP_CNT: 1
	.section	.text._Z16wvSplitK_hf_big_I14__hip_bfloat16Li64ELi4ELi16ELi8ELi1ELi4EEviiiiiiPKT_S3_S3_PS1_ii,"axG",@progbits,_Z16wvSplitK_hf_big_I14__hip_bfloat16Li64ELi4ELi16ELi8ELi1ELi4EEviiiiiiPKT_S3_S3_PS1_ii,comdat
	.protected	_Z16wvSplitK_hf_big_I14__hip_bfloat16Li64ELi4ELi16ELi8ELi1ELi4EEviiiiiiPKT_S3_S3_PS1_ii ; -- Begin function _Z16wvSplitK_hf_big_I14__hip_bfloat16Li64ELi4ELi16ELi8ELi1ELi4EEviiiiiiPKT_S3_S3_PS1_ii
	.globl	_Z16wvSplitK_hf_big_I14__hip_bfloat16Li64ELi4ELi16ELi8ELi1ELi4EEviiiiiiPKT_S3_S3_PS1_ii
	.p2align	8
	.type	_Z16wvSplitK_hf_big_I14__hip_bfloat16Li64ELi4ELi16ELi8ELi1ELi4EEviiiiiiPKT_S3_S3_PS1_ii,@function
_Z16wvSplitK_hf_big_I14__hip_bfloat16Li64ELi4ELi16ELi8ELi1ELi4EEviiiiiiPKT_S3_S3_PS1_ii: ; @_Z16wvSplitK_hf_big_I14__hip_bfloat16Li64ELi4ELi16ELi8ELi1ELi4EEviiiiiiPKT_S3_S3_PS1_ii
; %bb.0:
	s_load_b64 s[20:21], s[0:1], 0x38
	v_bfe_u32 v5, v0, 10, 10
	s_mov_b32 s2, exec_lo
	s_waitcnt lgkmcnt(0)
	s_delay_alu instid0(VALU_DEP_1)
	v_cmpx_gt_u32_e64 s20, v5
	s_cbranch_execz .LBB274_134
; %bb.1:
	s_load_b128 s[16:19], s[0:1], 0x0
	s_mul_i32 s15, s15, s20
	s_mov_b32 s4, 1
	v_add_lshl_u32 v37, s15, v5, 2
	s_mov_b32 s5, s4
	s_mov_b32 s6, s4
	s_mov_b32 s7, s4
	s_delay_alu instid0(VALU_DEP_1) | instskip(SKIP_2) | instid1(VALU_DEP_2)
	v_add_nc_u32_e32 v1, 4, v37
	s_waitcnt lgkmcnt(0)
	v_cmp_gt_u32_e32 vcc_lo, s19, v37
	v_cmp_le_u32_e64 s2, s19, v1
	v_dual_mov_b32 v1, s4 :: v_dual_mov_b32 v4, s7
	v_dual_mov_b32 v2, s5 :: v_dual_mov_b32 v3, s6
	s_delay_alu instid0(VALU_DEP_3) | instskip(NEXT) | instid1(SALU_CYCLE_1)
	s_and_b32 s2, vcc_lo, s2
	s_and_saveexec_b32 s8, s2
	s_cbranch_execz .LBB274_7
; %bb.2:
	v_dual_mov_b32 v1, s4 :: v_dual_mov_b32 v2, s5
	v_dual_mov_b32 v3, s6 :: v_dual_mov_b32 v4, s7
	s_add_i32 s9, s19, -4
	s_mov_b32 s10, exec_lo
	v_cmpx_ne_u32_e64 s9, v37
	s_cbranch_execz .LBB274_6
; %bb.3:
	v_subrev_nc_u32_e32 v1, s9, v37
	s_mov_b32 s11, 0
	s_mov_b64 s[2:3], 0
	s_mov_b32 s5, s4
	s_mov_b32 s6, s4
	v_cmp_lt_u32_e32 vcc_lo, 1, v1
	s_mov_b32 s7, s4
	v_cndmask_b32_e32 v6, 1, v1, vcc_lo
	.p2align	6
.LBB274_4:                              ; =>This Inner Loop Header: Depth=1
	s_cmp_lg_u32 s2, 3
	s_cselect_b32 s7, s7, 0
	s_cmp_lg_u32 s2, 2
	s_cselect_b32 s6, s6, 0
	;; [unrolled: 2-line block ×4, first 2 shown]
	s_add_u32 s2, s2, 1
	v_dual_mov_b32 v1, s4 :: v_dual_mov_b32 v2, s5
	v_cmp_eq_u32_e32 vcc_lo, s2, v6
	v_dual_mov_b32 v3, s6 :: v_dual_mov_b32 v4, s7
	s_addc_u32 s3, s3, 0
	s_or_b32 s11, vcc_lo, s11
	s_delay_alu instid0(SALU_CYCLE_1)
	s_and_not1_b32 exec_lo, exec_lo, s11
	s_cbranch_execnz .LBB274_4
; %bb.5:
	s_or_b32 exec_lo, exec_lo, s11
	v_mov_b32_e32 v37, s9
.LBB274_6:
	s_or_b32 exec_lo, exec_lo, s10
.LBB274_7:
	s_delay_alu instid0(SALU_CYCLE_1)
	s_or_b32 exec_lo, exec_lo, s8
	s_lshl_b32 s2, s20, 2
	s_abs_i32 s6, s19
	s_abs_i32 s3, s2
	s_mov_b32 s23, 0
	v_cvt_f32_u32_e32 v6, s3
	s_sub_i32 s5, 0, s3
	s_delay_alu instid0(VALU_DEP_1) | instskip(SKIP_2) | instid1(VALU_DEP_1)
	v_rcp_iflag_f32_e32 v6, v6
	s_waitcnt_depctr 0xfff
	v_mul_f32_e32 v6, 0x4f7ffffe, v6
	v_cvt_u32_f32_e32 v6, v6
	s_delay_alu instid0(VALU_DEP_1) | instskip(NEXT) | instid1(VALU_DEP_1)
	v_readfirstlane_b32 s4, v6
	s_mul_i32 s5, s5, s4
	s_delay_alu instid0(SALU_CYCLE_1) | instskip(NEXT) | instid1(SALU_CYCLE_1)
	s_mul_hi_u32 s5, s4, s5
	s_add_i32 s4, s4, s5
	s_ashr_i32 s5, s19, 31
	s_mul_hi_u32 s4, s6, s4
	s_delay_alu instid0(SALU_CYCLE_1) | instskip(NEXT) | instid1(SALU_CYCLE_1)
	s_mul_i32 s4, s4, s3
	s_sub_i32 s4, s6, s4
	s_delay_alu instid0(SALU_CYCLE_1) | instskip(SKIP_2) | instid1(SALU_CYCLE_1)
	s_sub_i32 s6, s4, s3
	s_cmp_ge_u32 s4, s3
	s_cselect_b32 s4, s6, s4
	s_sub_i32 s6, s4, s3
	s_cmp_ge_u32 s4, s3
	s_cselect_b32 s3, s6, s4
	s_add_i32 s2, s2, s19
	s_xor_b32 s3, s3, s5
	s_delay_alu instid0(SALU_CYCLE_1) | instskip(NEXT) | instid1(SALU_CYCLE_1)
	s_sub_i32 s3, s3, s5
	s_sub_i32 s2, s2, s3
	s_cmp_eq_u32 s3, 0
	s_cselect_b32 s22, s19, s2
	s_delay_alu instid0(SALU_CYCLE_1)
	v_cmp_gt_u32_e32 vcc_lo, s22, v37
	s_and_b32 exec_lo, exec_lo, vcc_lo
	s_cbranch_execz .LBB274_134
; %bb.8:
	s_load_b256 s[8:15], s[0:1], 0x10
	s_min_u32 s24, s18, 0x2000
	s_cmp_lg_u32 s16, 0
	s_mul_i32 s2, s21, s20
	s_cselect_b32 s25, -1, 0
	s_cmp_lg_u32 s18, 0
	s_load_b64 s[6:7], s[0:1], 0x30
	s_cselect_b32 s21, -1, 0
	s_lshl_b32 s26, s20, 9
	s_add_i32 s27, s16, -8
	s_add_i32 s28, s19, -1
	s_lshl_b32 s29, s2, 2
	v_and_b32_e32 v0, 0x3ff, v0
	v_mov_b32_e32 v40, 0
	v_mbcnt_lo_u32_b32 v50, -1, 0
	s_delay_alu instid0(VALU_DEP_3)
	v_lshlrev_b32_e32 v51, 3, v0
	v_cmp_eq_u32_e64 s0, 63, v0
	v_lshlrev_b32_e32 v0, 4, v0
	s_waitcnt lgkmcnt(0)
	s_cmp_lg_u64 s[14:15], 0
	v_cvt_f32_u32_e32 v7, s8
	s_cselect_b32 s30, -1, 0
	s_abs_i32 s2, s9
	s_add_i32 s31, s19, -4
	v_cvt_f32_u32_e32 v6, s2
	v_rcp_iflag_f32_e32 v7, v7
	s_sub_i32 s3, 0, s2
	s_sub_i32 s4, 0, s8
	;; [unrolled: 1-line block ×3, first 2 shown]
	v_rcp_iflag_f32_e32 v6, v6
	v_lshl_add_u32 v52, v5, 10, v0
	v_lshl_add_u32 v0, v5, 9, v51
	s_mul_i32 s9, s24, 6
	s_delay_alu instid0(VALU_DEP_1) | instskip(SKIP_4) | instid1(VALU_DEP_2)
	v_mad_u64_u32 v[41:42], null, s18, 3, v[0:1]
	v_lshl_add_u32 v53, s18, 1, v0
	s_waitcnt_depctr 0xfff
	v_mul_f32_e32 v6, 0x4f7ffffe, v6
	v_add_nc_u32_e32 v54, s18, v0
	v_cvt_u32_f32_e32 v6, v6
	s_delay_alu instid0(VALU_DEP_1) | instskip(SKIP_1) | instid1(VALU_DEP_2)
	v_readfirstlane_b32 s1, v6
	v_mul_f32_e32 v6, 0x4f7ffffe, v7
	s_mul_i32 s3, s3, s1
	s_delay_alu instid0(VALU_DEP_1) | instskip(SKIP_1) | instid1(SALU_CYCLE_1)
	v_cvt_u32_f32_e32 v6, v6
	s_mul_hi_u32 s3, s1, s3
	s_add_i32 s1, s1, s3
	s_cmp_lt_u32 s2, 2
	s_delay_alu instid0(VALU_DEP_1) | instskip(SKIP_1) | instid1(SALU_CYCLE_1)
	v_mul_lo_u32 v5, s4, v6
	s_cselect_b32 s3, s5, 1
	s_sub_i32 s5, s3, s2
	s_cmp_ge_u32 s3, s2
	s_cselect_b32 s33, s5, s3
	s_lshr_b32 s3, s1, 31
	s_mul_hi_u32 s1, s1, 3
	s_mul_i32 s3, s3, s2
	s_mul_i32 s1, s1, s2
	s_sub_i32 s3, 2, s3
	v_mul_hi_u32 v5, v6, v5
	s_sub_i32 s4, s3, s2
	s_cmp_ge_u32 s3, s2
	s_mul_i32 s33, s33, s8
	s_cselect_b32 s3, s4, s3
	s_delay_alu instid0(SALU_CYCLE_1) | instskip(SKIP_1) | instid1(VALU_DEP_1)
	s_sub_i32 s4, s3, s2
	s_cmp_ge_u32 s3, s2
	v_add_nc_u32_e32 v55, v6, v5
	s_cselect_b32 s34, s4, s3
	s_sub_i32 s1, 3, s1
	s_mul_i32 s34, s34, s8
	s_sub_i32 s3, s1, s2
	s_cmp_ge_u32 s1, s2
	s_cselect_b32 s1, s3, s1
	s_delay_alu instid0(SALU_CYCLE_1)
	s_sub_i32 s3, s1, s2
	s_cmp_ge_u32 s1, s2
	s_cselect_b32 s38, s3, s1
	s_add_u32 s35, s6, 2
	s_addc_u32 s36, s7, 0
	s_lshl_b32 s20, s20, 10
	s_lshl_b32 s37, s24, 2
	s_mul_i32 s38, s38, s8
	s_lshl_b32 s39, s24, 1
	s_branch .LBB274_12
.LBB274_9:                              ;   in Loop: Header=BB274_12 Depth=1
	s_or_b32 exec_lo, exec_lo, s42
	v_mov_b32_e32 v37, s31
.LBB274_10:                             ;   in Loop: Header=BB274_12 Depth=1
	s_or_b32 exec_lo, exec_lo, s41
.LBB274_11:                             ;   in Loop: Header=BB274_12 Depth=1
	s_delay_alu instid0(SALU_CYCLE_1) | instskip(NEXT) | instid1(VALU_DEP_1)
	s_or_b32 exec_lo, exec_lo, s40
	v_cmp_le_u32_e32 vcc_lo, s22, v37
	s_or_b32 s23, vcc_lo, s23
	s_delay_alu instid0(SALU_CYCLE_1)
	s_and_not1_b32 exec_lo, exec_lo, s23
	s_cbranch_execz .LBB274_134
.LBB274_12:                             ; =>This Loop Header: Depth=1
                                        ;     Child Loop BB274_16 Depth 2
                                        ;       Child Loop BB274_21 Depth 3
                                        ;     Child Loop BB274_132 Depth 2
	s_waitcnt vmcnt(15)
	v_mov_b32_e32 v38, v40
	s_waitcnt vmcnt(8)
	v_mov_b32_e32 v56, v40
	;; [unrolled: 2-line block ×3, first 2 shown]
	v_mov_b32_e32 v58, v40
	v_mov_b32_e32 v59, v40
	;; [unrolled: 1-line block ×13, first 2 shown]
	s_and_not1_b32 vcc_lo, exec_lo, s25
	s_mov_b32 s3, 0
	s_cbranch_vccnz .LBB274_27
; %bb.13:                               ;   in Loop: Header=BB274_12 Depth=1
	v_dual_mov_b32 v65, 0 :: v_dual_add_nc_u32 v6, 2, v37
	v_add_nc_u32_e32 v5, 1, v37
	v_add_nc_u32_e32 v7, 3, v37
	s_waitcnt lgkmcnt(0)
	v_min_u32_e32 v8, s28, v37
	v_min_u32_e32 v6, s28, v6
	v_dual_mov_b32 v10, v40 :: v_dual_mov_b32 v69, 0
	v_cmp_gt_u32_e64 s1, s19, v37
	s_delay_alu instid0(VALU_DEP_4)
	v_mul_lo_u32 v39, v8, s17
	v_mov_b32_e32 v8, v40
	v_min_u32_e32 v9, s28, v7
	v_mul_lo_u32 v7, v6, s17
	v_mov_b32_e32 v6, v40
	v_min_u32_e32 v5, s28, v5
	v_dual_mov_b32 v66, 0 :: v_dual_mov_b32 v67, 0
	v_mul_lo_u32 v9, v9, s17
	v_lshlrev_b64 v[42:43], 1, v[39:40]
	s_delay_alu instid0(VALU_DEP_4)
	v_mul_lo_u32 v5, v5, s17
	v_lshlrev_b64 v[46:47], 1, v[7:8]
	v_dual_mov_b32 v68, 0 :: v_dual_mov_b32 v63, 0
	v_dual_mov_b32 v70, 0 :: v_dual_mov_b32 v61, 0
	s_waitcnt vmcnt(6)
	v_lshlrev_b64 v[48:49], 1, v[9:10]
	v_dual_mov_b32 v64, 0 :: v_dual_mov_b32 v59, 0
	s_waitcnt vmcnt(5)
	v_lshlrev_b64 v[44:45], 1, v[5:6]
	v_dual_mov_b32 v60, 0 :: v_dual_mov_b32 v57, 0
	v_mov_b32_e32 v62, 0
	v_mov_b32_e32 v58, 0
	;; [unrolled: 1-line block ×4, first 2 shown]
	s_mov_b32 s4, 0
	s_branch .LBB274_16
.LBB274_14:                             ;   in Loop: Header=BB274_16 Depth=2
	s_or_b32 exec_lo, exec_lo, s5
	s_waitcnt lgkmcnt(3)
	v_and_b32_e32 v78, 0xffff0000, v36
	s_waitcnt vmcnt(3)
	v_and_b32_e32 v79, 0xffff0000, v32
	v_and_b32_e32 v39, 0xffff0000, v33
	v_lshlrev_b32_e32 v32, 16, v32
	v_and_b32_e32 v76, 0xffff0000, v35
	s_waitcnt vmcnt(2)
	v_dual_mul_f32 v80, v78, v79 :: v_dual_and_b32 v85, 0xffff0000, v28
	v_lshlrev_b32_e32 v36, 16, v36
	v_and_b32_e32 v71, 0xffff0000, v29
	v_lshlrev_b32_e32 v33, 16, v33
	v_and_b32_e32 v73, 0xffff0000, v34
	v_dual_mul_f32 v88, v78, v85 :: v_dual_and_b32 v77, 0xffff0000, v31
	v_fmac_f32_e32 v80, v36, v32
	v_dual_mul_f32 v29, v39, v71 :: v_dual_lshlrev_b32 v72, 16, v29
	v_and_b32_e32 v74, 0xffff0000, v30
	v_lshlrev_b32_e32 v30, 16, v30
	v_lshlrev_b32_e32 v35, 16, v35
	s_waitcnt vmcnt(1)
	v_and_b32_e32 v87, 0xffff0000, v23
	v_fmac_f32_e32 v29, v33, v72
	v_mul_f32_e32 v75, v73, v74
	v_lshlrev_b32_e32 v34, 16, v34
	v_lshlrev_b32_e32 v23, 16, v23
	s_delay_alu instid0(VALU_DEP_4) | instskip(SKIP_3) | instid1(VALU_DEP_2)
	v_dual_add_f32 v65, v65, v29 :: v_dual_and_b32 v82, 0xffff0000, v26
	v_lshlrev_b32_e32 v29, 16, v31
	v_mul_f32_e32 v31, v76, v77
	v_dual_fmac_f32 v75, v34, v30 :: v_dual_lshlrev_b32 v28, 16, v28
	v_dual_fmac_f32 v31, v35, v29 :: v_dual_lshlrev_b32 v26, 16, v26
	s_delay_alu instid0(VALU_DEP_2) | instskip(SKIP_1) | instid1(VALU_DEP_2)
	v_add_f32_e32 v65, v65, v75
	v_and_b32_e32 v75, 0xffff0000, v25
	v_add_f32_e32 v31, v65, v31
	s_delay_alu instid0(VALU_DEP_1) | instskip(NEXT) | instid1(VALU_DEP_1)
	v_dual_add_f32 v65, v31, v80 :: v_dual_and_b32 v80, 0xffff0000, v21
	v_dual_mul_f32 v84, v39, v80 :: v_dual_lshlrev_b32 v21, 16, v21
	s_delay_alu instid0(VALU_DEP_1) | instskip(NEXT) | instid1(VALU_DEP_1)
	v_fmac_f32_e32 v84, v33, v21
	v_dual_mul_f32 v83, v73, v82 :: v_dual_add_f32 v66, v66, v84
	v_mul_f32_e32 v84, v76, v87
	v_mul_f32_e32 v81, v39, v75
	v_dual_fmac_f32 v88, v36, v28 :: v_dual_lshlrev_b32 v25, 16, v25
	s_waitcnt vmcnt(0)
	v_and_b32_e32 v89, 0xffff0000, v14
	v_dual_fmac_f32 v83, v34, v26 :: v_dual_fmac_f32 v84, v35, v23
	s_delay_alu instid0(VALU_DEP_3) | instskip(NEXT) | instid1(VALU_DEP_1)
	v_dual_fmac_f32 v81, v33, v25 :: v_dual_lshlrev_b32 v14, 16, v14
	v_add_f32_e32 v69, v69, v81
	s_delay_alu instid0(VALU_DEP_1) | instskip(SKIP_2) | instid1(VALU_DEP_2)
	v_add_f32_e32 v69, v69, v83
	v_and_b32_e32 v83, 0xffff0000, v22
	v_lshlrev_b32_e32 v22, 16, v22
	v_mul_f32_e32 v86, v73, v83
	s_delay_alu instid0(VALU_DEP_1) | instskip(NEXT) | instid1(VALU_DEP_1)
	v_dual_fmac_f32 v86, v34, v22 :: v_dual_and_b32 v31, 0xffff0000, v27
	v_add_f32_e32 v66, v66, v86
	v_and_b32_e32 v86, 0xffff0000, v24
	v_lshlrev_b32_e32 v27, 16, v27
	s_delay_alu instid0(VALU_DEP_4) | instskip(NEXT) | instid1(VALU_DEP_4)
	v_dual_mul_f32 v81, v76, v31 :: v_dual_lshlrev_b32 v24, 16, v24
	v_add_f32_e32 v66, v66, v84
	s_delay_alu instid0(VALU_DEP_4) | instskip(NEXT) | instid1(VALU_DEP_1)
	v_mul_f32_e32 v90, v78, v86
	v_dual_fmac_f32 v90, v36, v24 :: v_dual_fmac_f32 v81, v35, v27
	s_delay_alu instid0(VALU_DEP_1) | instskip(SKIP_2) | instid1(VALU_DEP_2)
	v_dual_add_f32 v66, v66, v90 :: v_dual_add_f32 v69, v69, v81
	v_and_b32_e32 v81, 0xffff0000, v13
	v_lshlrev_b32_e32 v13, 16, v13
	v_mul_f32_e32 v39, v39, v81
	s_delay_alu instid0(VALU_DEP_1) | instskip(SKIP_2) | instid1(VALU_DEP_3)
	v_fmac_f32_e32 v39, v33, v13
	v_mul_f32_e32 v33, v73, v89
	v_and_b32_e32 v73, 0xffff0000, v15
	v_add_f32_e32 v39, v68, v39
	s_waitcnt lgkmcnt(2)
	s_delay_alu instid0(VALU_DEP_3) | instskip(NEXT) | instid1(VALU_DEP_3)
	v_dual_fmac_f32 v33, v34, v14 :: v_dual_and_b32 v34, 0xffff0000, v17
	v_mul_f32_e32 v68, v76, v73
	s_delay_alu instid0(VALU_DEP_2) | instskip(SKIP_4) | instid1(VALU_DEP_4)
	v_add_f32_e32 v33, v39, v33
	v_and_b32_e32 v39, 0xffff0000, v16
	v_lshlrev_b32_e32 v16, 16, v16
	v_mul_f32_e32 v76, v34, v71
	v_mul_f32_e32 v90, v34, v80
	;; [unrolled: 1-line block ×3, first 2 shown]
	s_delay_alu instid0(VALU_DEP_1) | instskip(NEXT) | instid1(VALU_DEP_1)
	v_dual_fmac_f32 v78, v36, v16 :: v_dual_lshlrev_b32 v15, 16, v15
	v_dual_fmac_f32 v68, v35, v15 :: v_dual_and_b32 v35, 0xffff0000, v18
	v_lshlrev_b32_e32 v17, 16, v17
	v_lshlrev_b32_e32 v18, 16, v18
	s_delay_alu instid0(VALU_DEP_3) | instskip(NEXT) | instid1(VALU_DEP_3)
	v_dual_mul_f32 v84, v35, v74 :: v_dual_add_f32 v69, v69, v88
	v_fmac_f32_e32 v76, v17, v72
	v_and_b32_e32 v88, 0xffff0000, v19
	s_delay_alu instid0(VALU_DEP_3) | instskip(NEXT) | instid1(VALU_DEP_2)
	v_dual_fmac_f32 v84, v18, v30 :: v_dual_lshlrev_b32 v19, 16, v19
	v_dual_add_f32 v36, v67, v76 :: v_dual_mul_f32 v67, v88, v77
	v_mul_f32_e32 v76, v34, v75
	s_delay_alu instid0(VALU_DEP_2) | instskip(SKIP_1) | instid1(VALU_DEP_3)
	v_dual_add_f32 v36, v36, v84 :: v_dual_fmac_f32 v67, v19, v29
	v_dual_add_f32 v33, v33, v68 :: v_dual_mul_f32 v84, v35, v82
	v_dual_fmac_f32 v76, v17, v25 :: v_dual_mul_f32 v91, v35, v83
	s_delay_alu instid0(VALU_DEP_3) | instskip(NEXT) | instid1(VALU_DEP_3)
	v_add_f32_e32 v36, v36, v67
	v_dual_add_f32 v68, v33, v78 :: v_dual_and_b32 v33, 0xffff0000, v20
	s_delay_alu instid0(VALU_DEP_4) | instskip(SKIP_2) | instid1(VALU_DEP_4)
	v_fmac_f32_e32 v84, v18, v26
	v_lshlrev_b32_e32 v20, 16, v20
	v_add_f32_e32 v70, v70, v76
	v_dual_fmac_f32 v91, v18, v22 :: v_dual_mul_f32 v78, v33, v79
	s_delay_alu instid0(VALU_DEP_1) | instskip(NEXT) | instid1(VALU_DEP_1)
	v_fmac_f32_e32 v78, v20, v32
	v_dual_fmac_f32 v90, v17, v21 :: v_dual_add_f32 v67, v36, v78
	s_delay_alu instid0(VALU_DEP_1)
	v_dual_mul_f32 v76, v88, v31 :: v_dual_add_f32 v63, v63, v90
	v_add_f32_e32 v36, v70, v84
	v_mul_f32_e32 v70, v88, v87
	s_waitcnt lgkmcnt(1)
	v_and_b32_e32 v78, 0xffff0000, v10
	v_fmac_f32_e32 v76, v19, v27
	v_dual_add_f32 v63, v63, v91 :: v_dual_mul_f32 v34, v34, v81
	s_delay_alu instid0(VALU_DEP_2) | instskip(NEXT) | instid1(VALU_DEP_2)
	v_add_f32_e32 v36, v36, v76
	v_fmac_f32_e32 v34, v17, v13
	v_mul_f32_e32 v17, v35, v89
	v_fmac_f32_e32 v70, v19, v23
	v_mul_f32_e32 v76, v33, v85
	v_and_b32_e32 v35, 0xffff0000, v9
	v_lshlrev_b32_e32 v9, 16, v9
	v_fmac_f32_e32 v17, v18, v14
	v_dual_add_f32 v63, v63, v70 :: v_dual_mul_f32 v70, v88, v73
	v_fmac_f32_e32 v76, v20, v28
	s_delay_alu instid0(VALU_DEP_2) | instskip(SKIP_3) | instid1(VALU_DEP_3)
	v_fmac_f32_e32 v70, v19, v15
	v_dual_add_f32 v34, v61, v34 :: v_dual_and_b32 v19, 0xffff0000, v11
	v_lshlrev_b32_e32 v11, 16, v11
	v_dual_mul_f32 v18, v35, v71 :: v_dual_mul_f32 v61, v33, v86
	v_dual_add_f32 v17, v34, v17 :: v_dual_lshlrev_b32 v10, 16, v10
	v_dual_mul_f32 v33, v33, v39 :: v_dual_mul_f32 v34, v78, v74
	s_delay_alu instid0(VALU_DEP_3) | instskip(NEXT) | instid1(VALU_DEP_4)
	v_fmac_f32_e32 v61, v20, v24
	v_fmac_f32_e32 v18, v9, v72
	s_delay_alu instid0(VALU_DEP_4) | instskip(NEXT) | instid1(VALU_DEP_4)
	v_add_f32_e32 v17, v17, v70
	v_fmac_f32_e32 v33, v20, v16
	s_delay_alu instid0(VALU_DEP_3) | instskip(SKIP_1) | instid1(VALU_DEP_3)
	v_dual_add_f32 v63, v63, v61 :: v_dual_add_f32 v18, v64, v18
	v_mul_f32_e32 v64, v19, v77
	v_add_f32_e32 v61, v17, v33
	v_dual_mul_f32 v17, v35, v75 :: v_dual_fmac_f32 v34, v10, v30
	v_mul_f32_e32 v33, v35, v80
	v_mul_f32_e32 v35, v35, v81
	s_delay_alu instid0(VALU_DEP_3) | instskip(NEXT) | instid1(VALU_DEP_3)
	v_dual_fmac_f32 v17, v9, v25 :: v_dual_add_f32 v18, v18, v34
	v_dual_fmac_f32 v33, v9, v21 :: v_dual_add_f32 v70, v36, v76
	s_delay_alu instid0(VALU_DEP_2) | instskip(NEXT) | instid1(VALU_DEP_2)
	v_dual_add_f32 v17, v60, v17 :: v_dual_and_b32 v20, 0xffff0000, v12
	v_dual_add_f32 v33, v62, v33 :: v_dual_lshlrev_b32 v12, 16, v12
	v_mul_f32_e32 v34, v78, v82
	v_dual_mul_f32 v60, v19, v31 :: v_dual_fmac_f32 v35, v9, v13
	v_dual_mul_f32 v9, v78, v89 :: v_dual_mul_f32 v62, v19, v87
	s_delay_alu instid0(VALU_DEP_3) | instskip(SKIP_1) | instid1(VALU_DEP_3)
	v_fmac_f32_e32 v34, v10, v26
	v_fmac_f32_e32 v64, v11, v29
	v_dual_fmac_f32 v60, v11, v27 :: v_dual_fmac_f32 v9, v10, v14
	s_delay_alu instid0(VALU_DEP_3) | instskip(SKIP_1) | instid1(VALU_DEP_4)
	v_dual_fmac_f32 v62, v11, v23 :: v_dual_add_f32 v17, v17, v34
	v_mul_f32_e32 v34, v20, v85
	v_add_f32_e32 v18, v18, v64
	v_mul_f32_e32 v36, v20, v79
	s_delay_alu instid0(VALU_DEP_4) | instskip(NEXT) | instid1(VALU_DEP_4)
	v_dual_mul_f32 v64, v78, v83 :: v_dual_add_f32 v17, v17, v60
	v_fmac_f32_e32 v34, v12, v28
	v_mul_f32_e32 v76, v20, v86
	s_waitcnt lgkmcnt(0)
	s_delay_alu instid0(VALU_DEP_2) | instskip(SKIP_3) | instid1(VALU_DEP_3)
	v_dual_add_f32 v60, v17, v34 :: v_dual_and_b32 v17, 0xffff0000, v5
	v_dual_fmac_f32 v64, v10, v22 :: v_dual_lshlrev_b32 v5, 16, v5
	v_and_b32_e32 v34, 0xffff0000, v6
	v_fmac_f32_e32 v76, v12, v24
	v_dual_mul_f32 v10, v19, v73 :: v_dual_add_f32 v33, v33, v64
	v_lshlrev_b32_e32 v6, 16, v6
	s_delay_alu instid0(VALU_DEP_4) | instskip(NEXT) | instid1(VALU_DEP_3)
	v_dual_mul_f32 v19, v34, v74 :: v_dual_fmac_f32 v36, v12, v32
	v_dual_fmac_f32 v10, v11, v15 :: v_dual_add_f32 v33, v33, v62
	v_mul_f32_e32 v11, v20, v39
	s_delay_alu instid0(VALU_DEP_3) | instskip(NEXT) | instid1(VALU_DEP_4)
	v_fmac_f32_e32 v19, v6, v30
	v_add_f32_e32 v64, v18, v36
	v_mul_f32_e32 v18, v17, v71
	v_dual_add_f32 v62, v33, v76 :: v_dual_add_f32 v33, v59, v35
	v_dual_mul_f32 v20, v17, v75 :: v_dual_fmac_f32 v11, v12, v16
	s_delay_alu instid0(VALU_DEP_2) | instskip(NEXT) | instid1(VALU_DEP_2)
	v_add_f32_e32 v9, v33, v9
	v_dual_fmac_f32 v20, v5, v25 :: v_dual_and_b32 v25, 0xffff0000, v8
	v_fmac_f32_e32 v18, v5, v72
	s_delay_alu instid0(VALU_DEP_3) | instskip(NEXT) | instid1(VALU_DEP_2)
	v_dual_add_f32 v9, v9, v10 :: v_dual_and_b32 v10, 0xffff0000, v7
	v_dual_add_f32 v18, v58, v18 :: v_dual_lshlrev_b32 v7, 16, v7
	s_delay_alu instid0(VALU_DEP_4) | instskip(NEXT) | instid1(VALU_DEP_3)
	v_add_f32_e32 v20, v57, v20
	v_add_f32_e32 v59, v9, v11
	s_delay_alu instid0(VALU_DEP_3) | instskip(SKIP_1) | instid1(VALU_DEP_1)
	v_add_f32_e32 v12, v18, v19
	v_mul_f32_e32 v19, v10, v77
	v_fmac_f32_e32 v19, v7, v29
	v_dual_mul_f32 v29, v25, v79 :: v_dual_mul_f32 v18, v34, v82
	s_delay_alu instid0(VALU_DEP_1) | instskip(NEXT) | instid1(VALU_DEP_1)
	v_fmac_f32_e32 v18, v6, v26
	v_add_f32_e32 v18, v20, v18
	v_mul_f32_e32 v20, v17, v80
	v_mul_f32_e32 v17, v17, v81
	s_delay_alu instid0(VALU_DEP_2) | instskip(NEXT) | instid1(VALU_DEP_2)
	v_fmac_f32_e32 v20, v5, v21
	v_fmac_f32_e32 v17, v5, v13
	v_dual_mul_f32 v5, v34, v89 :: v_dual_lshlrev_b32 v8, 16, v8
	v_mul_f32_e32 v21, v25, v85
	s_delay_alu instid0(VALU_DEP_4) | instskip(NEXT) | instid1(VALU_DEP_4)
	v_add_f32_e32 v13, v56, v20
	v_add_f32_e32 v17, v38, v17
	s_delay_alu instid0(VALU_DEP_4) | instskip(NEXT) | instid1(VALU_DEP_4)
	v_fmac_f32_e32 v5, v6, v14
	v_dual_mul_f32 v26, v10, v31 :: v_dual_fmac_f32 v21, v8, v28
	v_dual_mul_f32 v20, v10, v87 :: v_dual_fmac_f32 v29, v8, v32
	s_delay_alu instid0(VALU_DEP_3) | instskip(SKIP_1) | instid1(VALU_DEP_1)
	v_dual_add_f32 v5, v17, v5 :: v_dual_add_f32 v12, v12, v19
	v_mul_f32_e32 v19, v34, v83
	v_dual_fmac_f32 v20, v7, v23 :: v_dual_fmac_f32 v19, v6, v22
	v_mul_f32_e32 v6, v10, v73
	s_delay_alu instid0(VALU_DEP_2) | instskip(SKIP_1) | instid1(VALU_DEP_3)
	v_add_f32_e32 v10, v13, v19
	v_dual_mul_f32 v13, v25, v86 :: v_dual_fmac_f32 v26, v7, v27
	v_fmac_f32_e32 v6, v7, v15
	s_delay_alu instid0(VALU_DEP_3) | instskip(NEXT) | instid1(VALU_DEP_3)
	v_dual_mul_f32 v7, v25, v39 :: v_dual_add_f32 v10, v10, v20
	v_dual_fmac_f32 v13, v8, v24 :: v_dual_add_f32 v18, v18, v26
	s_delay_alu instid0(VALU_DEP_3) | instskip(NEXT) | instid1(VALU_DEP_3)
	v_add_f32_e32 v5, v5, v6
	v_fmac_f32_e32 v7, v8, v16
	v_add_f32_e32 v58, v12, v29
	s_delay_alu instid0(VALU_DEP_4) | instskip(NEXT) | instid1(VALU_DEP_3)
	v_add_f32_e32 v56, v10, v13
	v_dual_add_f32 v57, v18, v21 :: v_dual_add_f32 v38, v5, v7
.LBB274_15:                             ;   in Loop: Header=BB274_16 Depth=2
	s_or_b32 exec_lo, exec_lo, s2
	s_addk_i32 s4, 0x200
	s_delay_alu instid0(SALU_CYCLE_1)
	s_cmp_ge_u32 s4, s16
	s_cbranch_scc1 .LBB274_27
.LBB274_16:                             ;   Parent Loop BB274_12 Depth=1
                                        ; =>  This Loop Header: Depth=2
                                        ;       Child Loop BB274_21 Depth 3
	s_cmp_eq_u32 s4, 0
	s_cselect_b32 s5, -1, 0
	s_add_i32 s2, s3, s24
	s_delay_alu instid0(SALU_CYCLE_1) | instskip(SKIP_1) | instid1(SALU_CYCLE_1)
	s_cmp_eq_u32 s4, s2
	s_cselect_b32 s40, -1, 0
	s_or_b32 s40, s5, s40
	s_delay_alu instid0(SALU_CYCLE_1)
	s_and_not1_b32 vcc_lo, exec_lo, s40
	s_cbranch_vccz .LBB274_18
; %bb.17:                               ;   in Loop: Header=BB274_16 Depth=2
	s_and_saveexec_b32 s2, s1
	s_cbranch_execz .LBB274_15
	s_branch .LBB274_25
.LBB274_18:                             ;   in Loop: Header=BB274_16 Depth=2
	s_and_b32 s5, s5, exec_lo
	s_cselect_b32 s3, s3, s2
	s_and_not1_b32 vcc_lo, exec_lo, s21
	s_waitcnt vmcnt(0)
	s_waitcnt_vscnt null, 0x0
	s_barrier
	buffer_gl0_inv
	s_cbranch_vccnz .LBB274_24
; %bb.19:                               ;   in Loop: Header=BB274_16 Depth=2
	v_add_nc_u32_e32 v5, s3, v53
	v_dual_mov_b32 v9, v52 :: v_dual_add_nc_u32 v6, s3, v41
	v_add_nc_u32_e32 v7, s3, v54
	v_add_nc_u32_e32 v8, s3, v0
	s_mov_b32 s5, 0
	s_mov_b32 s40, 0
                                        ; implicit-def: $sgpr41
	s_branch .LBB274_21
.LBB274_20:                             ;   in Loop: Header=BB274_21 Depth=3
	s_or_b32 exec_lo, exec_lo, s2
	s_delay_alu instid0(SALU_CYCLE_1) | instskip(NEXT) | instid1(SALU_CYCLE_1)
	s_and_b32 s2, exec_lo, s41
	s_or_b32 s5, s2, s5
	s_delay_alu instid0(SALU_CYCLE_1)
	s_and_not1_b32 exec_lo, exec_lo, s5
	s_cbranch_execz .LBB274_23
.LBB274_21:                             ;   Parent Loop BB274_12 Depth=1
                                        ;     Parent Loop BB274_16 Depth=2
                                        ; =>    This Inner Loop Header: Depth=3
	s_delay_alu instid0(VALU_DEP_1) | instskip(SKIP_2) | instid1(VALU_DEP_2)
	v_add_nc_u32_e32 v39, s40, v8
	v_add_nc_u32_e32 v10, s40, v0
	s_or_b32 s41, s41, exec_lo
	v_cmp_gt_u32_e32 vcc_lo, s18, v39
	s_delay_alu instid0(VALU_DEP_2) | instskip(NEXT) | instid1(VALU_DEP_1)
	v_cmp_gt_u32_e64 s2, s24, v10
	s_and_b32 s42, s2, vcc_lo
	s_delay_alu instid0(SALU_CYCLE_1)
	s_and_saveexec_b32 s2, s42
	s_cbranch_execz .LBB274_20
; %bb.22:                               ;   in Loop: Header=BB274_21 Depth=3
	v_lshlrev_b64 v[10:11], 1, v[39:40]
	v_add_nc_u32_e32 v39, s40, v7
	v_add_nc_u32_e32 v26, s39, v9
	;; [unrolled: 1-line block ×3, first 2 shown]
	s_delay_alu instid0(VALU_DEP_3) | instskip(SKIP_3) | instid1(VALU_DEP_3)
	v_lshlrev_b64 v[12:13], 1, v[39:40]
	v_add_nc_u32_e32 v39, s40, v5
	v_add_co_u32 v10, vcc_lo, s12, v10
	v_add_co_ci_u32_e32 v11, vcc_lo, s13, v11, vcc_lo
	v_lshlrev_b64 v[18:19], 1, v[39:40]
	v_add_nc_u32_e32 v39, s40, v6
	v_add_co_u32 v14, vcc_lo, s12, v12
	v_add_co_ci_u32_e32 v15, vcc_lo, s13, v13, vcc_lo
	s_delay_alu instid0(VALU_DEP_3)
	v_lshlrev_b64 v[20:21], 1, v[39:40]
	v_add_co_u32 v18, vcc_lo, s12, v18
	v_add_co_ci_u32_e32 v19, vcc_lo, s13, v19, vcc_lo
	s_clause 0x1
	global_load_b128 v[10:13], v[10:11], off
	global_load_b128 v[14:17], v[14:15], off
	v_add_co_u32 v22, vcc_lo, s12, v20
	v_add_co_ci_u32_e32 v23, vcc_lo, s13, v21, vcc_lo
	s_clause 0x1
	global_load_b128 v[18:21], v[18:19], off
	global_load_b128 v[22:25], v[22:23], off
	s_add_i32 s40, s40, s26
	s_waitcnt vmcnt(3)
	ds_store_b128 v9, v[10:13]
	s_waitcnt vmcnt(2)
	ds_store_2addr_b64 v26, v[14:15], v[16:17] offset1:1
	s_cmp_ge_u32 s40, s24
	v_add_nc_u32_e32 v10, s9, v9
	s_cselect_b32 s42, -1, 0
	v_add_nc_u32_e32 v9, s20, v9
	s_and_not1_b32 s41, s41, exec_lo
	s_and_b32 s42, s42, exec_lo
	s_waitcnt vmcnt(1)
	ds_store_2addr_b32 v27, v18, v19 offset1:1
	ds_store_2addr_b32 v27, v20, v21 offset0:2 offset1:3
	s_or_b32 s41, s41, s42
	s_waitcnt vmcnt(0)
	ds_store_2addr_b64 v10, v[22:23], v[24:25] offset1:1
	s_branch .LBB274_20
.LBB274_23:                             ;   in Loop: Header=BB274_16 Depth=2
	s_or_b32 exec_lo, exec_lo, s5
.LBB274_24:                             ;   in Loop: Header=BB274_16 Depth=2
	s_waitcnt lgkmcnt(0)
	s_barrier
	buffer_gl0_inv
	s_and_saveexec_b32 s2, s1
	s_cbranch_execz .LBB274_15
.LBB274_25:                             ;   in Loop: Header=BB274_16 Depth=2
	v_add_nc_u32_e32 v71, s4, v51
	v_dual_mov_b32 v19, 0 :: v_dual_mov_b32 v18, 0
	s_waitcnt vmcnt(4)
	v_dual_mov_b32 v17, 0 :: v_dual_mov_b32 v36, 0
	s_delay_alu instid0(VALU_DEP_3)
	v_min_u32_e32 v39, s27, v71
	s_waitcnt vmcnt(3)
	v_dual_mov_b32 v35, 0 :: v_dual_mov_b32 v34, 0
	v_mov_b32_e32 v33, 0
	s_mov_b32 s5, exec_lo
	v_lshlrev_b64 v[5:6], 1, v[39:40]
	v_mov_b32_e32 v20, 0
	s_delay_alu instid0(VALU_DEP_2) | instskip(NEXT) | instid1(VALU_DEP_3)
	v_add_co_u32 v11, vcc_lo, s10, v5
	v_add_co_ci_u32_e32 v12, vcc_lo, s11, v6, vcc_lo
	s_delay_alu instid0(VALU_DEP_2) | instskip(NEXT) | instid1(VALU_DEP_2)
	v_add_co_u32 v5, vcc_lo, v11, v42
	v_add_co_ci_u32_e32 v6, vcc_lo, v12, v43, vcc_lo
	v_add_co_u32 v7, vcc_lo, v11, v44
	v_add_co_ci_u32_e32 v8, vcc_lo, v12, v45, vcc_lo
	;; [unrolled: 2-line block ×4, first 2 shown]
	s_clause 0x3
	global_load_b128 v[29:32], v[5:6], off slc dlc
	global_load_b128 v[25:28], v[7:8], off slc dlc
	;; [unrolled: 1-line block ×4, first 2 shown]
	v_dual_mov_b32 v8, 0 :: v_dual_mov_b32 v7, 0
	v_dual_mov_b32 v6, 0 :: v_dual_mov_b32 v5, 0
	;; [unrolled: 1-line block ×4, first 2 shown]
	v_cmpx_gt_u32_e64 s16, v71
	s_cbranch_execz .LBB274_14
; %bb.26:                               ;   in Loop: Header=BB274_16 Depth=2
	v_subrev_nc_u32_e32 v5, s3, v71
	s_delay_alu instid0(VALU_DEP_1) | instskip(NEXT) | instid1(VALU_DEP_1)
	v_lshlrev_b32_e32 v5, 1, v5
	v_add_nc_u32_e32 v6, s39, v5
	s_delay_alu instid0(VALU_DEP_1) | instskip(NEXT) | instid1(VALU_DEP_1)
	v_add_nc_u32_e32 v7, s39, v6
	v_add_nc_u32_e32 v8, s39, v7
	ds_load_b128 v[33:36], v5
	ds_load_b128 v[17:20], v6
	;; [unrolled: 1-line block ×4, first 2 shown]
	s_branch .LBB274_14
.LBB274_27:                             ;   in Loop: Header=BB274_12 Depth=1
	s_mov_b32 s1, exec_lo
	v_cmpx_le_u32_e64 s19, v37
	s_xor_b32 s1, exec_lo, s1
; %bb.28:                               ;   in Loop: Header=BB274_12 Depth=1
	v_add_nc_u32_e32 v37, s29, v37
                                        ; implicit-def: $vgpr38
                                        ; implicit-def: $vgpr56
                                        ; implicit-def: $vgpr57
                                        ; implicit-def: $vgpr58
                                        ; implicit-def: $vgpr59
                                        ; implicit-def: $vgpr62
                                        ; implicit-def: $vgpr60
                                        ; implicit-def: $vgpr64
                                        ; implicit-def: $vgpr61
                                        ; implicit-def: $vgpr63
                                        ; implicit-def: $vgpr70
                                        ; implicit-def: $vgpr67
                                        ; implicit-def: $vgpr68
                                        ; implicit-def: $vgpr66
                                        ; implicit-def: $vgpr69
                                        ; implicit-def: $vgpr65
; %bb.29:                               ;   in Loop: Header=BB274_12 Depth=1
	s_and_not1_saveexec_b32 s40, s1
	s_cbranch_execz .LBB274_11
; %bb.30:                               ;   in Loop: Header=BB274_12 Depth=1
	v_cvt_i32_f32_e32 v5, v65
	v_xor_b32_e32 v6, 16, v50
	s_waitcnt lgkmcnt(2)
	v_cvt_i32_f32_e32 v10, v67
	v_cvt_i32_f32_e32 v11, v70
	;; [unrolled: 1-line block ×3, first 2 shown]
	v_cvt_f32_i32_dpp v5, v5 row_shr:8 row_mask:0xf bank_mask:0xf bound_ctrl:1
	v_cmp_gt_i32_e32 vcc_lo, 32, v6
	s_waitcnt lgkmcnt(0)
	v_cvt_i32_f32_e32 v8, v66
	v_cvt_i32_f32_e32 v9, v68
	v_cvt_f32_i32_dpp v10, v10 row_shr:8 row_mask:0xf bank_mask:0xf bound_ctrl:1
	v_dual_add_f32 v5, v65, v5 :: v_dual_cndmask_b32 v6, v50, v6
	v_cvt_f32_i32_dpp v11, v11 row_shr:8 row_mask:0xf bank_mask:0xf bound_ctrl:1
	v_cvt_f32_i32_dpp v7, v7 row_shr:8 row_mask:0xf bank_mask:0xf bound_ctrl:1
	;; [unrolled: 1-line block ×4, first 2 shown]
	v_cvt_i32_f32_e32 v12, v5
	v_dual_add_f32 v10, v67, v10 :: v_dual_add_f32 v11, v70, v11
	s_waitcnt vmcnt(0)
	v_lshlrev_b32_e32 v22, 2, v6
	v_dual_add_f32 v6, v69, v7 :: v_dual_add_f32 v9, v68, v9
	v_add_f32_e32 v7, v66, v8
	v_cvt_f32_i32_dpp v8, v12 row_shr:4 row_mask:0xf bank_mask:0xf bound_ctrl:1
	v_cvt_i32_f32_e32 v15, v11
	v_cvt_i32_f32_e32 v14, v10
	;; [unrolled: 1-line block ×4, first 2 shown]
	s_delay_alu instid0(VALU_DEP_4)
	v_cvt_f32_i32_dpp v15, v15 row_shr:4 row_mask:0xf bank_mask:0xf bound_ctrl:1
	v_add_f32_e32 v5, v5, v8
	v_cvt_i32_f32_e32 v8, v7
	v_cvt_f32_i32_dpp v13, v13 row_shr:4 row_mask:0xf bank_mask:0xf bound_ctrl:1
	v_cvt_f32_i32_dpp v14, v14 row_shr:4 row_mask:0xf bank_mask:0xf bound_ctrl:1
	;; [unrolled: 1-line block ×3, first 2 shown]
	s_delay_alu instid0(VALU_DEP_4) | instskip(NEXT) | instid1(VALU_DEP_1)
	v_cvt_f32_i32_dpp v8, v8 row_shr:4 row_mask:0xf bank_mask:0xf bound_ctrl:1
	v_dual_add_f32 v7, v7, v8 :: v_dual_add_f32 v8, v9, v13
	s_delay_alu instid0(VALU_DEP_4) | instskip(SKIP_1) | instid1(VALU_DEP_3)
	v_dual_add_f32 v9, v10, v14 :: v_dual_add_f32 v10, v11, v15
	v_cvt_i32_f32_e32 v16, v5
	v_cvt_i32_f32_e32 v14, v8
	s_delay_alu instid0(VALU_DEP_2) | instskip(NEXT) | instid1(VALU_DEP_2)
	v_cvt_f32_i32_dpp v16, v16 row_shr:2 row_mask:0xf bank_mask:0xf bound_ctrl:1
	v_cvt_f32_i32_dpp v14, v14 row_shr:2 row_mask:0xf bank_mask:0xf bound_ctrl:1
	s_delay_alu instid0(VALU_DEP_2) | instskip(SKIP_1) | instid1(VALU_DEP_2)
	v_add_f32_e32 v5, v5, v16
	v_cvt_i32_f32_e32 v16, v10
	v_cvt_i32_f32_e32 v13, v5
	s_delay_alu instid0(VALU_DEP_2) | instskip(NEXT) | instid1(VALU_DEP_2)
	v_cvt_f32_i32_dpp v16, v16 row_shr:2 row_mask:0xf bank_mask:0xf bound_ctrl:1
	v_cvt_f32_i32_dpp v13, v13 row_shr:1 row_mask:0xf bank_mask:0xf bound_ctrl:1
	v_add_f32_e32 v6, v6, v12
	v_cvt_i32_f32_e32 v12, v7
	s_delay_alu instid0(VALU_DEP_3) | instskip(NEXT) | instid1(VALU_DEP_3)
	v_add_f32_e32 v47, v5, v13
	v_cvt_i32_f32_e32 v11, v6
	s_delay_alu instid0(VALU_DEP_3) | instskip(SKIP_2) | instid1(VALU_DEP_1)
	v_cvt_f32_i32_dpp v12, v12 row_shr:2 row_mask:0xf bank_mask:0xf bound_ctrl:1
	ds_bpermute_b32 v49, v22, v47
	v_cvt_f32_i32_dpp v11, v11 row_shr:2 row_mask:0xf bank_mask:0xf bound_ctrl:1
	v_dual_add_f32 v5, v6, v11 :: v_dual_add_f32 v6, v7, v12
	v_cvt_i32_f32_e32 v15, v9
	s_delay_alu instid0(VALU_DEP_2) | instskip(NEXT) | instid1(VALU_DEP_2)
	v_cvt_i32_f32_e32 v11, v6
	v_cvt_f32_i32_dpp v15, v15 row_shr:2 row_mask:0xf bank_mask:0xf bound_ctrl:1
	v_add_f32_e32 v7, v8, v14
	s_delay_alu instid0(VALU_DEP_3) | instskip(NEXT) | instid1(VALU_DEP_3)
	v_cvt_f32_i32_dpp v11, v11 row_shr:1 row_mask:0xf bank_mask:0xf bound_ctrl:1
	v_add_f32_e32 v8, v9, v15
	s_delay_alu instid0(VALU_DEP_3) | instskip(NEXT) | instid1(VALU_DEP_3)
	v_cvt_i32_f32_e32 v12, v7
	v_add_f32_e32 v42, v6, v11
	s_delay_alu instid0(VALU_DEP_3) | instskip(NEXT) | instid1(VALU_DEP_3)
	v_cvt_i32_f32_e32 v13, v8
	v_cvt_f32_i32_dpp v12, v12 row_shr:1 row_mask:0xf bank_mask:0xf bound_ctrl:1
	ds_bpermute_b32 v43, v22, v42
	v_cvt_f32_i32_dpp v13, v13 row_shr:1 row_mask:0xf bank_mask:0xf bound_ctrl:1
	v_add_f32_e32 v9, v10, v16
	v_add_f32_e32 v6, v7, v12
	v_cvt_i32_f32_e32 v10, v5
	v_cvt_i32_f32_e32 v7, v61
	v_add_f32_e32 v32, v8, v13
	v_cvt_i32_f32_e32 v8, v64
	v_cvt_i32_f32_e32 v14, v9
	v_cvt_f32_i32_dpp v10, v10 row_shr:1 row_mask:0xf bank_mask:0xf bound_ctrl:1
	v_cvt_f32_i32_dpp v7, v7 row_shr:8 row_mask:0xf bank_mask:0xf bound_ctrl:1
	ds_bpermute_b32 v35, v22, v6
	v_cvt_f32_i32_dpp v8, v8 row_shr:8 row_mask:0xf bank_mask:0xf bound_ctrl:1
	v_cvt_f32_i32_dpp v14, v14 row_shr:1 row_mask:0xf bank_mask:0xf bound_ctrl:1
	v_add_f32_e32 v45, v5, v10
	v_cvt_i32_f32_e32 v5, v63
	v_cvt_i32_f32_e32 v10, v62
	v_add_f32_e32 v8, v64, v8
	ds_bpermute_b32 v33, v22, v32
	ds_bpermute_b32 v46, v22, v45
	v_cvt_f32_i32_dpp v5, v5 row_shr:8 row_mask:0xf bank_mask:0xf bound_ctrl:1
	v_cvt_f32_i32_dpp v10, v10 row_shr:8 row_mask:0xf bank_mask:0xf bound_ctrl:1
	v_cvt_i32_f32_e32 v13, v8
	s_delay_alu instid0(VALU_DEP_2) | instskip(NEXT) | instid1(VALU_DEP_2)
	v_dual_add_f32 v5, v63, v5 :: v_dual_add_f32 v10, v62, v10
	v_cvt_f32_i32_dpp v13, v13 row_shr:4 row_mask:0xf bank_mask:0xf bound_ctrl:1
	v_add_f32_e32 v27, v9, v14
	v_cvt_i32_f32_e32 v9, v60
	s_delay_alu instid0(VALU_DEP_4)
	v_cvt_i32_f32_e32 v11, v5
	v_cvt_i32_f32_e32 v15, v10
	v_add_f32_e32 v8, v8, v13
	ds_bpermute_b32 v28, v22, v27
	v_cvt_f32_i32_dpp v9, v9 row_shr:8 row_mask:0xf bank_mask:0xf bound_ctrl:1
	v_cvt_f32_i32_dpp v11, v11 row_shr:4 row_mask:0xf bank_mask:0xf bound_ctrl:1
	;; [unrolled: 1-line block ×3, first 2 shown]
	v_cvt_i32_f32_e32 v13, v8
	s_delay_alu instid0(VALU_DEP_2) | instskip(NEXT) | instid1(VALU_DEP_2)
	v_dual_add_f32 v9, v60, v9 :: v_dual_add_f32 v10, v10, v15
	v_cvt_f32_i32_dpp v13, v13 row_shr:2 row_mask:0xf bank_mask:0xf bound_ctrl:1
	v_add_f32_e32 v7, v61, v7
	s_delay_alu instid0(VALU_DEP_3) | instskip(NEXT) | instid1(VALU_DEP_4)
	v_cvt_i32_f32_e32 v14, v9
	v_cvt_i32_f32_e32 v15, v10
	s_delay_alu instid0(VALU_DEP_4) | instskip(NEXT) | instid1(VALU_DEP_4)
	v_add_f32_e32 v8, v8, v13
	v_cvt_i32_f32_e32 v12, v7
	s_delay_alu instid0(VALU_DEP_4) | instskip(NEXT) | instid1(VALU_DEP_4)
	v_cvt_f32_i32_dpp v14, v14 row_shr:4 row_mask:0xf bank_mask:0xf bound_ctrl:1
	v_cvt_f32_i32_dpp v15, v15 row_shr:2 row_mask:0xf bank_mask:0xf bound_ctrl:1
	s_delay_alu instid0(VALU_DEP_4) | instskip(NEXT) | instid1(VALU_DEP_4)
	v_cvt_i32_f32_e32 v13, v8
	v_cvt_f32_i32_dpp v12, v12 row_shr:4 row_mask:0xf bank_mask:0xf bound_ctrl:1
	s_delay_alu instid0(VALU_DEP_3) | instskip(NEXT) | instid1(VALU_DEP_3)
	v_add_f32_e32 v10, v10, v15
	v_cvt_f32_i32_dpp v13, v13 row_shr:1 row_mask:0xf bank_mask:0xf bound_ctrl:1
	s_delay_alu instid0(VALU_DEP_3) | instskip(NEXT) | instid1(VALU_DEP_3)
	v_add_f32_e32 v7, v7, v12
	v_cvt_i32_f32_e32 v15, v10
	s_delay_alu instid0(VALU_DEP_3) | instskip(SKIP_1) | instid1(VALU_DEP_4)
	v_add_f32_e32 v21, v8, v13
	v_cvt_i32_f32_e32 v8, v57
	v_cvt_i32_f32_e32 v12, v7
	s_delay_alu instid0(VALU_DEP_4) | instskip(NEXT) | instid1(VALU_DEP_3)
	v_cvt_f32_i32_dpp v15, v15 row_shr:1 row_mask:0xf bank_mask:0xf bound_ctrl:1
	v_cvt_f32_i32_dpp v8, v8 row_shr:8 row_mask:0xf bank_mask:0xf bound_ctrl:1
	s_delay_alu instid0(VALU_DEP_3) | instskip(NEXT) | instid1(VALU_DEP_3)
	v_cvt_f32_i32_dpp v12, v12 row_shr:2 row_mask:0xf bank_mask:0xf bound_ctrl:1
	v_add_f32_e32 v15, v10, v15
	v_cvt_i32_f32_e32 v10, v38
	s_delay_alu instid0(VALU_DEP_4)
	v_add_f32_e32 v8, v57, v8
	ds_bpermute_b32 v23, v22, v21
	ds_bpermute_b32 v16, v22, v15
	v_cvt_f32_i32_dpp v10, v10 row_shr:8 row_mask:0xf bank_mask:0xf bound_ctrl:1
	v_add_f32_e32 v5, v5, v11
	v_cvt_i32_f32_e32 v13, v8
	s_delay_alu instid0(VALU_DEP_3) | instskip(NEXT) | instid1(VALU_DEP_3)
	v_add_f32_e32 v10, v38, v10
	v_cvt_i32_f32_e32 v11, v5
	s_delay_alu instid0(VALU_DEP_3) | instskip(SKIP_1) | instid1(VALU_DEP_4)
	v_cvt_f32_i32_dpp v13, v13 row_shr:4 row_mask:0xf bank_mask:0xf bound_ctrl:1
	v_add_f32_e32 v9, v9, v14
	v_cvt_i32_f32_e32 v17, v10
	s_delay_alu instid0(VALU_DEP_4) | instskip(NEXT) | instid1(VALU_DEP_4)
	v_cvt_f32_i32_dpp v11, v11 row_shr:2 row_mask:0xf bank_mask:0xf bound_ctrl:1
	v_add_f32_e32 v8, v8, v13
	s_delay_alu instid0(VALU_DEP_4) | instskip(NEXT) | instid1(VALU_DEP_4)
	v_cvt_i32_f32_e32 v14, v9
	v_cvt_f32_i32_dpp v17, v17 row_shr:4 row_mask:0xf bank_mask:0xf bound_ctrl:1
	s_delay_alu instid0(VALU_DEP_4) | instskip(NEXT) | instid1(VALU_DEP_4)
	v_add_f32_e32 v5, v5, v11
	v_cvt_i32_f32_e32 v13, v8
	s_delay_alu instid0(VALU_DEP_4) | instskip(NEXT) | instid1(VALU_DEP_4)
	v_cvt_f32_i32_dpp v14, v14 row_shr:2 row_mask:0xf bank_mask:0xf bound_ctrl:1
	v_add_f32_e32 v10, v10, v17
	s_delay_alu instid0(VALU_DEP_4) | instskip(NEXT) | instid1(VALU_DEP_4)
	v_cvt_i32_f32_e32 v11, v5
	v_cvt_f32_i32_dpp v13, v13 row_shr:2 row_mask:0xf bank_mask:0xf bound_ctrl:1
	s_delay_alu instid0(VALU_DEP_4) | instskip(NEXT) | instid1(VALU_DEP_4)
	v_add_f32_e32 v9, v9, v14
	v_cvt_i32_f32_e32 v17, v10
	s_delay_alu instid0(VALU_DEP_4) | instskip(NEXT) | instid1(VALU_DEP_4)
	v_cvt_f32_i32_dpp v11, v11 row_shr:1 row_mask:0xf bank_mask:0xf bound_ctrl:1
	v_dual_add_f32 v8, v8, v13 :: v_dual_add_f32 v7, v7, v12
	s_delay_alu instid0(VALU_DEP_4) | instskip(NEXT) | instid1(VALU_DEP_4)
	v_cvt_i32_f32_e32 v14, v9
	v_cvt_f32_i32_dpp v17, v17 row_shr:2 row_mask:0xf bank_mask:0xf bound_ctrl:1
	s_delay_alu instid0(VALU_DEP_4)
	v_add_f32_e32 v30, v5, v11
	v_cvt_i32_f32_e32 v5, v59
	v_cvt_i32_f32_e32 v12, v7
	v_cvt_f32_i32_dpp v14, v14 row_shr:1 row_mask:0xf bank_mask:0xf bound_ctrl:1
	v_add_f32_e32 v10, v10, v17
	v_cvt_i32_f32_e32 v13, v8
	v_cvt_f32_i32_dpp v5, v5 row_shr:8 row_mask:0xf bank_mask:0xf bound_ctrl:1
	v_cvt_f32_i32_dpp v12, v12 row_shr:1 row_mask:0xf bank_mask:0xf bound_ctrl:1
	v_add_f32_e32 v19, v9, v14
	v_cvt_i32_f32_e32 v9, v56
	v_cvt_i32_f32_e32 v17, v10
	v_add_f32_e32 v5, v59, v5
	v_add_f32_e32 v25, v7, v12
	v_cvt_i32_f32_e32 v7, v58
	v_cvt_f32_i32_dpp v9, v9 row_shr:8 row_mask:0xf bank_mask:0xf bound_ctrl:1
	v_cvt_f32_i32_dpp v18, v13 row_shr:1 row_mask:0xf bank_mask:0xf bound_ctrl:1
	v_cvt_i32_f32_e32 v11, v5
	v_cvt_f32_i32_dpp v24, v17 row_shr:1 row_mask:0xf bank_mask:0xf bound_ctrl:1
	v_cvt_f32_i32_dpp v7, v7 row_shr:8 row_mask:0xf bank_mask:0xf bound_ctrl:1
	v_add_f32_e32 v9, v56, v9
	ds_bpermute_b32 v31, v22, v30
	v_cvt_f32_i32_dpp v11, v11 row_shr:4 row_mask:0xf bank_mask:0xf bound_ctrl:1
	ds_bpermute_b32 v26, v22, v25
	v_add_f32_e32 v7, v58, v7
	v_cvt_i32_f32_e32 v14, v9
	ds_bpermute_b32 v20, v22, v19
	v_add_f32_e32 v5, v5, v11
	v_cvt_i32_f32_e32 v12, v7
	v_cvt_f32_i32_dpp v14, v14 row_shr:4 row_mask:0xf bank_mask:0xf bound_ctrl:1
	s_delay_alu instid0(VALU_DEP_3) | instskip(NEXT) | instid1(VALU_DEP_3)
	v_cvt_i32_f32_e32 v11, v5
	v_cvt_f32_i32_dpp v12, v12 row_shr:4 row_mask:0xf bank_mask:0xf bound_ctrl:1
	s_delay_alu instid0(VALU_DEP_3) | instskip(NEXT) | instid1(VALU_DEP_3)
	v_add_f32_e32 v9, v9, v14
	v_cvt_f32_i32_dpp v11, v11 row_shr:2 row_mask:0xf bank_mask:0xf bound_ctrl:1
	s_delay_alu instid0(VALU_DEP_3) | instskip(NEXT) | instid1(VALU_DEP_3)
	v_add_f32_e32 v7, v7, v12
	v_cvt_i32_f32_e32 v14, v9
	s_delay_alu instid0(VALU_DEP_3) | instskip(NEXT) | instid1(VALU_DEP_3)
	v_add_f32_e32 v5, v5, v11
	v_cvt_i32_f32_e32 v12, v7
	s_delay_alu instid0(VALU_DEP_3) | instskip(NEXT) | instid1(VALU_DEP_3)
	v_cvt_f32_i32_dpp v14, v14 row_shr:2 row_mask:0xf bank_mask:0xf bound_ctrl:1
	v_cvt_i32_f32_e32 v11, v5
	s_delay_alu instid0(VALU_DEP_3) | instskip(NEXT) | instid1(VALU_DEP_3)
	v_cvt_f32_i32_dpp v12, v12 row_shr:2 row_mask:0xf bank_mask:0xf bound_ctrl:1
	v_add_f32_e32 v9, v9, v14
	s_delay_alu instid0(VALU_DEP_3) | instskip(NEXT) | instid1(VALU_DEP_3)
	v_cvt_f32_i32_dpp v11, v11 row_shr:1 row_mask:0xf bank_mask:0xf bound_ctrl:1
	v_add_f32_e32 v7, v7, v12
	s_delay_alu instid0(VALU_DEP_3) | instskip(NEXT) | instid1(VALU_DEP_3)
	v_cvt_i32_f32_e32 v14, v9
	v_add_f32_e32 v17, v5, v11
	v_add_f32_e32 v11, v8, v18
	s_delay_alu instid0(VALU_DEP_4) | instskip(NEXT) | instid1(VALU_DEP_4)
	v_cvt_i32_f32_e32 v12, v7
	v_cvt_f32_i32_dpp v14, v14 row_shr:1 row_mask:0xf bank_mask:0xf bound_ctrl:1
	ds_bpermute_b32 v18, v22, v17
	v_cvt_f32_i32_dpp v12, v12 row_shr:1 row_mask:0xf bank_mask:0xf bound_ctrl:1
	v_add_f32_e32 v9, v9, v14
	s_delay_alu instid0(VALU_DEP_2)
	v_add_f32_e32 v13, v7, v12
	v_add_f32_e32 v7, v10, v24
	ds_bpermute_b32 v12, v22, v11
	ds_bpermute_b32 v10, v22, v9
	;; [unrolled: 1-line block ×4, first 2 shown]
	s_and_saveexec_b32 s5, s0
	s_cbranch_execz .LBB274_129
; %bb.31:                               ;   in Loop: Header=BB274_12 Depth=1
	v_dual_mov_b32 v38, 0 :: v_dual_add_nc_u32 v39, 2, v37
	v_dual_mov_b32 v62, 0 :: v_dual_add_nc_u32 v5, 3, v37
	v_dual_mov_b32 v63, 0 :: v_dual_mov_b32 v60, 0
	v_dual_mov_b32 v61, 0 :: v_dual_mov_b32 v58, 0
	;; [unrolled: 1-line block ×5, first 2 shown]
	v_mov_b32_e32 v36, 0
	v_mov_b32_e32 v34, 0
	;; [unrolled: 1-line block ×4, first 2 shown]
	s_and_not1_b32 vcc_lo, exec_lo, s30
	s_cbranch_vccnz .LBB274_33
; %bb.32:                               ;   in Loop: Header=BB274_12 Depth=1
	v_mul_hi_u32 v22, v37, v55
	v_dual_mov_b32 v65, v40 :: v_dual_add_nc_u32 v24, 1, v37
	v_mul_hi_u32 v29, v39, v55
	v_mul_hi_u32 v34, v5, v55
	s_delay_alu instid0(VALU_DEP_3) | instskip(SKIP_1) | instid1(VALU_DEP_4)
	v_mul_hi_u32 v36, v24, v55
	v_mul_lo_u32 v22, v22, s8
	v_mul_lo_u32 v29, v29, s8
	s_delay_alu instid0(VALU_DEP_4) | instskip(NEXT) | instid1(VALU_DEP_4)
	v_mul_lo_u32 v34, v34, s8
	v_mul_lo_u32 v36, v36, s8
	s_delay_alu instid0(VALU_DEP_4) | instskip(NEXT) | instid1(VALU_DEP_4)
	v_sub_nc_u32_e32 v22, v37, v22
	v_sub_nc_u32_e32 v29, v39, v29
	s_delay_alu instid0(VALU_DEP_4) | instskip(NEXT) | instid1(VALU_DEP_3)
	v_sub_nc_u32_e32 v34, v5, v34
	v_subrev_nc_u32_e32 v38, s8, v22
	v_cmp_le_u32_e32 vcc_lo, s8, v22
	v_mov_b32_e32 v67, v40
	v_sub_nc_u32_e32 v24, v24, v36
	v_subrev_nc_u32_e32 v36, s8, v29
	v_subrev_nc_u32_e32 v44, s8, v34
	v_cndmask_b32_e32 v22, v22, v38, vcc_lo
	v_cmp_le_u32_e32 vcc_lo, s8, v29
	v_mov_b32_e32 v58, v40
	v_subrev_nc_u32_e32 v38, s8, v24
	v_cndmask_b32_e32 v29, v29, v36, vcc_lo
	v_cmp_le_u32_e32 vcc_lo, s8, v34
	v_mov_b32_e32 v69, v40
	v_subrev_nc_u32_e32 v36, s8, v22
	v_cndmask_b32_e32 v34, v34, v44, vcc_lo
	v_cmp_le_u32_e32 vcc_lo, s8, v24
	s_delay_alu instid0(VALU_DEP_2)
	v_subrev_nc_u32_e32 v44, s8, v34
	v_cndmask_b32_e32 v24, v24, v38, vcc_lo
	v_cmp_le_u32_e32 vcc_lo, s8, v22
	v_subrev_nc_u32_e32 v38, s8, v29
	v_cndmask_b32_e32 v57, v22, v36, vcc_lo
	v_cmp_le_u32_e32 vcc_lo, s8, v29
	v_subrev_nc_u32_e32 v22, s8, v24
	s_delay_alu instid0(VALU_DEP_3) | instskip(SKIP_4) | instid1(VALU_DEP_4)
	v_dual_mov_b32 v74, v40 :: v_dual_add_nc_u32 v71, s33, v57
	v_cndmask_b32_e32 v66, v29, v38, vcc_lo
	v_cmp_le_u32_e32 vcc_lo, s8, v34
	v_lshlrev_b64 v[58:59], 1, v[57:58]
	v_mov_b32_e32 v84, v40
	v_lshlrev_b64 v[60:61], 1, v[66:67]
	v_cndmask_b32_e32 v68, v34, v44, vcc_lo
	v_cmp_le_u32_e32 vcc_lo, s8, v24
	s_delay_alu instid0(VALU_DEP_2) | instskip(SKIP_3) | instid1(VALU_DEP_3)
	v_lshlrev_b64 v[62:63], 1, v[68:69]
	v_cndmask_b32_e32 v64, v24, v22, vcc_lo
	v_add_co_u32 v58, vcc_lo, s14, v58
	v_add_co_ci_u32_e32 v59, vcc_lo, s15, v59, vcc_lo
	v_lshlrev_b64 v[69:70], 1, v[64:65]
	v_dual_mov_b32 v72, v40 :: v_dual_add_nc_u32 v73, s33, v64
	s_delay_alu instid0(VALU_DEP_2) | instskip(NEXT) | instid1(VALU_DEP_3)
	v_add_co_u32 v69, vcc_lo, s14, v69
	v_add_co_ci_u32_e32 v70, vcc_lo, s15, v70, vcc_lo
	v_add_co_u32 v60, vcc_lo, s14, v60
	v_add_co_ci_u32_e32 v61, vcc_lo, s15, v61, vcc_lo
	v_lshlrev_b64 v[71:72], 1, v[71:72]
	v_add_co_u32 v75, vcc_lo, s14, v62
	v_add_co_ci_u32_e32 v76, vcc_lo, s15, v63, vcc_lo
	v_lshlrev_b64 v[62:63], 1, v[73:74]
	v_add_nc_u32_e32 v73, s33, v66
	v_add_co_u32 v71, vcc_lo, s14, v71
	v_dual_mov_b32 v78, v40 :: v_dual_add_nc_u32 v77, s33, v68
	v_add_nc_u32_e32 v83, s34, v64
	v_add_co_ci_u32_e32 v72, vcc_lo, s15, v72, vcc_lo
	v_add_co_u32 v79, vcc_lo, s14, v62
	v_add_co_ci_u32_e32 v80, vcc_lo, s15, v63, vcc_lo
	v_lshlrev_b64 v[62:63], 1, v[77:78]
	v_add_nc_u32_e32 v77, s34, v57
	v_lshlrev_b64 v[73:74], 1, v[73:74]
	v_add_nc_u32_e32 v64, s38, v64
	s_delay_alu instid0(VALU_DEP_3) | instskip(NEXT) | instid1(VALU_DEP_3)
	v_lshlrev_b64 v[77:78], 1, v[77:78]
	v_add_co_u32 v73, vcc_lo, s14, v73
	s_delay_alu instid0(VALU_DEP_4)
	v_add_co_ci_u32_e32 v74, vcc_lo, s15, v74, vcc_lo
	v_add_co_u32 v81, vcc_lo, s14, v62
	v_add_co_ci_u32_e32 v82, vcc_lo, s15, v63, vcc_lo
	s_clause 0x7
	global_load_u16 v38, v[58:59], off
	global_load_u16 v63, v[69:70], off
	;; [unrolled: 1-line block ×8, first 2 shown]
	v_dual_mov_b32 v72, v40 :: v_dual_add_nc_u32 v71, s34, v66
	v_add_nc_u32_e32 v75, s34, v68
	v_lshlrev_b64 v[69:70], 1, v[83:84]
	v_mov_b32_e32 v76, v40
	v_add_co_u32 v73, vcc_lo, s14, v77
	v_add_nc_u32_e32 v77, s38, v57
	v_lshlrev_b64 v[71:72], 1, v[71:72]
	v_add_co_ci_u32_e32 v74, vcc_lo, s15, v78, vcc_lo
	v_dual_mov_b32 v78, v40 :: v_dual_add_nc_u32 v79, s38, v68
	v_add_co_u32 v69, vcc_lo, s14, v69
	v_lshlrev_b64 v[75:76], 1, v[75:76]
	v_add_co_ci_u32_e32 v70, vcc_lo, s15, v70, vcc_lo
	v_add_co_u32 v71, vcc_lo, s14, v71
	v_lshlrev_b64 v[77:78], 1, v[77:78]
	v_add_nc_u32_e32 v66, s38, v66
	v_add_co_ci_u32_e32 v72, vcc_lo, s15, v72, vcc_lo
	v_add_co_u32 v75, vcc_lo, s14, v75
	v_lshlrev_b64 v[64:65], 1, v[64:65]
	v_mov_b32_e32 v80, v40
	v_add_co_ci_u32_e32 v76, vcc_lo, s15, v76, vcc_lo
	v_add_co_u32 v77, vcc_lo, s14, v77
	v_lshlrev_b64 v[66:67], 1, v[66:67]
	v_add_co_ci_u32_e32 v78, vcc_lo, s15, v78, vcc_lo
	v_add_co_u32 v64, vcc_lo, s14, v64
	v_lshlrev_b64 v[79:80], 1, v[79:80]
	v_add_co_ci_u32_e32 v65, vcc_lo, s15, v65, vcc_lo
	v_add_co_u32 v66, vcc_lo, s14, v66
	v_add_co_ci_u32_e32 v67, vcc_lo, s15, v67, vcc_lo
	s_delay_alu instid0(VALU_DEP_4)
	v_add_co_u32 v79, vcc_lo, s14, v79
	v_add_co_ci_u32_e32 v80, vcc_lo, s15, v80, vcc_lo
	s_clause 0x7
	global_load_u16 v57, v[73:74], off
	global_load_u16 v48, v[69:70], off
	;; [unrolled: 1-line block ×8, first 2 shown]
.LBB274_33:                             ;   in Loop: Header=BB274_12 Depth=1
	v_cmp_ne_u32_e32 vcc_lo, 0, v1
	s_and_saveexec_b32 s2, vcc_lo
	s_cbranch_execnz .LBB274_49
; %bb.34:                               ;   in Loop: Header=BB274_12 Depth=1
	s_or_b32 exec_lo, exec_lo, s2
	v_cmp_ne_u32_e64 s1, 0, v2
	s_delay_alu instid0(VALU_DEP_1)
	s_and_saveexec_b32 s3, s1
	s_cbranch_execnz .LBB274_54
.LBB274_35:                             ;   in Loop: Header=BB274_12 Depth=1
	s_or_b32 exec_lo, exec_lo, s3
	v_cmp_ne_u32_e64 s2, 0, v3
	s_delay_alu instid0(VALU_DEP_1)
	s_and_saveexec_b32 s4, s2
	s_cbranch_execnz .LBB274_59
.LBB274_36:                             ;   in Loop: Header=BB274_12 Depth=1
	s_or_b32 exec_lo, exec_lo, s4
	v_cmp_ne_u32_e64 s3, 0, v4
	s_delay_alu instid0(VALU_DEP_1)
	s_and_saveexec_b32 s41, s3
	s_cbranch_execnz .LBB274_64
.LBB274_37:                             ;   in Loop: Header=BB274_12 Depth=1
	s_or_b32 exec_lo, exec_lo, s41
	v_add_nc_u32_e32 v39, s19, v37
	s_and_saveexec_b32 s41, vcc_lo
	s_cbranch_execnz .LBB274_69
.LBB274_38:                             ;   in Loop: Header=BB274_12 Depth=1
	s_or_b32 exec_lo, exec_lo, s41
	s_and_saveexec_b32 s41, s1
	s_cbranch_execnz .LBB274_74
.LBB274_39:                             ;   in Loop: Header=BB274_12 Depth=1
	s_or_b32 exec_lo, exec_lo, s41
	s_and_saveexec_b32 s41, s2
	s_cbranch_execnz .LBB274_79
.LBB274_40:                             ;   in Loop: Header=BB274_12 Depth=1
	s_or_b32 exec_lo, exec_lo, s41
	s_and_saveexec_b32 s41, s3
	s_cbranch_execnz .LBB274_84
.LBB274_41:                             ;   in Loop: Header=BB274_12 Depth=1
	s_or_b32 exec_lo, exec_lo, s41
	v_add_nc_u32_e32 v39, s19, v39
	s_and_saveexec_b32 s41, vcc_lo
	s_cbranch_execnz .LBB274_89
.LBB274_42:                             ;   in Loop: Header=BB274_12 Depth=1
	s_or_b32 exec_lo, exec_lo, s41
	s_and_saveexec_b32 s41, s1
	s_cbranch_execnz .LBB274_94
.LBB274_43:                             ;   in Loop: Header=BB274_12 Depth=1
	s_or_b32 exec_lo, exec_lo, s41
	s_and_saveexec_b32 s41, s2
	s_cbranch_execnz .LBB274_99
.LBB274_44:                             ;   in Loop: Header=BB274_12 Depth=1
	s_or_b32 exec_lo, exec_lo, s41
	s_and_saveexec_b32 s41, s3
	s_cbranch_execnz .LBB274_104
.LBB274_45:                             ;   in Loop: Header=BB274_12 Depth=1
	s_or_b32 exec_lo, exec_lo, s41
	v_add_nc_u32_e32 v39, s19, v39
	s_and_saveexec_b32 s4, vcc_lo
	s_cbranch_execnz .LBB274_109
.LBB274_46:                             ;   in Loop: Header=BB274_12 Depth=1
	s_or_b32 exec_lo, exec_lo, s4
	s_and_saveexec_b32 s4, s1
	s_cbranch_execnz .LBB274_114
.LBB274_47:                             ;   in Loop: Header=BB274_12 Depth=1
	s_or_b32 exec_lo, exec_lo, s4
	s_and_saveexec_b32 s1, s2
	s_cbranch_execnz .LBB274_119
.LBB274_48:                             ;   in Loop: Header=BB274_12 Depth=1
	s_or_b32 exec_lo, exec_lo, s1
	s_delay_alu instid0(SALU_CYCLE_1)
	s_and_b32 exec_lo, exec_lo, s3
	s_cbranch_execnz .LBB274_124
	s_branch .LBB274_129
.LBB274_49:                             ;   in Loop: Header=BB274_12 Depth=1
	s_waitcnt vmcnt(15) lgkmcnt(15)
	v_dual_add_f32 v47, v47, v49 :: v_dual_lshlrev_b32 v38, 16, v38
	s_delay_alu instid0(VALU_DEP_1) | instskip(NEXT) | instid1(VALU_DEP_1)
	v_add_f32_e32 v38, v47, v38
	v_and_b32_e32 v47, 0x7f800000, v38
	s_delay_alu instid0(VALU_DEP_1) | instskip(NEXT) | instid1(VALU_DEP_1)
	v_cmp_ne_u32_e64 s1, 0x7f800000, v47
                                        ; implicit-def: $vgpr47
	s_and_saveexec_b32 s3, s1
	s_delay_alu instid0(SALU_CYCLE_1)
	s_xor_b32 s1, exec_lo, s3
; %bb.50:                               ;   in Loop: Header=BB274_12 Depth=1
	v_bfe_u32 v47, v38, 16, 1
	s_delay_alu instid0(VALU_DEP_1)
	v_add3_u32 v47, v38, v47, 0x7fff
                                        ; implicit-def: $vgpr38
; %bb.51:                               ;   in Loop: Header=BB274_12 Depth=1
	s_and_not1_saveexec_b32 s3, s1
; %bb.52:                               ;   in Loop: Header=BB274_12 Depth=1
	v_and_b32_e32 v47, 0xffff, v38
	v_or_b32_e32 v49, 0x10000, v38
	s_delay_alu instid0(VALU_DEP_2) | instskip(NEXT) | instid1(VALU_DEP_1)
	v_cmp_eq_u32_e64 s1, 0, v47
	v_cndmask_b32_e64 v47, v49, v38, s1
; %bb.53:                               ;   in Loop: Header=BB274_12 Depth=1
	s_or_b32 exec_lo, exec_lo, s3
	v_mov_b32_e32 v38, v40
	s_delay_alu instid0(VALU_DEP_1) | instskip(NEXT) | instid1(VALU_DEP_1)
	v_lshlrev_b64 v[64:65], 1, v[37:38]
	v_add_co_u32 v64, s1, s6, v64
	s_delay_alu instid0(VALU_DEP_1) | instskip(SKIP_3) | instid1(VALU_DEP_1)
	v_add_co_ci_u32_e64 v65, s1, s7, v65, s1
	global_store_d16_hi_b16 v[64:65], v47, off
	s_or_b32 exec_lo, exec_lo, s2
	v_cmp_ne_u32_e64 s1, 0, v2
	s_and_saveexec_b32 s3, s1
	s_cbranch_execz .LBB274_35
.LBB274_54:                             ;   in Loop: Header=BB274_12 Depth=1
	s_waitcnt vmcnt(14) lgkmcnt(11)
	v_dual_add_f32 v38, v45, v46 :: v_dual_lshlrev_b32 v45, 16, v63
	s_delay_alu instid0(VALU_DEP_1) | instskip(NEXT) | instid1(VALU_DEP_1)
	v_add_f32_e32 v38, v38, v45
	v_and_b32_e32 v45, 0x7f800000, v38
	s_delay_alu instid0(VALU_DEP_1) | instskip(NEXT) | instid1(VALU_DEP_1)
	v_cmp_ne_u32_e64 s2, 0x7f800000, v45
                                        ; implicit-def: $vgpr45
	s_and_saveexec_b32 s4, s2
	s_delay_alu instid0(SALU_CYCLE_1)
	s_xor_b32 s2, exec_lo, s4
; %bb.55:                               ;   in Loop: Header=BB274_12 Depth=1
	v_bfe_u32 v45, v38, 16, 1
	s_delay_alu instid0(VALU_DEP_1)
	v_add3_u32 v45, v38, v45, 0x7fff
                                        ; implicit-def: $vgpr38
; %bb.56:                               ;   in Loop: Header=BB274_12 Depth=1
	s_and_not1_saveexec_b32 s4, s2
; %bb.57:                               ;   in Loop: Header=BB274_12 Depth=1
	v_and_b32_e32 v45, 0xffff, v38
	v_or_b32_e32 v46, 0x10000, v38
	s_delay_alu instid0(VALU_DEP_2) | instskip(NEXT) | instid1(VALU_DEP_1)
	v_cmp_eq_u32_e64 s2, 0, v45
	v_cndmask_b32_e64 v45, v46, v38, s2
; %bb.58:                               ;   in Loop: Header=BB274_12 Depth=1
	s_or_b32 exec_lo, exec_lo, s4
	v_mov_b32_e32 v38, v40
	s_delay_alu instid0(VALU_DEP_1) | instskip(NEXT) | instid1(VALU_DEP_1)
	v_lshlrev_b64 v[46:47], 1, v[37:38]
	v_add_co_u32 v46, s2, s35, v46
	s_delay_alu instid0(VALU_DEP_1) | instskip(SKIP_3) | instid1(VALU_DEP_1)
	v_add_co_ci_u32_e64 v47, s2, s36, v47, s2
	global_store_d16_hi_b16 v[46:47], v45, off
	s_or_b32 exec_lo, exec_lo, s3
	v_cmp_ne_u32_e64 s2, 0, v3
	s_and_saveexec_b32 s4, s2
	s_cbranch_execz .LBB274_36
.LBB274_59:                             ;   in Loop: Header=BB274_12 Depth=1
	s_waitcnt vmcnt(15) lgkmcnt(14)
	v_add_f32_e32 v38, v42, v43
	s_waitcnt vmcnt(13)
	v_lshlrev_b32_e32 v42, 16, v62
	s_delay_alu instid0(VALU_DEP_1) | instskip(NEXT) | instid1(VALU_DEP_1)
	v_add_f32_e32 v42, v38, v42
	v_and_b32_e32 v38, 0x7f800000, v42
	s_delay_alu instid0(VALU_DEP_1) | instskip(NEXT) | instid1(VALU_DEP_1)
	v_cmp_ne_u32_e64 s3, 0x7f800000, v38
                                        ; implicit-def: $vgpr38
	s_and_saveexec_b32 s41, s3
	s_delay_alu instid0(SALU_CYCLE_1)
	s_xor_b32 s3, exec_lo, s41
; %bb.60:                               ;   in Loop: Header=BB274_12 Depth=1
	v_bfe_u32 v38, v42, 16, 1
	s_delay_alu instid0(VALU_DEP_1)
	v_add3_u32 v38, v42, v38, 0x7fff
                                        ; implicit-def: $vgpr42
; %bb.61:                               ;   in Loop: Header=BB274_12 Depth=1
	s_and_not1_saveexec_b32 s41, s3
; %bb.62:                               ;   in Loop: Header=BB274_12 Depth=1
	v_and_b32_e32 v38, 0xffff, v42
	v_or_b32_e32 v43, 0x10000, v42
	s_delay_alu instid0(VALU_DEP_2) | instskip(NEXT) | instid1(VALU_DEP_1)
	v_cmp_eq_u32_e64 s3, 0, v38
	v_cndmask_b32_e64 v38, v43, v42, s3
; %bb.63:                               ;   in Loop: Header=BB274_12 Depth=1
	s_or_b32 exec_lo, exec_lo, s41
	v_lshlrev_b64 v[42:43], 1, v[39:40]
	s_delay_alu instid0(VALU_DEP_1) | instskip(NEXT) | instid1(VALU_DEP_1)
	v_add_co_u32 v42, s3, s6, v42
	v_add_co_ci_u32_e64 v43, s3, s7, v43, s3
	global_store_d16_hi_b16 v[42:43], v38, off
	s_or_b32 exec_lo, exec_lo, s4
	v_cmp_ne_u32_e64 s3, 0, v4
	s_delay_alu instid0(VALU_DEP_1)
	s_and_saveexec_b32 s41, s3
	s_cbranch_execz .LBB274_37
.LBB274_64:                             ;   in Loop: Header=BB274_12 Depth=1
	s_waitcnt vmcnt(12) lgkmcnt(13)
	v_dual_add_f32 v6, v6, v35 :: v_dual_lshlrev_b32 v35, 16, v61
	s_delay_alu instid0(VALU_DEP_1) | instskip(NEXT) | instid1(VALU_DEP_1)
	v_add_f32_e32 v6, v6, v35
	v_and_b32_e32 v35, 0x7f800000, v6
	s_delay_alu instid0(VALU_DEP_1) | instskip(NEXT) | instid1(VALU_DEP_1)
	v_cmp_ne_u32_e64 s4, 0x7f800000, v35
                                        ; implicit-def: $vgpr35
	s_and_saveexec_b32 s42, s4
	s_delay_alu instid0(SALU_CYCLE_1)
	s_xor_b32 s4, exec_lo, s42
; %bb.65:                               ;   in Loop: Header=BB274_12 Depth=1
	v_bfe_u32 v35, v6, 16, 1
	s_delay_alu instid0(VALU_DEP_1)
	v_add3_u32 v35, v6, v35, 0x7fff
                                        ; implicit-def: $vgpr6
; %bb.66:                               ;   in Loop: Header=BB274_12 Depth=1
	s_and_not1_saveexec_b32 s42, s4
; %bb.67:                               ;   in Loop: Header=BB274_12 Depth=1
	v_and_b32_e32 v35, 0xffff, v6
	v_or_b32_e32 v38, 0x10000, v6
	s_delay_alu instid0(VALU_DEP_2) | instskip(NEXT) | instid1(VALU_DEP_1)
	v_cmp_eq_u32_e64 s4, 0, v35
	v_cndmask_b32_e64 v35, v38, v6, s4
; %bb.68:                               ;   in Loop: Header=BB274_12 Depth=1
	s_or_b32 exec_lo, exec_lo, s42
	v_mov_b32_e32 v6, v40
	s_delay_alu instid0(VALU_DEP_1) | instskip(NEXT) | instid1(VALU_DEP_1)
	v_lshlrev_b64 v[5:6], 1, v[5:6]
	v_add_co_u32 v5, s4, s6, v5
	s_delay_alu instid0(VALU_DEP_1)
	v_add_co_ci_u32_e64 v6, s4, s7, v6, s4
	global_store_d16_hi_b16 v[5:6], v35, off
	s_or_b32 exec_lo, exec_lo, s41
	v_add_nc_u32_e32 v39, s19, v37
	s_and_saveexec_b32 s41, vcc_lo
	s_cbranch_execz .LBB274_38
.LBB274_69:                             ;   in Loop: Header=BB274_12 Depth=1
	s_waitcnt vmcnt(11) lgkmcnt(12)
	v_dual_add_f32 v5, v32, v33 :: v_dual_lshlrev_b32 v6, 16, v60
	s_delay_alu instid0(VALU_DEP_1) | instskip(NEXT) | instid1(VALU_DEP_1)
	v_add_f32_e32 v6, v5, v6
	v_and_b32_e32 v5, 0x7f800000, v6
	s_delay_alu instid0(VALU_DEP_1) | instskip(NEXT) | instid1(VALU_DEP_1)
	v_cmp_ne_u32_e64 s4, 0x7f800000, v5
                                        ; implicit-def: $vgpr5
	s_and_saveexec_b32 s42, s4
	s_delay_alu instid0(SALU_CYCLE_1)
	s_xor_b32 s4, exec_lo, s42
; %bb.70:                               ;   in Loop: Header=BB274_12 Depth=1
	v_bfe_u32 v5, v6, 16, 1
	s_delay_alu instid0(VALU_DEP_1)
	v_add3_u32 v5, v6, v5, 0x7fff
                                        ; implicit-def: $vgpr6
; %bb.71:                               ;   in Loop: Header=BB274_12 Depth=1
	s_and_not1_saveexec_b32 s42, s4
; %bb.72:                               ;   in Loop: Header=BB274_12 Depth=1
	v_and_b32_e32 v5, 0xffff, v6
	v_or_b32_e32 v32, 0x10000, v6
	s_delay_alu instid0(VALU_DEP_2) | instskip(NEXT) | instid1(VALU_DEP_1)
	v_cmp_eq_u32_e64 s4, 0, v5
	v_cndmask_b32_e64 v5, v32, v6, s4
; %bb.73:                               ;   in Loop: Header=BB274_12 Depth=1
	s_or_b32 exec_lo, exec_lo, s42
	v_lshlrev_b64 v[32:33], 1, v[39:40]
	s_delay_alu instid0(VALU_DEP_1) | instskip(NEXT) | instid1(VALU_DEP_1)
	v_add_co_u32 v32, s4, s6, v32
	v_add_co_ci_u32_e64 v33, s4, s7, v33, s4
	global_store_d16_hi_b16 v[32:33], v5, off
	s_or_b32 exec_lo, exec_lo, s41
	s_and_saveexec_b32 s41, s1
	s_cbranch_execz .LBB274_39
.LBB274_74:                             ;   in Loop: Header=BB274_12 Depth=1
	s_waitcnt vmcnt(10) lgkmcnt(10)
	v_dual_add_f32 v5, v27, v28 :: v_dual_lshlrev_b32 v6, 16, v59
	s_delay_alu instid0(VALU_DEP_1) | instskip(NEXT) | instid1(VALU_DEP_1)
	v_add_f32_e32 v6, v5, v6
	v_and_b32_e32 v5, 0x7f800000, v6
	s_delay_alu instid0(VALU_DEP_1) | instskip(NEXT) | instid1(VALU_DEP_1)
	v_cmp_ne_u32_e64 s4, 0x7f800000, v5
                                        ; implicit-def: $vgpr5
	s_and_saveexec_b32 s42, s4
	s_delay_alu instid0(SALU_CYCLE_1)
	s_xor_b32 s4, exec_lo, s42
; %bb.75:                               ;   in Loop: Header=BB274_12 Depth=1
	v_bfe_u32 v5, v6, 16, 1
	s_delay_alu instid0(VALU_DEP_1)
	v_add3_u32 v5, v6, v5, 0x7fff
                                        ; implicit-def: $vgpr6
; %bb.76:                               ;   in Loop: Header=BB274_12 Depth=1
	s_and_not1_saveexec_b32 s42, s4
; %bb.77:                               ;   in Loop: Header=BB274_12 Depth=1
	v_and_b32_e32 v5, 0xffff, v6
	v_or_b32_e32 v27, 0x10000, v6
	s_delay_alu instid0(VALU_DEP_2) | instskip(NEXT) | instid1(VALU_DEP_1)
	v_cmp_eq_u32_e64 s4, 0, v5
	v_cndmask_b32_e64 v5, v27, v6, s4
; %bb.78:                               ;   in Loop: Header=BB274_12 Depth=1
	s_or_b32 exec_lo, exec_lo, s42
	v_dual_mov_b32 v28, v40 :: v_dual_add_nc_u32 v27, 1, v39
	s_delay_alu instid0(VALU_DEP_1) | instskip(NEXT) | instid1(VALU_DEP_1)
	v_lshlrev_b64 v[27:28], 1, v[27:28]
	v_add_co_u32 v27, s4, s6, v27
	s_delay_alu instid0(VALU_DEP_1)
	v_add_co_ci_u32_e64 v28, s4, s7, v28, s4
	global_store_d16_hi_b16 v[27:28], v5, off
	s_or_b32 exec_lo, exec_lo, s41
	s_and_saveexec_b32 s41, s2
	s_cbranch_execz .LBB274_40
.LBB274_79:                             ;   in Loop: Header=BB274_12 Depth=1
	s_waitcnt vmcnt(9) lgkmcnt(7)
	v_dual_add_f32 v5, v30, v31 :: v_dual_lshlrev_b32 v6, 16, v58
	s_delay_alu instid0(VALU_DEP_1) | instskip(NEXT) | instid1(VALU_DEP_1)
	v_add_f32_e32 v6, v5, v6
	v_and_b32_e32 v5, 0x7f800000, v6
	s_delay_alu instid0(VALU_DEP_1) | instskip(NEXT) | instid1(VALU_DEP_1)
	v_cmp_ne_u32_e64 s4, 0x7f800000, v5
                                        ; implicit-def: $vgpr5
	s_and_saveexec_b32 s42, s4
	s_delay_alu instid0(SALU_CYCLE_1)
	s_xor_b32 s4, exec_lo, s42
; %bb.80:                               ;   in Loop: Header=BB274_12 Depth=1
	v_bfe_u32 v5, v6, 16, 1
	s_delay_alu instid0(VALU_DEP_1)
	v_add3_u32 v5, v6, v5, 0x7fff
                                        ; implicit-def: $vgpr6
; %bb.81:                               ;   in Loop: Header=BB274_12 Depth=1
	s_and_not1_saveexec_b32 s42, s4
; %bb.82:                               ;   in Loop: Header=BB274_12 Depth=1
	v_and_b32_e32 v5, 0xffff, v6
	v_or_b32_e32 v27, 0x10000, v6
	s_delay_alu instid0(VALU_DEP_2) | instskip(NEXT) | instid1(VALU_DEP_1)
	v_cmp_eq_u32_e64 s4, 0, v5
	v_cndmask_b32_e64 v5, v27, v6, s4
; %bb.83:                               ;   in Loop: Header=BB274_12 Depth=1
	s_or_b32 exec_lo, exec_lo, s42
	v_dual_mov_b32 v28, v40 :: v_dual_add_nc_u32 v27, 2, v39
	s_delay_alu instid0(VALU_DEP_1) | instskip(NEXT) | instid1(VALU_DEP_1)
	v_lshlrev_b64 v[27:28], 1, v[27:28]
	v_add_co_u32 v27, s4, s6, v27
	s_delay_alu instid0(VALU_DEP_1)
	v_add_co_ci_u32_e64 v28, s4, s7, v28, s4
	global_store_d16_hi_b16 v[27:28], v5, off
	s_or_b32 exec_lo, exec_lo, s41
	s_and_saveexec_b32 s41, s3
	s_cbranch_execz .LBB274_41
.LBB274_84:                             ;   in Loop: Header=BB274_12 Depth=1
	s_waitcnt vmcnt(8) lgkmcnt(6)
	v_dual_add_f32 v5, v25, v26 :: v_dual_lshlrev_b32 v6, 16, v56
	s_delay_alu instid0(VALU_DEP_1) | instskip(NEXT) | instid1(VALU_DEP_1)
	v_add_f32_e32 v6, v5, v6
	v_and_b32_e32 v5, 0x7f800000, v6
	s_delay_alu instid0(VALU_DEP_1) | instskip(NEXT) | instid1(VALU_DEP_1)
	v_cmp_ne_u32_e64 s4, 0x7f800000, v5
                                        ; implicit-def: $vgpr5
	s_and_saveexec_b32 s42, s4
	s_delay_alu instid0(SALU_CYCLE_1)
	s_xor_b32 s4, exec_lo, s42
; %bb.85:                               ;   in Loop: Header=BB274_12 Depth=1
	v_bfe_u32 v5, v6, 16, 1
	s_delay_alu instid0(VALU_DEP_1)
	v_add3_u32 v5, v6, v5, 0x7fff
                                        ; implicit-def: $vgpr6
; %bb.86:                               ;   in Loop: Header=BB274_12 Depth=1
	s_and_not1_saveexec_b32 s42, s4
; %bb.87:                               ;   in Loop: Header=BB274_12 Depth=1
	v_and_b32_e32 v5, 0xffff, v6
	v_or_b32_e32 v25, 0x10000, v6
	s_delay_alu instid0(VALU_DEP_2) | instskip(NEXT) | instid1(VALU_DEP_1)
	v_cmp_eq_u32_e64 s4, 0, v5
	v_cndmask_b32_e64 v5, v25, v6, s4
; %bb.88:                               ;   in Loop: Header=BB274_12 Depth=1
	s_or_b32 exec_lo, exec_lo, s42
	v_dual_mov_b32 v26, v40 :: v_dual_add_nc_u32 v25, 3, v39
	s_delay_alu instid0(VALU_DEP_1) | instskip(NEXT) | instid1(VALU_DEP_1)
	v_lshlrev_b64 v[25:26], 1, v[25:26]
	v_add_co_u32 v25, s4, s6, v25
	s_delay_alu instid0(VALU_DEP_1)
	v_add_co_ci_u32_e64 v26, s4, s7, v26, s4
	global_store_d16_hi_b16 v[25:26], v5, off
	s_or_b32 exec_lo, exec_lo, s41
	v_add_nc_u32_e32 v39, s19, v39
	s_and_saveexec_b32 s41, vcc_lo
	s_cbranch_execz .LBB274_42
.LBB274_89:                             ;   in Loop: Header=BB274_12 Depth=1
	s_waitcnt vmcnt(7) lgkmcnt(9)
	v_dual_add_f32 v5, v21, v23 :: v_dual_lshlrev_b32 v6, 16, v57
	s_delay_alu instid0(VALU_DEP_1) | instskip(NEXT) | instid1(VALU_DEP_1)
	v_add_f32_e32 v6, v5, v6
	v_and_b32_e32 v5, 0x7f800000, v6
	s_delay_alu instid0(VALU_DEP_1) | instskip(NEXT) | instid1(VALU_DEP_1)
	v_cmp_ne_u32_e64 s4, 0x7f800000, v5
                                        ; implicit-def: $vgpr5
	s_and_saveexec_b32 s42, s4
	s_delay_alu instid0(SALU_CYCLE_1)
	s_xor_b32 s4, exec_lo, s42
; %bb.90:                               ;   in Loop: Header=BB274_12 Depth=1
	v_bfe_u32 v5, v6, 16, 1
	s_delay_alu instid0(VALU_DEP_1)
	v_add3_u32 v5, v6, v5, 0x7fff
                                        ; implicit-def: $vgpr6
; %bb.91:                               ;   in Loop: Header=BB274_12 Depth=1
	s_and_not1_saveexec_b32 s42, s4
; %bb.92:                               ;   in Loop: Header=BB274_12 Depth=1
	v_and_b32_e32 v5, 0xffff, v6
	v_or_b32_e32 v21, 0x10000, v6
	s_delay_alu instid0(VALU_DEP_2) | instskip(NEXT) | instid1(VALU_DEP_1)
	v_cmp_eq_u32_e64 s4, 0, v5
	v_cndmask_b32_e64 v5, v21, v6, s4
; %bb.93:                               ;   in Loop: Header=BB274_12 Depth=1
	s_or_b32 exec_lo, exec_lo, s42
	s_waitcnt lgkmcnt(6)
	v_lshlrev_b64 v[25:26], 1, v[39:40]
	s_delay_alu instid0(VALU_DEP_1) | instskip(NEXT) | instid1(VALU_DEP_1)
	v_add_co_u32 v25, s4, s6, v25
	v_add_co_ci_u32_e64 v26, s4, s7, v26, s4
	global_store_d16_hi_b16 v[25:26], v5, off
	s_or_b32 exec_lo, exec_lo, s41
	s_and_saveexec_b32 s41, s1
	s_cbranch_execz .LBB274_43
.LBB274_94:                             ;   in Loop: Header=BB274_12 Depth=1
	s_waitcnt lgkmcnt(5)
	v_add_f32_e32 v5, v19, v20
	s_waitcnt vmcnt(6)
	v_lshlrev_b32_e32 v6, 16, v48
	s_delay_alu instid0(VALU_DEP_1) | instskip(NEXT) | instid1(VALU_DEP_1)
	v_add_f32_e32 v6, v5, v6
	v_and_b32_e32 v5, 0x7f800000, v6
	s_delay_alu instid0(VALU_DEP_1) | instskip(NEXT) | instid1(VALU_DEP_1)
	v_cmp_ne_u32_e64 s4, 0x7f800000, v5
                                        ; implicit-def: $vgpr5
	s_and_saveexec_b32 s42, s4
	s_delay_alu instid0(SALU_CYCLE_1)
	s_xor_b32 s4, exec_lo, s42
; %bb.95:                               ;   in Loop: Header=BB274_12 Depth=1
	v_bfe_u32 v5, v6, 16, 1
	s_delay_alu instid0(VALU_DEP_1)
	v_add3_u32 v5, v6, v5, 0x7fff
                                        ; implicit-def: $vgpr6
; %bb.96:                               ;   in Loop: Header=BB274_12 Depth=1
	s_and_not1_saveexec_b32 s42, s4
; %bb.97:                               ;   in Loop: Header=BB274_12 Depth=1
	v_and_b32_e32 v5, 0xffff, v6
	v_or_b32_e32 v19, 0x10000, v6
	s_delay_alu instid0(VALU_DEP_2) | instskip(NEXT) | instid1(VALU_DEP_1)
	v_cmp_eq_u32_e64 s4, 0, v5
	v_cndmask_b32_e64 v5, v19, v6, s4
; %bb.98:                               ;   in Loop: Header=BB274_12 Depth=1
	s_or_b32 exec_lo, exec_lo, s42
	v_dual_mov_b32 v20, v40 :: v_dual_add_nc_u32 v19, 1, v39
	s_delay_alu instid0(VALU_DEP_1) | instskip(NEXT) | instid1(VALU_DEP_1)
	v_lshlrev_b64 v[19:20], 1, v[19:20]
	v_add_co_u32 v19, s4, s6, v19
	s_delay_alu instid0(VALU_DEP_1)
	v_add_co_ci_u32_e64 v20, s4, s7, v20, s4
	global_store_d16_hi_b16 v[19:20], v5, off
	s_or_b32 exec_lo, exec_lo, s41
	s_and_saveexec_b32 s41, s2
	s_cbranch_execz .LBB274_44
.LBB274_99:                             ;   in Loop: Header=BB274_12 Depth=1
	s_waitcnt lgkmcnt(8)
	v_add_f32_e32 v5, v15, v16
	s_waitcnt vmcnt(5)
	v_lshlrev_b32_e32 v6, 16, v44
	s_delay_alu instid0(VALU_DEP_1) | instskip(NEXT) | instid1(VALU_DEP_1)
	v_add_f32_e32 v6, v5, v6
	v_and_b32_e32 v5, 0x7f800000, v6
	s_delay_alu instid0(VALU_DEP_1) | instskip(NEXT) | instid1(VALU_DEP_1)
	v_cmp_ne_u32_e64 s4, 0x7f800000, v5
                                        ; implicit-def: $vgpr5
	s_and_saveexec_b32 s42, s4
	s_delay_alu instid0(SALU_CYCLE_1)
	s_xor_b32 s4, exec_lo, s42
; %bb.100:                              ;   in Loop: Header=BB274_12 Depth=1
	v_bfe_u32 v5, v6, 16, 1
	s_delay_alu instid0(VALU_DEP_1)
	v_add3_u32 v5, v6, v5, 0x7fff
                                        ; implicit-def: $vgpr6
; %bb.101:                              ;   in Loop: Header=BB274_12 Depth=1
	s_and_not1_saveexec_b32 s42, s4
; %bb.102:                              ;   in Loop: Header=BB274_12 Depth=1
	v_and_b32_e32 v5, 0xffff, v6
	v_or_b32_e32 v15, 0x10000, v6
	s_delay_alu instid0(VALU_DEP_2) | instskip(NEXT) | instid1(VALU_DEP_1)
	v_cmp_eq_u32_e64 s4, 0, v5
	v_cndmask_b32_e64 v5, v15, v6, s4
; %bb.103:                              ;   in Loop: Header=BB274_12 Depth=1
	s_or_b32 exec_lo, exec_lo, s42
	v_dual_mov_b32 v16, v40 :: v_dual_add_nc_u32 v15, 2, v39
	s_delay_alu instid0(VALU_DEP_1) | instskip(NEXT) | instid1(VALU_DEP_1)
	v_lshlrev_b64 v[15:16], 1, v[15:16]
	v_add_co_u32 v15, s4, s6, v15
	s_delay_alu instid0(VALU_DEP_1)
	v_add_co_ci_u32_e64 v16, s4, s7, v16, s4
	global_store_d16_hi_b16 v[15:16], v5, off
	s_or_b32 exec_lo, exec_lo, s41
	s_and_saveexec_b32 s41, s3
	s_cbranch_execz .LBB274_45
.LBB274_104:                            ;   in Loop: Header=BB274_12 Depth=1
	s_waitcnt vmcnt(4) lgkmcnt(4)
	v_dual_add_f32 v5, v17, v18 :: v_dual_lshlrev_b32 v6, 16, v36
	s_delay_alu instid0(VALU_DEP_1) | instskip(NEXT) | instid1(VALU_DEP_1)
	v_add_f32_e32 v6, v5, v6
	v_and_b32_e32 v5, 0x7f800000, v6
	s_delay_alu instid0(VALU_DEP_1) | instskip(NEXT) | instid1(VALU_DEP_1)
	v_cmp_ne_u32_e64 s4, 0x7f800000, v5
                                        ; implicit-def: $vgpr5
	s_and_saveexec_b32 s42, s4
	s_delay_alu instid0(SALU_CYCLE_1)
	s_xor_b32 s4, exec_lo, s42
; %bb.105:                              ;   in Loop: Header=BB274_12 Depth=1
	v_bfe_u32 v5, v6, 16, 1
	s_delay_alu instid0(VALU_DEP_1)
	v_add3_u32 v5, v6, v5, 0x7fff
                                        ; implicit-def: $vgpr6
; %bb.106:                              ;   in Loop: Header=BB274_12 Depth=1
	s_and_not1_saveexec_b32 s42, s4
; %bb.107:                              ;   in Loop: Header=BB274_12 Depth=1
	v_and_b32_e32 v5, 0xffff, v6
	v_or_b32_e32 v15, 0x10000, v6
	s_delay_alu instid0(VALU_DEP_2) | instskip(NEXT) | instid1(VALU_DEP_1)
	v_cmp_eq_u32_e64 s4, 0, v5
	v_cndmask_b32_e64 v5, v15, v6, s4
; %bb.108:                              ;   in Loop: Header=BB274_12 Depth=1
	s_or_b32 exec_lo, exec_lo, s42
	v_dual_mov_b32 v16, v40 :: v_dual_add_nc_u32 v15, 3, v39
	s_delay_alu instid0(VALU_DEP_1) | instskip(NEXT) | instid1(VALU_DEP_1)
	v_lshlrev_b64 v[15:16], 1, v[15:16]
	v_add_co_u32 v15, s4, s6, v15
	s_delay_alu instid0(VALU_DEP_1)
	v_add_co_ci_u32_e64 v16, s4, s7, v16, s4
	global_store_d16_hi_b16 v[15:16], v5, off
	s_or_b32 exec_lo, exec_lo, s41
	v_add_nc_u32_e32 v39, s19, v39
	s_and_saveexec_b32 s4, vcc_lo
	s_cbranch_execz .LBB274_46
.LBB274_109:                            ;   in Loop: Header=BB274_12 Depth=1
	s_waitcnt lgkmcnt(1)
	v_add_f32_e32 v5, v13, v14
	s_waitcnt vmcnt(3)
	v_lshlrev_b32_e32 v6, 16, v34
	s_delay_alu instid0(VALU_DEP_1) | instskip(NEXT) | instid1(VALU_DEP_1)
	v_add_f32_e32 v6, v5, v6
	v_and_b32_e32 v5, 0x7f800000, v6
	s_delay_alu instid0(VALU_DEP_1) | instskip(SKIP_1) | instid1(SALU_CYCLE_1)
	v_cmp_ne_u32_e32 vcc_lo, 0x7f800000, v5
                                        ; implicit-def: $vgpr5
	s_and_saveexec_b32 s41, vcc_lo
	s_xor_b32 s41, exec_lo, s41
; %bb.110:                              ;   in Loop: Header=BB274_12 Depth=1
	v_bfe_u32 v5, v6, 16, 1
	s_delay_alu instid0(VALU_DEP_1)
	v_add3_u32 v5, v6, v5, 0x7fff
                                        ; implicit-def: $vgpr6
; %bb.111:                              ;   in Loop: Header=BB274_12 Depth=1
	s_and_not1_saveexec_b32 s41, s41
; %bb.112:                              ;   in Loop: Header=BB274_12 Depth=1
	v_and_b32_e32 v5, 0xffff, v6
	v_or_b32_e32 v13, 0x10000, v6
	s_delay_alu instid0(VALU_DEP_2) | instskip(NEXT) | instid1(VALU_DEP_2)
	v_cmp_eq_u32_e32 vcc_lo, 0, v5
	v_cndmask_b32_e32 v5, v13, v6, vcc_lo
; %bb.113:                              ;   in Loop: Header=BB274_12 Depth=1
	s_or_b32 exec_lo, exec_lo, s41
	v_lshlrev_b64 v[13:14], 1, v[39:40]
	s_delay_alu instid0(VALU_DEP_1) | instskip(NEXT) | instid1(VALU_DEP_2)
	v_add_co_u32 v13, vcc_lo, s6, v13
	v_add_co_ci_u32_e32 v14, vcc_lo, s7, v14, vcc_lo
	global_store_d16_hi_b16 v[13:14], v5, off
	s_or_b32 exec_lo, exec_lo, s4
	s_and_saveexec_b32 s4, s1
	s_cbranch_execz .LBB274_47
.LBB274_114:                            ;   in Loop: Header=BB274_12 Depth=1
	s_waitcnt vmcnt(2) lgkmcnt(3)
	v_dual_add_f32 v5, v11, v12 :: v_dual_lshlrev_b32 v6, 16, v29
	s_delay_alu instid0(VALU_DEP_1) | instskip(NEXT) | instid1(VALU_DEP_1)
	v_add_f32_e32 v6, v5, v6
	v_and_b32_e32 v5, 0x7f800000, v6
	s_delay_alu instid0(VALU_DEP_1) | instskip(SKIP_1) | instid1(SALU_CYCLE_1)
	v_cmp_ne_u32_e32 vcc_lo, 0x7f800000, v5
                                        ; implicit-def: $vgpr5
	s_and_saveexec_b32 s1, vcc_lo
	s_xor_b32 s1, exec_lo, s1
; %bb.115:                              ;   in Loop: Header=BB274_12 Depth=1
	v_bfe_u32 v5, v6, 16, 1
	s_delay_alu instid0(VALU_DEP_1)
	v_add3_u32 v5, v6, v5, 0x7fff
                                        ; implicit-def: $vgpr6
; %bb.116:                              ;   in Loop: Header=BB274_12 Depth=1
	s_and_not1_saveexec_b32 s1, s1
; %bb.117:                              ;   in Loop: Header=BB274_12 Depth=1
	v_and_b32_e32 v5, 0xffff, v6
	v_or_b32_e32 v11, 0x10000, v6
	s_delay_alu instid0(VALU_DEP_2) | instskip(NEXT) | instid1(VALU_DEP_2)
	v_cmp_eq_u32_e32 vcc_lo, 0, v5
	v_cndmask_b32_e32 v5, v11, v6, vcc_lo
; %bb.118:                              ;   in Loop: Header=BB274_12 Depth=1
	s_or_b32 exec_lo, exec_lo, s1
	v_dual_mov_b32 v12, v40 :: v_dual_add_nc_u32 v11, 1, v39
	s_delay_alu instid0(VALU_DEP_1) | instskip(NEXT) | instid1(VALU_DEP_1)
	v_lshlrev_b64 v[11:12], 1, v[11:12]
	v_add_co_u32 v11, vcc_lo, s6, v11
	s_delay_alu instid0(VALU_DEP_2)
	v_add_co_ci_u32_e32 v12, vcc_lo, s7, v12, vcc_lo
	global_store_d16_hi_b16 v[11:12], v5, off
	s_or_b32 exec_lo, exec_lo, s4
	s_and_saveexec_b32 s1, s2
	s_cbranch_execz .LBB274_48
.LBB274_119:                            ;   in Loop: Header=BB274_12 Depth=1
	s_waitcnt vmcnt(1) lgkmcnt(2)
	v_dual_add_f32 v5, v9, v10 :: v_dual_lshlrev_b32 v6, 16, v24
	s_delay_alu instid0(VALU_DEP_1) | instskip(NEXT) | instid1(VALU_DEP_1)
	v_add_f32_e32 v6, v5, v6
	v_and_b32_e32 v5, 0x7f800000, v6
	s_delay_alu instid0(VALU_DEP_1) | instskip(SKIP_1) | instid1(SALU_CYCLE_1)
	v_cmp_ne_u32_e32 vcc_lo, 0x7f800000, v5
                                        ; implicit-def: $vgpr5
	s_and_saveexec_b32 s2, vcc_lo
	s_xor_b32 s2, exec_lo, s2
; %bb.120:                              ;   in Loop: Header=BB274_12 Depth=1
	v_bfe_u32 v5, v6, 16, 1
	s_delay_alu instid0(VALU_DEP_1)
	v_add3_u32 v5, v6, v5, 0x7fff
                                        ; implicit-def: $vgpr6
; %bb.121:                              ;   in Loop: Header=BB274_12 Depth=1
	s_and_not1_saveexec_b32 s2, s2
; %bb.122:                              ;   in Loop: Header=BB274_12 Depth=1
	v_and_b32_e32 v5, 0xffff, v6
	v_or_b32_e32 v9, 0x10000, v6
	s_delay_alu instid0(VALU_DEP_2) | instskip(NEXT) | instid1(VALU_DEP_2)
	v_cmp_eq_u32_e32 vcc_lo, 0, v5
	v_cndmask_b32_e32 v5, v9, v6, vcc_lo
; %bb.123:                              ;   in Loop: Header=BB274_12 Depth=1
	s_or_b32 exec_lo, exec_lo, s2
	v_dual_mov_b32 v10, v40 :: v_dual_add_nc_u32 v9, 2, v39
	s_delay_alu instid0(VALU_DEP_1) | instskip(NEXT) | instid1(VALU_DEP_1)
	v_lshlrev_b64 v[9:10], 1, v[9:10]
	v_add_co_u32 v9, vcc_lo, s6, v9
	s_delay_alu instid0(VALU_DEP_2) | instskip(SKIP_2) | instid1(SALU_CYCLE_1)
	v_add_co_ci_u32_e32 v10, vcc_lo, s7, v10, vcc_lo
	global_store_d16_hi_b16 v[9:10], v5, off
	s_or_b32 exec_lo, exec_lo, s1
	s_and_b32 exec_lo, exec_lo, s3
	s_cbranch_execz .LBB274_129
.LBB274_124:                            ;   in Loop: Header=BB274_12 Depth=1
	s_waitcnt vmcnt(0) lgkmcnt(0)
	v_dual_add_f32 v5, v7, v8 :: v_dual_lshlrev_b32 v6, 16, v22
	s_delay_alu instid0(VALU_DEP_1) | instskip(NEXT) | instid1(VALU_DEP_1)
	v_add_f32_e32 v6, v5, v6
	v_and_b32_e32 v5, 0x7f800000, v6
	s_delay_alu instid0(VALU_DEP_1) | instskip(SKIP_1) | instid1(SALU_CYCLE_1)
	v_cmp_ne_u32_e32 vcc_lo, 0x7f800000, v5
                                        ; implicit-def: $vgpr5
	s_and_saveexec_b32 s1, vcc_lo
	s_xor_b32 s1, exec_lo, s1
; %bb.125:                              ;   in Loop: Header=BB274_12 Depth=1
	v_bfe_u32 v5, v6, 16, 1
	s_delay_alu instid0(VALU_DEP_1)
	v_add3_u32 v5, v6, v5, 0x7fff
                                        ; implicit-def: $vgpr6
; %bb.126:                              ;   in Loop: Header=BB274_12 Depth=1
	s_and_not1_saveexec_b32 s1, s1
; %bb.127:                              ;   in Loop: Header=BB274_12 Depth=1
	v_and_b32_e32 v5, 0xffff, v6
	v_or_b32_e32 v7, 0x10000, v6
	s_delay_alu instid0(VALU_DEP_2) | instskip(NEXT) | instid1(VALU_DEP_2)
	v_cmp_eq_u32_e32 vcc_lo, 0, v5
	v_cndmask_b32_e32 v5, v7, v6, vcc_lo
; %bb.128:                              ;   in Loop: Header=BB274_12 Depth=1
	s_or_b32 exec_lo, exec_lo, s1
	v_add_nc_u32_e32 v39, 3, v39
	s_delay_alu instid0(VALU_DEP_1) | instskip(NEXT) | instid1(VALU_DEP_1)
	v_lshlrev_b64 v[6:7], 1, v[39:40]
	v_add_co_u32 v6, vcc_lo, s6, v6
	s_delay_alu instid0(VALU_DEP_2)
	v_add_co_ci_u32_e32 v7, vcc_lo, s7, v7, vcc_lo
	global_store_d16_hi_b16 v[6:7], v5, off
.LBB274_129:                            ;   in Loop: Header=BB274_12 Depth=1
	s_or_b32 exec_lo, exec_lo, s5
	v_add_nc_u32_e32 v37, s29, v37
	s_delay_alu instid0(VALU_DEP_1) | instskip(SKIP_1) | instid1(VALU_DEP_2)
	v_add_nc_u32_e32 v5, 4, v37
	v_cmp_gt_u32_e32 vcc_lo, s19, v37
	v_cmp_le_u32_e64 s1, s19, v5
	s_delay_alu instid0(VALU_DEP_1) | instskip(NEXT) | instid1(SALU_CYCLE_1)
	s_and_b32 s1, vcc_lo, s1
	s_and_saveexec_b32 s41, s1
	s_cbranch_execz .LBB274_10
; %bb.130:                              ;   in Loop: Header=BB274_12 Depth=1
	s_mov_b32 s42, exec_lo
	v_cmpx_ne_u32_e64 s31, v37
	s_cbranch_execz .LBB274_9
; %bb.131:                              ;   in Loop: Header=BB274_12 Depth=1
	v_subrev_nc_u32_e32 v5, s31, v37
	s_mov_b32 s43, 0
	s_mov_b64 s[4:5], 0
	s_delay_alu instid0(VALU_DEP_1)
	v_cmp_lt_u32_e32 vcc_lo, 1, v5
	v_cndmask_b32_e32 v5, 1, v5, vcc_lo
	.p2align	6
.LBB274_132:                            ;   Parent Loop BB274_12 Depth=1
                                        ; =>  This Inner Loop Header: Depth=2
	s_cmp_lg_u32 s4, 3
	s_cselect_b32 vcc_lo, -1, 0
	s_cmp_lg_u32 s4, 2
	v_cndmask_b32_e32 v4, 0, v4, vcc_lo
	s_cselect_b32 s1, -1, 0
	s_cmp_lg_u32 s4, 1
	v_cndmask_b32_e64 v3, 0, v3, s1
	s_cselect_b32 s2, -1, 0
	s_cmp_lg_u32 s4, 0
	v_cndmask_b32_e64 v2, 0, v2, s2
	s_cselect_b32 s3, -1, 0
	s_add_u32 s4, s4, 1
	v_cndmask_b32_e64 v1, 0, v1, s3
	v_cmp_eq_u32_e32 vcc_lo, s4, v5
	s_addc_u32 s5, s5, 0
	s_or_b32 s43, vcc_lo, s43
	s_delay_alu instid0(SALU_CYCLE_1)
	s_and_not1_b32 exec_lo, exec_lo, s43
	s_cbranch_execnz .LBB274_132
; %bb.133:                              ;   in Loop: Header=BB274_12 Depth=1
	s_or_b32 exec_lo, exec_lo, s43
	s_branch .LBB274_9
.LBB274_134:
	s_nop 0
	s_sendmsg sendmsg(MSG_DEALLOC_VGPRS)
	s_endpgm
	.section	.rodata,"a",@progbits
	.p2align	6, 0x0
	.amdhsa_kernel _Z16wvSplitK_hf_big_I14__hip_bfloat16Li64ELi4ELi16ELi8ELi1ELi4EEviiiiiiPKT_S3_S3_PS1_ii
		.amdhsa_group_segment_fixed_size 65536
		.amdhsa_private_segment_fixed_size 0
		.amdhsa_kernarg_size 64
		.amdhsa_user_sgpr_count 15
		.amdhsa_user_sgpr_dispatch_ptr 0
		.amdhsa_user_sgpr_queue_ptr 0
		.amdhsa_user_sgpr_kernarg_segment_ptr 1
		.amdhsa_user_sgpr_dispatch_id 0
		.amdhsa_user_sgpr_private_segment_size 0
		.amdhsa_wavefront_size32 1
		.amdhsa_uses_dynamic_stack 0
		.amdhsa_enable_private_segment 0
		.amdhsa_system_sgpr_workgroup_id_x 1
		.amdhsa_system_sgpr_workgroup_id_y 0
		.amdhsa_system_sgpr_workgroup_id_z 0
		.amdhsa_system_sgpr_workgroup_info 0
		.amdhsa_system_vgpr_workitem_id 1
		.amdhsa_next_free_vgpr 92
		.amdhsa_next_free_sgpr 44
		.amdhsa_reserve_vcc 1
		.amdhsa_float_round_mode_32 0
		.amdhsa_float_round_mode_16_64 0
		.amdhsa_float_denorm_mode_32 3
		.amdhsa_float_denorm_mode_16_64 3
		.amdhsa_dx10_clamp 1
		.amdhsa_ieee_mode 1
		.amdhsa_fp16_overflow 0
		.amdhsa_workgroup_processor_mode 1
		.amdhsa_memory_ordered 1
		.amdhsa_forward_progress 0
		.amdhsa_shared_vgpr_count 0
		.amdhsa_exception_fp_ieee_invalid_op 0
		.amdhsa_exception_fp_denorm_src 0
		.amdhsa_exception_fp_ieee_div_zero 0
		.amdhsa_exception_fp_ieee_overflow 0
		.amdhsa_exception_fp_ieee_underflow 0
		.amdhsa_exception_fp_ieee_inexact 0
		.amdhsa_exception_int_div_zero 0
	.end_amdhsa_kernel
	.section	.text._Z16wvSplitK_hf_big_I14__hip_bfloat16Li64ELi4ELi16ELi8ELi1ELi4EEviiiiiiPKT_S3_S3_PS1_ii,"axG",@progbits,_Z16wvSplitK_hf_big_I14__hip_bfloat16Li64ELi4ELi16ELi8ELi1ELi4EEviiiiiiPKT_S3_S3_PS1_ii,comdat
.Lfunc_end274:
	.size	_Z16wvSplitK_hf_big_I14__hip_bfloat16Li64ELi4ELi16ELi8ELi1ELi4EEviiiiiiPKT_S3_S3_PS1_ii, .Lfunc_end274-_Z16wvSplitK_hf_big_I14__hip_bfloat16Li64ELi4ELi16ELi8ELi1ELi4EEviiiiiiPKT_S3_S3_PS1_ii
                                        ; -- End function
	.section	.AMDGPU.csdata,"",@progbits
; Kernel info:
; codeLenInByte = 8876
; NumSgprs: 46
; NumVgprs: 92
; ScratchSize: 0
; MemoryBound: 0
; FloatMode: 240
; IeeeMode: 1
; LDSByteSize: 65536 bytes/workgroup (compile time only)
; SGPRBlocks: 5
; VGPRBlocks: 11
; NumSGPRsForWavesPerEU: 46
; NumVGPRsForWavesPerEU: 92
; Occupancy: 16
; WaveLimiterHint : 0
; COMPUTE_PGM_RSRC2:SCRATCH_EN: 0
; COMPUTE_PGM_RSRC2:USER_SGPR: 15
; COMPUTE_PGM_RSRC2:TRAP_HANDLER: 0
; COMPUTE_PGM_RSRC2:TGID_X_EN: 1
; COMPUTE_PGM_RSRC2:TGID_Y_EN: 0
; COMPUTE_PGM_RSRC2:TGID_Z_EN: 0
; COMPUTE_PGM_RSRC2:TIDIG_COMP_CNT: 1
	.section	.text._Z16wvSplitK_hf_sml_I14__hip_bfloat16Li64ELi4ELi16ELi8ELi2ELi4EEviiiiiiPKT_S3_S3_PS1_ii,"axG",@progbits,_Z16wvSplitK_hf_sml_I14__hip_bfloat16Li64ELi4ELi16ELi8ELi2ELi4EEviiiiiiPKT_S3_S3_PS1_ii,comdat
	.protected	_Z16wvSplitK_hf_sml_I14__hip_bfloat16Li64ELi4ELi16ELi8ELi2ELi4EEviiiiiiPKT_S3_S3_PS1_ii ; -- Begin function _Z16wvSplitK_hf_sml_I14__hip_bfloat16Li64ELi4ELi16ELi8ELi2ELi4EEviiiiiiPKT_S3_S3_PS1_ii
	.globl	_Z16wvSplitK_hf_sml_I14__hip_bfloat16Li64ELi4ELi16ELi8ELi2ELi4EEviiiiiiPKT_S3_S3_PS1_ii
	.p2align	8
	.type	_Z16wvSplitK_hf_sml_I14__hip_bfloat16Li64ELi4ELi16ELi8ELi2ELi4EEviiiiiiPKT_S3_S3_PS1_ii,@function
_Z16wvSplitK_hf_sml_I14__hip_bfloat16Li64ELi4ELi16ELi8ELi2ELi4EEviiiiiiPKT_S3_S3_PS1_ii: ; @_Z16wvSplitK_hf_sml_I14__hip_bfloat16Li64ELi4ELi16ELi8ELi2ELi4EEviiiiiiPKT_S3_S3_PS1_ii
; %bb.0:
	s_clause 0x2
	s_load_b128 s[4:7], s[0:1], 0x0
	s_load_b64 s[8:9], s[0:1], 0x10
	s_load_b64 s[10:11], s[0:1], 0x28
	v_and_b32_e32 v2, 0x3ff, v0
	v_bfe_u32 v3, v0, 10, 10
	s_mov_b32 s12, exec_lo
	s_delay_alu instid0(VALU_DEP_2) | instskip(NEXT) | instid1(VALU_DEP_1)
	v_lshlrev_b32_e32 v75, 3, v2
	v_lshl_add_u32 v4, v3, 9, v75
	s_waitcnt lgkmcnt(0)
	s_lshl_b32 s14, s6, 2
	s_delay_alu instid0(SALU_CYCLE_1)
	s_min_u32 s3, s14, 0x8000
	s_delay_alu instid0(VALU_DEP_1) | instid1(SALU_CYCLE_1)
	v_cmpx_gt_u32_e64 s3, v4
	s_cbranch_execz .LBB275_3
; %bb.1:
	s_load_b64 s[16:17], s[0:1], 0x20
	v_lshlrev_b32_e32 v5, 10, v3
	v_lshlrev_b32_e32 v6, 4, v2
	s_mov_b32 s13, 0
	s_delay_alu instid0(VALU_DEP_1) | instskip(NEXT) | instid1(VALU_DEP_1)
	v_add_co_u32 v0, s2, v5, v6
	v_add_co_ci_u32_e64 v1, null, 0, 0, s2
	v_add_nc_u32_e32 v5, v5, v6
	s_waitcnt lgkmcnt(0)
	s_delay_alu instid0(VALU_DEP_3) | instskip(NEXT) | instid1(VALU_DEP_3)
	v_add_co_u32 v0, vcc_lo, s16, v0
	v_add_co_ci_u32_e32 v1, vcc_lo, s17, v1, vcc_lo
	.p2align	6
.LBB275_2:                              ; =>This Inner Loop Header: Depth=1
	global_load_b128 v[6:9], v[0:1], off
	v_add_nc_u32_e32 v4, 0x2000, v4
	v_add_co_u32 v0, vcc_lo, 0x4000, v0
	v_add_co_ci_u32_e32 v1, vcc_lo, 0, v1, vcc_lo
	s_delay_alu instid0(VALU_DEP_3) | instskip(NEXT) | instid1(VALU_DEP_1)
	v_cmp_le_u32_e64 s2, s3, v4
	s_or_b32 s13, s2, s13
	s_waitcnt vmcnt(0)
	ds_store_b128 v5, v[6:9]
	v_add_nc_u32_e32 v5, 0x4000, v5
	s_and_not1_b32 exec_lo, exec_lo, s13
	s_cbranch_execnz .LBB275_2
.LBB275_3:
	s_or_b32 exec_lo, exec_lo, s12
	s_load_b64 s[16:17], s[0:1], 0x38
	s_waitcnt lgkmcnt(0)
	s_barrier
	buffer_gl0_inv
	s_mov_b32 s2, exec_lo
	v_cmpx_gt_u32_e64 s16, v3
	s_cbranch_execz .LBB275_82
; %bb.4:
	s_mul_i32 s15, s15, s16
	s_delay_alu instid0(SALU_CYCLE_1) | instskip(NEXT) | instid1(VALU_DEP_1)
	v_add_lshl_u32 v56, s15, v3, 2
	v_cmp_gt_u32_e32 vcc_lo, s7, v56
	s_and_b32 exec_lo, exec_lo, vcc_lo
	s_cbranch_execz .LBB275_82
; %bb.5:
	s_cmp_lg_u32 s4, 0
	v_mbcnt_lo_u32_b32 v3, -1, 0
	s_cselect_b32 s15, -1, 0
	s_add_i32 s18, s4, -8
	s_add_i32 s19, s7, -1
	s_cmp_lg_u64 s[10:11], 0
	v_cvt_f32_u32_e32 v1, s8
	s_cselect_b32 s20, -1, 0
	s_abs_i32 s21, s9
	s_mul_i32 s9, s16, s17
	v_cvt_f32_u32_e32 v0, s21
	v_rcp_iflag_f32_e32 v1, v1
	s_sub_i32 s17, 0, s21
	s_lshl_b32 s9, s9, 2
	s_sub_i32 s22, 0, s8
	v_rcp_iflag_f32_e32 v0, v0
	s_sub_i32 s23, 1, s21
	s_clause 0x1
	s_load_b64 s[2:3], s[0:1], 0x18
	s_load_b64 s[12:13], s[0:1], 0x30
	v_cmp_eq_u32_e64 s0, 63, v2
	v_lshlrev_b32_e32 v76, 4, v2
	s_mov_b32 s1, 0
	s_waitcnt_depctr 0xfff
	v_mul_f32_e32 v0, 0x4f7ffffe, v0
	s_delay_alu instid0(VALU_DEP_1) | instskip(NEXT) | instid1(VALU_DEP_1)
	v_cvt_u32_f32_e32 v0, v0
	v_readfirstlane_b32 s16, v0
	v_mul_f32_e32 v0, 0x4f7ffffe, v1
	v_xor_b32_e32 v1, 16, v3
	s_delay_alu instid0(VALU_DEP_3) | instskip(NEXT) | instid1(VALU_DEP_2)
	s_mul_i32 s17, s17, s16
	v_cvt_u32_f32_e32 v0, v0
	s_mul_hi_u32 s17, s16, s17
	s_delay_alu instid0(VALU_DEP_2)
	v_cmp_gt_i32_e32 vcc_lo, 32, v1
	s_add_i32 s17, s16, s17
	s_cmp_lt_u32 s21, 2
	v_mul_lo_u32 v4, s22, v0
	s_cselect_b32 s23, s23, 1
	v_cndmask_b32_e32 v1, v3, v1, vcc_lo
	s_sub_i32 s24, s23, s21
	s_cmp_ge_u32 s23, s21
	v_mov_b32_e32 v58, 0
	s_cselect_b32 s23, s24, s23
	v_lshlrev_b32_e32 v77, 2, v1
	s_lshr_b32 s24, s17, 31
	s_mul_hi_u32 s17, s17, 3
	s_mul_i32 s24, s24, s21
	s_mul_i32 s17, s17, s21
	s_sub_i32 s22, 2, s24
	v_mul_hi_u32 v2, v0, v4
	s_sub_i32 s24, s22, s21
	s_cmp_ge_u32 s22, s21
	s_mul_i32 s16, s6, 6
	s_cselect_b32 s22, s24, s22
	s_delay_alu instid0(SALU_CYCLE_1) | instskip(SKIP_1) | instid1(VALU_DEP_1)
	s_sub_i32 s24, s22, s21
	s_cmp_ge_u32 s22, s21
	v_add_nc_u32_e32 v78, v0, v2
	s_cselect_b32 s22, s24, s22
	s_sub_i32 s17, 3, s17
	s_delay_alu instid0(SALU_CYCLE_1)
	s_sub_i32 s24, s17, s21
	s_cmp_ge_u32 s17, s21
	s_cselect_b32 s24, s24, s17
	s_mul_i32 s17, s23, s8
	s_sub_i32 s25, s24, s21
	s_cmp_ge_u32 s24, s21
	s_mul_i32 s21, s22, s8
	s_cselect_b32 s23, s25, s24
	s_lshl_b32 s6, s6, 1
	s_mul_i32 s22, s23, s8
	s_branch .LBB275_8
.LBB275_6:                              ;   in Loop: Header=BB275_8 Depth=1
	s_or_b32 exec_lo, exec_lo, s24
	v_add_nc_u32_e32 v57, 3, v57
	s_delay_alu instid0(VALU_DEP_1) | instskip(NEXT) | instid1(VALU_DEP_1)
	v_lshlrev_b64 v[1:2], 1, v[57:58]
	v_add_co_u32 v1, vcc_lo, s12, v1
	s_delay_alu instid0(VALU_DEP_2)
	v_add_co_ci_u32_e32 v2, vcc_lo, s13, v2, vcc_lo
	global_store_d16_hi_b16 v[1:2], v0, off
.LBB275_7:                              ;   in Loop: Header=BB275_8 Depth=1
	s_or_b32 exec_lo, exec_lo, s23
	v_add_nc_u32_e32 v56, s9, v56
	s_delay_alu instid0(VALU_DEP_1) | instskip(SKIP_1) | instid1(SALU_CYCLE_1)
	v_cmp_le_u32_e32 vcc_lo, s7, v56
	s_or_b32 s1, vcc_lo, s1
	s_and_not1_b32 exec_lo, exec_lo, s1
	s_cbranch_execz .LBB275_82
.LBB275_8:                              ; =>This Loop Header: Depth=1
                                        ;     Child Loop BB275_12 Depth 2
	v_mov_b32_e32 v80, v58
	v_mov_b32_e32 v81, v58
	v_mov_b32_e32 v82, v58
	v_mov_b32_e32 v83, v58
	v_mov_b32_e32 v84, v58
	v_mov_b32_e32 v85, v58
	v_mov_b32_e32 v87, v58
	v_mov_b32_e32 v89, v58
	v_mov_b32_e32 v86, v58
	v_mov_b32_e32 v88, v58
	v_mov_b32_e32 v95, v58
	v_mov_b32_e32 v93, v58
	v_mov_b32_e32 v92, v58
	v_mov_b32_e32 v91, v58
	v_mov_b32_e32 v94, v58
	v_mov_b32_e32 v90, v58
	s_and_not1_b32 vcc_lo, exec_lo, s15
	s_cbranch_vccnz .LBB275_15
; %bb.9:                                ;   in Loop: Header=BB275_8 Depth=1
	v_or_b32_e32 v0, 1, v56
	s_waitcnt lgkmcnt(0)
	v_or_b32_e32 v1, 2, v56
	v_or_b32_e32 v2, 3, v56
	v_min_u32_e32 v3, s19, v56
	v_dual_mov_b32 v5, v58 :: v_dual_mov_b32 v92, 0
	v_min_u32_e32 v0, s19, v0
	v_min_u32_e32 v1, s19, v1
	;; [unrolled: 1-line block ×3, first 2 shown]
	v_mul_lo_u32 v57, v3, s5
	v_dual_mov_b32 v3, v58 :: v_dual_mov_b32 v94, 0
	v_mul_lo_u32 v0, v0, s5
	v_mul_lo_u32 v2, v1, s5
	;; [unrolled: 1-line block ×3, first 2 shown]
	v_dual_mov_b32 v1, v58 :: v_dual_mov_b32 v90, 0
	v_lshlrev_b64 v[59:60], 1, v[57:58]
	v_dual_mov_b32 v79, v76 :: v_dual_mov_b32 v88, 0
	s_delay_alu instid0(VALU_DEP_3)
	v_lshlrev_b64 v[61:62], 1, v[0:1]
	v_lshlrev_b64 v[63:64], 1, v[2:3]
	;; [unrolled: 1-line block ×3, first 2 shown]
	v_dual_mov_b32 v91, 0 :: v_dual_mov_b32 v86, 0
	v_dual_mov_b32 v93, 0 :: v_dual_mov_b32 v84, 0
	;; [unrolled: 1-line block ×4, first 2 shown]
	v_mov_b32_e32 v87, 0
	v_mov_b32_e32 v85, 0
	;; [unrolled: 1-line block ×4, first 2 shown]
	s_mov_b32 s23, 0
	s_branch .LBB275_12
.LBB275_10:                             ;   in Loop: Header=BB275_12 Depth=2
	s_or_b32 exec_lo, exec_lo, s25
.LBB275_11:                             ;   in Loop: Header=BB275_12 Depth=2
	s_delay_alu instid0(SALU_CYCLE_1)
	s_or_b32 exec_lo, exec_lo, s24
	s_waitcnt lgkmcnt(4)
	v_and_b32_e32 v101, 0xffff0000, v54
	s_waitcnt vmcnt(7)
	v_and_b32_e32 v102, 0xffff0000, v50
	v_and_b32_e32 v96, 0xffff0000, v48
	;; [unrolled: 1-line block ×3, first 2 shown]
	v_lshlrev_b32_e32 v48, 16, v48
	v_lshlrev_b32_e32 v54, 16, v54
	v_dual_mul_f32 v103, v101, v102 :: v_dual_and_b32 v98, 0xffff0000, v49
	v_and_b32_e32 v57, 0xffff0000, v52
	v_lshlrev_b32_e32 v50, 16, v50
	v_lshlrev_b32_e32 v52, 16, v52
	s_addk_i32 s23, 0x400
	v_mul_f32_e32 v100, v97, v98
	v_mul_f32_e32 v99, v57, v96
	v_fmac_f32_e32 v103, v54, v50
	s_cmp_ge_u32 s23, s4
	s_waitcnt vmcnt(5)
	v_lshlrev_b32_e32 v111, 16, v40
	s_waitcnt vmcnt(4)
	v_lshlrev_b32_e32 v113, 16, v32
	v_fmac_f32_e32 v99, v52, v48
	v_add_nc_u32_e32 v79, 0x800, v79
	s_delay_alu instid0(VALU_DEP_2) | instskip(SKIP_3) | instid1(VALU_DEP_3)
	v_dual_add_f32 v90, v90, v99 :: v_dual_lshlrev_b32 v53, 16, v53
	v_and_b32_e32 v99, 0xffff0000, v44
	v_lshlrev_b32_e32 v49, 16, v49
	v_lshlrev_b32_e32 v104, 16, v44
	v_mul_f32_e32 v44, v57, v99
	s_delay_alu instid0(VALU_DEP_3) | instskip(NEXT) | instid1(VALU_DEP_2)
	v_fmac_f32_e32 v100, v53, v49
	v_dual_fmac_f32 v44, v52, v104 :: v_dual_and_b32 v105, 0xffff0000, v45
	s_delay_alu instid0(VALU_DEP_2) | instskip(SKIP_1) | instid1(VALU_DEP_3)
	v_add_f32_e32 v90, v90, v100
	v_and_b32_e32 v100, 0xffff0000, v55
	v_dual_mul_f32 v106, v97, v105 :: v_dual_lshlrev_b32 v55, 16, v55
	s_delay_alu instid0(VALU_DEP_4) | instskip(NEXT) | instid1(VALU_DEP_4)
	v_add_f32_e32 v44, v94, v44
	v_add_f32_e32 v90, v90, v103
	v_and_b32_e32 v103, 0xffff0000, v51
	s_delay_alu instid0(VALU_DEP_1) | instskip(NEXT) | instid1(VALU_DEP_1)
	v_dual_mul_f32 v108, v100, v103 :: v_dual_lshlrev_b32 v45, 16, v45
	v_dual_fmac_f32 v106, v53, v45 :: v_dual_lshlrev_b32 v51, 16, v51
	v_and_b32_e32 v107, 0xffff0000, v46
	v_and_b32_e32 v109, 0xffff0000, v47
	v_lshlrev_b32_e32 v46, 16, v46
	s_delay_alu instid0(VALU_DEP_4) | instskip(SKIP_3) | instid1(VALU_DEP_2)
	v_fmac_f32_e32 v108, v55, v51
	v_add_f32_e32 v44, v44, v106
	v_and_b32_e32 v106, 0xffff0000, v40
	v_mul_f32_e32 v94, v101, v107
	v_dual_mul_f32 v112, v57, v106 :: v_dual_lshlrev_b32 v47, 16, v47
	s_delay_alu instid0(VALU_DEP_1) | instskip(NEXT) | instid1(VALU_DEP_1)
	v_fmac_f32_e32 v112, v52, v111
	v_dual_add_f32 v91, v91, v112 :: v_dual_fmac_f32 v94, v54, v46
	s_delay_alu instid0(VALU_DEP_1) | instskip(SKIP_4) | instid1(VALU_DEP_3)
	v_add_f32_e32 v40, v44, v94
	v_add_f32_e32 v44, v90, v108
	v_and_b32_e32 v108, 0xffff0000, v42
	v_lshlrev_b32_e32 v42, 16, v42
	v_lshlrev_b32_e32 v90, 16, v41
	v_mul_f32_e32 v112, v101, v108
	s_delay_alu instid0(VALU_DEP_1) | instskip(SKIP_1) | instid1(VALU_DEP_1)
	v_fmac_f32_e32 v112, v54, v42
	v_and_b32_e32 v94, 0xffff0000, v41
	v_mul_f32_e32 v41, v97, v94
	s_delay_alu instid0(VALU_DEP_1) | instskip(NEXT) | instid1(VALU_DEP_1)
	v_dual_fmac_f32 v41, v53, v90 :: v_dual_mul_f32 v110, v100, v109
	v_add_f32_e32 v41, v91, v41
	s_delay_alu instid0(VALU_DEP_2) | instskip(SKIP_1) | instid1(VALU_DEP_2)
	v_fmac_f32_e32 v110, v55, v47
	v_and_b32_e32 v91, 0xffff0000, v43
	v_dual_add_f32 v40, v40, v110 :: v_dual_lshlrev_b32 v43, 16, v43
	v_and_b32_e32 v110, 0xffff0000, v32
	s_delay_alu instid0(VALU_DEP_3) | instskip(NEXT) | instid1(VALU_DEP_2)
	v_mul_f32_e32 v114, v100, v91
	v_dual_mul_f32 v32, v57, v110 :: v_dual_and_b32 v57, 0xffff0000, v33
	s_delay_alu instid0(VALU_DEP_1) | instskip(SKIP_1) | instid1(VALU_DEP_3)
	v_fmac_f32_e32 v32, v52, v113
	v_lshlrev_b32_e32 v52, 16, v33
	v_mul_f32_e32 v33, v97, v57
	s_delay_alu instid0(VALU_DEP_3) | instskip(SKIP_2) | instid1(VALU_DEP_3)
	v_dual_add_f32 v32, v92, v32 :: v_dual_and_b32 v97, 0xffff0000, v34
	s_waitcnt lgkmcnt(3)
	v_and_b32_e32 v92, 0xffff0000, v36
	v_fmac_f32_e32 v33, v53, v52
	s_delay_alu instid0(VALU_DEP_3) | instskip(SKIP_1) | instid1(VALU_DEP_3)
	v_dual_mul_f32 v34, v101, v97 :: v_dual_lshlrev_b32 v53, 16, v34
	v_dual_fmac_f32 v114, v55, v43 :: v_dual_lshlrev_b32 v101, 16, v36
	v_add_f32_e32 v32, v32, v33
	v_mul_f32_e32 v33, v92, v96
	s_delay_alu instid0(VALU_DEP_1) | instskip(NEXT) | instid1(VALU_DEP_1)
	v_fmac_f32_e32 v33, v101, v48
	v_add_f32_e32 v33, v93, v33
	v_and_b32_e32 v93, 0xffff0000, v39
	v_dual_add_f32 v41, v41, v112 :: v_dual_lshlrev_b32 v112, 16, v35
	v_lshlrev_b32_e32 v39, 16, v39
	s_delay_alu instid0(VALU_DEP_2) | instskip(SKIP_2) | instid1(VALU_DEP_2)
	v_add_f32_e32 v41, v41, v114
	v_dual_mul_f32 v115, v92, v106 :: v_dual_fmac_f32 v34, v54, v53
	v_mul_f32_e32 v114, v93, v103
	v_dual_fmac_f32 v115, v101, v111 :: v_dual_add_f32 v32, v32, v34
	s_delay_alu instid0(VALU_DEP_2) | instskip(NEXT) | instid1(VALU_DEP_2)
	v_fmac_f32_e32 v114, v39, v51
	v_add_f32_e32 v88, v88, v115
	v_and_b32_e32 v54, 0xffff0000, v35
	v_and_b32_e32 v35, 0xffff0000, v37
	s_delay_alu instid0(VALU_DEP_2) | instskip(NEXT) | instid1(VALU_DEP_1)
	v_dual_mul_f32 v36, v100, v54 :: v_dual_lshlrev_b32 v37, 16, v37
	v_dual_fmac_f32 v36, v55, v112 :: v_dual_and_b32 v55, 0xffff0000, v38
	v_lshlrev_b32_e32 v38, 16, v38
	s_delay_alu instid0(VALU_DEP_4) | instskip(NEXT) | instid1(VALU_DEP_3)
	v_mul_f32_e32 v100, v35, v98
	v_add_f32_e32 v34, v32, v36
	v_mul_f32_e32 v32, v92, v99
	v_mul_f32_e32 v92, v92, v110
	;; [unrolled: 1-line block ×3, first 2 shown]
	s_delay_alu instid0(VALU_DEP_2) | instskip(NEXT) | instid1(VALU_DEP_2)
	v_fmac_f32_e32 v92, v101, v113
	v_fmac_f32_e32 v36, v38, v50
	s_delay_alu instid0(VALU_DEP_2) | instskip(SKIP_4) | instid1(VALU_DEP_2)
	v_add_f32_e32 v86, v86, v92
	s_waitcnt lgkmcnt(2)
	v_and_b32_e32 v92, 0xffff0000, v73
	v_fmac_f32_e32 v100, v37, v49
	v_fmac_f32_e32 v32, v101, v104
	v_dual_add_f32 v33, v33, v100 :: v_dual_mul_f32 v100, v35, v105
	s_delay_alu instid0(VALU_DEP_2) | instskip(SKIP_1) | instid1(VALU_DEP_3)
	v_add_f32_e32 v32, v95, v32
	v_mul_f32_e32 v95, v55, v107
	v_add_f32_e32 v33, v33, v36
	s_delay_alu instid0(VALU_DEP_2) | instskip(NEXT) | instid1(VALU_DEP_2)
	v_dual_fmac_f32 v100, v37, v45 :: v_dual_fmac_f32 v95, v38, v46
	v_add_f32_e32 v36, v33, v114
	s_delay_alu instid0(VALU_DEP_2) | instskip(SKIP_2) | instid1(VALU_DEP_3)
	v_add_f32_e32 v32, v32, v100
	v_mul_f32_e32 v100, v93, v109
	v_mul_f32_e32 v114, v35, v94
	v_add_f32_e32 v32, v32, v95
	s_delay_alu instid0(VALU_DEP_3) | instskip(NEXT) | instid1(VALU_DEP_3)
	v_fmac_f32_e32 v100, v39, v47
	v_dual_fmac_f32 v114, v37, v90 :: v_dual_mul_f32 v95, v55, v108
	v_mul_f32_e32 v55, v55, v97
	s_delay_alu instid0(VALU_DEP_3) | instskip(NEXT) | instid1(VALU_DEP_3)
	v_dual_add_f32 v33, v32, v100 :: v_dual_mul_f32 v32, v35, v57
	v_add_f32_e32 v35, v88, v114
	s_delay_alu instid0(VALU_DEP_4) | instskip(NEXT) | instid1(VALU_DEP_1)
	v_dual_fmac_f32 v95, v38, v42 :: v_dual_mul_f32 v88, v93, v91
	v_dual_fmac_f32 v32, v37, v52 :: v_dual_add_f32 v35, v35, v95
	s_delay_alu instid0(VALU_DEP_2) | instskip(NEXT) | instid1(VALU_DEP_1)
	v_fmac_f32_e32 v88, v39, v43
	v_add_f32_e32 v37, v35, v88
	s_waitcnt lgkmcnt(1)
	v_dual_mul_f32 v35, v93, v54 :: v_dual_and_b32 v88, 0xffff0000, v71
	v_lshlrev_b32_e32 v71, 16, v71
	v_mul_f32_e32 v93, v92, v106
	s_delay_alu instid0(VALU_DEP_3) | instskip(SKIP_2) | instid1(VALU_DEP_1)
	v_fmac_f32_e32 v35, v39, v112
	v_fmac_f32_e32 v55, v38, v53
	v_dual_mul_f32 v73, v92, v96 :: v_dual_lshlrev_b32 v38, 16, v73
	v_fmac_f32_e32 v93, v38, v111
	s_delay_alu instid0(VALU_DEP_2) | instskip(NEXT) | instid1(VALU_DEP_2)
	v_fmac_f32_e32 v73, v38, v48
	v_dual_add_f32 v85, v85, v93 :: v_dual_add_f32 v32, v86, v32
	s_delay_alu instid0(VALU_DEP_2) | instskip(SKIP_2) | instid1(VALU_DEP_4)
	v_dual_add_f32 v39, v89, v73 :: v_dual_and_b32 v86, 0xffff0000, v74
	v_mul_f32_e32 v89, v88, v102
	v_mul_f32_e32 v73, v92, v99
	v_dual_add_f32 v32, v32, v55 :: v_dual_lshlrev_b32 v55, 16, v74
	s_delay_alu instid0(VALU_DEP_4) | instskip(NEXT) | instid1(VALU_DEP_4)
	v_mul_f32_e32 v74, v86, v98
	v_fmac_f32_e32 v89, v71, v50
	s_delay_alu instid0(VALU_DEP_3) | instskip(NEXT) | instid1(VALU_DEP_3)
	v_dual_add_f32 v35, v32, v35 :: v_dual_mul_f32 v32, v86, v105
	v_fmac_f32_e32 v74, v55, v49
	s_delay_alu instid0(VALU_DEP_2) | instskip(NEXT) | instid1(VALU_DEP_2)
	v_fmac_f32_e32 v32, v55, v45
	v_dual_add_f32 v39, v39, v74 :: v_dual_and_b32 v74, 0xffff0000, v72
	s_delay_alu instid0(VALU_DEP_1) | instskip(SKIP_1) | instid1(VALU_DEP_1)
	v_dual_add_f32 v39, v39, v89 :: v_dual_lshlrev_b32 v72, 16, v72
	v_mul_f32_e32 v89, v88, v108
	v_fmac_f32_e32 v89, v71, v42
	v_fmac_f32_e32 v73, v38, v104
	s_delay_alu instid0(VALU_DEP_1) | instskip(NEXT) | instid1(VALU_DEP_1)
	v_add_f32_e32 v73, v87, v73
	v_dual_mul_f32 v87, v88, v107 :: v_dual_add_f32 v32, v73, v32
	s_delay_alu instid0(VALU_DEP_1) | instskip(NEXT) | instid1(VALU_DEP_1)
	v_fmac_f32_e32 v87, v71, v46
	v_dual_mul_f32 v73, v86, v94 :: v_dual_add_f32 v32, v32, v87
	v_mul_f32_e32 v87, v74, v109
	s_delay_alu instid0(VALU_DEP_2) | instskip(NEXT) | instid1(VALU_DEP_2)
	v_fmac_f32_e32 v73, v55, v90
	v_fmac_f32_e32 v87, v72, v47
	s_delay_alu instid0(VALU_DEP_2) | instskip(SKIP_1) | instid1(VALU_DEP_3)
	v_dual_mul_f32 v92, v92, v110 :: v_dual_add_f32 v73, v85, v73
	v_mul_f32_e32 v85, v74, v91
	v_add_f32_e32 v32, v32, v87
	s_delay_alu instid0(VALU_DEP_3)
	v_fmac_f32_e32 v92, v38, v113
	v_mul_f32_e32 v38, v86, v57
	s_waitcnt lgkmcnt(0)
	v_and_b32_e32 v86, 0xffff0000, v28
	v_lshlrev_b32_e32 v87, 16, v28
	v_dual_add_f32 v73, v73, v89 :: v_dual_add_f32 v84, v84, v92
	s_delay_alu instid0(VALU_DEP_3) | instskip(NEXT) | instid1(VALU_DEP_1)
	v_dual_fmac_f32 v85, v72, v43 :: v_dual_mul_f32 v28, v86, v96
	v_fmac_f32_e32 v28, v87, v48
	v_lshlrev_b32_e32 v48, 16, v29
	s_delay_alu instid0(VALU_DEP_2) | instskip(SKIP_2) | instid1(VALU_DEP_2)
	v_add_f32_e32 v28, v83, v28
	v_dual_fmac_f32 v38, v55, v52 :: v_dual_mul_f32 v55, v88, v97
	v_dual_mul_f32 v95, v74, v103 :: v_dual_and_b32 v88, 0xffff0000, v29
	v_fmac_f32_e32 v55, v71, v53
	s_delay_alu instid0(VALU_DEP_2) | instskip(SKIP_1) | instid1(VALU_DEP_2)
	v_mul_f32_e32 v29, v88, v98
	v_and_b32_e32 v71, 0xffff0000, v30
	v_fmac_f32_e32 v29, v48, v49
	v_lshlrev_b32_e32 v49, 16, v30
	s_delay_alu instid0(VALU_DEP_2) | instskip(SKIP_4) | instid1(VALU_DEP_4)
	v_add_f32_e32 v29, v28, v29
	v_add_f32_e32 v84, v84, v38
	v_dual_add_f32 v38, v73, v85 :: v_dual_mul_f32 v73, v74, v54
	v_fmac_f32_e32 v95, v72, v51
	v_mul_f32_e32 v74, v86, v99
	v_add_f32_e32 v55, v84, v55
	s_delay_alu instid0(VALU_DEP_4) | instskip(SKIP_2) | instid1(VALU_DEP_3)
	v_dual_fmac_f32 v73, v72, v112 :: v_dual_and_b32 v72, 0xffff0000, v31
	v_dual_mul_f32 v30, v71, v102 :: v_dual_lshlrev_b32 v31, 16, v31
	v_add_f32_e32 v39, v39, v95
	v_dual_add_f32 v28, v55, v73 :: v_dual_mul_f32 v73, v86, v110
	s_delay_alu instid0(VALU_DEP_3) | instskip(NEXT) | instid1(VALU_DEP_2)
	v_fmac_f32_e32 v30, v49, v50
	v_dual_mul_f32 v50, v72, v103 :: v_dual_fmac_f32 v73, v87, v113
	s_delay_alu instid0(VALU_DEP_1) | instskip(SKIP_2) | instid1(VALU_DEP_3)
	v_dual_add_f32 v29, v29, v30 :: v_dual_fmac_f32 v50, v31, v51
	v_fmac_f32_e32 v74, v87, v104
	v_mul_f32_e32 v30, v86, v106
	v_add_f32_e32 v29, v29, v50
	v_mul_f32_e32 v55, v88, v105
	s_delay_alu instid0(VALU_DEP_3) | instskip(SKIP_1) | instid1(VALU_DEP_3)
	v_dual_add_f32 v51, v82, v74 :: v_dual_fmac_f32 v30, v87, v111
	v_mul_f32_e32 v50, v88, v94
	v_fmac_f32_e32 v55, v48, v45
	s_delay_alu instid0(VALU_DEP_3)
	v_dual_mul_f32 v45, v71, v107 :: v_dual_add_f32 v30, v81, v30
	s_waitcnt vmcnt(0)
	v_and_b32_e32 v81, 0xffff0000, v5
	v_lshlrev_b32_e32 v5, 16, v5
	v_add_f32_e32 v51, v51, v55
	v_fmac_f32_e32 v45, v49, v46
	v_dual_mul_f32 v55, v71, v108 :: v_dual_fmac_f32 v50, v48, v90
	s_delay_alu instid0(VALU_DEP_2) | instskip(NEXT) | instid1(VALU_DEP_2)
	v_add_f32_e32 v45, v51, v45
	v_dual_mul_f32 v46, v72, v109 :: v_dual_fmac_f32 v55, v49, v42
	v_dual_mul_f32 v42, v88, v57 :: v_dual_lshlrev_b32 v57, 16, v16
	s_delay_alu instid0(VALU_DEP_2) | instskip(NEXT) | instid1(VALU_DEP_2)
	v_dual_fmac_f32 v46, v31, v47 :: v_dual_add_f32 v47, v30, v50
	v_fmac_f32_e32 v42, v48, v52
	v_mul_f32_e32 v48, v71, v97
	v_and_b32_e32 v50, 0xffff0000, v20
	v_mul_f32_e32 v52, v72, v54
	s_delay_alu instid0(VALU_DEP_3) | instskip(SKIP_2) | instid1(VALU_DEP_4)
	v_dual_fmac_f32 v48, v49, v53 :: v_dual_and_b32 v53, 0xffff0000, v26
	v_dual_add_f32 v30, v45, v46 :: v_dual_mul_f32 v45, v72, v91
	v_dual_add_f32 v46, v47, v55 :: v_dual_add_f32 v47, v80, v73
	v_fmac_f32_e32 v52, v31, v112
	v_and_b32_e32 v72, 0xffff0000, v19
	s_delay_alu instid0(VALU_DEP_4) | instskip(NEXT) | instid1(VALU_DEP_4)
	v_fmac_f32_e32 v45, v31, v43
	v_dual_add_f32 v42, v47, v42 :: v_dual_and_b32 v43, 0xffff0000, v24
	v_lshlrev_b32_e32 v24, 16, v24
	s_delay_alu instid0(VALU_DEP_3) | instskip(NEXT) | instid1(VALU_DEP_3)
	v_dual_add_f32 v20, v46, v45 :: v_dual_lshlrev_b32 v47, 16, v20
	v_mul_f32_e32 v49, v43, v50
	v_and_b32_e32 v45, 0xffff0000, v25
	v_lshlrev_b32_e32 v25, 16, v25
	v_lshlrev_b32_e32 v19, 16, v19
	s_delay_alu instid0(VALU_DEP_4) | instskip(SKIP_1) | instid1(VALU_DEP_2)
	v_dual_fmac_f32 v49, v24, v47 :: v_dual_and_b32 v74, 0xffff0000, v14
	v_lshlrev_b32_e32 v14, 16, v14
	v_dual_add_f32 v44, v44, v49 :: v_dual_and_b32 v49, 0xffff0000, v23
	v_lshlrev_b32_e32 v23, 16, v23
	v_and_b32_e32 v46, 0xffff0000, v21
	v_add_f32_e32 v42, v42, v48
	v_lshlrev_b32_e32 v48, 16, v21
	v_lshlrev_b32_e32 v21, 16, v22
	s_delay_alu instid0(VALU_DEP_4) | instskip(NEXT) | instid1(VALU_DEP_1)
	v_mul_f32_e32 v51, v45, v46
	v_fmac_f32_e32 v51, v25, v48
	s_delay_alu instid0(VALU_DEP_1) | instskip(SKIP_1) | instid1(VALU_DEP_1)
	v_add_f32_e32 v31, v44, v51
	v_and_b32_e32 v51, 0xffff0000, v16
	v_dual_mul_f32 v71, v43, v51 :: v_dual_and_b32 v54, 0xffff0000, v22
	s_delay_alu instid0(VALU_DEP_1) | instskip(NEXT) | instid1(VALU_DEP_2)
	v_dual_fmac_f32 v71, v24, v57 :: v_dual_lshlrev_b32 v26, 16, v26
	v_mul_f32_e32 v22, v53, v54
	s_delay_alu instid0(VALU_DEP_2) | instskip(NEXT) | instid1(VALU_DEP_2)
	v_add_f32_e32 v40, v40, v71
	v_fmac_f32_e32 v22, v26, v21
	s_delay_alu instid0(VALU_DEP_1) | instskip(SKIP_3) | instid1(VALU_DEP_2)
	v_dual_add_f32 v22, v31, v22 :: v_dual_and_b32 v31, 0xffff0000, v17
	v_dual_add_f32 v16, v42, v52 :: v_dual_lshlrev_b32 v17, 16, v17
	v_and_b32_e32 v52, 0xffff0000, v12
	v_lshlrev_b32_e32 v12, 16, v12
	v_dual_mul_f32 v42, v45, v31 :: v_dual_mul_f32 v71, v43, v52
	s_delay_alu instid0(VALU_DEP_1) | instskip(NEXT) | instid1(VALU_DEP_1)
	v_dual_fmac_f32 v42, v25, v17 :: v_dual_fmac_f32 v71, v24, v12
	v_add_f32_e32 v40, v40, v42
	v_and_b32_e32 v42, 0xffff0000, v13
	v_and_b32_e32 v44, 0xffff0000, v27
	v_lshlrev_b32_e32 v27, 16, v27
	v_lshlrev_b32_e32 v13, 16, v13
	v_add_f32_e32 v41, v41, v71
	v_mul_f32_e32 v73, v45, v42
	v_mul_f32_e32 v55, v44, v49
	v_dual_mul_f32 v71, v53, v74 :: v_dual_mul_f32 v80, v44, v72
	s_delay_alu instid0(VALU_DEP_3) | instskip(NEXT) | instid1(VALU_DEP_3)
	v_fmac_f32_e32 v73, v25, v13
	v_fmac_f32_e32 v55, v27, v23
	s_delay_alu instid0(VALU_DEP_3) | instskip(NEXT) | instid1(VALU_DEP_2)
	v_dual_fmac_f32 v71, v26, v14 :: v_dual_fmac_f32 v80, v27, v19
	v_dual_add_f32 v41, v41, v73 :: v_dual_add_f32 v90, v22, v55
	v_and_b32_e32 v22, 0xffff0000, v18
	v_lshlrev_b32_e32 v18, 16, v18
	v_and_b32_e32 v73, 0xffff0000, v15
	s_delay_alu instid0(VALU_DEP_4) | instskip(SKIP_2) | instid1(VALU_DEP_1)
	v_add_f32_e32 v41, v41, v71
	v_lshlrev_b32_e32 v15, 16, v15
	v_mul_f32_e32 v55, v53, v22
	v_fmac_f32_e32 v55, v26, v18
	s_delay_alu instid0(VALU_DEP_1) | instskip(NEXT) | instid1(VALU_DEP_1)
	v_dual_add_f32 v40, v40, v55 :: v_dual_and_b32 v55, 0xffff0000, v4
	v_dual_mul_f32 v43, v43, v55 :: v_dual_lshlrev_b32 v4, 16, v4
	s_delay_alu instid0(VALU_DEP_1) | instskip(NEXT) | instid1(VALU_DEP_1)
	v_dual_fmac_f32 v43, v24, v4 :: v_dual_mul_f32 v24, v45, v81
	v_add_f32_e32 v34, v34, v43
	s_delay_alu instid0(VALU_DEP_2)
	v_dual_fmac_f32 v24, v25, v5 :: v_dual_and_b32 v25, 0xffff0000, v8
	v_add_f32_e32 v94, v40, v80
	v_and_b32_e32 v40, 0xffff0000, v6
	v_lshlrev_b32_e32 v6, 16, v6
	v_mul_f32_e32 v82, v44, v73
	v_add_f32_e32 v24, v34, v24
	v_lshlrev_b32_e32 v8, 16, v8
	v_dual_mul_f32 v43, v25, v50 :: v_dual_and_b32 v34, 0xffff0000, v7
	s_delay_alu instid0(VALU_DEP_4) | instskip(NEXT) | instid1(VALU_DEP_2)
	v_fmac_f32_e32 v82, v27, v15
	v_dual_mul_f32 v44, v44, v34 :: v_dual_lshlrev_b32 v7, 16, v7
	s_delay_alu instid0(VALU_DEP_3) | instskip(NEXT) | instid1(VALU_DEP_3)
	v_fmac_f32_e32 v43, v8, v47
	v_add_f32_e32 v91, v41, v82
	s_delay_alu instid0(VALU_DEP_3) | instskip(NEXT) | instid1(VALU_DEP_3)
	v_dual_mul_f32 v41, v53, v40 :: v_dual_fmac_f32 v44, v27, v7
	v_add_f32_e32 v27, v36, v43
	v_mul_f32_e32 v43, v25, v51
	s_delay_alu instid0(VALU_DEP_3) | instskip(SKIP_1) | instid1(VALU_DEP_2)
	v_dual_fmac_f32 v41, v26, v6 :: v_dual_and_b32 v26, 0xffff0000, v9
	v_lshlrev_b32_e32 v9, 16, v9
	v_mul_f32_e32 v45, v26, v46
	s_delay_alu instid0(VALU_DEP_1) | instskip(NEXT) | instid1(VALU_DEP_1)
	v_fmac_f32_e32 v45, v9, v48
	v_add_f32_e32 v27, v27, v45
	v_dual_add_f32 v24, v24, v41 :: v_dual_and_b32 v41, 0xffff0000, v10
	v_lshlrev_b32_e32 v10, 16, v10
	s_delay_alu instid0(VALU_DEP_2) | instskip(NEXT) | instid1(VALU_DEP_1)
	v_mul_f32_e32 v36, v41, v54
	v_fmac_f32_e32 v36, v10, v21
	s_delay_alu instid0(VALU_DEP_1) | instskip(SKIP_3) | instid1(VALU_DEP_3)
	v_add_f32_e32 v27, v27, v36
	v_mul_f32_e32 v45, v26, v31
	v_fmac_f32_e32 v43, v8, v57
	v_mul_f32_e32 v53, v26, v42
	v_fmac_f32_e32 v45, v9, v17
	s_delay_alu instid0(VALU_DEP_3) | instskip(SKIP_4) | instid1(VALU_DEP_3)
	v_add_f32_e32 v33, v33, v43
	v_dual_mul_f32 v43, v41, v22 :: v_dual_add_f32 v92, v24, v44
	v_and_b32_e32 v24, 0xffff0000, v11
	v_dual_mul_f32 v36, v25, v52 :: v_dual_lshlrev_b32 v11, 16, v11
	v_fmac_f32_e32 v53, v9, v13
	v_dual_mul_f32 v25, v25, v55 :: v_dual_mul_f32 v44, v24, v49
	s_delay_alu instid0(VALU_DEP_3) | instskip(NEXT) | instid1(VALU_DEP_2)
	v_fmac_f32_e32 v36, v8, v12
	v_dual_fmac_f32 v25, v8, v4 :: v_dual_mul_f32 v8, v26, v81
	s_delay_alu instid0(VALU_DEP_3) | instskip(NEXT) | instid1(VALU_DEP_2)
	v_fmac_f32_e32 v44, v11, v23
	v_add_f32_e32 v25, v35, v25
	s_delay_alu instid0(VALU_DEP_2) | instskip(SKIP_4) | instid1(VALU_DEP_2)
	v_add_f32_e32 v93, v27, v44
	v_add_f32_e32 v27, v33, v45
	;; [unrolled: 1-line block ×3, first 2 shown]
	v_dual_mul_f32 v36, v41, v74 :: v_dual_mul_f32 v37, v24, v72
	v_fmac_f32_e32 v43, v10, v18
	v_dual_add_f32 v33, v33, v53 :: v_dual_fmac_f32 v36, v10, v14
	s_delay_alu instid0(VALU_DEP_2) | instskip(SKIP_2) | instid1(VALU_DEP_4)
	v_dual_add_f32 v27, v27, v43 :: v_dual_and_b32 v26, 0xffff0000, v69
	v_and_b32_e32 v43, 0xffff0000, v70
	v_mul_f32_e32 v41, v41, v40
	v_dual_add_f32 v33, v33, v36 :: v_dual_mul_f32 v36, v24, v73
	s_delay_alu instid0(VALU_DEP_4) | instskip(NEXT) | instid1(VALU_DEP_4)
	v_dual_fmac_f32 v8, v9, v5 :: v_dual_mul_f32 v35, v26, v50
	v_mul_f32_e32 v44, v43, v46
	s_delay_alu instid0(VALU_DEP_4) | instskip(NEXT) | instid1(VALU_DEP_3)
	v_dual_fmac_f32 v41, v10, v6 :: v_dual_and_b32 v10, 0xffff0000, v67
	v_dual_add_f32 v8, v25, v8 :: v_dual_lshlrev_b32 v9, 16, v69
	v_dual_fmac_f32 v36, v11, v15 :: v_dual_lshlrev_b32 v25, 16, v70
	s_delay_alu instid0(VALU_DEP_2) | instskip(NEXT) | instid1(VALU_DEP_2)
	v_dual_mul_f32 v24, v24, v34 :: v_dual_fmac_f32 v35, v9, v47
	v_dual_mul_f32 v45, v10, v54 :: v_dual_fmac_f32 v44, v25, v48
	s_delay_alu instid0(VALU_DEP_4) | instskip(NEXT) | instid1(VALU_DEP_3)
	v_add_f32_e32 v8, v8, v41
	v_fmac_f32_e32 v24, v11, v7
	s_delay_alu instid0(VALU_DEP_4) | instskip(SKIP_1) | instid1(VALU_DEP_3)
	v_add_f32_e32 v35, v39, v35
	v_dual_add_f32 v88, v33, v36 :: v_dual_lshlrev_b32 v39, 16, v67
	v_dual_fmac_f32 v37, v11, v19 :: v_dual_add_f32 v86, v8, v24
	s_delay_alu instid0(VALU_DEP_3) | instskip(NEXT) | instid1(VALU_DEP_3)
	v_dual_add_f32 v11, v35, v44 :: v_dual_mul_f32 v8, v26, v51
	v_fmac_f32_e32 v45, v39, v21
	s_delay_alu instid0(VALU_DEP_3) | instskip(NEXT) | instid1(VALU_DEP_3)
	v_dual_add_f32 v95, v27, v37 :: v_dual_and_b32 v24, 0xffff0000, v68
	v_dual_mul_f32 v27, v26, v52 :: v_dual_fmac_f32 v8, v9, v57
	s_delay_alu instid0(VALU_DEP_3) | instskip(SKIP_1) | instid1(VALU_DEP_4)
	v_add_f32_e32 v11, v11, v45
	v_mul_f32_e32 v35, v43, v31
	v_dual_mul_f32 v36, v24, v49 :: v_dual_lshlrev_b32 v33, 16, v68
	s_delay_alu instid0(VALU_DEP_4) | instskip(SKIP_1) | instid1(VALU_DEP_4)
	v_add_f32_e32 v8, v32, v8
	v_dual_mul_f32 v32, v10, v22 :: v_dual_fmac_f32 v27, v9, v12
	v_fmac_f32_e32 v35, v25, v17
	s_delay_alu instid0(VALU_DEP_4) | instskip(SKIP_1) | instid1(VALU_DEP_4)
	v_fmac_f32_e32 v36, v33, v23
	v_mul_f32_e32 v26, v26, v55
	v_fmac_f32_e32 v32, v39, v18
	s_delay_alu instid0(VALU_DEP_4) | instskip(SKIP_2) | instid1(VALU_DEP_3)
	v_dual_mul_f32 v37, v43, v42 :: v_dual_add_f32 v8, v8, v35
	v_add_f32_e32 v27, v38, v27
	v_dual_mul_f32 v38, v10, v74 :: v_dual_mul_f32 v35, v24, v72
	v_dual_fmac_f32 v37, v25, v13 :: v_dual_add_f32 v8, v8, v32
	v_add_f32_e32 v89, v11, v36
	s_delay_alu instid0(VALU_DEP_3) | instskip(NEXT) | instid1(VALU_DEP_3)
	v_dual_fmac_f32 v38, v39, v14 :: v_dual_fmac_f32 v35, v33, v19
	v_add_f32_e32 v27, v27, v37
	v_dual_mul_f32 v37, v24, v73 :: v_dual_fmac_f32 v26, v9, v4
	v_dual_mul_f32 v24, v24, v34 :: v_dual_mul_f32 v9, v43, v81
	s_delay_alu instid0(VALU_DEP_3) | instskip(SKIP_1) | instid1(VALU_DEP_4)
	v_add_f32_e32 v27, v27, v38
	v_dual_add_f32 v87, v8, v35 :: v_dual_mul_f32 v10, v10, v40
	v_dual_fmac_f32 v37, v33, v15 :: v_dual_and_b32 v8, 0xffff0000, v0
	v_add_f32_e32 v26, v28, v26
	v_fmac_f32_e32 v24, v33, v7
	s_delay_alu instid0(VALU_DEP_4) | instskip(NEXT) | instid1(VALU_DEP_4)
	v_dual_fmac_f32 v9, v25, v5 :: v_dual_fmac_f32 v10, v39, v6
	v_add_f32_e32 v85, v27, v37
	v_and_b32_e32 v27, 0xffff0000, v1
	s_delay_alu instid0(VALU_DEP_3) | instskip(NEXT) | instid1(VALU_DEP_2)
	v_dual_add_f32 v9, v26, v9 :: v_dual_lshlrev_b32 v0, 16, v0
	v_dual_mul_f32 v26, v8, v51 :: v_dual_mul_f32 v25, v27, v46
	s_delay_alu instid0(VALU_DEP_2) | instskip(SKIP_4) | instid1(VALU_DEP_4)
	v_add_f32_e32 v9, v9, v10
	v_and_b32_e32 v10, 0xffff0000, v2
	v_lshlrev_b32_e32 v1, 16, v1
	v_lshlrev_b32_e32 v2, 16, v2
	v_fmac_f32_e32 v26, v0, v57
	v_mul_f32_e32 v28, v10, v54
	v_mul_f32_e32 v11, v8, v50
	s_delay_alu instid0(VALU_DEP_3) | instskip(NEXT) | instid1(VALU_DEP_2)
	v_dual_fmac_f32 v25, v1, v48 :: v_dual_add_f32 v26, v30, v26
	v_dual_fmac_f32 v28, v2, v21 :: v_dual_fmac_f32 v11, v0, v47
	s_delay_alu instid0(VALU_DEP_1) | instskip(SKIP_1) | instid1(VALU_DEP_2)
	v_add_f32_e32 v11, v29, v11
	v_and_b32_e32 v29, 0xffff0000, v3
	v_add_f32_e32 v11, v11, v25
	v_mul_f32_e32 v25, v27, v31
	s_delay_alu instid0(VALU_DEP_1) | instskip(SKIP_1) | instid1(VALU_DEP_1)
	v_fmac_f32_e32 v25, v1, v17
	v_mul_f32_e32 v17, v10, v22
	v_dual_fmac_f32 v17, v2, v18 :: v_dual_mul_f32 v18, v8, v52
	v_mul_f32_e32 v8, v8, v55
	v_add_f32_e32 v84, v9, v24
	s_delay_alu instid0(VALU_DEP_3) | instskip(SKIP_1) | instid1(VALU_DEP_4)
	v_fmac_f32_e32 v18, v0, v12
	v_mul_f32_e32 v12, v27, v42
	v_fmac_f32_e32 v8, v0, v4
	v_add_f32_e32 v22, v26, v25
	v_dual_mul_f32 v0, v27, v81 :: v_dual_lshlrev_b32 v3, 16, v3
	v_dual_add_f32 v4, v20, v18 :: v_dual_mul_f32 v21, v29, v49
	s_delay_alu instid0(VALU_DEP_4) | instskip(NEXT) | instid1(VALU_DEP_3)
	v_add_f32_e32 v8, v16, v8
	v_dual_add_f32 v11, v11, v28 :: v_dual_fmac_f32 v0, v1, v5
	v_fmac_f32_e32 v12, v1, v13
	v_dual_add_f32 v17, v22, v17 :: v_dual_mul_f32 v22, v29, v72
	v_mul_f32_e32 v13, v10, v74
	v_mul_f32_e32 v1, v10, v40
	s_delay_alu instid0(VALU_DEP_4) | instskip(SKIP_1) | instid1(VALU_DEP_3)
	v_dual_fmac_f32 v21, v3, v23 :: v_dual_add_f32 v4, v4, v12
	v_add_f32_e32 v0, v8, v0
	v_dual_fmac_f32 v22, v3, v19 :: v_dual_fmac_f32 v1, v2, v6
	v_fmac_f32_e32 v13, v2, v14
	v_mul_f32_e32 v2, v29, v34
	v_mul_f32_e32 v5, v29, v73
	s_delay_alu instid0(VALU_DEP_4) | instskip(SKIP_3) | instid1(VALU_DEP_1)
	v_dual_add_f32 v83, v11, v21 :: v_dual_add_f32 v82, v17, v22
	v_add_f32_e32 v0, v0, v1
	v_add_f32_e32 v4, v4, v13
	v_fmac_f32_e32 v2, v3, v7
	v_dual_fmac_f32 v5, v3, v15 :: v_dual_add_f32 v80, v0, v2
	s_delay_alu instid0(VALU_DEP_1)
	v_add_f32_e32 v81, v4, v5
	s_cbranch_scc1 .LBB275_15
.LBB275_12:                             ;   Parent Loop BB275_8 Depth=1
                                        ; =>  This Inner Loop Header: Depth=2
	v_add_nc_u32_e32 v24, s23, v75
	v_mov_b32_e32 v68, 0
	v_mov_b32_e32 v70, 0
	v_dual_mov_b32 v26, 0 :: v_dual_mov_b32 v31, 0
	s_delay_alu instid0(VALU_DEP_4) | instskip(SKIP_3) | instid1(VALU_DEP_4)
	v_min_u32_e32 v57, s18, v24
	v_add_nc_u32_e32 v96, 0x200, v24
	v_dual_mov_b32 v30, 0 :: v_dual_mov_b32 v71, 0
	v_dual_mov_b32 v28, 0 :: v_dual_mov_b32 v73, 0
	v_lshlrev_b64 v[0:1], 1, v[57:58]
	s_delay_alu instid0(VALU_DEP_4) | instskip(SKIP_3) | instid1(VALU_DEP_4)
	v_min_u32_e32 v57, s18, v96
	v_dual_mov_b32 v72, 0 :: v_dual_mov_b32 v39, 0
	v_dual_mov_b32 v74, 0 :: v_dual_mov_b32 v37, 0
	s_waitcnt lgkmcnt(0)
	v_add_co_u32 v8, vcc_lo, s2, v0
	v_add_co_ci_u32_e32 v9, vcc_lo, s3, v1, vcc_lo
	v_lshlrev_b64 v[0:1], 1, v[57:58]
	s_delay_alu instid0(VALU_DEP_3) | instskip(NEXT) | instid1(VALU_DEP_3)
	v_add_co_u32 v2, vcc_lo, v8, v59
	v_add_co_ci_u32_e32 v3, vcc_lo, v9, v60, vcc_lo
	v_add_co_u32 v4, vcc_lo, v8, v61
	v_add_co_ci_u32_e32 v5, vcc_lo, v9, v62, vcc_lo
	;; [unrolled: 2-line block ×5, first 2 shown]
	s_clause 0x1
	global_load_b128 v[48:51], v[2:3], off slc dlc
	global_load_b128 v[44:47], v[4:5], off slc dlc
	v_add_co_u32 v2, vcc_lo, v10, v59
	v_add_co_ci_u32_e32 v3, vcc_lo, v11, v60, vcc_lo
	v_add_co_u32 v4, vcc_lo, v10, v61
	v_add_co_ci_u32_e32 v5, vcc_lo, v11, v62, vcc_lo
	;; [unrolled: 2-line block ×4, first 2 shown]
	s_clause 0x5
	global_load_b128 v[40:43], v[6:7], off slc dlc
	global_load_b128 v[32:35], v[0:1], off slc dlc
	;; [unrolled: 1-line block ×6, first 2 shown]
	v_mov_b32_e32 v3, 0
	v_cmp_gt_u32_e32 vcc_lo, s4, v24
	v_dual_mov_b32 v2, 0 :: v_dual_mov_b32 v67, 0
	v_dual_mov_b32 v1, 0 :: v_dual_mov_b32 v0, 0
	v_mov_b32_e32 v69, 0
	v_dual_mov_b32 v11, 0 :: v_dual_mov_b32 v10, 0
	v_mov_b32_e32 v27, 0
	v_dual_mov_b32 v9, 0 :: v_dual_mov_b32 v8, 0
	v_dual_mov_b32 v25, 0 :: v_dual_mov_b32 v24, 0
	;; [unrolled: 1-line block ×5, first 2 shown]
	v_mov_b32_e32 v52, 0
	s_and_saveexec_b32 s24, vcc_lo
	s_cbranch_execz .LBB275_11
; %bb.13:                               ;   in Loop: Header=BB275_12 Depth=2
	v_dual_mov_b32 v24, 0 :: v_dual_add_nc_u32 v57, s6, v79
	v_dual_mov_b32 v25, 0 :: v_dual_add_nc_u32 v98, s14, v79
	;; [unrolled: 1-line block ×3, first 2 shown]
	ds_load_b128 v[52:55], v79
	ds_load_b128 v[36:39], v57
	ds_load_2addr_b32 v[73:74], v98 offset1:1
	ds_load_2addr_b32 v[71:72], v98 offset0:2 offset1:3
	ds_load_b128 v[28:31], v97
	v_dual_mov_b32 v27, 0 :: v_dual_mov_b32 v8, 0
	v_dual_mov_b32 v9, 0 :: v_dual_mov_b32 v10, 0
	;; [unrolled: 1-line block ×6, first 2 shown]
	v_mov_b32_e32 v3, 0
	s_mov_b32 s25, exec_lo
	v_cmpx_gt_u32_e64 s4, v96
	s_cbranch_execz .LBB275_10
; %bb.14:                               ;   in Loop: Header=BB275_12 Depth=2
	v_add_nc_u32_e32 v0, 0x400, v98
	v_add_nc_u32_e32 v1, 0x408, v98
	ds_load_b128 v[24:27], v79 offset:1024
	ds_load_2addr_b32 v[69:70], v0 offset1:1
	ds_load_2addr_b32 v[67:68], v1 offset1:1
	ds_load_b128 v[8:11], v57 offset:1024
	ds_load_b128 v[0:3], v97 offset:1024
	s_branch .LBB275_10
.LBB275_15:                             ;   in Loop: Header=BB275_8 Depth=1
	; sched_barrier mask(0x00000000)
	s_delay_alu instid0(VALU_DEP_1)
	v_cvt_i32_f32_e32 v0, v90
	s_waitcnt lgkmcnt(0)
	v_cvt_i32_f32_e32 v1, v94
	v_cvt_i32_f32_e32 v2, v91
	;; [unrolled: 1-line block ×4, first 2 shown]
	v_cvt_f32_i32_dpp v0, v0 row_shr:8 row_mask:0xf bank_mask:0xf bound_ctrl:1
	v_cvt_f32_i32_dpp v1, v1 row_shr:8 row_mask:0xf bank_mask:0xf bound_ctrl:1
	;; [unrolled: 1-line block ×4, first 2 shown]
	v_cvt_i32_f32_e32 v5, v95
	v_add_f32_e32 v0, v90, v0
	v_cvt_f32_i32_dpp v4, v4 row_shr:8 row_mask:0xf bank_mask:0xf bound_ctrl:1
	v_dual_add_f32 v1, v94, v1 :: v_dual_add_f32 v2, v91, v2
	v_add_f32_e32 v3, v92, v3
	s_delay_alu instid0(VALU_DEP_4)
	v_cvt_i32_f32_e32 v6, v0
	v_cvt_f32_i32_dpp v5, v5 row_shr:8 row_mask:0xf bank_mask:0xf bound_ctrl:1
	v_add_f32_e32 v4, v93, v4
	v_cvt_i32_f32_e32 v7, v1
	v_cvt_i32_f32_e32 v8, v2
	v_cvt_f32_i32_dpp v6, v6 row_shr:4 row_mask:0xf bank_mask:0xf bound_ctrl:1
	v_add_f32_e32 v5, v95, v5
	v_cvt_i32_f32_e32 v9, v3
	v_cvt_i32_f32_e32 v10, v4
	s_delay_alu instid0(VALU_DEP_4)
	v_add_f32_e32 v0, v0, v6
	v_cvt_f32_i32_dpp v6, v7 row_shr:4 row_mask:0xf bank_mask:0xf bound_ctrl:1
	v_cvt_f32_i32_dpp v7, v8 row_shr:4 row_mask:0xf bank_mask:0xf bound_ctrl:1
	;; [unrolled: 1-line block ×4, first 2 shown]
	v_cvt_i32_f32_e32 v11, v5
	s_delay_alu instid0(VALU_DEP_4) | instskip(NEXT) | instid1(VALU_DEP_4)
	v_dual_add_f32 v1, v1, v6 :: v_dual_add_f32 v2, v2, v7
	v_add_f32_e32 v3, v3, v8
	v_cvt_i32_f32_e32 v10, v0
	s_delay_alu instid0(VALU_DEP_4) | instskip(NEXT) | instid1(VALU_DEP_4)
	v_cvt_f32_i32_dpp v11, v11 row_shr:4 row_mask:0xf bank_mask:0xf bound_ctrl:1
	v_cvt_i32_f32_e32 v7, v1
	v_add_f32_e32 v4, v4, v9
	v_cvt_i32_f32_e32 v8, v2
	v_cvt_f32_i32_dpp v6, v10 row_shr:2 row_mask:0xf bank_mask:0xf bound_ctrl:1
	v_add_f32_e32 v5, v5, v11
	v_cvt_f32_i32_dpp v7, v7 row_shr:2 row_mask:0xf bank_mask:0xf bound_ctrl:1
	v_cvt_i32_f32_e32 v9, v4
	v_cvt_f32_i32_dpp v8, v8 row_shr:2 row_mask:0xf bank_mask:0xf bound_ctrl:1
	v_add_f32_e32 v0, v0, v6
	v_cvt_i32_f32_e32 v6, v3
	v_add_f32_e32 v1, v1, v7
	v_cvt_i32_f32_e32 v10, v5
	v_cvt_f32_i32_dpp v9, v9 row_shr:2 row_mask:0xf bank_mask:0xf bound_ctrl:1
	v_cvt_i32_f32_e32 v11, v0
	v_cvt_f32_i32_dpp v6, v6 row_shr:2 row_mask:0xf bank_mask:0xf bound_ctrl:1
	v_add_f32_e32 v2, v2, v8
	v_cvt_f32_i32_dpp v10, v10 row_shr:2 row_mask:0xf bank_mask:0xf bound_ctrl:1
	v_add_f32_e32 v4, v4, v9
	;; [unrolled: 2-line block ×3, first 2 shown]
	v_cvt_i32_f32_e32 v6, v2
	v_add_f32_e32 v5, v5, v10
	v_cvt_i32_f32_e32 v8, v4
	s_delay_alu instid0(VALU_DEP_4) | instskip(NEXT) | instid1(VALU_DEP_4)
	v_cvt_i32_f32_e32 v7, v3
	v_cvt_f32_i32_dpp v6, v6 row_shr:1 row_mask:0xf bank_mask:0xf bound_ctrl:1
	v_add_f32_e32 v34, v0, v11
	v_cvt_i32_f32_e32 v0, v1
	v_cvt_f32_i32_dpp v8, v8 row_shr:1 row_mask:0xf bank_mask:0xf bound_ctrl:1
	v_cvt_f32_i32_dpp v7, v7 row_shr:1 row_mask:0xf bank_mask:0xf bound_ctrl:1
	v_add_f32_e32 v31, v2, v6
	v_cvt_i32_f32_e32 v9, v5
	v_cvt_f32_i32_dpp v0, v0 row_shr:1 row_mask:0xf bank_mask:0xf bound_ctrl:1
	s_delay_alu instid0(VALU_DEP_4) | instskip(SKIP_1) | instid1(VALU_DEP_4)
	v_dual_add_f32 v23, v4, v8 :: v_dual_add_f32 v28, v3, v7
	v_cvt_i32_f32_e32 v3, v86
	v_cvt_f32_i32_dpp v9, v9 row_shr:1 row_mask:0xf bank_mask:0xf bound_ctrl:1
	v_cvt_i32_f32_e32 v2, v88
	v_cvt_i32_f32_e32 v6, v85
	v_cvt_i32_f32_e32 v4, v89
	v_cvt_f32_i32_dpp v3, v3 row_shr:8 row_mask:0xf bank_mask:0xf bound_ctrl:1
	v_add_f32_e32 v0, v1, v0
	v_cvt_f32_i32_dpp v2, v2 row_shr:8 row_mask:0xf bank_mask:0xf bound_ctrl:1
	v_cvt_f32_i32_dpp v6, v6 row_shr:8 row_mask:0xf bank_mask:0xf bound_ctrl:1
	;; [unrolled: 1-line block ×3, first 2 shown]
	v_add_f32_e32 v3, v86, v3
	ds_bpermute_b32 v35, v77, v34
	ds_bpermute_b32 v1, v77, v0
	ds_bpermute_b32 v32, v77, v31
	ds_bpermute_b32 v29, v77, v28
	v_cvt_i32_f32_e32 v8, v3
	ds_bpermute_b32 v24, v77, v23
	v_cvt_f32_i32_dpp v8, v8 row_shr:4 row_mask:0xf bank_mask:0xf bound_ctrl:1
	v_add_f32_e32 v18, v5, v9
	v_cvt_i32_f32_e32 v5, v87
	s_delay_alu instid0(VALU_DEP_3) | instskip(SKIP_4) | instid1(VALU_DEP_3)
	v_add_f32_e32 v3, v3, v8
	ds_bpermute_b32 v19, v77, v18
	v_cvt_f32_i32_dpp v5, v5 row_shr:8 row_mask:0xf bank_mask:0xf bound_ctrl:1
	v_add_f32_e32 v2, v88, v2
	v_cvt_i32_f32_e32 v8, v3
	v_add_f32_e32 v5, v87, v5
	s_delay_alu instid0(VALU_DEP_3) | instskip(NEXT) | instid1(VALU_DEP_3)
	v_cvt_i32_f32_e32 v7, v2
	v_cvt_f32_i32_dpp v8, v8 row_shr:2 row_mask:0xf bank_mask:0xf bound_ctrl:1
	v_add_f32_e32 v6, v85, v6
	s_delay_alu instid0(VALU_DEP_4) | instskip(NEXT) | instid1(VALU_DEP_4)
	v_cvt_i32_f32_e32 v10, v5
	v_cvt_f32_i32_dpp v7, v7 row_shr:4 row_mask:0xf bank_mask:0xf bound_ctrl:1
	s_delay_alu instid0(VALU_DEP_4) | instskip(NEXT) | instid1(VALU_DEP_4)
	v_add_f32_e32 v3, v3, v8
	v_cvt_i32_f32_e32 v11, v6
	s_delay_alu instid0(VALU_DEP_4) | instskip(NEXT) | instid1(VALU_DEP_4)
	v_cvt_f32_i32_dpp v10, v10 row_shr:4 row_mask:0xf bank_mask:0xf bound_ctrl:1
	v_add_f32_e32 v2, v2, v7
	s_delay_alu instid0(VALU_DEP_4) | instskip(NEXT) | instid1(VALU_DEP_4)
	v_cvt_i32_f32_e32 v8, v3
	v_cvt_f32_i32_dpp v11, v11 row_shr:4 row_mask:0xf bank_mask:0xf bound_ctrl:1
	s_delay_alu instid0(VALU_DEP_4) | instskip(NEXT) | instid1(VALU_DEP_4)
	v_add_f32_e32 v5, v5, v10
	v_cvt_i32_f32_e32 v7, v2
	s_delay_alu instid0(VALU_DEP_4) | instskip(NEXT) | instid1(VALU_DEP_3)
	v_cvt_f32_i32_dpp v8, v8 row_shr:1 row_mask:0xf bank_mask:0xf bound_ctrl:1
	v_cvt_i32_f32_e32 v10, v5
	s_delay_alu instid0(VALU_DEP_3) | instskip(NEXT) | instid1(VALU_DEP_3)
	v_cvt_f32_i32_dpp v7, v7 row_shr:2 row_mask:0xf bank_mask:0xf bound_ctrl:1
	v_add_f32_e32 v20, v3, v8
	v_cvt_i32_f32_e32 v3, v83
	s_delay_alu instid0(VALU_DEP_4) | instskip(NEXT) | instid1(VALU_DEP_2)
	v_cvt_f32_i32_dpp v10, v10 row_shr:2 row_mask:0xf bank_mask:0xf bound_ctrl:1
	v_cvt_f32_i32_dpp v3, v3 row_shr:8 row_mask:0xf bank_mask:0xf bound_ctrl:1
	s_delay_alu instid0(VALU_DEP_2) | instskip(NEXT) | instid1(VALU_DEP_2)
	v_add_f32_e32 v5, v5, v10
	v_add_f32_e32 v3, v83, v3
	;; [unrolled: 1-line block ×3, first 2 shown]
	s_delay_alu instid0(VALU_DEP_3) | instskip(NEXT) | instid1(VALU_DEP_2)
	v_cvt_i32_f32_e32 v10, v5
	v_cvt_i32_f32_e32 v7, v2
	s_delay_alu instid0(VALU_DEP_2) | instskip(NEXT) | instid1(VALU_DEP_2)
	v_cvt_f32_i32_dpp v10, v10 row_shr:1 row_mask:0xf bank_mask:0xf bound_ctrl:1
	v_cvt_f32_i32_dpp v7, v7 row_shr:1 row_mask:0xf bank_mask:0xf bound_ctrl:1
	v_add_f32_e32 v4, v89, v4
	s_delay_alu instid0(VALU_DEP_3)
	v_add_f32_e32 v12, v5, v10
	v_cvt_i32_f32_e32 v5, v81
	v_cvt_i32_f32_e32 v10, v3
	v_add_f32_e32 v25, v2, v7
	v_cvt_i32_f32_e32 v9, v4
	v_cvt_i32_f32_e32 v2, v84
	v_cvt_f32_i32_dpp v5, v5 row_shr:8 row_mask:0xf bank_mask:0xf bound_ctrl:1
	v_add_f32_e32 v6, v6, v11
	v_cvt_f32_i32_dpp v10, v10 row_shr:4 row_mask:0xf bank_mask:0xf bound_ctrl:1
	v_cvt_f32_i32_dpp v9, v9 row_shr:4 row_mask:0xf bank_mask:0xf bound_ctrl:1
	;; [unrolled: 1-line block ×3, first 2 shown]
	v_add_f32_e32 v5, v81, v5
	v_cvt_i32_f32_e32 v11, v6
	s_delay_alu instid0(VALU_DEP_4) | instskip(NEXT) | instid1(VALU_DEP_4)
	v_dual_add_f32 v3, v3, v10 :: v_dual_add_f32 v4, v4, v9
	v_add_f32_e32 v2, v84, v2
	ds_bpermute_b32 v27, v77, v25
	ds_bpermute_b32 v13, v77, v12
	v_cvt_f32_i32_dpp v11, v11 row_shr:2 row_mask:0xf bank_mask:0xf bound_ctrl:1
	v_cvt_i32_f32_e32 v10, v3
	v_cvt_i32_f32_e32 v9, v4
	;; [unrolled: 1-line block ×4, first 2 shown]
	s_delay_alu instid0(VALU_DEP_4)
	v_cvt_f32_i32_dpp v10, v10 row_shr:2 row_mask:0xf bank_mask:0xf bound_ctrl:1
	v_add_f32_e32 v6, v6, v11
	v_cvt_f32_i32_dpp v9, v9 row_shr:2 row_mask:0xf bank_mask:0xf bound_ctrl:1
	v_cvt_f32_i32_dpp v14, v14 row_shr:4 row_mask:0xf bank_mask:0xf bound_ctrl:1
	;; [unrolled: 1-line block ×3, first 2 shown]
	v_add_f32_e32 v3, v3, v10
	v_cvt_i32_f32_e32 v11, v6
	s_delay_alu instid0(VALU_DEP_4) | instskip(NEXT) | instid1(VALU_DEP_4)
	v_dual_add_f32 v4, v4, v9 :: v_dual_add_f32 v5, v5, v14
	v_add_f32_e32 v2, v2, v7
	s_delay_alu instid0(VALU_DEP_4) | instskip(NEXT) | instid1(VALU_DEP_4)
	v_cvt_i32_f32_e32 v10, v3
	v_cvt_f32_i32_dpp v11, v11 row_shr:1 row_mask:0xf bank_mask:0xf bound_ctrl:1
	s_delay_alu instid0(VALU_DEP_4)
	v_cvt_i32_f32_e32 v9, v4
	v_cvt_i32_f32_e32 v14, v5
	;; [unrolled: 1-line block ×3, first 2 shown]
	v_cvt_f32_i32_dpp v10, v10 row_shr:1 row_mask:0xf bank_mask:0xf bound_ctrl:1
	v_add_f32_e32 v8, v6, v11
	v_cvt_i32_f32_e32 v6, v80
	v_cvt_f32_i32_dpp v9, v9 row_shr:1 row_mask:0xf bank_mask:0xf bound_ctrl:1
	v_cvt_f32_i32_dpp v7, v7 row_shr:2 row_mask:0xf bank_mask:0xf bound_ctrl:1
	;; [unrolled: 1-line block ×3, first 2 shown]
	v_add_f32_e32 v10, v3, v10
	v_cvt_f32_i32_dpp v6, v6 row_shr:8 row_mask:0xf bank_mask:0xf bound_ctrl:1
	s_delay_alu instid0(VALU_DEP_3) | instskip(SKIP_3) | instid1(VALU_DEP_2)
	v_dual_add_f32 v2, v2, v7 :: v_dual_add_f32 v5, v5, v14
	ds_bpermute_b32 v22, v77, v20
	v_add_f32_e32 v6, v80, v6
	v_cvt_i32_f32_e32 v14, v5
	v_cvt_i32_f32_e32 v15, v6
	s_delay_alu instid0(VALU_DEP_2) | instskip(NEXT) | instid1(VALU_DEP_2)
	v_cvt_f32_i32_dpp v21, v14 row_shr:1 row_mask:0xf bank_mask:0xf bound_ctrl:1
	v_cvt_f32_i32_dpp v15, v15 row_shr:4 row_mask:0xf bank_mask:0xf bound_ctrl:1
	s_delay_alu instid0(VALU_DEP_1) | instskip(NEXT) | instid1(VALU_DEP_1)
	v_add_f32_e32 v6, v6, v15
	v_cvt_i32_f32_e32 v15, v6
	s_delay_alu instid0(VALU_DEP_1)
	v_cvt_f32_i32_dpp v15, v15 row_shr:2 row_mask:0xf bank_mask:0xf bound_ctrl:1
	v_add_f32_e32 v16, v4, v9
	v_cvt_i32_f32_e32 v4, v82
	ds_bpermute_b32 v9, v77, v8
	v_add_f32_e32 v7, v6, v15
	v_cvt_i32_f32_e32 v6, v2
	v_cvt_f32_i32_dpp v4, v4 row_shr:8 row_mask:0xf bank_mask:0xf bound_ctrl:1
	ds_bpermute_b32 v17, v77, v16
	v_cvt_i32_f32_e32 v15, v7
	v_cvt_f32_i32_dpp v6, v6 row_shr:1 row_mask:0xf bank_mask:0xf bound_ctrl:1
	v_add_f32_e32 v4, v82, v4
	s_delay_alu instid0(VALU_DEP_3) | instskip(NEXT) | instid1(VALU_DEP_3)
	v_cvt_f32_i32_dpp v15, v15 row_shr:1 row_mask:0xf bank_mask:0xf bound_ctrl:1
	v_add_f32_e32 v14, v2, v6
	s_delay_alu instid0(VALU_DEP_3) | instskip(NEXT) | instid1(VALU_DEP_3)
	v_cvt_i32_f32_e32 v11, v4
	v_add_f32_e32 v2, v7, v15
	ds_bpermute_b32 v15, v77, v14
	v_cvt_f32_i32_dpp v11, v11 row_shr:4 row_mask:0xf bank_mask:0xf bound_ctrl:1
	ds_bpermute_b32 v3, v77, v2
	v_add_f32_e32 v4, v4, v11
	s_delay_alu instid0(VALU_DEP_1) | instskip(NEXT) | instid1(VALU_DEP_1)
	v_cvt_i32_f32_e32 v11, v4
	v_cvt_f32_i32_dpp v11, v11 row_shr:2 row_mask:0xf bank_mask:0xf bound_ctrl:1
	s_delay_alu instid0(VALU_DEP_1) | instskip(NEXT) | instid1(VALU_DEP_1)
	v_add_f32_e32 v4, v4, v11
	v_cvt_i32_f32_e32 v11, v4
	s_delay_alu instid0(VALU_DEP_1) | instskip(NEXT) | instid1(VALU_DEP_1)
	v_cvt_f32_i32_dpp v11, v11 row_shr:1 row_mask:0xf bank_mask:0xf bound_ctrl:1
	v_add_f32_e32 v6, v4, v11
	v_add_f32_e32 v4, v5, v21
	ds_bpermute_b32 v11, v77, v10
	ds_bpermute_b32 v7, v77, v6
	;; [unrolled: 1-line block ×3, first 2 shown]
	s_and_saveexec_b32 s23, s0
	s_cbranch_execz .LBB275_7
; %bb.16:                               ;   in Loop: Header=BB275_8 Depth=1
	v_dual_mov_b32 v47, 0 :: v_dual_mov_b32 v46, 0
	v_dual_mov_b32 v45, 0 :: v_dual_mov_b32 v44, 0
	;; [unrolled: 1-line block ×8, first 2 shown]
	s_and_not1_b32 vcc_lo, exec_lo, s20
	s_cbranch_vccnz .LBB275_18
; %bb.17:                               ;   in Loop: Header=BB275_8 Depth=1
	v_mul_hi_u32 v21, v56, v78
	v_or_b32_e32 v26, 1, v56
	v_or_b32_e32 v30, 2, v56
	;; [unrolled: 1-line block ×3, first 2 shown]
	s_delay_alu instid0(VALU_DEP_3) | instskip(NEXT) | instid1(VALU_DEP_3)
	v_mul_hi_u32 v36, v26, v78
	v_mul_hi_u32 v37, v30, v78
	v_mul_lo_u32 v21, v21, s8
	s_delay_alu instid0(VALU_DEP_4) | instskip(NEXT) | instid1(VALU_DEP_4)
	v_mul_hi_u32 v38, v33, v78
	v_mul_lo_u32 v36, v36, s8
	s_delay_alu instid0(VALU_DEP_4) | instskip(NEXT) | instid1(VALU_DEP_4)
	v_mul_lo_u32 v40, v37, s8
	v_sub_nc_u32_e32 v21, v56, v21
	s_delay_alu instid0(VALU_DEP_4) | instskip(NEXT) | instid1(VALU_DEP_2)
	v_mul_lo_u32 v38, v38, s8
	v_subrev_nc_u32_e32 v41, s8, v21
	v_sub_nc_u32_e32 v26, v26, v36
	v_cmp_le_u32_e32 vcc_lo, s8, v21
	v_sub_nc_u32_e32 v30, v30, v40
	v_sub_nc_u32_e32 v33, v33, v38
	s_delay_alu instid0(VALU_DEP_4)
	v_subrev_nc_u32_e32 v36, s8, v26
	v_cndmask_b32_e32 v21, v21, v41, vcc_lo
	v_cmp_le_u32_e32 vcc_lo, s8, v26
	v_subrev_nc_u32_e32 v38, s8, v30
	v_subrev_nc_u32_e32 v40, s8, v33
	v_cndmask_b32_e32 v26, v26, v36, vcc_lo
	v_cmp_le_u32_e32 vcc_lo, s8, v30
	v_subrev_nc_u32_e32 v42, s8, v21
	s_delay_alu instid0(VALU_DEP_3) | instskip(SKIP_4) | instid1(VALU_DEP_2)
	v_subrev_nc_u32_e32 v36, s8, v26
	v_cndmask_b32_e32 v30, v30, v38, vcc_lo
	v_cmp_le_u32_e32 vcc_lo, s8, v33
	v_cndmask_b32_e32 v33, v33, v40, vcc_lo
	v_cmp_le_u32_e32 vcc_lo, s8, v21
	v_subrev_nc_u32_e32 v40, s8, v33
	v_cndmask_b32_e32 v57, v21, v42, vcc_lo
	v_cmp_le_u32_e32 vcc_lo, s8, v26
	v_subrev_nc_u32_e32 v21, s8, v30
	v_cndmask_b32_e32 v36, v26, v36, vcc_lo
	v_cmp_le_u32_e32 vcc_lo, s8, v30
	v_lshlrev_b64 v[42:43], 1, v[57:58]
	v_dual_mov_b32 v39, v58 :: v_dual_add_nc_u32 v50, s17, v57
	s_delay_alu instid0(VALU_DEP_4) | instskip(SKIP_3) | instid1(VALU_DEP_4)
	v_dual_cndmask_b32 v38, v30, v21 :: v_dual_add_nc_u32 v65, s21, v36
	v_cmp_le_u32_e32 vcc_lo, s8, v33
	v_mov_b32_e32 v37, v58
	v_mov_b32_e32 v41, v58
	v_dual_mov_b32 v51, v58 :: v_dual_add_nc_u32 v54, s17, v38
	v_cndmask_b32_e32 v40, v33, v40, vcc_lo
	s_delay_alu instid0(VALU_DEP_4) | instskip(SKIP_3) | instid1(VALU_DEP_4)
	v_lshlrev_b64 v[44:45], 1, v[36:37]
	v_lshlrev_b64 v[46:47], 1, v[38:39]
	v_add_co_u32 v42, vcc_lo, s10, v42
	v_add_co_ci_u32_e32 v43, vcc_lo, s11, v43, vcc_lo
	v_add_co_u32 v44, vcc_lo, s10, v44
	v_add_co_ci_u32_e32 v45, vcc_lo, s11, v45, vcc_lo
	;; [unrolled: 2-line block ×3, first 2 shown]
	v_lshlrev_b64 v[46:47], 1, v[50:51]
	v_add_nc_u32_e32 v50, s17, v36
	v_lshlrev_b64 v[48:49], 1, v[40:41]
	v_mov_b32_e32 v55, v58
	v_mov_b32_e32 v66, v58
	s_delay_alu instid0(VALU_DEP_4) | instskip(NEXT) | instid1(VALU_DEP_4)
	v_lshlrev_b64 v[50:51], 1, v[50:51]
	v_add_co_u32 v48, vcc_lo, s10, v48
	v_add_co_ci_u32_e32 v49, vcc_lo, s11, v49, vcc_lo
	v_add_co_u32 v59, vcc_lo, s10, v46
	v_add_co_ci_u32_e32 v60, vcc_lo, s11, v47, vcc_lo
	v_lshlrev_b64 v[46:47], 1, v[54:55]
	v_add_nc_u32_e32 v54, s17, v40
	v_add_co_u32 v50, vcc_lo, s10, v50
	v_add_co_ci_u32_e32 v51, vcc_lo, s11, v51, vcc_lo
	s_delay_alu instid0(VALU_DEP_3) | instskip(SKIP_3) | instid1(VALU_DEP_4)
	v_lshlrev_b64 v[54:55], 1, v[54:55]
	v_add_co_u32 v61, vcc_lo, s10, v46
	v_add_co_ci_u32_e32 v62, vcc_lo, s11, v47, vcc_lo
	v_dual_mov_b32 v47, v58 :: v_dual_add_nc_u32 v46, s21, v57
	v_add_co_u32 v54, vcc_lo, s10, v54
	v_add_co_ci_u32_e32 v55, vcc_lo, s11, v55, vcc_lo
	s_delay_alu instid0(VALU_DEP_3)
	v_lshlrev_b64 v[63:64], 1, v[46:47]
	s_clause 0x7
	global_load_u16 v47, v[42:43], off
	global_load_u16 v46, v[44:45], off
	;; [unrolled: 1-line block ×8, first 2 shown]
	v_dual_mov_b32 v51, v58 :: v_dual_add_nc_u32 v50, s21, v38
	v_add_nc_u32_e32 v57, s22, v57
	v_lshlrev_b64 v[48:49], 1, v[65:66]
	v_dual_mov_b32 v55, v58 :: v_dual_add_nc_u32 v54, s21, v40
	v_add_co_u32 v52, vcc_lo, s10, v63
	v_lshlrev_b64 v[50:51], 1, v[50:51]
	v_add_co_ci_u32_e32 v53, vcc_lo, s11, v64, vcc_lo
	v_lshlrev_b64 v[59:60], 1, v[57:58]
	v_add_nc_u32_e32 v57, s22, v36
	v_add_co_u32 v48, vcc_lo, s10, v48
	v_lshlrev_b64 v[54:55], 1, v[54:55]
	v_add_co_ci_u32_e32 v49, vcc_lo, s11, v49, vcc_lo
	v_add_co_u32 v50, vcc_lo, s10, v50
	v_lshlrev_b64 v[36:37], 1, v[57:58]
	v_add_nc_u32_e32 v57, s22, v38
	v_add_co_ci_u32_e32 v51, vcc_lo, s11, v51, vcc_lo
	v_add_co_u32 v54, vcc_lo, s10, v54
	v_add_co_ci_u32_e32 v55, vcc_lo, s11, v55, vcc_lo
	v_add_co_u32 v59, vcc_lo, s10, v59
	v_lshlrev_b64 v[61:62], 1, v[57:58]
	v_add_nc_u32_e32 v57, s22, v40
	v_add_co_ci_u32_e32 v60, vcc_lo, s11, v60, vcc_lo
	v_add_co_u32 v63, vcc_lo, s10, v36
	v_add_co_ci_u32_e32 v64, vcc_lo, s11, v37, vcc_lo
	s_delay_alu instid0(VALU_DEP_4) | instskip(SKIP_2) | instid1(VALU_DEP_3)
	v_lshlrev_b64 v[36:37], 1, v[57:58]
	v_add_co_u32 v61, vcc_lo, s10, v61
	v_add_co_ci_u32_e32 v62, vcc_lo, s11, v62, vcc_lo
	v_add_co_u32 v65, vcc_lo, s10, v36
	s_delay_alu instid0(VALU_DEP_4)
	v_add_co_ci_u32_e32 v66, vcc_lo, s11, v37, vcc_lo
	s_clause 0x7
	global_load_u16 v40, v[52:53], off
	global_load_u16 v38, v[48:49], off
	;; [unrolled: 1-line block ×8, first 2 shown]
.LBB275_18:                             ;   in Loop: Header=BB275_8 Depth=1
	s_waitcnt lgkmcnt(0)
	v_add_f32_e32 v34, v34, v35
	s_waitcnt vmcnt(15)
	v_lshlrev_b32_e32 v35, 16, v47
	s_delay_alu instid0(VALU_DEP_1) | instskip(NEXT) | instid1(VALU_DEP_1)
	v_add_f32_e32 v35, v34, v35
	v_and_b32_e32 v34, 0x7f800000, v35
	s_delay_alu instid0(VALU_DEP_1) | instskip(SKIP_1) | instid1(SALU_CYCLE_1)
	v_cmp_ne_u32_e32 vcc_lo, 0x7f800000, v34
                                        ; implicit-def: $vgpr34
	s_and_saveexec_b32 s24, vcc_lo
	s_xor_b32 s24, exec_lo, s24
; %bb.19:                               ;   in Loop: Header=BB275_8 Depth=1
	v_bfe_u32 v34, v35, 16, 1
	s_delay_alu instid0(VALU_DEP_1)
	v_add3_u32 v34, v35, v34, 0x7fff
                                        ; implicit-def: $vgpr35
; %bb.20:                               ;   in Loop: Header=BB275_8 Depth=1
	s_and_not1_saveexec_b32 s24, s24
; %bb.21:                               ;   in Loop: Header=BB275_8 Depth=1
	v_and_b32_e32 v34, 0xffff, v35
	v_or_b32_e32 v47, 0x10000, v35
	s_delay_alu instid0(VALU_DEP_2) | instskip(NEXT) | instid1(VALU_DEP_2)
	v_cmp_eq_u32_e32 vcc_lo, 0, v34
	v_cndmask_b32_e32 v34, v47, v35, vcc_lo
; %bb.22:                               ;   in Loop: Header=BB275_8 Depth=1
	s_or_b32 exec_lo, exec_lo, s24
	s_waitcnt vmcnt(14)
	v_dual_add_f32 v0, v0, v1 :: v_dual_lshlrev_b32 v1, 16, v46
	s_mov_b32 s24, exec_lo
	s_delay_alu instid0(VALU_DEP_1) | instskip(NEXT) | instid1(VALU_DEP_1)
	v_add_f32_e32 v35, v0, v1
	v_dual_mov_b32 v57, v58 :: v_dual_and_b32 v46, 0x7f800000, v35
	s_delay_alu instid0(VALU_DEP_1) | instskip(NEXT) | instid1(VALU_DEP_1)
	v_lshlrev_b64 v[0:1], 1, v[56:57]
	v_add_co_u32 v0, vcc_lo, s12, v0
	s_delay_alu instid0(VALU_DEP_2)
	v_add_co_ci_u32_e32 v1, vcc_lo, s13, v1, vcc_lo
	global_store_d16_hi_b16 v[0:1], v34, off
                                        ; implicit-def: $vgpr34
	v_cmpx_ne_u32_e32 0x7f800000, v46
	s_xor_b32 s24, exec_lo, s24
; %bb.23:                               ;   in Loop: Header=BB275_8 Depth=1
	v_bfe_u32 v34, v35, 16, 1
	s_delay_alu instid0(VALU_DEP_1)
	v_add3_u32 v34, v35, v34, 0x7fff
                                        ; implicit-def: $vgpr35
; %bb.24:                               ;   in Loop: Header=BB275_8 Depth=1
	s_and_not1_saveexec_b32 s24, s24
; %bb.25:                               ;   in Loop: Header=BB275_8 Depth=1
	v_and_b32_e32 v34, 0xffff, v35
	v_or_b32_e32 v46, 0x10000, v35
	s_delay_alu instid0(VALU_DEP_2) | instskip(NEXT) | instid1(VALU_DEP_2)
	v_cmp_eq_u32_e32 vcc_lo, 0, v34
	v_cndmask_b32_e32 v34, v46, v35, vcc_lo
; %bb.26:                               ;   in Loop: Header=BB275_8 Depth=1
	s_or_b32 exec_lo, exec_lo, s24
	s_waitcnt vmcnt(13)
	v_dual_add_f32 v31, v31, v32 :: v_dual_lshlrev_b32 v32, 16, v45
	global_store_d16_hi_b16 v[0:1], v34, off offset:2
	v_add_f32_e32 v32, v31, v32
	s_delay_alu instid0(VALU_DEP_1) | instskip(NEXT) | instid1(VALU_DEP_1)
	v_and_b32_e32 v31, 0x7f800000, v32
	v_cmp_ne_u32_e32 vcc_lo, 0x7f800000, v31
                                        ; implicit-def: $vgpr31
	s_and_saveexec_b32 s24, vcc_lo
	s_delay_alu instid0(SALU_CYCLE_1)
	s_xor_b32 s24, exec_lo, s24
; %bb.27:                               ;   in Loop: Header=BB275_8 Depth=1
	v_bfe_u32 v31, v32, 16, 1
	s_delay_alu instid0(VALU_DEP_1)
	v_add3_u32 v31, v32, v31, 0x7fff
                                        ; implicit-def: $vgpr32
; %bb.28:                               ;   in Loop: Header=BB275_8 Depth=1
	s_and_not1_saveexec_b32 s24, s24
; %bb.29:                               ;   in Loop: Header=BB275_8 Depth=1
	v_and_b32_e32 v31, 0xffff, v32
	v_or_b32_e32 v34, 0x10000, v32
	s_delay_alu instid0(VALU_DEP_2) | instskip(NEXT) | instid1(VALU_DEP_2)
	v_cmp_eq_u32_e32 vcc_lo, 0, v31
	v_cndmask_b32_e32 v31, v34, v32, vcc_lo
; %bb.30:                               ;   in Loop: Header=BB275_8 Depth=1
	s_or_b32 exec_lo, exec_lo, s24
	s_waitcnt vmcnt(12)
	v_dual_add_f32 v28, v28, v29 :: v_dual_lshlrev_b32 v29, 16, v44
	global_store_d16_hi_b16 v[0:1], v31, off offset:4
	v_add_f32_e32 v29, v28, v29
	s_delay_alu instid0(VALU_DEP_1) | instskip(NEXT) | instid1(VALU_DEP_1)
	v_and_b32_e32 v28, 0x7f800000, v29
	v_cmp_ne_u32_e32 vcc_lo, 0x7f800000, v28
                                        ; implicit-def: $vgpr28
	s_and_saveexec_b32 s24, vcc_lo
	s_delay_alu instid0(SALU_CYCLE_1)
	s_xor_b32 s24, exec_lo, s24
; %bb.31:                               ;   in Loop: Header=BB275_8 Depth=1
	v_bfe_u32 v28, v29, 16, 1
	s_delay_alu instid0(VALU_DEP_1)
	v_add3_u32 v28, v29, v28, 0x7fff
                                        ; implicit-def: $vgpr29
; %bb.32:                               ;   in Loop: Header=BB275_8 Depth=1
	s_and_not1_saveexec_b32 s24, s24
; %bb.33:                               ;   in Loop: Header=BB275_8 Depth=1
	v_and_b32_e32 v28, 0xffff, v29
	v_or_b32_e32 v31, 0x10000, v29
	s_delay_alu instid0(VALU_DEP_2) | instskip(NEXT) | instid1(VALU_DEP_2)
	v_cmp_eq_u32_e32 vcc_lo, 0, v28
	v_cndmask_b32_e32 v28, v31, v29, vcc_lo
; %bb.34:                               ;   in Loop: Header=BB275_8 Depth=1
	s_or_b32 exec_lo, exec_lo, s24
	s_waitcnt vmcnt(11)
	v_dual_add_f32 v23, v23, v24 :: v_dual_lshlrev_b32 v24, 16, v43
	s_mov_b32 s24, exec_lo
	global_store_d16_hi_b16 v[0:1], v28, off offset:6
                                        ; implicit-def: $vgpr0
	v_add_f32_e32 v23, v23, v24
	s_delay_alu instid0(VALU_DEP_1) | instskip(NEXT) | instid1(VALU_DEP_1)
	v_and_b32_e32 v24, 0x7f800000, v23
	v_cmpx_ne_u32_e32 0x7f800000, v24
	s_xor_b32 s24, exec_lo, s24
; %bb.35:                               ;   in Loop: Header=BB275_8 Depth=1
	v_bfe_u32 v0, v23, 16, 1
	s_delay_alu instid0(VALU_DEP_1)
	v_add3_u32 v0, v23, v0, 0x7fff
                                        ; implicit-def: $vgpr23
; %bb.36:                               ;   in Loop: Header=BB275_8 Depth=1
	s_and_not1_saveexec_b32 s24, s24
; %bb.37:                               ;   in Loop: Header=BB275_8 Depth=1
	v_and_b32_e32 v0, 0xffff, v23
	v_or_b32_e32 v1, 0x10000, v23
	s_delay_alu instid0(VALU_DEP_2) | instskip(NEXT) | instid1(VALU_DEP_2)
	v_cmp_eq_u32_e32 vcc_lo, 0, v0
	v_cndmask_b32_e32 v0, v1, v23, vcc_lo
; %bb.38:                               ;   in Loop: Header=BB275_8 Depth=1
	s_or_b32 exec_lo, exec_lo, s24
	s_waitcnt vmcnt(10)
	v_dual_add_f32 v1, v18, v19 :: v_dual_lshlrev_b32 v18, 16, v42
	v_add_nc_u32_e32 v57, s7, v56
	s_mov_b32 s24, exec_lo
	s_delay_alu instid0(VALU_DEP_2) | instskip(NEXT) | instid1(VALU_DEP_2)
	v_add_f32_e32 v1, v1, v18
	v_lshlrev_b64 v[18:19], 1, v[57:58]
	s_delay_alu instid0(VALU_DEP_2) | instskip(NEXT) | instid1(VALU_DEP_2)
	v_and_b32_e32 v23, 0x7f800000, v1
	v_add_co_u32 v18, vcc_lo, s12, v18
	s_delay_alu instid0(VALU_DEP_3)
	v_add_co_ci_u32_e32 v19, vcc_lo, s13, v19, vcc_lo
	global_store_d16_hi_b16 v[18:19], v0, off
                                        ; implicit-def: $vgpr0
	v_cmpx_ne_u32_e32 0x7f800000, v23
	s_xor_b32 s24, exec_lo, s24
; %bb.39:                               ;   in Loop: Header=BB275_8 Depth=1
	v_bfe_u32 v0, v1, 16, 1
	s_delay_alu instid0(VALU_DEP_1)
	v_add3_u32 v0, v1, v0, 0x7fff
                                        ; implicit-def: $vgpr1
; %bb.40:                               ;   in Loop: Header=BB275_8 Depth=1
	s_and_not1_saveexec_b32 s24, s24
; %bb.41:                               ;   in Loop: Header=BB275_8 Depth=1
	v_and_b32_e32 v0, 0xffff, v1
	v_or_b32_e32 v18, 0x10000, v1
	s_delay_alu instid0(VALU_DEP_2) | instskip(NEXT) | instid1(VALU_DEP_2)
	v_cmp_eq_u32_e32 vcc_lo, 0, v0
	v_cndmask_b32_e32 v0, v18, v1, vcc_lo
; %bb.42:                               ;   in Loop: Header=BB275_8 Depth=1
	s_or_b32 exec_lo, exec_lo, s24
	v_dual_add_f32 v1, v25, v27 :: v_dual_add_nc_u32 v18, 1, v57
	v_mov_b32_e32 v19, v58
	s_waitcnt vmcnt(9)
	v_lshlrev_b32_e32 v23, 16, v41
	s_mov_b32 s24, exec_lo
	s_delay_alu instid0(VALU_DEP_2) | instskip(NEXT) | instid1(VALU_DEP_2)
	v_lshlrev_b64 v[18:19], 1, v[18:19]
	v_add_f32_e32 v1, v1, v23
	s_delay_alu instid0(VALU_DEP_1) | instskip(NEXT) | instid1(VALU_DEP_3)
	v_and_b32_e32 v23, 0x7f800000, v1
	v_add_co_u32 v18, vcc_lo, s12, v18
	s_delay_alu instid0(VALU_DEP_4)
	v_add_co_ci_u32_e32 v19, vcc_lo, s13, v19, vcc_lo
	global_store_d16_hi_b16 v[18:19], v0, off
                                        ; implicit-def: $vgpr0
	v_cmpx_ne_u32_e32 0x7f800000, v23
	s_xor_b32 s24, exec_lo, s24
; %bb.43:                               ;   in Loop: Header=BB275_8 Depth=1
	v_bfe_u32 v0, v1, 16, 1
	s_delay_alu instid0(VALU_DEP_1)
	v_add3_u32 v0, v1, v0, 0x7fff
                                        ; implicit-def: $vgpr1
; %bb.44:                               ;   in Loop: Header=BB275_8 Depth=1
	s_and_not1_saveexec_b32 s24, s24
; %bb.45:                               ;   in Loop: Header=BB275_8 Depth=1
	v_and_b32_e32 v0, 0xffff, v1
	v_or_b32_e32 v18, 0x10000, v1
	s_delay_alu instid0(VALU_DEP_2) | instskip(NEXT) | instid1(VALU_DEP_2)
	v_cmp_eq_u32_e32 vcc_lo, 0, v0
	v_cndmask_b32_e32 v0, v18, v1, vcc_lo
; %bb.46:                               ;   in Loop: Header=BB275_8 Depth=1
	s_or_b32 exec_lo, exec_lo, s24
	v_dual_add_f32 v1, v20, v22 :: v_dual_add_nc_u32 v18, 2, v57
	s_waitcnt vmcnt(8)
	v_dual_mov_b32 v19, v58 :: v_dual_lshlrev_b32 v20, 16, v39
	s_mov_b32 s24, exec_lo
	s_delay_alu instid0(VALU_DEP_1) | instskip(NEXT) | instid1(VALU_DEP_2)
	v_add_f32_e32 v1, v1, v20
	v_lshlrev_b64 v[18:19], 1, v[18:19]
	s_delay_alu instid0(VALU_DEP_2) | instskip(NEXT) | instid1(VALU_DEP_2)
	v_and_b32_e32 v20, 0x7f800000, v1
	v_add_co_u32 v18, vcc_lo, s12, v18
	s_delay_alu instid0(VALU_DEP_3)
	v_add_co_ci_u32_e32 v19, vcc_lo, s13, v19, vcc_lo
	global_store_d16_hi_b16 v[18:19], v0, off
                                        ; implicit-def: $vgpr0
	v_cmpx_ne_u32_e32 0x7f800000, v20
	s_xor_b32 s24, exec_lo, s24
; %bb.47:                               ;   in Loop: Header=BB275_8 Depth=1
	v_bfe_u32 v0, v1, 16, 1
	s_delay_alu instid0(VALU_DEP_1)
	v_add3_u32 v0, v1, v0, 0x7fff
                                        ; implicit-def: $vgpr1
; %bb.48:                               ;   in Loop: Header=BB275_8 Depth=1
	s_and_not1_saveexec_b32 s24, s24
; %bb.49:                               ;   in Loop: Header=BB275_8 Depth=1
	v_and_b32_e32 v0, 0xffff, v1
	v_or_b32_e32 v18, 0x10000, v1
	s_delay_alu instid0(VALU_DEP_2) | instskip(NEXT) | instid1(VALU_DEP_2)
	v_cmp_eq_u32_e32 vcc_lo, 0, v0
	v_cndmask_b32_e32 v0, v18, v1, vcc_lo
; %bb.50:                               ;   in Loop: Header=BB275_8 Depth=1
	s_or_b32 exec_lo, exec_lo, s24
	s_waitcnt vmcnt(7)
	v_dual_add_f32 v1, v16, v17 :: v_dual_lshlrev_b32 v18, 16, v40
	v_dual_mov_b32 v17, v58 :: v_dual_add_nc_u32 v16, 3, v57
	s_mov_b32 s24, exec_lo
	s_delay_alu instid0(VALU_DEP_2) | instskip(NEXT) | instid1(VALU_DEP_2)
	v_add_f32_e32 v1, v1, v18
	v_lshlrev_b64 v[16:17], 1, v[16:17]
	s_delay_alu instid0(VALU_DEP_2) | instskip(NEXT) | instid1(VALU_DEP_2)
	v_and_b32_e32 v18, 0x7f800000, v1
	v_add_co_u32 v16, vcc_lo, s12, v16
	s_delay_alu instid0(VALU_DEP_3)
	v_add_co_ci_u32_e32 v17, vcc_lo, s13, v17, vcc_lo
	global_store_d16_hi_b16 v[16:17], v0, off
                                        ; implicit-def: $vgpr16
	v_cmpx_ne_u32_e32 0x7f800000, v18
	s_xor_b32 s24, exec_lo, s24
; %bb.51:                               ;   in Loop: Header=BB275_8 Depth=1
	v_bfe_u32 v0, v1, 16, 1
	s_delay_alu instid0(VALU_DEP_1)
	v_add3_u32 v16, v1, v0, 0x7fff
                                        ; implicit-def: $vgpr1
; %bb.52:                               ;   in Loop: Header=BB275_8 Depth=1
	s_and_not1_saveexec_b32 s24, s24
; %bb.53:                               ;   in Loop: Header=BB275_8 Depth=1
	v_and_b32_e32 v0, 0xffff, v1
	v_or_b32_e32 v16, 0x10000, v1
	s_delay_alu instid0(VALU_DEP_2) | instskip(NEXT) | instid1(VALU_DEP_2)
	v_cmp_eq_u32_e32 vcc_lo, 0, v0
	v_cndmask_b32_e32 v16, v16, v1, vcc_lo
; %bb.54:                               ;   in Loop: Header=BB275_8 Depth=1
	s_or_b32 exec_lo, exec_lo, s24
	s_waitcnt vmcnt(6)
	v_dual_add_f32 v0, v12, v13 :: v_dual_lshlrev_b32 v1, 16, v38
	v_add_nc_u32_e32 v57, s7, v57
	s_delay_alu instid0(VALU_DEP_2) | instskip(NEXT) | instid1(VALU_DEP_2)
	v_add_f32_e32 v12, v0, v1
	v_lshlrev_b64 v[0:1], 1, v[57:58]
	s_delay_alu instid0(VALU_DEP_2) | instskip(NEXT) | instid1(VALU_DEP_2)
	v_and_b32_e32 v13, 0x7f800000, v12
	v_add_co_u32 v0, vcc_lo, s12, v0
	s_delay_alu instid0(VALU_DEP_3) | instskip(NEXT) | instid1(VALU_DEP_3)
	v_add_co_ci_u32_e32 v1, vcc_lo, s13, v1, vcc_lo
	v_cmp_ne_u32_e32 vcc_lo, 0x7f800000, v13
                                        ; implicit-def: $vgpr13
	global_store_d16_hi_b16 v[0:1], v16, off
	s_and_saveexec_b32 s24, vcc_lo
	s_delay_alu instid0(SALU_CYCLE_1)
	s_xor_b32 s24, exec_lo, s24
; %bb.55:                               ;   in Loop: Header=BB275_8 Depth=1
	v_bfe_u32 v13, v12, 16, 1
	s_delay_alu instid0(VALU_DEP_1)
	v_add3_u32 v13, v12, v13, 0x7fff
                                        ; implicit-def: $vgpr12
; %bb.56:                               ;   in Loop: Header=BB275_8 Depth=1
	s_and_not1_saveexec_b32 s24, s24
; %bb.57:                               ;   in Loop: Header=BB275_8 Depth=1
	v_and_b32_e32 v13, 0xffff, v12
	v_or_b32_e32 v16, 0x10000, v12
	s_delay_alu instid0(VALU_DEP_2) | instskip(NEXT) | instid1(VALU_DEP_2)
	v_cmp_eq_u32_e32 vcc_lo, 0, v13
	v_cndmask_b32_e32 v13, v16, v12, vcc_lo
; %bb.58:                               ;   in Loop: Header=BB275_8 Depth=1
	s_or_b32 exec_lo, exec_lo, s24
	v_add_f32_e32 v8, v8, v9
	s_waitcnt vmcnt(5)
	v_lshlrev_b32_e32 v9, 16, v37
	s_mov_b32 s24, exec_lo
	global_store_d16_hi_b16 v[0:1], v13, off offset:2
                                        ; implicit-def: $vgpr0
	v_add_f32_e32 v8, v8, v9
	s_delay_alu instid0(VALU_DEP_1) | instskip(NEXT) | instid1(VALU_DEP_1)
	v_and_b32_e32 v9, 0x7f800000, v8
	v_cmpx_ne_u32_e32 0x7f800000, v9
	s_xor_b32 s24, exec_lo, s24
; %bb.59:                               ;   in Loop: Header=BB275_8 Depth=1
	v_bfe_u32 v0, v8, 16, 1
	s_delay_alu instid0(VALU_DEP_1)
	v_add3_u32 v0, v8, v0, 0x7fff
                                        ; implicit-def: $vgpr8
; %bb.60:                               ;   in Loop: Header=BB275_8 Depth=1
	s_and_not1_saveexec_b32 s24, s24
; %bb.61:                               ;   in Loop: Header=BB275_8 Depth=1
	v_and_b32_e32 v0, 0xffff, v8
	v_or_b32_e32 v1, 0x10000, v8
	s_delay_alu instid0(VALU_DEP_2) | instskip(NEXT) | instid1(VALU_DEP_2)
	v_cmp_eq_u32_e32 vcc_lo, 0, v0
	v_cndmask_b32_e32 v0, v1, v8, vcc_lo
; %bb.62:                               ;   in Loop: Header=BB275_8 Depth=1
	s_or_b32 exec_lo, exec_lo, s24
	v_dual_add_f32 v1, v14, v15 :: v_dual_add_nc_u32 v8, 2, v57
	s_waitcnt vmcnt(4)
	v_dual_mov_b32 v9, v58 :: v_dual_lshlrev_b32 v12, 16, v36
	s_mov_b32 s24, exec_lo
	s_delay_alu instid0(VALU_DEP_1) | instskip(NEXT) | instid1(VALU_DEP_2)
	v_add_f32_e32 v1, v1, v12
	v_lshlrev_b64 v[8:9], 1, v[8:9]
	s_delay_alu instid0(VALU_DEP_2) | instskip(NEXT) | instid1(VALU_DEP_2)
	v_and_b32_e32 v12, 0x7f800000, v1
	v_add_co_u32 v8, vcc_lo, s12, v8
	s_delay_alu instid0(VALU_DEP_3)
	v_add_co_ci_u32_e32 v9, vcc_lo, s13, v9, vcc_lo
	global_store_d16_hi_b16 v[8:9], v0, off
                                        ; implicit-def: $vgpr0
	v_cmpx_ne_u32_e32 0x7f800000, v12
	s_xor_b32 s24, exec_lo, s24
; %bb.63:                               ;   in Loop: Header=BB275_8 Depth=1
	v_bfe_u32 v0, v1, 16, 1
	s_delay_alu instid0(VALU_DEP_1)
	v_add3_u32 v0, v1, v0, 0x7fff
                                        ; implicit-def: $vgpr1
; %bb.64:                               ;   in Loop: Header=BB275_8 Depth=1
	s_and_not1_saveexec_b32 s24, s24
; %bb.65:                               ;   in Loop: Header=BB275_8 Depth=1
	v_and_b32_e32 v0, 0xffff, v1
	v_or_b32_e32 v8, 0x10000, v1
	s_delay_alu instid0(VALU_DEP_2) | instskip(NEXT) | instid1(VALU_DEP_2)
	v_cmp_eq_u32_e32 vcc_lo, 0, v0
	v_cndmask_b32_e32 v0, v8, v1, vcc_lo
; %bb.66:                               ;   in Loop: Header=BB275_8 Depth=1
	s_or_b32 exec_lo, exec_lo, s24
	v_dual_add_f32 v1, v10, v11 :: v_dual_add_nc_u32 v8, 3, v57
	s_waitcnt vmcnt(3)
	v_dual_mov_b32 v9, v58 :: v_dual_lshlrev_b32 v10, 16, v33
	s_mov_b32 s24, exec_lo
	s_delay_alu instid0(VALU_DEP_1) | instskip(NEXT) | instid1(VALU_DEP_2)
	v_add_f32_e32 v1, v1, v10
	v_lshlrev_b64 v[8:9], 1, v[8:9]
	s_delay_alu instid0(VALU_DEP_2) | instskip(NEXT) | instid1(VALU_DEP_2)
	v_and_b32_e32 v10, 0x7f800000, v1
	v_add_co_u32 v8, vcc_lo, s12, v8
	s_delay_alu instid0(VALU_DEP_3)
	v_add_co_ci_u32_e32 v9, vcc_lo, s13, v9, vcc_lo
	global_store_d16_hi_b16 v[8:9], v0, off
                                        ; implicit-def: $vgpr0
	v_cmpx_ne_u32_e32 0x7f800000, v10
	s_xor_b32 s24, exec_lo, s24
; %bb.67:                               ;   in Loop: Header=BB275_8 Depth=1
	v_bfe_u32 v0, v1, 16, 1
	s_delay_alu instid0(VALU_DEP_1)
	v_add3_u32 v0, v1, v0, 0x7fff
                                        ; implicit-def: $vgpr1
; %bb.68:                               ;   in Loop: Header=BB275_8 Depth=1
	s_and_not1_saveexec_b32 s24, s24
; %bb.69:                               ;   in Loop: Header=BB275_8 Depth=1
	v_and_b32_e32 v0, 0xffff, v1
	v_or_b32_e32 v8, 0x10000, v1
	s_delay_alu instid0(VALU_DEP_2) | instskip(NEXT) | instid1(VALU_DEP_2)
	v_cmp_eq_u32_e32 vcc_lo, 0, v0
	v_cndmask_b32_e32 v0, v8, v1, vcc_lo
; %bb.70:                               ;   in Loop: Header=BB275_8 Depth=1
	s_or_b32 exec_lo, exec_lo, s24
	s_waitcnt vmcnt(2)
	v_dual_add_f32 v1, v6, v7 :: v_dual_lshlrev_b32 v6, 16, v30
	v_add_nc_u32_e32 v57, s7, v57
	s_mov_b32 s24, exec_lo
	s_delay_alu instid0(VALU_DEP_2) | instskip(NEXT) | instid1(VALU_DEP_2)
	v_add_f32_e32 v1, v1, v6
	v_lshlrev_b64 v[6:7], 1, v[57:58]
	s_delay_alu instid0(VALU_DEP_2) | instskip(NEXT) | instid1(VALU_DEP_2)
	v_and_b32_e32 v8, 0x7f800000, v1
	v_add_co_u32 v6, vcc_lo, s12, v6
	s_delay_alu instid0(VALU_DEP_3)
	v_add_co_ci_u32_e32 v7, vcc_lo, s13, v7, vcc_lo
	global_store_d16_hi_b16 v[6:7], v0, off
                                        ; implicit-def: $vgpr0
	v_cmpx_ne_u32_e32 0x7f800000, v8
	s_xor_b32 s24, exec_lo, s24
; %bb.71:                               ;   in Loop: Header=BB275_8 Depth=1
	v_bfe_u32 v0, v1, 16, 1
	s_delay_alu instid0(VALU_DEP_1)
	v_add3_u32 v0, v1, v0, 0x7fff
                                        ; implicit-def: $vgpr1
; %bb.72:                               ;   in Loop: Header=BB275_8 Depth=1
	s_and_not1_saveexec_b32 s24, s24
; %bb.73:                               ;   in Loop: Header=BB275_8 Depth=1
	v_and_b32_e32 v0, 0xffff, v1
	v_or_b32_e32 v6, 0x10000, v1
	s_delay_alu instid0(VALU_DEP_2) | instskip(NEXT) | instid1(VALU_DEP_2)
	v_cmp_eq_u32_e32 vcc_lo, 0, v0
	v_cndmask_b32_e32 v0, v6, v1, vcc_lo
; %bb.74:                               ;   in Loop: Header=BB275_8 Depth=1
	s_or_b32 exec_lo, exec_lo, s24
	s_waitcnt vmcnt(1)
	v_dual_add_f32 v1, v4, v5 :: v_dual_lshlrev_b32 v6, 16, v26
	v_dual_mov_b32 v5, v58 :: v_dual_add_nc_u32 v4, 1, v57
	s_mov_b32 s24, exec_lo
	s_delay_alu instid0(VALU_DEP_2) | instskip(NEXT) | instid1(VALU_DEP_2)
	v_add_f32_e32 v1, v1, v6
	v_lshlrev_b64 v[4:5], 1, v[4:5]
	s_delay_alu instid0(VALU_DEP_2) | instskip(NEXT) | instid1(VALU_DEP_2)
	v_and_b32_e32 v6, 0x7f800000, v1
	v_add_co_u32 v4, vcc_lo, s12, v4
	s_delay_alu instid0(VALU_DEP_3)
	v_add_co_ci_u32_e32 v5, vcc_lo, s13, v5, vcc_lo
	global_store_d16_hi_b16 v[4:5], v0, off
                                        ; implicit-def: $vgpr0
	v_cmpx_ne_u32_e32 0x7f800000, v6
	s_xor_b32 s24, exec_lo, s24
; %bb.75:                               ;   in Loop: Header=BB275_8 Depth=1
	v_bfe_u32 v0, v1, 16, 1
	s_delay_alu instid0(VALU_DEP_1)
	v_add3_u32 v0, v1, v0, 0x7fff
                                        ; implicit-def: $vgpr1
; %bb.76:                               ;   in Loop: Header=BB275_8 Depth=1
	s_and_not1_saveexec_b32 s24, s24
; %bb.77:                               ;   in Loop: Header=BB275_8 Depth=1
	v_and_b32_e32 v0, 0xffff, v1
	v_or_b32_e32 v4, 0x10000, v1
	s_delay_alu instid0(VALU_DEP_2) | instskip(NEXT) | instid1(VALU_DEP_2)
	v_cmp_eq_u32_e32 vcc_lo, 0, v0
	v_cndmask_b32_e32 v0, v4, v1, vcc_lo
; %bb.78:                               ;   in Loop: Header=BB275_8 Depth=1
	s_or_b32 exec_lo, exec_lo, s24
	v_dual_add_f32 v1, v2, v3 :: v_dual_add_nc_u32 v2, 2, v57
	s_waitcnt vmcnt(0)
	v_dual_mov_b32 v3, v58 :: v_dual_lshlrev_b32 v4, 16, v21
	s_mov_b32 s24, exec_lo
	s_delay_alu instid0(VALU_DEP_1) | instskip(NEXT) | instid1(VALU_DEP_2)
	v_add_f32_e32 v1, v1, v4
	v_lshlrev_b64 v[2:3], 1, v[2:3]
	s_delay_alu instid0(VALU_DEP_2) | instskip(NEXT) | instid1(VALU_DEP_2)
	v_and_b32_e32 v4, 0x7f800000, v1
	v_add_co_u32 v2, vcc_lo, s12, v2
	s_delay_alu instid0(VALU_DEP_3)
	v_add_co_ci_u32_e32 v3, vcc_lo, s13, v3, vcc_lo
	global_store_d16_hi_b16 v[2:3], v0, off
                                        ; implicit-def: $vgpr0
	v_cmpx_ne_u32_e32 0x7f800000, v4
	s_xor_b32 s24, exec_lo, s24
; %bb.79:                               ;   in Loop: Header=BB275_8 Depth=1
	v_bfe_u32 v0, v1, 16, 1
	s_delay_alu instid0(VALU_DEP_1)
	v_add3_u32 v0, v1, v0, 0x7fff
                                        ; implicit-def: $vgpr1
; %bb.80:                               ;   in Loop: Header=BB275_8 Depth=1
	s_and_not1_saveexec_b32 s24, s24
	s_cbranch_execz .LBB275_6
; %bb.81:                               ;   in Loop: Header=BB275_8 Depth=1
	v_and_b32_e32 v0, 0xffff, v1
	v_or_b32_e32 v2, 0x10000, v1
	s_delay_alu instid0(VALU_DEP_2) | instskip(NEXT) | instid1(VALU_DEP_2)
	v_cmp_eq_u32_e32 vcc_lo, 0, v0
	v_cndmask_b32_e32 v0, v2, v1, vcc_lo
	s_branch .LBB275_6
.LBB275_82:
	s_nop 0
	s_sendmsg sendmsg(MSG_DEALLOC_VGPRS)
	s_endpgm
	.section	.rodata,"a",@progbits
	.p2align	6, 0x0
	.amdhsa_kernel _Z16wvSplitK_hf_sml_I14__hip_bfloat16Li64ELi4ELi16ELi8ELi2ELi4EEviiiiiiPKT_S3_S3_PS1_ii
		.amdhsa_group_segment_fixed_size 65536
		.amdhsa_private_segment_fixed_size 0
		.amdhsa_kernarg_size 64
		.amdhsa_user_sgpr_count 15
		.amdhsa_user_sgpr_dispatch_ptr 0
		.amdhsa_user_sgpr_queue_ptr 0
		.amdhsa_user_sgpr_kernarg_segment_ptr 1
		.amdhsa_user_sgpr_dispatch_id 0
		.amdhsa_user_sgpr_private_segment_size 0
		.amdhsa_wavefront_size32 1
		.amdhsa_uses_dynamic_stack 0
		.amdhsa_enable_private_segment 0
		.amdhsa_system_sgpr_workgroup_id_x 1
		.amdhsa_system_sgpr_workgroup_id_y 0
		.amdhsa_system_sgpr_workgroup_id_z 0
		.amdhsa_system_sgpr_workgroup_info 0
		.amdhsa_system_vgpr_workitem_id 1
		.amdhsa_next_free_vgpr 116
		.amdhsa_next_free_sgpr 26
		.amdhsa_reserve_vcc 1
		.amdhsa_float_round_mode_32 0
		.amdhsa_float_round_mode_16_64 0
		.amdhsa_float_denorm_mode_32 3
		.amdhsa_float_denorm_mode_16_64 3
		.amdhsa_dx10_clamp 1
		.amdhsa_ieee_mode 1
		.amdhsa_fp16_overflow 0
		.amdhsa_workgroup_processor_mode 1
		.amdhsa_memory_ordered 1
		.amdhsa_forward_progress 0
		.amdhsa_shared_vgpr_count 0
		.amdhsa_exception_fp_ieee_invalid_op 0
		.amdhsa_exception_fp_denorm_src 0
		.amdhsa_exception_fp_ieee_div_zero 0
		.amdhsa_exception_fp_ieee_overflow 0
		.amdhsa_exception_fp_ieee_underflow 0
		.amdhsa_exception_fp_ieee_inexact 0
		.amdhsa_exception_int_div_zero 0
	.end_amdhsa_kernel
	.section	.text._Z16wvSplitK_hf_sml_I14__hip_bfloat16Li64ELi4ELi16ELi8ELi2ELi4EEviiiiiiPKT_S3_S3_PS1_ii,"axG",@progbits,_Z16wvSplitK_hf_sml_I14__hip_bfloat16Li64ELi4ELi16ELi8ELi2ELi4EEviiiiiiPKT_S3_S3_PS1_ii,comdat
.Lfunc_end275:
	.size	_Z16wvSplitK_hf_sml_I14__hip_bfloat16Li64ELi4ELi16ELi8ELi2ELi4EEviiiiiiPKT_S3_S3_PS1_ii, .Lfunc_end275-_Z16wvSplitK_hf_sml_I14__hip_bfloat16Li64ELi4ELi16ELi8ELi2ELi4EEviiiiiiPKT_S3_S3_PS1_ii
                                        ; -- End function
	.section	.AMDGPU.csdata,"",@progbits
; Kernel info:
; codeLenInByte = 8692
; NumSgprs: 28
; NumVgprs: 116
; ScratchSize: 0
; MemoryBound: 0
; FloatMode: 240
; IeeeMode: 1
; LDSByteSize: 65536 bytes/workgroup (compile time only)
; SGPRBlocks: 3
; VGPRBlocks: 14
; NumSGPRsForWavesPerEU: 28
; NumVGPRsForWavesPerEU: 116
; Occupancy: 12
; WaveLimiterHint : 0
; COMPUTE_PGM_RSRC2:SCRATCH_EN: 0
; COMPUTE_PGM_RSRC2:USER_SGPR: 15
; COMPUTE_PGM_RSRC2:TRAP_HANDLER: 0
; COMPUTE_PGM_RSRC2:TGID_X_EN: 1
; COMPUTE_PGM_RSRC2:TGID_Y_EN: 0
; COMPUTE_PGM_RSRC2:TGID_Z_EN: 0
; COMPUTE_PGM_RSRC2:TIDIG_COMP_CNT: 1
	.section	.text._Z12wvSplitK_hf_I14__hip_bfloat16Li64ELi4ELi16ELi8ELi2ELi4EEviiiiiiPKT_S3_S3_PS1_ii,"axG",@progbits,_Z12wvSplitK_hf_I14__hip_bfloat16Li64ELi4ELi16ELi8ELi2ELi4EEviiiiiiPKT_S3_S3_PS1_ii,comdat
	.protected	_Z12wvSplitK_hf_I14__hip_bfloat16Li64ELi4ELi16ELi8ELi2ELi4EEviiiiiiPKT_S3_S3_PS1_ii ; -- Begin function _Z12wvSplitK_hf_I14__hip_bfloat16Li64ELi4ELi16ELi8ELi2ELi4EEviiiiiiPKT_S3_S3_PS1_ii
	.globl	_Z12wvSplitK_hf_I14__hip_bfloat16Li64ELi4ELi16ELi8ELi2ELi4EEviiiiiiPKT_S3_S3_PS1_ii
	.p2align	8
	.type	_Z12wvSplitK_hf_I14__hip_bfloat16Li64ELi4ELi16ELi8ELi2ELi4EEviiiiiiPKT_S3_S3_PS1_ii,@function
_Z12wvSplitK_hf_I14__hip_bfloat16Li64ELi4ELi16ELi8ELi2ELi4EEviiiiiiPKT_S3_S3_PS1_ii: ; @_Z12wvSplitK_hf_I14__hip_bfloat16Li64ELi4ELi16ELi8ELi2ELi4EEviiiiiiPKT_S3_S3_PS1_ii
; %bb.0:
	s_clause 0x1
	s_load_b64 s[20:21], s[0:1], 0x38
	s_load_b128 s[8:11], s[0:1], 0x0
	v_bfe_u32 v7, v0, 10, 10
	s_clause 0x1
	s_load_b64 s[12:13], s[0:1], 0x20
	s_load_b64 s[16:17], s[0:1], 0x10
	s_mov_b32 s4, 1
	s_delay_alu instid0(SALU_CYCLE_1) | instskip(SKIP_4) | instid1(SALU_CYCLE_1)
	s_mov_b32 s5, s4
	s_mov_b32 s6, s4
	;; [unrolled: 1-line block ×3, first 2 shown]
	s_waitcnt lgkmcnt(0)
	s_mul_i32 s15, s15, s20
	v_add_lshl_u32 v69, s15, v7, 2
	s_delay_alu instid0(VALU_DEP_1) | instskip(SKIP_1) | instid1(VALU_DEP_2)
	v_add_nc_u32_e32 v1, 4, v69
	v_cmp_gt_u32_e32 vcc_lo, s11, v69
	v_cmp_le_u32_e64 s2, s11, v1
	v_dual_mov_b32 v1, s4 :: v_dual_mov_b32 v4, s7
	v_dual_mov_b32 v2, s5 :: v_dual_mov_b32 v3, s6
	s_delay_alu instid0(VALU_DEP_3) | instskip(NEXT) | instid1(SALU_CYCLE_1)
	s_and_b32 s2, vcc_lo, s2
	s_and_saveexec_b32 s14, s2
	s_cbranch_execz .LBB276_6
; %bb.1:
	v_dual_mov_b32 v1, s4 :: v_dual_mov_b32 v2, s5
	v_dual_mov_b32 v3, s6 :: v_dual_mov_b32 v4, s7
	s_add_i32 s15, s11, -4
	s_mov_b32 s18, exec_lo
	v_cmpx_ne_u32_e64 s15, v69
	s_cbranch_execz .LBB276_5
; %bb.2:
	v_subrev_nc_u32_e32 v1, s15, v69
	s_mov_b32 s19, 0
	s_mov_b64 s[2:3], 0
	s_mov_b32 s5, s4
	s_mov_b32 s6, s4
	v_cmp_lt_u32_e32 vcc_lo, 1, v1
	s_mov_b32 s7, s4
	v_cndmask_b32_e32 v5, 1, v1, vcc_lo
	.p2align	6
.LBB276_3:                              ; =>This Inner Loop Header: Depth=1
	s_cmp_lg_u32 s2, 3
	s_cselect_b32 s7, s7, 0
	s_cmp_lg_u32 s2, 2
	s_cselect_b32 s6, s6, 0
	;; [unrolled: 2-line block ×4, first 2 shown]
	s_add_u32 s2, s2, 1
	v_dual_mov_b32 v1, s4 :: v_dual_mov_b32 v2, s5
	v_cmp_eq_u32_e32 vcc_lo, s2, v5
	v_dual_mov_b32 v3, s6 :: v_dual_mov_b32 v4, s7
	s_addc_u32 s3, s3, 0
	s_or_b32 s19, vcc_lo, s19
	s_delay_alu instid0(SALU_CYCLE_1)
	s_and_not1_b32 exec_lo, exec_lo, s19
	s_cbranch_execnz .LBB276_3
; %bb.4:
	s_or_b32 exec_lo, exec_lo, s19
	v_mov_b32_e32 v69, s15
.LBB276_5:
	s_or_b32 exec_lo, exec_lo, s18
.LBB276_6:
	s_delay_alu instid0(SALU_CYCLE_1)
	s_or_b32 exec_lo, exec_lo, s14
	s_load_b64 s[6:7], s[0:1], 0x28
	v_and_b32_e32 v8, 0x3ff, v0
	s_lshl_b32 s22, s10, 2
	s_mov_b32 s4, exec_lo
	s_min_u32 s3, s22, 0x8000
	s_delay_alu instid0(VALU_DEP_1) | instskip(NEXT) | instid1(VALU_DEP_1)
	v_lshlrev_b32_e32 v0, 3, v8
	v_lshl_add_u32 v9, v7, 9, v0
	s_delay_alu instid0(VALU_DEP_1)
	v_cmpx_gt_u32_e64 s3, v9
	s_cbranch_execz .LBB276_9
; %bb.7:
	v_lshlrev_b32_e32 v10, 10, v7
	v_lshlrev_b32_e32 v11, 4, v8
	s_mov_b32 s5, 0
	s_delay_alu instid0(VALU_DEP_1) | instskip(NEXT) | instid1(VALU_DEP_1)
	v_add_co_u32 v5, s2, v10, v11
	v_add_co_ci_u32_e64 v6, null, 0, 0, s2
	v_add_nc_u32_e32 v10, v10, v11
	s_delay_alu instid0(VALU_DEP_3) | instskip(NEXT) | instid1(VALU_DEP_3)
	v_add_co_u32 v5, vcc_lo, s12, v5
	v_add_co_ci_u32_e32 v6, vcc_lo, s13, v6, vcc_lo
	.p2align	6
.LBB276_8:                              ; =>This Inner Loop Header: Depth=1
	global_load_b128 v[11:14], v[5:6], off
	v_add_nc_u32_e32 v9, 0x2000, v9
	v_add_co_u32 v5, vcc_lo, 0x4000, v5
	v_add_co_ci_u32_e32 v6, vcc_lo, 0, v6, vcc_lo
	s_delay_alu instid0(VALU_DEP_3) | instskip(NEXT) | instid1(VALU_DEP_1)
	v_cmp_le_u32_e64 s2, s3, v9
	s_or_b32 s5, s2, s5
	s_waitcnt vmcnt(0)
	ds_store_b128 v10, v[11:14]
	v_add_nc_u32_e32 v10, 0x4000, v10
	s_and_not1_b32 exec_lo, exec_lo, s5
	s_cbranch_execnz .LBB276_8
.LBB276_9:
	s_or_b32 exec_lo, exec_lo, s4
	v_cmp_gt_u32_e32 vcc_lo, s20, v7
	v_cmp_gt_u32_e64 s2, s11, v69
	s_waitcnt lgkmcnt(0)
	s_barrier
	buffer_gl0_inv
	s_and_b32 s2, vcc_lo, s2
	s_delay_alu instid0(SALU_CYCLE_1)
	s_and_saveexec_b32 s3, s2
	s_cbranch_execz .LBB276_156
; %bb.10:
	s_cmp_lg_u32 s8, 0
	s_clause 0x1
	s_load_b64 s[14:15], s[0:1], 0x18
	s_load_b64 s[18:19], s[0:1], 0x30
	s_cselect_b32 s23, -1, 0
	s_add_i32 s24, s8, -8
	s_add_i32 s25, s11, -1
	s_cmp_lg_u64 s[6:7], 0
	s_mul_i32 s1, s20, s21
	s_cselect_b32 s26, -1, 0
	s_abs_i32 s2, s17
	v_mbcnt_lo_u32_b32 v6, -1, 0
	v_cvt_f32_u32_e32 v5, s2
	v_cvt_f32_u32_e32 v7, s16
	s_lshl_b32 s20, s1, 2
	s_sub_i32 s1, 0, s2
	s_add_i32 s21, s11, -4
	v_rcp_iflag_f32_e32 v5, v5
	s_sub_i32 s4, 0, s16
	s_sub_i32 s5, 1, s2
	v_mad_u64_u32 v[72:73], null, s10, 3, v[0:1]
	v_cmp_eq_u32_e64 s0, 63, v8
	v_add_nc_u32_e32 v91, s10, v0
	v_lshlrev_b32_e32 v90, 4, v8
	s_mov_b32 s17, 0
	s_waitcnt_depctr 0xfff
	v_mul_f32_e32 v5, 0x4f7ffffe, v5
	s_delay_alu instid0(VALU_DEP_1) | instskip(NEXT) | instid1(VALU_DEP_1)
	v_cvt_u32_f32_e32 v5, v5
	v_readfirstlane_b32 s3, v5
	v_rcp_iflag_f32_e32 v5, v7
	v_xor_b32_e32 v7, 16, v6
	s_delay_alu instid0(VALU_DEP_2) | instskip(NEXT) | instid1(SALU_CYCLE_1)
	s_mul_i32 s1, s1, s3
	s_mul_hi_u32 s1, s3, s1
	s_delay_alu instid0(VALU_DEP_1)
	v_cmp_gt_i32_e32 vcc_lo, 32, v7
	s_add_i32 s3, s3, s1
	s_cmp_lt_u32 s2, 2
	v_mov_b32_e32 v71, 0
	s_cselect_b32 s1, s5, 1
	v_cndmask_b32_e32 v6, v6, v7, vcc_lo
	s_sub_i32 s5, s1, s2
	s_cmp_ge_u32 s1, s2
	s_waitcnt_depctr 0xfff
	v_mul_f32_e32 v5, 0x4f7ffffe, v5
	s_cselect_b32 s28, s5, s1
	v_lshlrev_b32_e32 v92, 2, v6
	s_lshr_b32 s1, s3, 31
	s_mul_hi_u32 s3, s3, 3
	s_mul_i32 s1, s1, s2
	v_cvt_u32_f32_e32 v5, v5
	s_sub_i32 s1, 2, s1
	s_mul_i32 s3, s3, s2
	s_sub_i32 s5, s1, s2
	s_cmp_ge_u32 s1, s2
	v_mul_lo_u32 v7, s4, v5
	s_cselect_b32 s1, s5, s1
	s_mul_i32 s28, s28, s16
	s_sub_i32 s4, s1, s2
	s_cmp_ge_u32 s1, s2
	s_cselect_b32 s29, s4, s1
	s_sub_i32 s1, 3, s3
	s_delay_alu instid0(VALU_DEP_1) | instskip(SKIP_4) | instid1(SALU_CYCLE_1)
	v_mul_hi_u32 v7, v5, v7
	s_sub_i32 s3, s1, s2
	s_cmp_ge_u32 s1, s2
	s_mul_i32 s29, s29, s16
	s_cselect_b32 s1, s3, s1
	s_sub_i32 s3, s1, s2
	s_cmp_ge_u32 s1, s2
	s_delay_alu instid0(VALU_DEP_1)
	v_add_nc_u32_e32 v93, v5, v7
	s_cselect_b32 s30, s3, s1
	s_lshl_b32 s27, s10, 1
	s_mul_i32 s30, s30, s16
	v_add_nc_u32_e32 v94, s27, v0
	s_mul_i32 s10, s10, 6
	s_branch .LBB276_13
.LBB276_11:                             ;   in Loop: Header=BB276_13 Depth=1
	s_or_b32 exec_lo, exec_lo, s33
	v_mov_b32_e32 v69, s21
.LBB276_12:                             ;   in Loop: Header=BB276_13 Depth=1
	s_or_b32 exec_lo, exec_lo, s31
	s_delay_alu instid0(VALU_DEP_1) | instskip(SKIP_1) | instid1(SALU_CYCLE_1)
	v_cmp_le_u32_e32 vcc_lo, s11, v69
	s_or_b32 s17, vcc_lo, s17
	s_and_not1_b32 exec_lo, exec_lo, s17
	s_cbranch_execz .LBB276_156
.LBB276_13:                             ; =>This Loop Header: Depth=1
                                        ;     Child Loop BB276_18 Depth 2
                                        ;     Child Loop BB276_154 Depth 2
	v_dual_mov_b32 v96, v71 :: v_dual_add_nc_u32 v75, 1, v69
	v_dual_mov_b32 v95, v71 :: v_dual_add_nc_u32 v74, 2, v69
	;; [unrolled: 1-line block ×3, first 2 shown]
	v_mov_b32_e32 v97, v71
	v_mov_b32_e32 v102, v71
	;; [unrolled: 1-line block ×13, first 2 shown]
	s_and_not1_b32 vcc_lo, exec_lo, s23
	s_cbranch_vccnz .LBB276_52
; %bb.14:                               ;   in Loop: Header=BB276_13 Depth=1
	v_min_u32_e32 v5, s25, v69
	s_waitcnt lgkmcnt(0)
	v_min_u32_e32 v6, s25, v75
	v_min_u32_e32 v7, s25, v74
	;; [unrolled: 1-line block ×3, first 2 shown]
	v_dual_mov_b32 v10, v71 :: v_dual_mov_b32 v107, 0
	v_mul_lo_u32 v70, v5, s9
	v_mul_lo_u32 v5, v6, s9
	;; [unrolled: 1-line block ×4, first 2 shown]
	v_dual_mov_b32 v6, v71 :: v_dual_mov_b32 v103, v90
	v_dual_mov_b32 v8, v71 :: v_dual_mov_b32 v109, 0
	v_lshlrev_b64 v[76:77], 1, v[70:71]
	s_delay_alu instid0(VALU_DEP_3) | instskip(SKIP_1) | instid1(VALU_DEP_4)
	v_lshlrev_b64 v[78:79], 1, v[5:6]
	v_dual_mov_b32 v106, 0 :: v_dual_mov_b32 v111, 0
	v_lshlrev_b64 v[80:81], 1, v[7:8]
	v_lshlrev_b64 v[82:83], 1, v[9:10]
	v_dual_mov_b32 v108, 0 :: v_dual_mov_b32 v105, 0
	v_dual_mov_b32 v110, 0 :: v_dual_mov_b32 v101, 0
	;; [unrolled: 1-line block ×5, first 2 shown]
	v_mov_b32_e32 v98, 0
	v_mov_b32_e32 v96, 0
	s_mov_b32 s1, 0
	s_branch .LBB276_18
.LBB276_15:                             ;   in Loop: Header=BB276_18 Depth=2
	s_or_b32 exec_lo, exec_lo, s4
.LBB276_16:                             ;   in Loop: Header=BB276_18 Depth=2
	s_delay_alu instid0(SALU_CYCLE_1)
	s_or_b32 exec_lo, exec_lo, s3
.LBB276_17:                             ;   in Loop: Header=BB276_18 Depth=2
	s_delay_alu instid0(SALU_CYCLE_1)
	s_or_b32 exec_lo, exec_lo, s2
	s_waitcnt vmcnt(0) lgkmcnt(0)
	v_lshlrev_b32_e32 v118, 16, v62
	v_lshlrev_b32_e32 v116, 16, v61
	v_and_b32_e32 v117, 0xffff0000, v62
	v_and_b32_e32 v119, 0xffff0000, v63
	;; [unrolled: 1-line block ×5, first 2 shown]
	v_lshlrev_b32_e32 v120, 16, v63
	s_delay_alu instid0(VALU_DEP_4) | instskip(SKIP_1) | instid1(VALU_DEP_4)
	v_dual_mul_f32 v86, v119, v62 :: v_dual_lshlrev_b32 v59, 16, v59
	v_and_b32_e32 v61, 0xffff0000, v58
	v_dual_mul_f32 v84, v115, v70 :: v_dual_lshlrev_b32 v57, 16, v57
	v_lshlrev_b32_e32 v58, 16, v58
	s_delay_alu instid0(VALU_DEP_3)
	v_dual_fmac_f32 v86, v120, v59 :: v_dual_mul_f32 v85, v117, v61
	v_lshlrev_b32_e32 v128, 16, v65
	v_lshlrev_b32_e32 v132, 16, v67
	s_addk_i32 s1, 0x400
	v_and_b32_e32 v113, 0xffff0000, v45
	v_dual_fmac_f32 v85, v118, v58 :: v_dual_fmac_f32 v84, v116, v57
	s_cmp_ge_u32 s1, s8
	v_and_b32_e32 v127, 0xffff0000, v65
	s_delay_alu instid0(VALU_DEP_3)
	v_mul_f32_e32 v126, v115, v113
	v_lshlrev_b32_e32 v65, 16, v41
	v_dual_add_f32 v63, v106, v84 :: v_dual_and_b32 v84, 0xffff0000, v53
	v_and_b32_e32 v131, 0xffff0000, v67
	v_and_b32_e32 v67, 0xffff0000, v33
	v_lshlrev_b32_e32 v33, 16, v33
	s_delay_alu instid0(VALU_DEP_4) | instskip(SKIP_2) | instid1(VALU_DEP_3)
	v_add_f32_e32 v87, v63, v85
	v_dual_mul_f32 v88, v115, v84 :: v_dual_lshlrev_b32 v63, 16, v53
	v_and_b32_e32 v85, 0xffff0000, v54
	v_dual_add_f32 v86, v87, v86 :: v_dual_lshlrev_b32 v121, 16, v64
	s_delay_alu instid0(VALU_DEP_3) | instskip(NEXT) | instid1(VALU_DEP_3)
	v_dual_fmac_f32 v88, v116, v63 :: v_dual_and_b32 v133, 0xffff0000, v68
	v_mul_f32_e32 v89, v117, v85
	s_delay_alu instid0(VALU_DEP_2) | instskip(SKIP_1) | instid1(VALU_DEP_1)
	v_dual_add_f32 v88, v109, v88 :: v_dual_add_nc_u32 v103, 0x800, v103
	v_lshlrev_b32_e32 v53, 16, v54
	v_dual_fmac_f32 v89, v118, v53 :: v_dual_and_b32 v106, 0xffff0000, v64
	s_delay_alu instid0(VALU_DEP_1) | instskip(SKIP_4) | instid1(VALU_DEP_3)
	v_add_f32_e32 v88, v88, v89
	v_and_b32_e32 v64, 0xffff0000, v60
	v_and_b32_e32 v89, 0xffff0000, v50
	v_lshlrev_b32_e32 v54, 16, v60
	v_and_b32_e32 v60, 0xffff0000, v55
	v_dual_mul_f32 v123, v117, v89 :: v_dual_lshlrev_b32 v50, 16, v50
	v_lshlrev_b32_e32 v55, 16, v55
	s_delay_alu instid0(VALU_DEP_3) | instskip(NEXT) | instid1(VALU_DEP_3)
	v_mul_f32_e32 v109, v119, v60
	v_fmac_f32_e32 v123, v118, v50
	s_delay_alu instid0(VALU_DEP_2) | instskip(NEXT) | instid1(VALU_DEP_1)
	v_fmac_f32_e32 v109, v120, v55
	v_dual_add_f32 v109, v88, v109 :: v_dual_mul_f32 v112, v106, v64
	s_delay_alu instid0(VALU_DEP_1) | instskip(NEXT) | instid1(VALU_DEP_1)
	v_dual_fmac_f32 v112, v121, v54 :: v_dual_and_b32 v87, 0xffff0000, v49
	v_add_f32_e32 v122, v86, v112
	v_lshlrev_b32_e32 v86, 16, v49
	s_delay_alu instid0(VALU_DEP_3) | instskip(SKIP_1) | instid1(VALU_DEP_2)
	v_dual_mul_f32 v112, v115, v87 :: v_dual_lshlrev_b32 v49, 16, v56
	v_and_b32_e32 v115, 0xffff0000, v46
	v_fmac_f32_e32 v112, v116, v86
	s_delay_alu instid0(VALU_DEP_1) | instskip(NEXT) | instid1(VALU_DEP_1)
	v_add_f32_e32 v107, v107, v112
	v_dual_add_f32 v107, v107, v123 :: v_dual_and_b32 v88, 0xffff0000, v56
	v_lshlrev_b32_e32 v112, 16, v51
	v_and_b32_e32 v56, 0xffff0000, v51
	v_and_b32_e32 v51, 0xffff0000, v52
	v_lshlrev_b32_e32 v114, 16, v45
	v_mul_f32_e32 v124, v106, v88
	v_lshlrev_b32_e32 v45, 16, v52
	v_mul_f32_e32 v125, v119, v56
	s_delay_alu instid0(VALU_DEP_4) | instskip(SKIP_2) | instid1(VALU_DEP_4)
	v_dual_mul_f32 v123, v127, v67 :: v_dual_fmac_f32 v126, v116, v114
	v_mul_f32_e32 v116, v117, v115
	v_dual_mul_f32 v117, v106, v51 :: v_dual_lshlrev_b32 v46, 16, v46
	v_dual_fmac_f32 v125, v120, v112 :: v_dual_fmac_f32 v124, v121, v49
	s_delay_alu instid0(VALU_DEP_2) | instskip(NEXT) | instid1(VALU_DEP_3)
	v_dual_fmac_f32 v117, v121, v45 :: v_dual_and_b32 v52, 0xffff0000, v47
	v_fmac_f32_e32 v116, v118, v46
	v_dual_add_f32 v108, v108, v126 :: v_dual_lshlrev_b32 v47, 16, v47
	s_delay_alu instid0(VALU_DEP_4) | instskip(SKIP_2) | instid1(VALU_DEP_4)
	v_add_f32_e32 v107, v107, v125
	v_add_f32_e32 v109, v109, v124
	v_mul_f32_e32 v118, v119, v52
	v_add_f32_e32 v108, v108, v116
	v_and_b32_e32 v116, 0xffff0000, v41
	v_add_f32_e32 v107, v107, v117
	s_delay_alu instid0(VALU_DEP_4) | instskip(SKIP_1) | instid1(VALU_DEP_4)
	v_dual_fmac_f32 v118, v120, v47 :: v_dual_and_b32 v117, 0xffff0000, v48
	v_and_b32_e32 v129, 0xffff0000, v66
	v_mul_f32_e32 v119, v127, v116
	v_lshlrev_b32_e32 v48, 16, v48
	s_delay_alu instid0(VALU_DEP_4) | instskip(SKIP_1) | instid1(VALU_DEP_4)
	v_mul_f32_e32 v106, v106, v117
	v_add_f32_e32 v108, v108, v118
	v_dual_fmac_f32 v119, v128, v65 :: v_dual_and_b32 v118, 0xffff0000, v42
	v_lshlrev_b32_e32 v130, 16, v66
	v_lshlrev_b32_e32 v66, 16, v42
	s_delay_alu instid0(VALU_DEP_3) | instskip(NEXT) | instid1(VALU_DEP_4)
	v_dual_mul_f32 v120, v129, v118 :: v_dual_and_b32 v41, 0xffff0000, v43
	v_dual_fmac_f32 v106, v121, v48 :: v_dual_add_f32 v119, v122, v119
	v_lshlrev_b32_e32 v42, 16, v43
	s_delay_alu instid0(VALU_DEP_3) | instskip(NEXT) | instid1(VALU_DEP_4)
	v_dual_mul_f32 v122, v131, v41 :: v_dual_and_b32 v43, 0xffff0000, v44
	v_fmac_f32_e32 v120, v130, v66
	s_delay_alu instid0(VALU_DEP_4) | instskip(NEXT) | instid1(VALU_DEP_2)
	v_add_f32_e32 v108, v108, v106
	v_dual_fmac_f32 v122, v132, v42 :: v_dual_add_f32 v119, v119, v120
	v_dual_fmac_f32 v123, v128, v33 :: v_dual_lshlrev_b32 v120, 16, v34
	s_delay_alu instid0(VALU_DEP_2) | instskip(SKIP_1) | instid1(VALU_DEP_3)
	v_add_f32_e32 v121, v119, v122
	v_and_b32_e32 v119, 0xffff0000, v34
	v_add_f32_e32 v109, v109, v123
	v_lshlrev_b32_e32 v123, 16, v35
	s_delay_alu instid0(VALU_DEP_3) | instskip(NEXT) | instid1(VALU_DEP_1)
	v_mul_f32_e32 v122, v129, v119
	v_fmac_f32_e32 v122, v130, v120
	v_lshlrev_b32_e32 v134, 16, v68
	v_mul_f32_e32 v68, v133, v43
	s_delay_alu instid0(VALU_DEP_3) | instskip(SKIP_1) | instid1(VALU_DEP_1)
	v_dual_add_f32 v109, v109, v122 :: v_dual_lshlrev_b32 v34, 16, v25
	v_lshlrev_b32_e32 v44, 16, v44
	v_fmac_f32_e32 v68, v134, v44
	s_delay_alu instid0(VALU_DEP_1) | instskip(SKIP_2) | instid1(VALU_DEP_3)
	v_dual_add_f32 v106, v121, v68 :: v_dual_and_b32 v121, 0xffff0000, v35
	v_and_b32_e32 v35, 0xffff0000, v26
	v_lshlrev_b32_e32 v26, 16, v26
	v_mul_f32_e32 v124, v131, v121
	s_delay_alu instid0(VALU_DEP_3) | instskip(NEXT) | instid1(VALU_DEP_1)
	v_mul_f32_e32 v126, v129, v35
	v_fmac_f32_e32 v126, v130, v26
	v_and_b32_e32 v122, 0xffff0000, v36
	v_and_b32_e32 v68, 0xffff0000, v25
	v_lshlrev_b32_e32 v25, 16, v36
	s_delay_alu instid0(VALU_DEP_3) | instskip(NEXT) | instid1(VALU_DEP_3)
	v_mul_f32_e32 v135, v133, v122
	v_dual_mul_f32 v125, v127, v68 :: v_dual_fmac_f32 v124, v132, v123
	s_delay_alu instid0(VALU_DEP_2) | instskip(NEXT) | instid1(VALU_DEP_2)
	v_fmac_f32_e32 v135, v134, v25
	v_add_f32_e32 v109, v109, v124
	s_delay_alu instid0(VALU_DEP_3) | instskip(NEXT) | instid1(VALU_DEP_2)
	v_dual_fmac_f32 v125, v128, v34 :: v_dual_and_b32 v124, 0xffff0000, v28
	v_add_f32_e32 v109, v109, v135
	s_delay_alu instid0(VALU_DEP_2) | instskip(NEXT) | instid1(VALU_DEP_3)
	v_dual_mul_f32 v137, v133, v124 :: v_dual_and_b32 v36, 0xffff0000, v27
	v_add_f32_e32 v107, v107, v125
	v_and_b32_e32 v125, 0xffff0000, v21
	v_lshlrev_b32_e32 v27, 16, v27
	s_delay_alu instid0(VALU_DEP_3) | instskip(NEXT) | instid1(VALU_DEP_3)
	v_dual_add_f32 v107, v107, v126 :: v_dual_lshlrev_b32 v126, 16, v21
	v_mul_f32_e32 v127, v127, v125
	v_mul_f32_e32 v136, v131, v36
	v_lshlrev_b32_e32 v21, 16, v28
	s_delay_alu instid0(VALU_DEP_3) | instskip(NEXT) | instid1(VALU_DEP_2)
	v_fmac_f32_e32 v127, v128, v126
	v_dual_fmac_f32 v136, v132, v27 :: v_dual_fmac_f32 v137, v134, v21
	s_delay_alu instid0(VALU_DEP_1) | instskip(SKIP_4) | instid1(VALU_DEP_4)
	v_dual_add_f32 v108, v108, v127 :: v_dual_add_f32 v107, v107, v136
	v_and_b32_e32 v28, 0xffff0000, v22
	v_lshlrev_b32_e32 v22, 16, v22
	v_and_b32_e32 v127, 0xffff0000, v23
	v_lshlrev_b32_e32 v23, 16, v23
	v_dual_add_f32 v107, v107, v137 :: v_dual_mul_f32 v128, v129, v28
	v_and_b32_e32 v129, 0xffff0000, v29
	s_delay_alu instid0(VALU_DEP_2) | instskip(NEXT) | instid1(VALU_DEP_2)
	v_dual_fmac_f32 v128, v130, v22 :: v_dual_lshlrev_b32 v29, 16, v29
	v_dual_mul_f32 v130, v131, v127 :: v_dual_mul_f32 v131, v129, v70
	s_delay_alu instid0(VALU_DEP_2) | instskip(NEXT) | instid1(VALU_DEP_2)
	v_add_f32_e32 v108, v108, v128
	v_dual_fmac_f32 v130, v132, v23 :: v_dual_fmac_f32 v131, v29, v57
	s_delay_alu instid0(VALU_DEP_1) | instskip(NEXT) | instid1(VALU_DEP_1)
	v_dual_add_f32 v111, v111, v131 :: v_dual_and_b32 v132, 0xffff0000, v30
	v_dual_mul_f32 v135, v132, v61 :: v_dual_and_b32 v128, 0xffff0000, v24
	v_lshlrev_b32_e32 v30, 16, v30
	v_lshlrev_b32_e32 v24, 16, v24
	s_delay_alu instid0(VALU_DEP_3) | instskip(NEXT) | instid1(VALU_DEP_3)
	v_mul_f32_e32 v133, v133, v128
	v_fmac_f32_e32 v135, v30, v58
	s_delay_alu instid0(VALU_DEP_2) | instskip(SKIP_2) | instid1(VALU_DEP_4)
	v_dual_fmac_f32 v133, v134, v24 :: v_dual_add_f32 v108, v108, v130
	v_and_b32_e32 v130, 0xffff0000, v31
	v_lshlrev_b32_e32 v31, 16, v31
	v_dual_add_f32 v111, v111, v135 :: v_dual_mul_f32 v134, v129, v84
	s_delay_alu instid0(VALU_DEP_4) | instskip(SKIP_1) | instid1(VALU_DEP_3)
	v_dual_add_f32 v108, v108, v133 :: v_dual_and_b32 v133, 0xffff0000, v32
	v_lshlrev_b32_e32 v32, 16, v32
	v_fmac_f32_e32 v134, v29, v63
	s_delay_alu instid0(VALU_DEP_3) | instskip(SKIP_2) | instid1(VALU_DEP_3)
	v_mul_f32_e32 v135, v133, v64
	v_dual_mul_f32 v131, v130, v62 :: v_dual_mul_f32 v136, v129, v87
	v_mul_f32_e32 v129, v129, v113
	v_fmac_f32_e32 v135, v32, v54
	s_delay_alu instid0(VALU_DEP_3) | instskip(NEXT) | instid1(VALU_DEP_3)
	v_fmac_f32_e32 v131, v31, v59
	v_fmac_f32_e32 v129, v29, v114
	s_delay_alu instid0(VALU_DEP_2) | instskip(SKIP_2) | instid1(VALU_DEP_3)
	v_add_f32_e32 v111, v111, v131
	v_dual_mul_f32 v131, v132, v85 :: v_dual_add_f32 v110, v110, v134
	v_fmac_f32_e32 v136, v29, v86
	v_dual_mul_f32 v134, v132, v89 :: v_dual_add_f32 v111, v111, v135
	s_delay_alu instid0(VALU_DEP_3) | instskip(NEXT) | instid1(VALU_DEP_3)
	v_fmac_f32_e32 v131, v30, v53
	v_dual_add_f32 v105, v105, v129 :: v_dual_add_f32 v104, v104, v136
	s_delay_alu instid0(VALU_DEP_3) | instskip(SKIP_1) | instid1(VALU_DEP_4)
	v_fmac_f32_e32 v134, v30, v50
	v_mul_f32_e32 v135, v130, v60
	v_add_f32_e32 v110, v110, v131
	v_mul_f32_e32 v131, v130, v56
	s_delay_alu instid0(VALU_DEP_4) | instskip(SKIP_2) | instid1(VALU_DEP_4)
	v_dual_add_f32 v104, v104, v134 :: v_dual_and_b32 v129, 0xffff0000, v37
	v_mul_f32_e32 v134, v133, v51
	v_fmac_f32_e32 v135, v31, v55
	v_fmac_f32_e32 v131, v31, v112
	v_dual_mul_f32 v136, v133, v88 :: v_dual_lshlrev_b32 v37, 16, v37
	s_delay_alu instid0(VALU_DEP_4) | instskip(NEXT) | instid1(VALU_DEP_4)
	v_fmac_f32_e32 v134, v32, v45
	v_add_f32_e32 v110, v110, v135
	s_delay_alu instid0(VALU_DEP_4) | instskip(SKIP_1) | instid1(VALU_DEP_1)
	v_add_f32_e32 v29, v104, v131
	v_mul_f32_e32 v104, v132, v115
	v_fmac_f32_e32 v104, v30, v46
	v_mul_f32_e32 v30, v130, v52
	s_delay_alu instid0(VALU_DEP_2) | instskip(SKIP_1) | instid1(VALU_DEP_3)
	v_dual_add_f32 v104, v105, v104 :: v_dual_and_b32 v105, 0xffff0000, v38
	v_dual_fmac_f32 v136, v32, v49 :: v_dual_add_f32 v29, v29, v134
	v_fmac_f32_e32 v30, v31, v47
	v_lshlrev_b32_e32 v38, 16, v38
	s_delay_alu instid0(VALU_DEP_3) | instskip(SKIP_2) | instid1(VALU_DEP_2)
	v_dual_mul_f32 v131, v105, v118 :: v_dual_add_f32 v110, v110, v136
	v_mul_f32_e32 v130, v129, v116
	v_mul_f32_e32 v31, v133, v117
	v_dual_fmac_f32 v131, v38, v66 :: v_dual_fmac_f32 v130, v37, v65
	s_delay_alu instid0(VALU_DEP_1) | instskip(SKIP_4) | instid1(VALU_DEP_4)
	v_dual_fmac_f32 v31, v32, v48 :: v_dual_add_f32 v32, v111, v130
	v_mul_f32_e32 v111, v129, v67
	v_and_b32_e32 v132, 0xffff0000, v39
	v_dual_add_f32 v30, v104, v30 :: v_dual_lshlrev_b32 v39, 16, v39
	v_mul_f32_e32 v133, v105, v35
	v_dual_add_f32 v32, v32, v131 :: v_dual_fmac_f32 v111, v37, v33
	s_delay_alu instid0(VALU_DEP_4) | instskip(NEXT) | instid1(VALU_DEP_3)
	v_dual_mul_f32 v131, v129, v68 :: v_dual_mul_f32 v104, v132, v41
	v_fmac_f32_e32 v133, v38, v26
	s_delay_alu instid0(VALU_DEP_3) | instskip(NEXT) | instid1(VALU_DEP_3)
	v_dual_mul_f32 v129, v129, v125 :: v_dual_add_f32 v110, v110, v111
	v_fmac_f32_e32 v131, v37, v34
	s_delay_alu instid0(VALU_DEP_4) | instskip(NEXT) | instid1(VALU_DEP_3)
	v_fmac_f32_e32 v104, v39, v42
	v_fmac_f32_e32 v129, v37, v126
	v_mul_f32_e32 v37, v105, v28
	s_delay_alu instid0(VALU_DEP_3) | instskip(SKIP_1) | instid1(VALU_DEP_3)
	v_dual_add_f32 v29, v29, v131 :: v_dual_add_f32 v32, v32, v104
	v_dual_add_f32 v30, v30, v31 :: v_dual_and_b32 v31, 0xffff0000, v40
	v_dual_mul_f32 v104, v105, v119 :: v_dual_fmac_f32 v37, v38, v22
	s_delay_alu instid0(VALU_DEP_3) | instskip(NEXT) | instid1(VALU_DEP_3)
	v_dual_add_f32 v29, v29, v133 :: v_dual_lshlrev_b32 v40, 16, v40
	v_mul_f32_e32 v130, v31, v43
	s_delay_alu instid0(VALU_DEP_3) | instskip(NEXT) | instid1(VALU_DEP_1)
	v_fmac_f32_e32 v104, v38, v120
	v_add_f32_e32 v104, v110, v104
	v_mul_f32_e32 v110, v132, v36
	s_delay_alu instid0(VALU_DEP_1) | instskip(NEXT) | instid1(VALU_DEP_1)
	v_fmac_f32_e32 v110, v39, v27
	v_dual_fmac_f32 v130, v40, v44 :: v_dual_add_f32 v29, v29, v110
	s_delay_alu instid0(VALU_DEP_1) | instskip(SKIP_2) | instid1(VALU_DEP_1)
	v_add_f32_e32 v111, v32, v130
	v_mul_f32_e32 v32, v132, v121
	v_add_f32_e32 v30, v30, v129
	v_dual_add_f32 v30, v30, v37 :: v_dual_and_b32 v37, 0xffff0000, v14
	s_delay_alu instid0(VALU_DEP_3) | instskip(NEXT) | instid1(VALU_DEP_2)
	v_fmac_f32_e32 v32, v39, v123
	v_dual_mul_f32 v129, v37, v89 :: v_dual_lshlrev_b32 v14, 16, v14
	s_delay_alu instid0(VALU_DEP_2) | instskip(SKIP_1) | instid1(VALU_DEP_1)
	v_add_f32_e32 v32, v104, v32
	v_mul_f32_e32 v104, v31, v124
	v_fmac_f32_e32 v104, v40, v21
	s_delay_alu instid0(VALU_DEP_1) | instskip(NEXT) | instid1(VALU_DEP_1)
	v_dual_add_f32 v104, v29, v104 :: v_dual_mul_f32 v29, v132, v127
	v_fmac_f32_e32 v29, v39, v23
	v_mul_f32_e32 v130, v31, v122
	v_mul_f32_e32 v31, v31, v128
	;; [unrolled: 1-line block ×3, first 2 shown]
	s_delay_alu instid0(VALU_DEP_4) | instskip(NEXT) | instid1(VALU_DEP_4)
	v_add_f32_e32 v29, v30, v29
	v_fmac_f32_e32 v130, v40, v25
	s_delay_alu instid0(VALU_DEP_4) | instskip(NEXT) | instid1(VALU_DEP_1)
	v_fmac_f32_e32 v31, v40, v24
	v_dual_add_f32 v110, v32, v130 :: v_dual_add_f32 v105, v29, v31
	v_and_b32_e32 v29, 0xffff0000, v16
	v_and_b32_e32 v32, 0xffff0000, v13
	s_delay_alu instid0(VALU_DEP_1) | instskip(NEXT) | instid1(VALU_DEP_1)
	v_dual_mul_f32 v38, v32, v70 :: v_dual_lshlrev_b32 v13, 16, v13
	v_fmac_f32_e32 v38, v13, v57
	s_delay_alu instid0(VALU_DEP_1) | instskip(SKIP_4) | instid1(VALU_DEP_4)
	v_add_f32_e32 v38, v101, v38
	v_mul_f32_e32 v101, v37, v85
	v_dual_fmac_f32 v39, v14, v58 :: v_dual_and_b32 v30, 0xffff0000, v15
	v_lshlrev_b32_e32 v15, 16, v15
	v_fmac_f32_e32 v129, v14, v50
	v_fmac_f32_e32 v101, v14, v53
	s_delay_alu instid0(VALU_DEP_4) | instskip(SKIP_1) | instid1(VALU_DEP_1)
	v_dual_add_f32 v38, v38, v39 :: v_dual_mul_f32 v39, v29, v64
	v_dual_mul_f32 v31, v32, v84 :: v_dual_mul_f32 v40, v30, v62
	v_dual_fmac_f32 v31, v13, v63 :: v_dual_lshlrev_b32 v16, 16, v16
	s_delay_alu instid0(VALU_DEP_1) | instskip(NEXT) | instid1(VALU_DEP_2)
	v_dual_fmac_f32 v40, v15, v59 :: v_dual_fmac_f32 v39, v16, v54
	v_dual_add_f32 v31, v100, v31 :: v_dual_mul_f32 v100, v30, v60
	s_delay_alu instid0(VALU_DEP_1) | instskip(NEXT) | instid1(VALU_DEP_2)
	v_dual_add_f32 v38, v38, v40 :: v_dual_add_f32 v31, v31, v101
	v_fmac_f32_e32 v100, v15, v55
	v_mul_f32_e32 v40, v32, v87
	s_delay_alu instid0(VALU_DEP_2) | instskip(NEXT) | instid1(VALU_DEP_2)
	v_dual_mul_f32 v32, v32, v113 :: v_dual_add_f32 v31, v31, v100
	v_fmac_f32_e32 v40, v13, v86
	s_delay_alu instid0(VALU_DEP_2) | instskip(SKIP_2) | instid1(VALU_DEP_4)
	v_fmac_f32_e32 v32, v13, v114
	v_mul_f32_e32 v13, v37, v115
	v_dual_add_f32 v38, v38, v39 :: v_dual_and_b32 v37, 0xffff0000, v17
	v_add_f32_e32 v39, v99, v40
	v_mul_f32_e32 v99, v29, v88
	v_add_f32_e32 v32, v102, v32
	v_fmac_f32_e32 v13, v14, v46
	s_delay_alu instid0(VALU_DEP_4) | instskip(SKIP_1) | instid1(VALU_DEP_2)
	v_dual_mul_f32 v40, v30, v56 :: v_dual_add_f32 v39, v39, v129
	v_dual_mul_f32 v17, v37, v116 :: v_dual_lshlrev_b32 v14, 16, v17
	v_dual_add_f32 v13, v32, v13 :: v_dual_fmac_f32 v40, v15, v112
	v_dual_mul_f32 v30, v30, v52 :: v_dual_fmac_f32 v99, v16, v49
	s_delay_alu instid0(VALU_DEP_3) | instskip(NEXT) | instid1(VALU_DEP_3)
	v_fmac_f32_e32 v17, v14, v65
	v_dual_add_f32 v39, v39, v40 :: v_dual_mul_f32 v40, v29, v51
	v_mul_f32_e32 v29, v29, v117
	s_delay_alu instid0(VALU_DEP_3) | instskip(SKIP_1) | instid1(VALU_DEP_4)
	v_dual_add_f32 v17, v38, v17 :: v_dual_and_b32 v102, 0xffff0000, v18
	v_lshlrev_b32_e32 v18, 16, v18
	v_fmac_f32_e32 v40, v16, v45
	s_delay_alu instid0(VALU_DEP_4) | instskip(NEXT) | instid1(VALU_DEP_4)
	v_dual_fmac_f32 v29, v16, v48 :: v_dual_fmac_f32 v30, v15, v47
	v_dual_mul_f32 v32, v102, v118 :: v_dual_and_b32 v15, 0xffff0000, v19
	v_lshlrev_b32_e32 v19, 16, v19
	s_delay_alu instid0(VALU_DEP_2) | instskip(NEXT) | instid1(VALU_DEP_1)
	v_dual_add_f32 v13, v13, v30 :: v_dual_mul_f32 v38, v15, v41
	v_dual_fmac_f32 v32, v18, v66 :: v_dual_add_f32 v13, v13, v29
	v_and_b32_e32 v29, 0xffff0000, v20
	s_delay_alu instid0(VALU_DEP_2) | instskip(SKIP_4) | instid1(VALU_DEP_1)
	v_dual_add_f32 v16, v17, v32 :: v_dual_add_f32 v17, v31, v99
	v_add_f32_e32 v31, v39, v40
	v_lshlrev_b32_e32 v20, 16, v20
	v_mul_f32_e32 v30, v37, v67
	v_dual_mul_f32 v39, v29, v43 :: v_dual_fmac_f32 v38, v19, v42
	v_dual_mul_f32 v40, v15, v121 :: v_dual_fmac_f32 v39, v20, v44
	s_delay_alu instid0(VALU_DEP_3) | instskip(SKIP_1) | instid1(VALU_DEP_2)
	v_fmac_f32_e32 v30, v14, v33
	v_mul_f32_e32 v32, v102, v119
	v_dual_fmac_f32 v40, v19, v123 :: v_dual_add_f32 v17, v17, v30
	s_delay_alu instid0(VALU_DEP_2) | instskip(SKIP_3) | instid1(VALU_DEP_4)
	v_fmac_f32_e32 v32, v18, v120
	v_add_f32_e32 v16, v16, v38
	v_mul_f32_e32 v38, v37, v68
	v_dual_mul_f32 v37, v37, v125 :: v_dual_mul_f32 v30, v102, v35
	v_add_f32_e32 v17, v17, v32
	s_delay_alu instid0(VALU_DEP_4) | instskip(NEXT) | instid1(VALU_DEP_3)
	v_dual_add_f32 v101, v16, v39 :: v_dual_mul_f32 v16, v29, v122
	v_fmac_f32_e32 v37, v14, v126
	s_delay_alu instid0(VALU_DEP_3) | instskip(SKIP_1) | instid1(VALU_DEP_4)
	v_dual_fmac_f32 v38, v14, v34 :: v_dual_add_f32 v17, v17, v40
	v_fmac_f32_e32 v30, v18, v26
	v_fmac_f32_e32 v16, v20, v25
	s_delay_alu instid0(VALU_DEP_4) | instskip(NEXT) | instid1(VALU_DEP_2)
	v_add_f32_e32 v13, v13, v37
	v_dual_add_f32 v31, v31, v38 :: v_dual_add_f32 v100, v17, v16
	v_mul_f32_e32 v17, v102, v28
	v_mul_f32_e32 v32, v15, v36
	s_delay_alu instid0(VALU_DEP_3) | instskip(SKIP_1) | instid1(VALU_DEP_4)
	v_dual_add_f32 v30, v31, v30 :: v_dual_mul_f32 v31, v29, v124
	v_mul_f32_e32 v15, v15, v127
	v_dual_fmac_f32 v17, v18, v22 :: v_dual_and_b32 v18, 0xffff0000, v7
	s_delay_alu instid0(VALU_DEP_4) | instskip(SKIP_2) | instid1(VALU_DEP_4)
	v_fmac_f32_e32 v32, v19, v27
	v_lshlrev_b32_e32 v7, 16, v7
	v_fmac_f32_e32 v31, v20, v21
	v_add_f32_e32 v13, v13, v17
	s_delay_alu instid0(VALU_DEP_4) | instskip(SKIP_2) | instid1(VALU_DEP_3)
	v_dual_fmac_f32 v15, v19, v23 :: v_dual_add_f32 v30, v30, v32
	v_dual_mul_f32 v17, v29, v128 :: v_dual_and_b32 v32, 0xffff0000, v5
	v_lshlrev_b32_e32 v5, 16, v5
	v_dual_add_f32 v99, v30, v31 :: v_dual_and_b32 v16, 0xffff0000, v6
	s_delay_alu instid0(VALU_DEP_3) | instskip(SKIP_2) | instid1(VALU_DEP_4)
	v_mul_f32_e32 v19, v32, v84
	v_dual_mul_f32 v14, v32, v70 :: v_dual_add_f32 v13, v13, v15
	v_lshlrev_b32_e32 v6, 16, v6
	v_dual_mul_f32 v30, v16, v61 :: v_dual_and_b32 v15, 0xffff0000, v8
	s_delay_alu instid0(VALU_DEP_3) | instskip(NEXT) | instid1(VALU_DEP_2)
	v_dual_fmac_f32 v14, v5, v57 :: v_dual_fmac_f32 v17, v20, v24
	v_dual_fmac_f32 v19, v5, v63 :: v_dual_fmac_f32 v30, v6, v58
	s_delay_alu instid0(VALU_DEP_2) | instskip(NEXT) | instid1(VALU_DEP_4)
	v_dual_mul_f32 v37, v16, v89 :: v_dual_add_f32 v14, v98, v14
	v_mul_f32_e32 v29, v15, v64
	s_delay_alu instid0(VALU_DEP_3) | instskip(SKIP_1) | instid1(VALU_DEP_4)
	v_add_f32_e32 v19, v97, v19
	v_dual_mul_f32 v31, v18, v62 :: v_dual_mul_f32 v20, v16, v85
	v_dual_fmac_f32 v37, v6, v50 :: v_dual_lshlrev_b32 v8, 16, v8
	s_delay_alu instid0(VALU_DEP_2) | instskip(NEXT) | instid1(VALU_DEP_3)
	v_dual_mul_f32 v38, v18, v56 :: v_dual_fmac_f32 v31, v7, v59
	v_fmac_f32_e32 v20, v6, v53
	v_add_f32_e32 v14, v14, v30
	v_mul_f32_e32 v30, v32, v87
	v_mul_f32_e32 v32, v32, v113
	s_delay_alu instid0(VALU_DEP_4) | instskip(NEXT) | instid1(VALU_DEP_4)
	v_dual_add_f32 v102, v13, v17 :: v_dual_add_f32 v19, v19, v20
	v_add_f32_e32 v14, v14, v31
	s_delay_alu instid0(VALU_DEP_3) | instskip(NEXT) | instid1(VALU_DEP_1)
	v_dual_mul_f32 v31, v18, v60 :: v_dual_fmac_f32 v32, v5, v114
	v_dual_mul_f32 v18, v18, v52 :: v_dual_fmac_f32 v31, v7, v55
	v_fmac_f32_e32 v29, v8, v54
	s_delay_alu instid0(VALU_DEP_2) | instskip(NEXT) | instid1(VALU_DEP_1)
	v_dual_fmac_f32 v30, v5, v86 :: v_dual_add_f32 v19, v19, v31
	v_dual_add_f32 v5, v14, v29 :: v_dual_add_f32 v30, v96, v30
	v_and_b32_e32 v29, 0xffff0000, v9
	v_dual_fmac_f32 v38, v7, v112 :: v_dual_lshlrev_b32 v9, 16, v9
	v_mul_f32_e32 v14, v16, v115
	s_delay_alu instid0(VALU_DEP_4) | instskip(SKIP_2) | instid1(VALU_DEP_4)
	v_add_f32_e32 v30, v30, v37
	v_mul_f32_e32 v20, v15, v88
	v_fmac_f32_e32 v18, v7, v47
	v_dual_mul_f32 v7, v15, v117 :: v_dual_fmac_f32 v14, v6, v46
	s_delay_alu instid0(VALU_DEP_3) | instskip(NEXT) | instid1(VALU_DEP_2)
	v_fmac_f32_e32 v20, v8, v49
	v_fmac_f32_e32 v7, v8, v48
	s_delay_alu instid0(VALU_DEP_2) | instskip(SKIP_1) | instid1(VALU_DEP_1)
	v_add_f32_e32 v16, v19, v20
	v_add_f32_e32 v20, v95, v32
	;; [unrolled: 1-line block ×3, first 2 shown]
	s_delay_alu instid0(VALU_DEP_1) | instskip(NEXT) | instid1(VALU_DEP_1)
	v_add_f32_e32 v14, v14, v18
	v_add_f32_e32 v7, v14, v7
	v_and_b32_e32 v14, 0xffff0000, v11
	v_and_b32_e32 v20, 0xffff0000, v10
	v_lshlrev_b32_e32 v11, 16, v11
	v_lshlrev_b32_e32 v10, 16, v10
	v_mul_f32_e32 v6, v15, v51
	s_delay_alu instid0(VALU_DEP_4) | instskip(SKIP_1) | instid1(VALU_DEP_2)
	v_dual_mul_f32 v18, v14, v41 :: v_dual_mul_f32 v15, v20, v118
	v_dual_add_f32 v19, v30, v38 :: v_dual_mul_f32 v30, v29, v116
	v_fmac_f32_e32 v18, v11, v42
	s_delay_alu instid0(VALU_DEP_2) | instskip(NEXT) | instid1(VALU_DEP_1)
	v_dual_fmac_f32 v15, v10, v66 :: v_dual_fmac_f32 v30, v9, v65
	v_add_f32_e32 v5, v5, v30
	s_delay_alu instid0(VALU_DEP_1) | instskip(SKIP_1) | instid1(VALU_DEP_2)
	v_add_f32_e32 v5, v5, v15
	v_mul_f32_e32 v15, v20, v119
	v_add_f32_e32 v5, v5, v18
	s_delay_alu instid0(VALU_DEP_2) | instskip(SKIP_1) | instid1(VALU_DEP_2)
	v_dual_fmac_f32 v15, v10, v120 :: v_dual_fmac_f32 v6, v8, v45
	v_mul_f32_e32 v18, v29, v125
	v_add_f32_e32 v6, v19, v6
	s_delay_alu instid0(VALU_DEP_2) | instskip(SKIP_1) | instid1(VALU_DEP_2)
	v_fmac_f32_e32 v18, v9, v126
	v_dual_mul_f32 v8, v29, v67 :: v_dual_and_b32 v19, 0xffff0000, v12
	v_dual_add_f32 v7, v7, v18 :: v_dual_lshlrev_b32 v12, 16, v12
	s_delay_alu instid0(VALU_DEP_2) | instskip(NEXT) | instid1(VALU_DEP_3)
	v_fmac_f32_e32 v8, v9, v33
	v_mul_f32_e32 v30, v19, v43
	s_delay_alu instid0(VALU_DEP_2) | instskip(NEXT) | instid1(VALU_DEP_2)
	v_add_f32_e32 v8, v16, v8
	v_fmac_f32_e32 v30, v12, v44
	s_delay_alu instid0(VALU_DEP_2) | instskip(SKIP_1) | instid1(VALU_DEP_3)
	v_dual_add_f32 v8, v8, v15 :: v_dual_mul_f32 v15, v29, v68
	v_mul_f32_e32 v29, v19, v122
	v_add_f32_e32 v98, v5, v30
	s_delay_alu instid0(VALU_DEP_3) | instskip(NEXT) | instid1(VALU_DEP_1)
	v_fmac_f32_e32 v15, v9, v34
	v_dual_fmac_f32 v29, v12, v25 :: v_dual_add_f32 v6, v6, v15
	v_mul_f32_e32 v15, v14, v36
	v_mul_f32_e32 v9, v20, v28
	s_delay_alu instid0(VALU_DEP_2) | instskip(NEXT) | instid1(VALU_DEP_2)
	v_fmac_f32_e32 v15, v11, v27
	v_fmac_f32_e32 v9, v10, v22
	s_delay_alu instid0(VALU_DEP_1) | instskip(SKIP_1) | instid1(VALU_DEP_1)
	v_add_f32_e32 v7, v7, v9
	v_dual_mul_f32 v9, v19, v128 :: v_dual_mul_f32 v16, v14, v121
	v_dual_fmac_f32 v9, v12, v24 :: v_dual_fmac_f32 v16, v11, v123
	s_delay_alu instid0(VALU_DEP_1) | instskip(SKIP_1) | instid1(VALU_DEP_1)
	v_add_f32_e32 v8, v8, v16
	v_mul_f32_e32 v16, v20, v35
	v_dual_add_f32 v97, v8, v29 :: v_dual_fmac_f32 v16, v10, v26
	v_mul_f32_e32 v10, v14, v127
	v_mul_f32_e32 v14, v19, v124
	s_delay_alu instid0(VALU_DEP_3) | instskip(NEXT) | instid1(VALU_DEP_3)
	v_add_f32_e32 v6, v6, v16
	v_fmac_f32_e32 v10, v11, v23
	s_delay_alu instid0(VALU_DEP_3) | instskip(NEXT) | instid1(VALU_DEP_2)
	v_fmac_f32_e32 v14, v12, v21
	v_dual_add_f32 v6, v6, v15 :: v_dual_add_f32 v7, v7, v10
	s_delay_alu instid0(VALU_DEP_1)
	v_dual_add_f32 v96, v6, v14 :: v_dual_add_f32 v95, v7, v9
	s_cbranch_scc1 .LBB276_52
.LBB276_18:                             ;   Parent Loop BB276_13 Depth=1
                                        ; =>  This Inner Loop Header: Depth=2
	v_dual_mov_b32 v20, 0 :: v_dual_add_nc_u32 v85, s1, v0
	s_waitcnt vmcnt(0)
	v_dual_mov_b32 v19, 0 :: v_dual_mov_b32 v18, 0
	v_mov_b32_e32 v17, 0
	s_delay_alu instid0(VALU_DEP_3) | instskip(SKIP_3) | instid1(VALU_DEP_4)
	v_min_u32_e32 v70, s24, v85
	v_add_nc_u32_e32 v84, 0x200, v85
	v_dual_mov_b32 v40, 0 :: v_dual_mov_b32 v39, 0
	v_dual_mov_b32 v38, 0 :: v_dual_mov_b32 v37, 0
	v_lshlrev_b64 v[5:6], 1, v[70:71]
	s_delay_alu instid0(VALU_DEP_4) | instskip(SKIP_3) | instid1(VALU_DEP_4)
	v_min_u32_e32 v70, s24, v84
	v_dual_mov_b32 v68, 0 :: v_dual_mov_b32 v67, 0
	v_dual_mov_b32 v66, 0 :: v_dual_mov_b32 v65, 0
	s_waitcnt lgkmcnt(0)
	v_add_co_u32 v13, vcc_lo, s14, v5
	v_add_co_ci_u32_e32 v14, vcc_lo, s15, v6, vcc_lo
	v_lshlrev_b64 v[5:6], 1, v[70:71]
	s_delay_alu instid0(VALU_DEP_3) | instskip(NEXT) | instid1(VALU_DEP_3)
	v_add_co_u32 v7, vcc_lo, v13, v76
	v_add_co_ci_u32_e32 v8, vcc_lo, v14, v77, vcc_lo
	v_add_co_u32 v9, vcc_lo, v13, v78
	v_add_co_ci_u32_e32 v10, vcc_lo, v14, v79, vcc_lo
	;; [unrolled: 2-line block ×5, first 2 shown]
	s_clause 0x1
	global_load_b128 v[57:60], v[7:8], off slc dlc
	global_load_b128 v[53:56], v[9:10], off slc dlc
	v_add_co_u32 v7, vcc_lo, v15, v76
	v_add_co_ci_u32_e32 v8, vcc_lo, v16, v77, vcc_lo
	v_add_co_u32 v9, vcc_lo, v15, v78
	v_add_co_ci_u32_e32 v10, vcc_lo, v16, v79, vcc_lo
	;; [unrolled: 2-line block ×4, first 2 shown]
	s_clause 0x5
	global_load_b128 v[49:52], v[11:12], off slc dlc
	global_load_b128 v[45:48], v[5:6], off slc dlc
	;; [unrolled: 1-line block ×6, first 2 shown]
	v_mov_b32_e32 v12, 0
	v_cmp_gt_u32_e32 vcc_lo, s8, v85
	v_dual_mov_b32 v11, 0 :: v_dual_mov_b32 v10, 0
	v_dual_mov_b32 v9, 0 :: v_dual_mov_b32 v8, 0
	;; [unrolled: 1-line block ×9, first 2 shown]
	v_mov_b32_e32 v61, 0
	s_and_saveexec_b32 s2, vcc_lo
	s_cbranch_execz .LBB276_17
; %bb.19:                               ;   in Loop: Header=BB276_18 Depth=2
	s_mov_b32 s3, exec_lo
                                        ; implicit-def: $vgpr64
	v_cmpx_lt_u32_e32 0x7fff, v85
	s_xor_b32 s3, exec_lo, s3
	s_cbranch_execz .LBB276_21
; %bb.20:                               ;   in Loop: Header=BB276_18 Depth=2
	v_mov_b32_e32 v86, v71
	s_delay_alu instid0(VALU_DEP_1) | instskip(NEXT) | instid1(VALU_DEP_1)
	v_lshlrev_b64 v[5:6], 1, v[85:86]
	v_add_co_u32 v5, vcc_lo, s12, v5
	s_delay_alu instid0(VALU_DEP_2)
	v_add_co_ci_u32_e32 v6, vcc_lo, s13, v6, vcc_lo
	global_load_b128 v[61:64], v[5:6], off
.LBB276_21:                             ;   in Loop: Header=BB276_18 Depth=2
	s_and_not1_saveexec_b32 s3, s3
	s_cbranch_execz .LBB276_23
; %bb.22:                               ;   in Loop: Header=BB276_18 Depth=2
	s_waitcnt vmcnt(0)
	ds_load_b128 v[61:64], v103
.LBB276_23:                             ;   in Loop: Header=BB276_18 Depth=2
	s_or_b32 exec_lo, exec_lo, s3
	v_add_nc_u32_e32 v70, s1, v91
	s_mov_b32 s3, exec_lo
                                        ; implicit-def: $vgpr32
	s_delay_alu instid0(VALU_DEP_1)
	v_cmpx_lt_u32_e32 0x7fff, v70
	s_xor_b32 s3, exec_lo, s3
	s_cbranch_execz .LBB276_25
; %bb.24:                               ;   in Loop: Header=BB276_18 Depth=2
	v_lshlrev_b64 v[5:6], 1, v[70:71]
	s_delay_alu instid0(VALU_DEP_1) | instskip(NEXT) | instid1(VALU_DEP_2)
	v_add_co_u32 v5, vcc_lo, s12, v5
	v_add_co_ci_u32_e32 v6, vcc_lo, s13, v6, vcc_lo
	global_load_b128 v[29:32], v[5:6], off
.LBB276_25:                             ;   in Loop: Header=BB276_18 Depth=2
	s_and_not1_saveexec_b32 s3, s3
	s_cbranch_execz .LBB276_27
; %bb.26:                               ;   in Loop: Header=BB276_18 Depth=2
	v_add_nc_u32_e32 v5, s27, v103
	s_waitcnt vmcnt(0)
	ds_load_b128 v[29:32], v5
.LBB276_27:                             ;   in Loop: Header=BB276_18 Depth=2
	s_or_b32 exec_lo, exec_lo, s3
	v_add_nc_u32_e32 v88, s1, v94
	s_mov_b32 s3, exec_lo
                                        ; implicit-def: $vgpr16
	s_delay_alu instid0(VALU_DEP_1)
	v_cmpx_lt_u32_e32 0x7fff, v88
	s_xor_b32 s3, exec_lo, s3
	s_cbranch_execz .LBB276_29
; %bb.28:                               ;   in Loop: Header=BB276_18 Depth=2
	v_mov_b32_e32 v89, v71
	s_delay_alu instid0(VALU_DEP_1) | instskip(NEXT) | instid1(VALU_DEP_1)
	v_lshlrev_b64 v[5:6], 1, v[88:89]
	v_add_co_u32 v5, vcc_lo, s12, v5
	s_delay_alu instid0(VALU_DEP_2)
	v_add_co_ci_u32_e32 v6, vcc_lo, s13, v6, vcc_lo
	global_load_b128 v[13:16], v[5:6], off
.LBB276_29:                             ;   in Loop: Header=BB276_18 Depth=2
	s_and_not1_saveexec_b32 s3, s3
	s_cbranch_execz .LBB276_31
; %bb.30:                               ;   in Loop: Header=BB276_18 Depth=2
	v_add_nc_u32_e32 v5, s22, v103
	s_waitcnt vmcnt(0)
	ds_load_2addr_b32 v[13:14], v5 offset1:1
	ds_load_2addr_b32 v[15:16], v5 offset0:2 offset1:3
.LBB276_31:                             ;   in Loop: Header=BB276_18 Depth=2
	s_or_b32 exec_lo, exec_lo, s3
	v_add_nc_u32_e32 v86, s1, v72
	s_mov_b32 s3, exec_lo
                                        ; implicit-def: $vgpr8
	s_delay_alu instid0(VALU_DEP_1)
	v_cmpx_lt_u32_e32 0x7fff, v86
	s_xor_b32 s3, exec_lo, s3
	s_cbranch_execz .LBB276_33
; %bb.32:                               ;   in Loop: Header=BB276_18 Depth=2
	v_mov_b32_e32 v87, v71
	s_delay_alu instid0(VALU_DEP_1) | instskip(NEXT) | instid1(VALU_DEP_1)
	v_lshlrev_b64 v[5:6], 1, v[86:87]
	v_add_co_u32 v5, vcc_lo, s12, v5
	s_delay_alu instid0(VALU_DEP_2)
	v_add_co_ci_u32_e32 v6, vcc_lo, s13, v6, vcc_lo
	global_load_b128 v[5:8], v[5:6], off
.LBB276_33:                             ;   in Loop: Header=BB276_18 Depth=2
	s_and_not1_saveexec_b32 s3, s3
	s_cbranch_execz .LBB276_35
; %bb.34:                               ;   in Loop: Header=BB276_18 Depth=2
	s_waitcnt vmcnt(0)
	v_add_nc_u32_e32 v5, s10, v103
	ds_load_b128 v[5:8], v5
.LBB276_35:                             ;   in Loop: Header=BB276_18 Depth=2
	s_or_b32 exec_lo, exec_lo, s3
	v_dual_mov_b32 v12, 0 :: v_dual_mov_b32 v11, 0
	v_dual_mov_b32 v10, 0 :: v_dual_mov_b32 v9, 0
	;; [unrolled: 1-line block ×8, first 2 shown]
	s_mov_b32 s3, exec_lo
	v_cmpx_gt_u32_e64 s8, v84
	s_cbranch_execz .LBB276_16
; %bb.36:                               ;   in Loop: Header=BB276_18 Depth=2
	s_mov_b32 s4, exec_lo
                                        ; implicit-def: $vgpr68
	v_cmpx_lt_u32_e32 0x7fff, v84
	s_xor_b32 s4, exec_lo, s4
	s_cbranch_execz .LBB276_38
; %bb.37:                               ;   in Loop: Header=BB276_18 Depth=2
	v_mov_b32_e32 v85, v71
	s_delay_alu instid0(VALU_DEP_1) | instskip(NEXT) | instid1(VALU_DEP_1)
	v_lshlrev_b64 v[9:10], 1, v[84:85]
	v_add_co_u32 v9, vcc_lo, s12, v9
	s_delay_alu instid0(VALU_DEP_2)
	v_add_co_ci_u32_e32 v10, vcc_lo, s13, v10, vcc_lo
	global_load_b128 v[65:68], v[9:10], off
.LBB276_38:                             ;   in Loop: Header=BB276_18 Depth=2
	s_and_not1_saveexec_b32 s4, s4
	s_cbranch_execz .LBB276_40
; %bb.39:                               ;   in Loop: Header=BB276_18 Depth=2
	s_waitcnt vmcnt(0)
	ds_load_b128 v[65:68], v103 offset:1024
.LBB276_40:                             ;   in Loop: Header=BB276_18 Depth=2
	s_or_b32 exec_lo, exec_lo, s4
	v_add_nc_u32_e32 v70, 0x200, v70
	s_mov_b32 s4, exec_lo
                                        ; implicit-def: $vgpr40
	s_delay_alu instid0(VALU_DEP_1)
	v_cmpx_lt_u32_e32 0x7fff, v70
	s_xor_b32 s4, exec_lo, s4
	s_cbranch_execz .LBB276_42
; %bb.41:                               ;   in Loop: Header=BB276_18 Depth=2
	v_lshlrev_b64 v[9:10], 1, v[70:71]
	s_delay_alu instid0(VALU_DEP_1) | instskip(NEXT) | instid1(VALU_DEP_2)
	v_add_co_u32 v9, vcc_lo, s12, v9
	v_add_co_ci_u32_e32 v10, vcc_lo, s13, v10, vcc_lo
	global_load_b128 v[37:40], v[9:10], off
.LBB276_42:                             ;   in Loop: Header=BB276_18 Depth=2
	s_and_not1_saveexec_b32 s4, s4
	s_cbranch_execz .LBB276_44
; %bb.43:                               ;   in Loop: Header=BB276_18 Depth=2
	v_add_nc_u32_e32 v9, s27, v103
	s_waitcnt vmcnt(0)
	ds_load_b128 v[37:40], v9 offset:1024
.LBB276_44:                             ;   in Loop: Header=BB276_18 Depth=2
	s_or_b32 exec_lo, exec_lo, s4
	v_add_nc_u32_e32 v70, 0x200, v88
	s_mov_b32 s4, exec_lo
                                        ; implicit-def: $vgpr20
	s_delay_alu instid0(VALU_DEP_1)
	v_cmpx_lt_u32_e32 0x7fff, v70
	s_xor_b32 s4, exec_lo, s4
	s_cbranch_execz .LBB276_46
; %bb.45:                               ;   in Loop: Header=BB276_18 Depth=2
	v_lshlrev_b64 v[9:10], 1, v[70:71]
	s_delay_alu instid0(VALU_DEP_1) | instskip(NEXT) | instid1(VALU_DEP_2)
	v_add_co_u32 v9, vcc_lo, s12, v9
	v_add_co_ci_u32_e32 v10, vcc_lo, s13, v10, vcc_lo
	global_load_b128 v[17:20], v[9:10], off
.LBB276_46:                             ;   in Loop: Header=BB276_18 Depth=2
	s_and_not1_saveexec_b32 s4, s4
	s_cbranch_execz .LBB276_48
; %bb.47:                               ;   in Loop: Header=BB276_18 Depth=2
	v_add_nc_u32_e32 v9, s22, v103
	s_delay_alu instid0(VALU_DEP_1)
	v_add_nc_u32_e32 v10, 0x400, v9
	v_add_nc_u32_e32 v9, 0x408, v9
	s_waitcnt vmcnt(0)
	ds_load_2addr_b32 v[17:18], v10 offset1:1
	ds_load_2addr_b32 v[19:20], v9 offset1:1
.LBB276_48:                             ;   in Loop: Header=BB276_18 Depth=2
	s_or_b32 exec_lo, exec_lo, s4
	v_add_nc_u32_e32 v70, 0x200, v86
	s_mov_b32 s4, exec_lo
                                        ; implicit-def: $vgpr12
	s_delay_alu instid0(VALU_DEP_1)
	v_cmpx_lt_u32_e32 0x7fff, v70
	s_xor_b32 s4, exec_lo, s4
	s_cbranch_execz .LBB276_50
; %bb.49:                               ;   in Loop: Header=BB276_18 Depth=2
	v_lshlrev_b64 v[9:10], 1, v[70:71]
	s_delay_alu instid0(VALU_DEP_1) | instskip(NEXT) | instid1(VALU_DEP_2)
	v_add_co_u32 v9, vcc_lo, s12, v9
	v_add_co_ci_u32_e32 v10, vcc_lo, s13, v10, vcc_lo
	global_load_b128 v[9:12], v[9:10], off
.LBB276_50:                             ;   in Loop: Header=BB276_18 Depth=2
	s_and_not1_saveexec_b32 s4, s4
	s_cbranch_execz .LBB276_15
; %bb.51:                               ;   in Loop: Header=BB276_18 Depth=2
	s_waitcnt vmcnt(0)
	v_add_nc_u32_e32 v9, s10, v103
	ds_load_b128 v[9:12], v9 offset:1024
	s_branch .LBB276_15
.LBB276_52:                             ;   in Loop: Header=BB276_13 Depth=1
	s_delay_alu instid0(VALU_DEP_1)
	v_cvt_i32_f32_e32 v5, v106
	s_waitcnt lgkmcnt(0)
	v_cvt_i32_f32_e32 v6, v109
	v_cvt_i32_f32_e32 v7, v107
	;; [unrolled: 1-line block ×4, first 2 shown]
	v_cvt_f32_i32_dpp v5, v5 row_shr:8 row_mask:0xf bank_mask:0xf bound_ctrl:1
	v_cvt_f32_i32_dpp v6, v6 row_shr:8 row_mask:0xf bank_mask:0xf bound_ctrl:1
	;; [unrolled: 1-line block ×4, first 2 shown]
	v_cvt_i32_f32_e32 v10, v110
	s_delay_alu instid0(VALU_DEP_4) | instskip(SKIP_1) | instid1(VALU_DEP_4)
	v_dual_add_f32 v5, v106, v5 :: v_dual_add_f32 v6, v109, v6
	v_cvt_f32_i32_dpp v9, v9 row_shr:8 row_mask:0xf bank_mask:0xf bound_ctrl:1
	v_dual_add_f32 v7, v107, v7 :: v_dual_add_f32 v8, v108, v8
	s_delay_alu instid0(VALU_DEP_3) | instskip(SKIP_1) | instid1(VALU_DEP_4)
	v_cvt_i32_f32_e32 v11, v5
	v_cvt_f32_i32_dpp v10, v10 row_shr:8 row_mask:0xf bank_mask:0xf bound_ctrl:1
	v_add_f32_e32 v9, v111, v9
	v_cvt_i32_f32_e32 v12, v6
	v_cvt_i32_f32_e32 v13, v7
	v_cvt_f32_i32_dpp v11, v11 row_shr:4 row_mask:0xf bank_mask:0xf bound_ctrl:1
	v_add_f32_e32 v10, v110, v10
	v_cvt_i32_f32_e32 v14, v8
	v_cvt_i32_f32_e32 v15, v9
	s_delay_alu instid0(VALU_DEP_4)
	v_add_f32_e32 v5, v5, v11
	v_cvt_f32_i32_dpp v11, v12 row_shr:4 row_mask:0xf bank_mask:0xf bound_ctrl:1
	v_cvt_f32_i32_dpp v12, v13 row_shr:4 row_mask:0xf bank_mask:0xf bound_ctrl:1
	;; [unrolled: 1-line block ×3, first 2 shown]
	v_cvt_i32_f32_e32 v16, v10
	v_cvt_f32_i32_dpp v14, v15 row_shr:4 row_mask:0xf bank_mask:0xf bound_ctrl:1
	s_delay_alu instid0(VALU_DEP_4) | instskip(NEXT) | instid1(VALU_DEP_4)
	v_dual_add_f32 v6, v6, v11 :: v_dual_add_f32 v7, v7, v12
	v_add_f32_e32 v8, v8, v13
	v_cvt_i32_f32_e32 v15, v5
	v_cvt_f32_i32_dpp v16, v16 row_shr:4 row_mask:0xf bank_mask:0xf bound_ctrl:1
	s_delay_alu instid0(VALU_DEP_4)
	v_cvt_i32_f32_e32 v12, v6
	v_cvt_i32_f32_e32 v13, v7
	v_add_f32_e32 v9, v9, v14
	v_cvt_f32_i32_dpp v11, v15 row_shr:2 row_mask:0xf bank_mask:0xf bound_ctrl:1
	v_add_f32_e32 v10, v10, v16
	v_cvt_f32_i32_dpp v12, v12 row_shr:2 row_mask:0xf bank_mask:0xf bound_ctrl:1
	v_cvt_f32_i32_dpp v13, v13 row_shr:2 row_mask:0xf bank_mask:0xf bound_ctrl:1
	v_cvt_i32_f32_e32 v14, v9
	v_add_f32_e32 v5, v5, v11
	v_cvt_i32_f32_e32 v11, v8
	v_add_f32_e32 v6, v6, v12
	v_cvt_i32_f32_e32 v15, v10
	v_cvt_f32_i32_dpp v14, v14 row_shr:2 row_mask:0xf bank_mask:0xf bound_ctrl:1
	v_cvt_i32_f32_e32 v16, v5
	v_cvt_f32_i32_dpp v11, v11 row_shr:2 row_mask:0xf bank_mask:0xf bound_ctrl:1
	v_add_f32_e32 v7, v7, v13
	v_cvt_f32_i32_dpp v15, v15 row_shr:2 row_mask:0xf bank_mask:0xf bound_ctrl:1
	s_delay_alu instid0(VALU_DEP_4) | instskip(NEXT) | instid1(VALU_DEP_4)
	v_cvt_f32_i32_dpp v16, v16 row_shr:1 row_mask:0xf bank_mask:0xf bound_ctrl:1
	v_add_f32_e32 v8, v8, v11
	s_delay_alu instid0(VALU_DEP_4) | instskip(NEXT) | instid1(VALU_DEP_3)
	v_cvt_i32_f32_e32 v11, v7
	v_dual_add_f32 v42, v5, v16 :: v_dual_add_f32 v5, v10, v15
	v_cvt_i32_f32_e32 v10, v6
	s_delay_alu instid0(VALU_DEP_3)
	v_cvt_f32_i32_dpp v11, v11 row_shr:1 row_mask:0xf bank_mask:0xf bound_ctrl:1
	v_add_f32_e32 v9, v9, v14
	v_cvt_i32_f32_e32 v12, v8
	v_cvt_i32_f32_e32 v14, v5
	v_cvt_f32_i32_dpp v10, v10 row_shr:1 row_mask:0xf bank_mask:0xf bound_ctrl:1
	v_add_f32_e32 v36, v7, v11
	v_cvt_i32_f32_e32 v13, v9
	v_cvt_f32_i32_dpp v12, v12 row_shr:1 row_mask:0xf bank_mask:0xf bound_ctrl:1
	v_cvt_f32_i32_dpp v14, v14 row_shr:1 row_mask:0xf bank_mask:0xf bound_ctrl:1
	v_cvt_i32_f32_e32 v7, v101
	ds_bpermute_b32 v43, v92, v42
	v_cvt_f32_i32_dpp v13, v13 row_shr:1 row_mask:0xf bank_mask:0xf bound_ctrl:1
	v_add_f32_e32 v39, v6, v10
	v_cvt_i32_f32_e32 v6, v105
	v_cvt_f32_i32_dpp v7, v7 row_shr:8 row_mask:0xf bank_mask:0xf bound_ctrl:1
	ds_bpermute_b32 v37, v92, v36
	v_add_f32_e32 v30, v9, v13
	v_cvt_i32_f32_e32 v9, v99
	v_cvt_f32_i32_dpp v6, v6 row_shr:8 row_mask:0xf bank_mask:0xf bound_ctrl:1
	v_add_f32_e32 v33, v8, v12
	v_cvt_i32_f32_e32 v8, v100
	ds_bpermute_b32 v40, v92, v39
	v_cvt_f32_i32_dpp v9, v9 row_shr:8 row_mask:0xf bank_mask:0xf bound_ctrl:1
	v_add_f32_e32 v6, v105, v6
	ds_bpermute_b32 v34, v92, v33
	v_cvt_f32_i32_dpp v8, v8 row_shr:8 row_mask:0xf bank_mask:0xf bound_ctrl:1
	v_add_f32_e32 v25, v5, v14
	v_cvt_i32_f32_e32 v5, v104
	v_cvt_i32_f32_e32 v11, v6
	ds_bpermute_b32 v31, v92, v30
	v_add_f32_e32 v8, v100, v8
	ds_bpermute_b32 v26, v92, v25
	v_cvt_f32_i32_dpp v5, v5 row_shr:8 row_mask:0xf bank_mask:0xf bound_ctrl:1
	v_cvt_f32_i32_dpp v11, v11 row_shr:4 row_mask:0xf bank_mask:0xf bound_ctrl:1
	v_cvt_i32_f32_e32 v13, v8
	s_delay_alu instid0(VALU_DEP_2) | instskip(NEXT) | instid1(VALU_DEP_2)
	v_dual_add_f32 v5, v104, v5 :: v_dual_add_f32 v6, v6, v11
	v_cvt_f32_i32_dpp v13, v13 row_shr:4 row_mask:0xf bank_mask:0xf bound_ctrl:1
	v_add_f32_e32 v7, v101, v7
	s_delay_alu instid0(VALU_DEP_3) | instskip(NEXT) | instid1(VALU_DEP_4)
	v_cvt_i32_f32_e32 v10, v5
	v_cvt_i32_f32_e32 v11, v6
	s_delay_alu instid0(VALU_DEP_4) | instskip(NEXT) | instid1(VALU_DEP_4)
	v_add_f32_e32 v8, v8, v13
	v_cvt_i32_f32_e32 v12, v7
	s_delay_alu instid0(VALU_DEP_4) | instskip(NEXT) | instid1(VALU_DEP_4)
	v_cvt_f32_i32_dpp v10, v10 row_shr:4 row_mask:0xf bank_mask:0xf bound_ctrl:1
	v_cvt_f32_i32_dpp v11, v11 row_shr:2 row_mask:0xf bank_mask:0xf bound_ctrl:1
	v_add_f32_e32 v9, v99, v9
	v_cvt_i32_f32_e32 v13, v8
	v_cvt_f32_i32_dpp v12, v12 row_shr:4 row_mask:0xf bank_mask:0xf bound_ctrl:1
	s_delay_alu instid0(VALU_DEP_4) | instskip(NEXT) | instid1(VALU_DEP_4)
	v_add_f32_e32 v6, v6, v11
	v_cvt_i32_f32_e32 v14, v9
	s_delay_alu instid0(VALU_DEP_4) | instskip(SKIP_1) | instid1(VALU_DEP_4)
	v_cvt_f32_i32_dpp v13, v13 row_shr:2 row_mask:0xf bank_mask:0xf bound_ctrl:1
	v_add_f32_e32 v5, v5, v10
	v_cvt_i32_f32_e32 v11, v6
	s_delay_alu instid0(VALU_DEP_4) | instskip(NEXT) | instid1(VALU_DEP_4)
	v_cvt_f32_i32_dpp v14, v14 row_shr:4 row_mask:0xf bank_mask:0xf bound_ctrl:1
	v_add_f32_e32 v8, v8, v13
	s_delay_alu instid0(VALU_DEP_4) | instskip(NEXT) | instid1(VALU_DEP_4)
	v_cvt_i32_f32_e32 v10, v5
	v_cvt_f32_i32_dpp v11, v11 row_shr:1 row_mask:0xf bank_mask:0xf bound_ctrl:1
	s_delay_alu instid0(VALU_DEP_3) | instskip(NEXT) | instid1(VALU_DEP_3)
	v_cvt_i32_f32_e32 v13, v8
	v_cvt_f32_i32_dpp v10, v10 row_shr:2 row_mask:0xf bank_mask:0xf bound_ctrl:1
	s_delay_alu instid0(VALU_DEP_3) | instskip(SKIP_1) | instid1(VALU_DEP_4)
	v_add_f32_e32 v23, v6, v11
	v_cvt_i32_f32_e32 v6, v98
	v_cvt_f32_i32_dpp v13, v13 row_shr:1 row_mask:0xf bank_mask:0xf bound_ctrl:1
	s_delay_alu instid0(VALU_DEP_2) | instskip(NEXT) | instid1(VALU_DEP_2)
	v_cvt_f32_i32_dpp v6, v6 row_shr:8 row_mask:0xf bank_mask:0xf bound_ctrl:1
	v_add_f32_e32 v17, v8, v13
	v_cvt_i32_f32_e32 v8, v96
	s_delay_alu instid0(VALU_DEP_3) | instskip(NEXT) | instid1(VALU_DEP_2)
	v_add_f32_e32 v6, v98, v6
	v_cvt_f32_i32_dpp v8, v8 row_shr:8 row_mask:0xf bank_mask:0xf bound_ctrl:1
	v_add_f32_e32 v5, v5, v10
	s_delay_alu instid0(VALU_DEP_3) | instskip(NEXT) | instid1(VALU_DEP_3)
	v_cvt_i32_f32_e32 v11, v6
	v_add_f32_e32 v8, v96, v8
	s_delay_alu instid0(VALU_DEP_3) | instskip(NEXT) | instid1(VALU_DEP_3)
	v_cvt_i32_f32_e32 v10, v5
	v_cvt_f32_i32_dpp v11, v11 row_shr:4 row_mask:0xf bank_mask:0xf bound_ctrl:1
	s_delay_alu instid0(VALU_DEP_3) | instskip(NEXT) | instid1(VALU_DEP_3)
	v_cvt_i32_f32_e32 v15, v8
	v_cvt_f32_i32_dpp v10, v10 row_shr:1 row_mask:0xf bank_mask:0xf bound_ctrl:1
	s_delay_alu instid0(VALU_DEP_3) | instskip(NEXT) | instid1(VALU_DEP_3)
	v_dual_add_f32 v7, v7, v12 :: v_dual_add_f32 v6, v6, v11
	v_cvt_f32_i32_dpp v15, v15 row_shr:4 row_mask:0xf bank_mask:0xf bound_ctrl:1
	s_delay_alu instid0(VALU_DEP_3) | instskip(NEXT) | instid1(VALU_DEP_3)
	v_add_f32_e32 v28, v5, v10
	v_cvt_i32_f32_e32 v12, v7
	v_cvt_i32_f32_e32 v5, v102
	;; [unrolled: 1-line block ×3, first 2 shown]
	v_add_f32_e32 v8, v8, v15
	ds_bpermute_b32 v29, v92, v28
	v_cvt_f32_i32_dpp v12, v12 row_shr:2 row_mask:0xf bank_mask:0xf bound_ctrl:1
	v_cvt_f32_i32_dpp v5, v5 row_shr:8 row_mask:0xf bank_mask:0xf bound_ctrl:1
	;; [unrolled: 1-line block ×3, first 2 shown]
	v_cvt_i32_f32_e32 v15, v8
	s_delay_alu instid0(VALU_DEP_2)
	v_dual_add_f32 v7, v7, v12 :: v_dual_add_f32 v6, v6, v11
	ds_bpermute_b32 v18, v92, v17
	v_cvt_f32_i32_dpp v15, v15 row_shr:2 row_mask:0xf bank_mask:0xf bound_ctrl:1
	v_cvt_i32_f32_e32 v12, v7
	v_add_f32_e32 v5, v102, v5
	v_cvt_i32_f32_e32 v11, v6
	s_delay_alu instid0(VALU_DEP_4) | instskip(NEXT) | instid1(VALU_DEP_4)
	v_add_f32_e32 v8, v8, v15
	v_cvt_f32_i32_dpp v12, v12 row_shr:1 row_mask:0xf bank_mask:0xf bound_ctrl:1
	v_add_f32_e32 v9, v9, v14
	v_cvt_i32_f32_e32 v10, v5
	v_cvt_f32_i32_dpp v11, v11 row_shr:1 row_mask:0xf bank_mask:0xf bound_ctrl:1
	v_cvt_i32_f32_e32 v15, v8
	v_add_f32_e32 v20, v7, v12
	v_cvt_i32_f32_e32 v14, v9
	v_cvt_i32_f32_e32 v7, v97
	v_cvt_f32_i32_dpp v10, v10 row_shr:4 row_mask:0xf bank_mask:0xf bound_ctrl:1
	v_add_f32_e32 v11, v6, v11
	ds_bpermute_b32 v21, v92, v20
	v_cvt_f32_i32_dpp v14, v14 row_shr:2 row_mask:0xf bank_mask:0xf bound_ctrl:1
	v_cvt_f32_i32_dpp v7, v7 row_shr:8 row_mask:0xf bank_mask:0xf bound_ctrl:1
	v_add_f32_e32 v5, v5, v10
	s_waitcnt vmcnt(0)
	v_cvt_f32_i32_dpp v19, v15 row_shr:1 row_mask:0xf bank_mask:0xf bound_ctrl:1
	v_add_f32_e32 v9, v9, v14
	v_add_f32_e32 v7, v97, v7
	v_cvt_i32_f32_e32 v10, v5
	s_delay_alu instid0(VALU_DEP_3) | instskip(NEXT) | instid1(VALU_DEP_3)
	v_cvt_i32_f32_e32 v14, v9
	v_cvt_i32_f32_e32 v12, v7
	s_delay_alu instid0(VALU_DEP_3) | instskip(NEXT) | instid1(VALU_DEP_3)
	v_cvt_f32_i32_dpp v10, v10 row_shr:2 row_mask:0xf bank_mask:0xf bound_ctrl:1
	v_cvt_f32_i32_dpp v14, v14 row_shr:1 row_mask:0xf bank_mask:0xf bound_ctrl:1
	s_delay_alu instid0(VALU_DEP_3) | instskip(NEXT) | instid1(VALU_DEP_3)
	v_cvt_f32_i32_dpp v12, v12 row_shr:4 row_mask:0xf bank_mask:0xf bound_ctrl:1
	v_add_f32_e32 v5, v5, v10
	s_delay_alu instid0(VALU_DEP_3) | instskip(SKIP_1) | instid1(VALU_DEP_4)
	v_add_f32_e32 v13, v9, v14
	v_cvt_i32_f32_e32 v9, v95
	v_add_f32_e32 v7, v7, v12
	ds_bpermute_b32 v14, v92, v13
	v_cvt_f32_i32_dpp v9, v9 row_shr:8 row_mask:0xf bank_mask:0xf bound_ctrl:1
	v_cvt_i32_f32_e32 v12, v7
	s_delay_alu instid0(VALU_DEP_2) | instskip(NEXT) | instid1(VALU_DEP_2)
	v_add_f32_e32 v9, v95, v9
	v_cvt_f32_i32_dpp v12, v12 row_shr:2 row_mask:0xf bank_mask:0xf bound_ctrl:1
	s_delay_alu instid0(VALU_DEP_2) | instskip(NEXT) | instid1(VALU_DEP_2)
	v_cvt_i32_f32_e32 v16, v9
	v_add_f32_e32 v7, v7, v12
	s_delay_alu instid0(VALU_DEP_2) | instskip(NEXT) | instid1(VALU_DEP_2)
	v_cvt_f32_i32_dpp v16, v16 row_shr:4 row_mask:0xf bank_mask:0xf bound_ctrl:1
	v_cvt_i32_f32_e32 v12, v7
	s_delay_alu instid0(VALU_DEP_2) | instskip(NEXT) | instid1(VALU_DEP_2)
	v_add_f32_e32 v9, v9, v16
	v_cvt_f32_i32_dpp v12, v12 row_shr:1 row_mask:0xf bank_mask:0xf bound_ctrl:1
	s_delay_alu instid0(VALU_DEP_2) | instskip(NEXT) | instid1(VALU_DEP_1)
	v_cvt_i32_f32_e32 v16, v9
	v_cvt_f32_i32_dpp v16, v16 row_shr:2 row_mask:0xf bank_mask:0xf bound_ctrl:1
	s_delay_alu instid0(VALU_DEP_1) | instskip(SKIP_4) | instid1(VALU_DEP_2)
	v_add_f32_e32 v10, v9, v16
	v_cvt_i32_f32_e32 v9, v5
	ds_bpermute_b32 v24, v92, v23
	v_cvt_i32_f32_e32 v16, v10
	v_cvt_f32_i32_dpp v9, v9 row_shr:1 row_mask:0xf bank_mask:0xf bound_ctrl:1
	v_cvt_f32_i32_dpp v16, v16 row_shr:1 row_mask:0xf bank_mask:0xf bound_ctrl:1
	s_delay_alu instid0(VALU_DEP_2)
	v_add_f32_e32 v15, v5, v9
	v_add_f32_e32 v9, v7, v12
	;; [unrolled: 1-line block ×3, first 2 shown]
	ds_bpermute_b32 v12, v92, v11
	v_add_f32_e32 v5, v10, v16
	ds_bpermute_b32 v16, v92, v15
	ds_bpermute_b32 v10, v92, v9
	;; [unrolled: 1-line block ×4, first 2 shown]
	s_and_saveexec_b32 s5, s0
	s_cbranch_execz .LBB276_151
; %bb.53:                               ;   in Loop: Header=BB276_13 Depth=1
	v_dual_mov_b32 v52, 0 :: v_dual_mov_b32 v51, 0
	v_dual_mov_b32 v50, 0 :: v_dual_mov_b32 v49, 0
	;; [unrolled: 1-line block ×8, first 2 shown]
	s_and_not1_b32 vcc_lo, exec_lo, s26
	s_cbranch_vccnz .LBB276_55
; %bb.54:                               ;   in Loop: Header=BB276_13 Depth=1
	v_mul_hi_u32 v19, v69, v93
	v_mul_hi_u32 v22, v75, v93
	;; [unrolled: 1-line block ×4, first 2 shown]
	v_mov_b32_e32 v56, v71
	v_mov_b32_e32 v63, v71
	;; [unrolled: 1-line block ×3, first 2 shown]
	v_mul_lo_u32 v19, v19, s16
	v_mul_lo_u32 v22, v22, s16
	;; [unrolled: 1-line block ×4, first 2 shown]
	s_delay_alu instid0(VALU_DEP_4) | instskip(NEXT) | instid1(VALU_DEP_4)
	v_sub_nc_u32_e32 v19, v69, v19
	v_sub_nc_u32_e32 v22, v75, v22
	s_delay_alu instid0(VALU_DEP_4) | instskip(NEXT) | instid1(VALU_DEP_4)
	v_sub_nc_u32_e32 v27, v74, v27
	v_sub_nc_u32_e32 v32, v73, v32
	s_delay_alu instid0(VALU_DEP_4)
	v_subrev_nc_u32_e32 v35, s16, v19
	v_cmp_le_u32_e32 vcc_lo, s16, v19
	v_subrev_nc_u32_e32 v38, s16, v22
	v_subrev_nc_u32_e32 v41, s16, v27
	;; [unrolled: 1-line block ×3, first 2 shown]
	v_cndmask_b32_e32 v19, v19, v35, vcc_lo
	v_cmp_le_u32_e32 vcc_lo, s16, v22
	v_cndmask_b32_e32 v22, v22, v38, vcc_lo
	v_cmp_le_u32_e32 vcc_lo, s16, v27
	s_delay_alu instid0(VALU_DEP_4) | instskip(NEXT) | instid1(VALU_DEP_3)
	v_subrev_nc_u32_e32 v35, s16, v19
	v_subrev_nc_u32_e32 v38, s16, v22
	v_cndmask_b32_e32 v27, v27, v41, vcc_lo
	v_cmp_le_u32_e32 vcc_lo, s16, v32
	v_cndmask_b32_e32 v32, v32, v44, vcc_lo
	v_cmp_le_u32_e32 vcc_lo, s16, v19
	s_delay_alu instid0(VALU_DEP_4) | instskip(NEXT) | instid1(VALU_DEP_3)
	v_subrev_nc_u32_e32 v41, s16, v27
	v_subrev_nc_u32_e32 v44, s16, v32
	v_cndmask_b32_e32 v70, v19, v35, vcc_lo
	v_cmp_le_u32_e32 vcc_lo, s16, v22
	v_mov_b32_e32 v46, v71
	s_delay_alu instid0(VALU_DEP_3) | instskip(SKIP_3) | instid1(VALU_DEP_3)
	v_lshlrev_b64 v[47:48], 1, v[70:71]
	v_cndmask_b32_e32 v45, v22, v38, vcc_lo
	v_cmp_le_u32_e32 vcc_lo, s16, v27
	v_dual_mov_b32 v59, v71 :: v_dual_add_nc_u32 v58, s28, v70
	v_lshlrev_b64 v[49:50], 1, v[45:46]
	v_cndmask_b32_e32 v53, v27, v41, vcc_lo
	v_cmp_le_u32_e32 vcc_lo, s16, v32
	v_mov_b32_e32 v54, v71
	v_add_nc_u32_e32 v78, s29, v45
	s_delay_alu instid0(VALU_DEP_4) | instskip(NEXT) | instid1(VALU_DEP_3)
	v_dual_cndmask_b32 v55, v32, v44 :: v_dual_add_nc_u32 v62, s28, v53
	v_lshlrev_b64 v[51:52], 1, v[53:54]
	v_add_co_u32 v46, vcc_lo, s6, v47
	v_add_co_ci_u32_e32 v47, vcc_lo, s7, v48, vcc_lo
	v_add_co_u32 v48, vcc_lo, s6, v49
	v_lshlrev_b64 v[56:57], 1, v[55:56]
	v_add_co_ci_u32_e32 v49, vcc_lo, s7, v50, vcc_lo
	v_add_co_u32 v60, vcc_lo, s6, v51
	v_lshlrev_b64 v[50:51], 1, v[58:59]
	v_add_nc_u32_e32 v58, s28, v45
	v_add_co_ci_u32_e32 v61, vcc_lo, s7, v52, vcc_lo
	v_add_co_u32 v56, vcc_lo, s6, v56
	v_add_co_ci_u32_e32 v57, vcc_lo, s7, v57, vcc_lo
	s_delay_alu instid0(VALU_DEP_4)
	v_lshlrev_b64 v[58:59], 1, v[58:59]
	v_add_co_u32 v64, vcc_lo, s6, v50
	v_add_co_ci_u32_e32 v65, vcc_lo, s7, v51, vcc_lo
	v_lshlrev_b64 v[50:51], 1, v[62:63]
	v_add_nc_u32_e32 v62, s28, v55
	v_add_co_u32 v58, vcc_lo, s6, v58
	v_add_co_ci_u32_e32 v59, vcc_lo, s7, v59, vcc_lo
	s_delay_alu instid0(VALU_DEP_4)
	v_add_co_u32 v66, vcc_lo, s6, v50
	v_add_co_ci_u32_e32 v67, vcc_lo, s7, v51, vcc_lo
	v_mov_b32_e32 v51, v71
	v_lshlrev_b64 v[62:63], 1, v[62:63]
	v_add_nc_u32_e32 v50, s29, v70
	v_add_nc_u32_e32 v70, s30, v70
	s_delay_alu instid0(VALU_DEP_3) | instskip(NEXT) | instid1(VALU_DEP_3)
	v_add_co_u32 v62, vcc_lo, s6, v62
	v_lshlrev_b64 v[76:77], 1, v[50:51]
	v_add_co_ci_u32_e32 v63, vcc_lo, s7, v63, vcc_lo
	s_clause 0x7
	global_load_u16 v52, v[46:47], off
	global_load_u16 v51, v[48:49], off
	;; [unrolled: 1-line block ×8, first 2 shown]
	v_dual_mov_b32 v63, v71 :: v_dual_add_nc_u32 v58, s29, v53
	v_mov_b32_e32 v59, v71
	v_lshlrev_b64 v[56:57], 1, v[78:79]
	v_add_nc_u32_e32 v62, s29, v55
	v_add_co_u32 v60, vcc_lo, s6, v76
	s_delay_alu instid0(VALU_DEP_4)
	v_lshlrev_b64 v[58:59], 1, v[58:59]
	v_add_co_ci_u32_e32 v61, vcc_lo, s7, v77, vcc_lo
	v_add_co_u32 v56, vcc_lo, s6, v56
	v_lshlrev_b64 v[62:63], 1, v[62:63]
	v_lshlrev_b64 v[64:65], 1, v[70:71]
	v_add_nc_u32_e32 v70, s30, v45
	v_add_co_ci_u32_e32 v57, vcc_lo, s7, v57, vcc_lo
	v_add_co_u32 v58, vcc_lo, s6, v58
	v_add_co_ci_u32_e32 v59, vcc_lo, s7, v59, vcc_lo
	v_add_co_u32 v62, vcc_lo, s6, v62
	v_lshlrev_b64 v[66:67], 1, v[70:71]
	v_add_nc_u32_e32 v70, s30, v53
	v_add_co_ci_u32_e32 v63, vcc_lo, s7, v63, vcc_lo
	v_add_co_u32 v53, vcc_lo, s6, v64
	v_add_co_ci_u32_e32 v54, vcc_lo, s7, v65, vcc_lo
	s_delay_alu instid0(VALU_DEP_4) | instskip(SKIP_3) | instid1(VALU_DEP_3)
	v_lshlrev_b64 v[64:65], 1, v[70:71]
	v_add_nc_u32_e32 v70, s30, v55
	v_add_co_u32 v66, vcc_lo, s6, v66
	v_add_co_ci_u32_e32 v67, vcc_lo, s7, v67, vcc_lo
	v_lshlrev_b64 v[76:77], 1, v[70:71]
	v_add_co_u32 v64, vcc_lo, s6, v64
	v_add_co_ci_u32_e32 v65, vcc_lo, s7, v65, vcc_lo
	s_delay_alu instid0(VALU_DEP_3) | instskip(NEXT) | instid1(VALU_DEP_4)
	v_add_co_u32 v76, vcc_lo, s6, v76
	v_add_co_ci_u32_e32 v77, vcc_lo, s7, v77, vcc_lo
	s_clause 0x7
	global_load_u16 v45, v[60:61], off
	global_load_u16 v41, v[56:57], off
	;; [unrolled: 1-line block ×8, first 2 shown]
.LBB276_55:                             ;   in Loop: Header=BB276_13 Depth=1
	v_cmp_ne_u32_e32 vcc_lo, 0, v1
	s_and_saveexec_b32 s2, vcc_lo
	s_cbranch_execnz .LBB276_71
; %bb.56:                               ;   in Loop: Header=BB276_13 Depth=1
	s_or_b32 exec_lo, exec_lo, s2
	v_cmp_ne_u32_e64 s1, 0, v2
	s_delay_alu instid0(VALU_DEP_1)
	s_and_saveexec_b32 s3, s1
	s_cbranch_execnz .LBB276_76
.LBB276_57:                             ;   in Loop: Header=BB276_13 Depth=1
	s_or_b32 exec_lo, exec_lo, s3
	v_cmp_ne_u32_e64 s2, 0, v3
	s_delay_alu instid0(VALU_DEP_1)
	s_and_saveexec_b32 s4, s2
	s_cbranch_execnz .LBB276_81
.LBB276_58:                             ;   in Loop: Header=BB276_13 Depth=1
	s_or_b32 exec_lo, exec_lo, s4
	v_cmp_ne_u32_e64 s3, 0, v4
	s_delay_alu instid0(VALU_DEP_1)
	s_and_saveexec_b32 s31, s3
	s_cbranch_execnz .LBB276_86
.LBB276_59:                             ;   in Loop: Header=BB276_13 Depth=1
	s_or_b32 exec_lo, exec_lo, s31
	v_add_nc_u32_e32 v70, s11, v69
	s_and_saveexec_b32 s31, vcc_lo
	s_cbranch_execnz .LBB276_91
.LBB276_60:                             ;   in Loop: Header=BB276_13 Depth=1
	s_or_b32 exec_lo, exec_lo, s31
	s_and_saveexec_b32 s31, s1
	s_cbranch_execnz .LBB276_96
.LBB276_61:                             ;   in Loop: Header=BB276_13 Depth=1
	s_or_b32 exec_lo, exec_lo, s31
	s_and_saveexec_b32 s31, s2
	s_cbranch_execnz .LBB276_101
.LBB276_62:                             ;   in Loop: Header=BB276_13 Depth=1
	s_or_b32 exec_lo, exec_lo, s31
	s_and_saveexec_b32 s31, s3
	s_cbranch_execnz .LBB276_106
.LBB276_63:                             ;   in Loop: Header=BB276_13 Depth=1
	s_or_b32 exec_lo, exec_lo, s31
	v_add_nc_u32_e32 v70, s11, v70
	s_and_saveexec_b32 s31, vcc_lo
	s_cbranch_execnz .LBB276_111
.LBB276_64:                             ;   in Loop: Header=BB276_13 Depth=1
	s_or_b32 exec_lo, exec_lo, s31
	s_and_saveexec_b32 s31, s1
	s_cbranch_execnz .LBB276_116
.LBB276_65:                             ;   in Loop: Header=BB276_13 Depth=1
	s_or_b32 exec_lo, exec_lo, s31
	s_and_saveexec_b32 s31, s2
	s_cbranch_execnz .LBB276_121
.LBB276_66:                             ;   in Loop: Header=BB276_13 Depth=1
	s_or_b32 exec_lo, exec_lo, s31
	s_and_saveexec_b32 s31, s3
	s_cbranch_execnz .LBB276_126
.LBB276_67:                             ;   in Loop: Header=BB276_13 Depth=1
	s_or_b32 exec_lo, exec_lo, s31
	v_add_nc_u32_e32 v70, s11, v70
	s_and_saveexec_b32 s4, vcc_lo
	s_cbranch_execnz .LBB276_131
.LBB276_68:                             ;   in Loop: Header=BB276_13 Depth=1
	s_or_b32 exec_lo, exec_lo, s4
	s_and_saveexec_b32 s4, s1
	s_cbranch_execnz .LBB276_136
.LBB276_69:                             ;   in Loop: Header=BB276_13 Depth=1
	s_or_b32 exec_lo, exec_lo, s4
	s_and_saveexec_b32 s1, s2
	s_cbranch_execnz .LBB276_141
.LBB276_70:                             ;   in Loop: Header=BB276_13 Depth=1
	s_or_b32 exec_lo, exec_lo, s1
	s_delay_alu instid0(SALU_CYCLE_1)
	s_and_b32 exec_lo, exec_lo, s3
	s_cbranch_execnz .LBB276_146
	s_branch .LBB276_151
.LBB276_71:                             ;   in Loop: Header=BB276_13 Depth=1
	s_waitcnt vmcnt(15) lgkmcnt(0)
	v_dual_add_f32 v42, v42, v43 :: v_dual_lshlrev_b32 v43, 16, v52
	s_delay_alu instid0(VALU_DEP_1) | instskip(NEXT) | instid1(VALU_DEP_1)
	v_add_f32_e32 v43, v42, v43
	v_and_b32_e32 v42, 0x7f800000, v43
	s_delay_alu instid0(VALU_DEP_1) | instskip(NEXT) | instid1(VALU_DEP_1)
	v_cmp_ne_u32_e64 s1, 0x7f800000, v42
                                        ; implicit-def: $vgpr42
	s_and_saveexec_b32 s3, s1
	s_delay_alu instid0(SALU_CYCLE_1)
	s_xor_b32 s1, exec_lo, s3
; %bb.72:                               ;   in Loop: Header=BB276_13 Depth=1
	v_bfe_u32 v42, v43, 16, 1
	s_delay_alu instid0(VALU_DEP_1)
	v_add3_u32 v42, v43, v42, 0x7fff
                                        ; implicit-def: $vgpr43
; %bb.73:                               ;   in Loop: Header=BB276_13 Depth=1
	s_and_not1_saveexec_b32 s3, s1
; %bb.74:                               ;   in Loop: Header=BB276_13 Depth=1
	v_and_b32_e32 v42, 0xffff, v43
	v_or_b32_e32 v52, 0x10000, v43
	s_delay_alu instid0(VALU_DEP_2) | instskip(NEXT) | instid1(VALU_DEP_1)
	v_cmp_eq_u32_e64 s1, 0, v42
	v_cndmask_b32_e64 v42, v52, v43, s1
; %bb.75:                               ;   in Loop: Header=BB276_13 Depth=1
	s_or_b32 exec_lo, exec_lo, s3
	v_mov_b32_e32 v70, v71
	s_delay_alu instid0(VALU_DEP_1) | instskip(NEXT) | instid1(VALU_DEP_1)
	v_lshlrev_b64 v[52:53], 1, v[69:70]
	v_add_co_u32 v52, s1, s18, v52
	s_delay_alu instid0(VALU_DEP_1) | instskip(SKIP_3) | instid1(VALU_DEP_1)
	v_add_co_ci_u32_e64 v53, s1, s19, v53, s1
	global_store_d16_hi_b16 v[52:53], v42, off
	s_or_b32 exec_lo, exec_lo, s2
	v_cmp_ne_u32_e64 s1, 0, v2
	s_and_saveexec_b32 s3, s1
	s_cbranch_execz .LBB276_57
.LBB276_76:                             ;   in Loop: Header=BB276_13 Depth=1
	s_waitcnt vmcnt(14) lgkmcnt(0)
	v_dual_add_f32 v39, v39, v40 :: v_dual_lshlrev_b32 v40, 16, v51
	s_delay_alu instid0(VALU_DEP_1) | instskip(NEXT) | instid1(VALU_DEP_1)
	v_add_f32_e32 v40, v39, v40
	v_and_b32_e32 v39, 0x7f800000, v40
	s_delay_alu instid0(VALU_DEP_1) | instskip(NEXT) | instid1(VALU_DEP_1)
	v_cmp_ne_u32_e64 s2, 0x7f800000, v39
                                        ; implicit-def: $vgpr39
	s_and_saveexec_b32 s4, s2
	s_delay_alu instid0(SALU_CYCLE_1)
	s_xor_b32 s2, exec_lo, s4
; %bb.77:                               ;   in Loop: Header=BB276_13 Depth=1
	v_bfe_u32 v39, v40, 16, 1
	s_delay_alu instid0(VALU_DEP_1)
	v_add3_u32 v39, v40, v39, 0x7fff
                                        ; implicit-def: $vgpr40
; %bb.78:                               ;   in Loop: Header=BB276_13 Depth=1
	s_and_not1_saveexec_b32 s4, s2
; %bb.79:                               ;   in Loop: Header=BB276_13 Depth=1
	v_and_b32_e32 v39, 0xffff, v40
	v_or_b32_e32 v42, 0x10000, v40
	s_delay_alu instid0(VALU_DEP_2) | instskip(NEXT) | instid1(VALU_DEP_1)
	v_cmp_eq_u32_e64 s2, 0, v39
	v_cndmask_b32_e64 v39, v42, v40, s2
; %bb.80:                               ;   in Loop: Header=BB276_13 Depth=1
	s_or_b32 exec_lo, exec_lo, s4
	v_mov_b32_e32 v76, v71
	s_delay_alu instid0(VALU_DEP_1) | instskip(NEXT) | instid1(VALU_DEP_1)
	v_lshlrev_b64 v[42:43], 1, v[75:76]
	v_add_co_u32 v42, s2, s18, v42
	s_delay_alu instid0(VALU_DEP_1) | instskip(SKIP_3) | instid1(VALU_DEP_1)
	v_add_co_ci_u32_e64 v43, s2, s19, v43, s2
	global_store_d16_hi_b16 v[42:43], v39, off
	s_or_b32 exec_lo, exec_lo, s3
	v_cmp_ne_u32_e64 s2, 0, v3
	s_and_saveexec_b32 s4, s2
	s_cbranch_execz .LBB276_58
.LBB276_81:                             ;   in Loop: Header=BB276_13 Depth=1
	s_waitcnt vmcnt(13) lgkmcnt(0)
	v_dual_add_f32 v36, v36, v37 :: v_dual_lshlrev_b32 v37, 16, v50
	s_delay_alu instid0(VALU_DEP_1) | instskip(NEXT) | instid1(VALU_DEP_1)
	v_add_f32_e32 v37, v36, v37
	v_and_b32_e32 v36, 0x7f800000, v37
	s_delay_alu instid0(VALU_DEP_1) | instskip(NEXT) | instid1(VALU_DEP_1)
	v_cmp_ne_u32_e64 s3, 0x7f800000, v36
                                        ; implicit-def: $vgpr36
	s_and_saveexec_b32 s31, s3
	s_delay_alu instid0(SALU_CYCLE_1)
	s_xor_b32 s3, exec_lo, s31
; %bb.82:                               ;   in Loop: Header=BB276_13 Depth=1
	v_bfe_u32 v36, v37, 16, 1
	s_delay_alu instid0(VALU_DEP_1)
	v_add3_u32 v36, v37, v36, 0x7fff
                                        ; implicit-def: $vgpr37
; %bb.83:                               ;   in Loop: Header=BB276_13 Depth=1
	s_and_not1_saveexec_b32 s31, s3
; %bb.84:                               ;   in Loop: Header=BB276_13 Depth=1
	v_and_b32_e32 v36, 0xffff, v37
	v_or_b32_e32 v39, 0x10000, v37
	s_delay_alu instid0(VALU_DEP_2) | instskip(NEXT) | instid1(VALU_DEP_1)
	v_cmp_eq_u32_e64 s3, 0, v36
	v_cndmask_b32_e64 v36, v39, v37, s3
; %bb.85:                               ;   in Loop: Header=BB276_13 Depth=1
	s_or_b32 exec_lo, exec_lo, s31
	v_mov_b32_e32 v75, v71
	s_delay_alu instid0(VALU_DEP_1) | instskip(NEXT) | instid1(VALU_DEP_1)
	v_lshlrev_b64 v[39:40], 1, v[74:75]
	v_add_co_u32 v39, s3, s18, v39
	s_delay_alu instid0(VALU_DEP_1) | instskip(SKIP_3) | instid1(VALU_DEP_1)
	v_add_co_ci_u32_e64 v40, s3, s19, v40, s3
	global_store_d16_hi_b16 v[39:40], v36, off
	s_or_b32 exec_lo, exec_lo, s4
	v_cmp_ne_u32_e64 s3, 0, v4
	s_and_saveexec_b32 s31, s3
	s_cbranch_execz .LBB276_59
.LBB276_86:                             ;   in Loop: Header=BB276_13 Depth=1
	s_waitcnt vmcnt(12) lgkmcnt(0)
	v_dual_add_f32 v33, v33, v34 :: v_dual_lshlrev_b32 v34, 16, v49
	s_delay_alu instid0(VALU_DEP_1) | instskip(NEXT) | instid1(VALU_DEP_1)
	v_add_f32_e32 v34, v33, v34
	v_and_b32_e32 v33, 0x7f800000, v34
	s_delay_alu instid0(VALU_DEP_1) | instskip(NEXT) | instid1(VALU_DEP_1)
	v_cmp_ne_u32_e64 s4, 0x7f800000, v33
                                        ; implicit-def: $vgpr33
	s_and_saveexec_b32 s33, s4
	s_delay_alu instid0(SALU_CYCLE_1)
	s_xor_b32 s4, exec_lo, s33
; %bb.87:                               ;   in Loop: Header=BB276_13 Depth=1
	v_bfe_u32 v33, v34, 16, 1
	s_delay_alu instid0(VALU_DEP_1)
	v_add3_u32 v33, v34, v33, 0x7fff
                                        ; implicit-def: $vgpr34
; %bb.88:                               ;   in Loop: Header=BB276_13 Depth=1
	s_and_not1_saveexec_b32 s33, s4
; %bb.89:                               ;   in Loop: Header=BB276_13 Depth=1
	v_and_b32_e32 v33, 0xffff, v34
	v_or_b32_e32 v36, 0x10000, v34
	s_delay_alu instid0(VALU_DEP_2) | instskip(NEXT) | instid1(VALU_DEP_1)
	v_cmp_eq_u32_e64 s4, 0, v33
	v_cndmask_b32_e64 v33, v36, v34, s4
; %bb.90:                               ;   in Loop: Header=BB276_13 Depth=1
	s_or_b32 exec_lo, exec_lo, s33
	v_mov_b32_e32 v74, v71
	s_delay_alu instid0(VALU_DEP_1) | instskip(NEXT) | instid1(VALU_DEP_1)
	v_lshlrev_b64 v[36:37], 1, v[73:74]
	v_add_co_u32 v36, s4, s18, v36
	s_delay_alu instid0(VALU_DEP_1)
	v_add_co_ci_u32_e64 v37, s4, s19, v37, s4
	global_store_d16_hi_b16 v[36:37], v33, off
	s_or_b32 exec_lo, exec_lo, s31
	v_add_nc_u32_e32 v70, s11, v69
	s_and_saveexec_b32 s31, vcc_lo
	s_cbranch_execz .LBB276_60
.LBB276_91:                             ;   in Loop: Header=BB276_13 Depth=1
	s_waitcnt vmcnt(11) lgkmcnt(0)
	v_dual_add_f32 v30, v30, v31 :: v_dual_lshlrev_b32 v31, 16, v48
	s_delay_alu instid0(VALU_DEP_1) | instskip(NEXT) | instid1(VALU_DEP_1)
	v_add_f32_e32 v31, v30, v31
	v_and_b32_e32 v30, 0x7f800000, v31
	s_delay_alu instid0(VALU_DEP_1) | instskip(NEXT) | instid1(VALU_DEP_1)
	v_cmp_ne_u32_e64 s4, 0x7f800000, v30
                                        ; implicit-def: $vgpr30
	s_and_saveexec_b32 s33, s4
	s_delay_alu instid0(SALU_CYCLE_1)
	s_xor_b32 s4, exec_lo, s33
; %bb.92:                               ;   in Loop: Header=BB276_13 Depth=1
	v_bfe_u32 v30, v31, 16, 1
	s_delay_alu instid0(VALU_DEP_1)
	v_add3_u32 v30, v31, v30, 0x7fff
                                        ; implicit-def: $vgpr31
; %bb.93:                               ;   in Loop: Header=BB276_13 Depth=1
	s_and_not1_saveexec_b32 s33, s4
; %bb.94:                               ;   in Loop: Header=BB276_13 Depth=1
	v_and_b32_e32 v30, 0xffff, v31
	v_or_b32_e32 v33, 0x10000, v31
	s_delay_alu instid0(VALU_DEP_2) | instskip(NEXT) | instid1(VALU_DEP_1)
	v_cmp_eq_u32_e64 s4, 0, v30
	v_cndmask_b32_e64 v30, v33, v31, s4
; %bb.95:                               ;   in Loop: Header=BB276_13 Depth=1
	s_or_b32 exec_lo, exec_lo, s33
	v_lshlrev_b64 v[33:34], 1, v[70:71]
	s_delay_alu instid0(VALU_DEP_1) | instskip(NEXT) | instid1(VALU_DEP_1)
	v_add_co_u32 v33, s4, s18, v33
	v_add_co_ci_u32_e64 v34, s4, s19, v34, s4
	global_store_d16_hi_b16 v[33:34], v30, off
	s_or_b32 exec_lo, exec_lo, s31
	s_and_saveexec_b32 s31, s1
	s_cbranch_execz .LBB276_61
.LBB276_96:                             ;   in Loop: Header=BB276_13 Depth=1
	s_waitcnt vmcnt(10) lgkmcnt(0)
	v_dual_add_f32 v25, v25, v26 :: v_dual_lshlrev_b32 v26, 16, v47
	s_delay_alu instid0(VALU_DEP_1) | instskip(NEXT) | instid1(VALU_DEP_1)
	v_add_f32_e32 v26, v25, v26
	v_and_b32_e32 v25, 0x7f800000, v26
	s_delay_alu instid0(VALU_DEP_1) | instskip(NEXT) | instid1(VALU_DEP_1)
	v_cmp_ne_u32_e64 s4, 0x7f800000, v25
                                        ; implicit-def: $vgpr25
	s_and_saveexec_b32 s33, s4
	s_delay_alu instid0(SALU_CYCLE_1)
	s_xor_b32 s4, exec_lo, s33
; %bb.97:                               ;   in Loop: Header=BB276_13 Depth=1
	v_bfe_u32 v25, v26, 16, 1
	s_delay_alu instid0(VALU_DEP_1)
	v_add3_u32 v25, v26, v25, 0x7fff
                                        ; implicit-def: $vgpr26
; %bb.98:                               ;   in Loop: Header=BB276_13 Depth=1
	s_and_not1_saveexec_b32 s33, s4
; %bb.99:                               ;   in Loop: Header=BB276_13 Depth=1
	v_and_b32_e32 v25, 0xffff, v26
	v_or_b32_e32 v30, 0x10000, v26
	s_delay_alu instid0(VALU_DEP_2) | instskip(NEXT) | instid1(VALU_DEP_1)
	v_cmp_eq_u32_e64 s4, 0, v25
	v_cndmask_b32_e64 v25, v30, v26, s4
; %bb.100:                              ;   in Loop: Header=BB276_13 Depth=1
	s_or_b32 exec_lo, exec_lo, s33
	v_dual_mov_b32 v31, v71 :: v_dual_add_nc_u32 v30, 1, v70
	s_delay_alu instid0(VALU_DEP_1) | instskip(NEXT) | instid1(VALU_DEP_1)
	v_lshlrev_b64 v[30:31], 1, v[30:31]
	v_add_co_u32 v30, s4, s18, v30
	s_delay_alu instid0(VALU_DEP_1)
	v_add_co_ci_u32_e64 v31, s4, s19, v31, s4
	global_store_d16_hi_b16 v[30:31], v25, off
	s_or_b32 exec_lo, exec_lo, s31
	s_and_saveexec_b32 s31, s2
	s_cbranch_execz .LBB276_62
.LBB276_101:                            ;   in Loop: Header=BB276_13 Depth=1
	s_waitcnt vmcnt(9) lgkmcnt(0)
	v_dual_add_f32 v25, v28, v29 :: v_dual_lshlrev_b32 v26, 16, v46
	s_delay_alu instid0(VALU_DEP_1) | instskip(NEXT) | instid1(VALU_DEP_1)
	v_add_f32_e32 v26, v25, v26
	v_and_b32_e32 v25, 0x7f800000, v26
	s_delay_alu instid0(VALU_DEP_1) | instskip(NEXT) | instid1(VALU_DEP_1)
	v_cmp_ne_u32_e64 s4, 0x7f800000, v25
                                        ; implicit-def: $vgpr25
	s_and_saveexec_b32 s33, s4
	s_delay_alu instid0(SALU_CYCLE_1)
	s_xor_b32 s4, exec_lo, s33
; %bb.102:                              ;   in Loop: Header=BB276_13 Depth=1
	v_bfe_u32 v25, v26, 16, 1
	s_delay_alu instid0(VALU_DEP_1)
	v_add3_u32 v25, v26, v25, 0x7fff
                                        ; implicit-def: $vgpr26
; %bb.103:                              ;   in Loop: Header=BB276_13 Depth=1
	s_and_not1_saveexec_b32 s33, s4
; %bb.104:                              ;   in Loop: Header=BB276_13 Depth=1
	v_and_b32_e32 v25, 0xffff, v26
	v_or_b32_e32 v28, 0x10000, v26
	s_delay_alu instid0(VALU_DEP_2) | instskip(NEXT) | instid1(VALU_DEP_1)
	v_cmp_eq_u32_e64 s4, 0, v25
	v_cndmask_b32_e64 v25, v28, v26, s4
; %bb.105:                              ;   in Loop: Header=BB276_13 Depth=1
	s_or_b32 exec_lo, exec_lo, s33
	v_dual_mov_b32 v29, v71 :: v_dual_add_nc_u32 v28, 2, v70
	s_delay_alu instid0(VALU_DEP_1) | instskip(NEXT) | instid1(VALU_DEP_1)
	v_lshlrev_b64 v[28:29], 1, v[28:29]
	v_add_co_u32 v28, s4, s18, v28
	s_delay_alu instid0(VALU_DEP_1)
	v_add_co_ci_u32_e64 v29, s4, s19, v29, s4
	global_store_d16_hi_b16 v[28:29], v25, off
	s_or_b32 exec_lo, exec_lo, s31
	s_and_saveexec_b32 s31, s3
	s_cbranch_execz .LBB276_63
.LBB276_106:                            ;   in Loop: Header=BB276_13 Depth=1
	s_waitcnt lgkmcnt(0)
	v_add_f32_e32 v23, v23, v24
	s_waitcnt vmcnt(8)
	v_lshlrev_b32_e32 v24, 16, v44
	s_delay_alu instid0(VALU_DEP_1) | instskip(NEXT) | instid1(VALU_DEP_1)
	v_add_f32_e32 v24, v23, v24
	v_and_b32_e32 v23, 0x7f800000, v24
	s_delay_alu instid0(VALU_DEP_1) | instskip(NEXT) | instid1(VALU_DEP_1)
	v_cmp_ne_u32_e64 s4, 0x7f800000, v23
                                        ; implicit-def: $vgpr23
	s_and_saveexec_b32 s33, s4
	s_delay_alu instid0(SALU_CYCLE_1)
	s_xor_b32 s4, exec_lo, s33
; %bb.107:                              ;   in Loop: Header=BB276_13 Depth=1
	v_bfe_u32 v23, v24, 16, 1
	s_delay_alu instid0(VALU_DEP_1)
	v_add3_u32 v23, v24, v23, 0x7fff
                                        ; implicit-def: $vgpr24
; %bb.108:                              ;   in Loop: Header=BB276_13 Depth=1
	s_and_not1_saveexec_b32 s33, s4
; %bb.109:                              ;   in Loop: Header=BB276_13 Depth=1
	v_and_b32_e32 v23, 0xffff, v24
	v_or_b32_e32 v25, 0x10000, v24
	s_delay_alu instid0(VALU_DEP_2) | instskip(NEXT) | instid1(VALU_DEP_1)
	v_cmp_eq_u32_e64 s4, 0, v23
	v_cndmask_b32_e64 v23, v25, v24, s4
; %bb.110:                              ;   in Loop: Header=BB276_13 Depth=1
	s_or_b32 exec_lo, exec_lo, s33
	v_dual_mov_b32 v25, v71 :: v_dual_add_nc_u32 v24, 3, v70
	s_delay_alu instid0(VALU_DEP_1) | instskip(NEXT) | instid1(VALU_DEP_1)
	v_lshlrev_b64 v[24:25], 1, v[24:25]
	v_add_co_u32 v24, s4, s18, v24
	s_delay_alu instid0(VALU_DEP_1)
	v_add_co_ci_u32_e64 v25, s4, s19, v25, s4
	global_store_d16_hi_b16 v[24:25], v23, off
	s_or_b32 exec_lo, exec_lo, s31
	v_add_nc_u32_e32 v70, s11, v70
	s_and_saveexec_b32 s31, vcc_lo
	s_cbranch_execz .LBB276_64
.LBB276_111:                            ;   in Loop: Header=BB276_13 Depth=1
	s_waitcnt lgkmcnt(0)
	v_add_f32_e32 v20, v20, v21
	s_waitcnt vmcnt(7)
	v_lshlrev_b32_e32 v21, 16, v45
	s_delay_alu instid0(VALU_DEP_1) | instskip(NEXT) | instid1(VALU_DEP_1)
	v_add_f32_e32 v21, v20, v21
	v_and_b32_e32 v20, 0x7f800000, v21
	s_delay_alu instid0(VALU_DEP_1) | instskip(NEXT) | instid1(VALU_DEP_1)
	v_cmp_ne_u32_e64 s4, 0x7f800000, v20
                                        ; implicit-def: $vgpr20
	s_and_saveexec_b32 s33, s4
	s_delay_alu instid0(SALU_CYCLE_1)
	s_xor_b32 s4, exec_lo, s33
; %bb.112:                              ;   in Loop: Header=BB276_13 Depth=1
	v_bfe_u32 v20, v21, 16, 1
	s_delay_alu instid0(VALU_DEP_1)
	v_add3_u32 v20, v21, v20, 0x7fff
                                        ; implicit-def: $vgpr21
; %bb.113:                              ;   in Loop: Header=BB276_13 Depth=1
	s_and_not1_saveexec_b32 s33, s4
; %bb.114:                              ;   in Loop: Header=BB276_13 Depth=1
	v_and_b32_e32 v20, 0xffff, v21
	v_or_b32_e32 v23, 0x10000, v21
	s_delay_alu instid0(VALU_DEP_2) | instskip(NEXT) | instid1(VALU_DEP_1)
	v_cmp_eq_u32_e64 s4, 0, v20
	v_cndmask_b32_e64 v20, v23, v21, s4
; %bb.115:                              ;   in Loop: Header=BB276_13 Depth=1
	s_or_b32 exec_lo, exec_lo, s33
	v_lshlrev_b64 v[23:24], 1, v[70:71]
	s_delay_alu instid0(VALU_DEP_1) | instskip(NEXT) | instid1(VALU_DEP_1)
	v_add_co_u32 v23, s4, s18, v23
	v_add_co_ci_u32_e64 v24, s4, s19, v24, s4
	global_store_d16_hi_b16 v[23:24], v20, off
	s_or_b32 exec_lo, exec_lo, s31
	s_and_saveexec_b32 s31, s1
	s_cbranch_execz .LBB276_65
.LBB276_116:                            ;   in Loop: Header=BB276_13 Depth=1
	s_waitcnt vmcnt(6) lgkmcnt(0)
	v_dual_add_f32 v17, v17, v18 :: v_dual_lshlrev_b32 v18, 16, v41
	s_delay_alu instid0(VALU_DEP_1) | instskip(NEXT) | instid1(VALU_DEP_1)
	v_add_f32_e32 v18, v17, v18
	v_and_b32_e32 v17, 0x7f800000, v18
	s_delay_alu instid0(VALU_DEP_1) | instskip(NEXT) | instid1(VALU_DEP_1)
	v_cmp_ne_u32_e64 s4, 0x7f800000, v17
                                        ; implicit-def: $vgpr17
	s_and_saveexec_b32 s33, s4
	s_delay_alu instid0(SALU_CYCLE_1)
	s_xor_b32 s4, exec_lo, s33
; %bb.117:                              ;   in Loop: Header=BB276_13 Depth=1
	v_bfe_u32 v17, v18, 16, 1
	s_delay_alu instid0(VALU_DEP_1)
	v_add3_u32 v17, v18, v17, 0x7fff
                                        ; implicit-def: $vgpr18
; %bb.118:                              ;   in Loop: Header=BB276_13 Depth=1
	s_and_not1_saveexec_b32 s33, s4
; %bb.119:                              ;   in Loop: Header=BB276_13 Depth=1
	v_and_b32_e32 v17, 0xffff, v18
	v_or_b32_e32 v20, 0x10000, v18
	s_delay_alu instid0(VALU_DEP_2) | instskip(NEXT) | instid1(VALU_DEP_1)
	v_cmp_eq_u32_e64 s4, 0, v17
	v_cndmask_b32_e64 v17, v20, v18, s4
; %bb.120:                              ;   in Loop: Header=BB276_13 Depth=1
	s_or_b32 exec_lo, exec_lo, s33
	v_dual_mov_b32 v21, v71 :: v_dual_add_nc_u32 v20, 1, v70
	s_delay_alu instid0(VALU_DEP_1) | instskip(NEXT) | instid1(VALU_DEP_1)
	v_lshlrev_b64 v[20:21], 1, v[20:21]
	v_add_co_u32 v20, s4, s18, v20
	s_delay_alu instid0(VALU_DEP_1)
	v_add_co_ci_u32_e64 v21, s4, s19, v21, s4
	global_store_d16_hi_b16 v[20:21], v17, off
	s_or_b32 exec_lo, exec_lo, s31
	s_and_saveexec_b32 s31, s2
	s_cbranch_execz .LBB276_66
.LBB276_121:                            ;   in Loop: Header=BB276_13 Depth=1
	s_waitcnt lgkmcnt(0)
	v_add_f32_e32 v13, v13, v14
	s_waitcnt vmcnt(5)
	v_lshlrev_b32_e32 v14, 16, v38
	s_delay_alu instid0(VALU_DEP_1) | instskip(NEXT) | instid1(VALU_DEP_1)
	v_add_f32_e32 v14, v13, v14
	v_and_b32_e32 v13, 0x7f800000, v14
	s_delay_alu instid0(VALU_DEP_1) | instskip(NEXT) | instid1(VALU_DEP_1)
	v_cmp_ne_u32_e64 s4, 0x7f800000, v13
                                        ; implicit-def: $vgpr13
	s_and_saveexec_b32 s33, s4
	s_delay_alu instid0(SALU_CYCLE_1)
	s_xor_b32 s4, exec_lo, s33
; %bb.122:                              ;   in Loop: Header=BB276_13 Depth=1
	v_bfe_u32 v13, v14, 16, 1
	s_delay_alu instid0(VALU_DEP_1)
	v_add3_u32 v13, v14, v13, 0x7fff
                                        ; implicit-def: $vgpr14
; %bb.123:                              ;   in Loop: Header=BB276_13 Depth=1
	s_and_not1_saveexec_b32 s33, s4
; %bb.124:                              ;   in Loop: Header=BB276_13 Depth=1
	v_and_b32_e32 v13, 0xffff, v14
	v_or_b32_e32 v17, 0x10000, v14
	s_delay_alu instid0(VALU_DEP_2) | instskip(NEXT) | instid1(VALU_DEP_1)
	v_cmp_eq_u32_e64 s4, 0, v13
	v_cndmask_b32_e64 v13, v17, v14, s4
; %bb.125:                              ;   in Loop: Header=BB276_13 Depth=1
	s_or_b32 exec_lo, exec_lo, s33
	v_dual_mov_b32 v18, v71 :: v_dual_add_nc_u32 v17, 2, v70
	s_delay_alu instid0(VALU_DEP_1) | instskip(NEXT) | instid1(VALU_DEP_1)
	v_lshlrev_b64 v[17:18], 1, v[17:18]
	v_add_co_u32 v17, s4, s18, v17
	s_delay_alu instid0(VALU_DEP_1)
	v_add_co_ci_u32_e64 v18, s4, s19, v18, s4
	global_store_d16_hi_b16 v[17:18], v13, off
	s_or_b32 exec_lo, exec_lo, s31
	s_and_saveexec_b32 s31, s3
	s_cbranch_execz .LBB276_67
.LBB276_126:                            ;   in Loop: Header=BB276_13 Depth=1
	s_waitcnt vmcnt(4) lgkmcnt(0)
	v_dual_add_f32 v13, v15, v16 :: v_dual_lshlrev_b32 v14, 16, v35
	s_delay_alu instid0(VALU_DEP_1) | instskip(NEXT) | instid1(VALU_DEP_1)
	v_add_f32_e32 v14, v13, v14
	v_and_b32_e32 v13, 0x7f800000, v14
	s_delay_alu instid0(VALU_DEP_1) | instskip(NEXT) | instid1(VALU_DEP_1)
	v_cmp_ne_u32_e64 s4, 0x7f800000, v13
                                        ; implicit-def: $vgpr13
	s_and_saveexec_b32 s33, s4
	s_delay_alu instid0(SALU_CYCLE_1)
	s_xor_b32 s4, exec_lo, s33
; %bb.127:                              ;   in Loop: Header=BB276_13 Depth=1
	v_bfe_u32 v13, v14, 16, 1
	s_delay_alu instid0(VALU_DEP_1)
	v_add3_u32 v13, v14, v13, 0x7fff
                                        ; implicit-def: $vgpr14
; %bb.128:                              ;   in Loop: Header=BB276_13 Depth=1
	s_and_not1_saveexec_b32 s33, s4
; %bb.129:                              ;   in Loop: Header=BB276_13 Depth=1
	v_and_b32_e32 v13, 0xffff, v14
	v_or_b32_e32 v15, 0x10000, v14
	s_delay_alu instid0(VALU_DEP_2) | instskip(NEXT) | instid1(VALU_DEP_1)
	v_cmp_eq_u32_e64 s4, 0, v13
	v_cndmask_b32_e64 v13, v15, v14, s4
; %bb.130:                              ;   in Loop: Header=BB276_13 Depth=1
	s_or_b32 exec_lo, exec_lo, s33
	v_dual_mov_b32 v15, v71 :: v_dual_add_nc_u32 v14, 3, v70
	s_delay_alu instid0(VALU_DEP_1) | instskip(NEXT) | instid1(VALU_DEP_1)
	v_lshlrev_b64 v[14:15], 1, v[14:15]
	v_add_co_u32 v14, s4, s18, v14
	s_delay_alu instid0(VALU_DEP_1)
	v_add_co_ci_u32_e64 v15, s4, s19, v15, s4
	global_store_d16_hi_b16 v[14:15], v13, off
	s_or_b32 exec_lo, exec_lo, s31
	v_add_nc_u32_e32 v70, s11, v70
	s_and_saveexec_b32 s4, vcc_lo
	s_cbranch_execz .LBB276_68
.LBB276_131:                            ;   in Loop: Header=BB276_13 Depth=1
	s_waitcnt lgkmcnt(0)
	v_add_f32_e32 v11, v11, v12
	s_waitcnt vmcnt(3)
	v_lshlrev_b32_e32 v12, 16, v32
	s_delay_alu instid0(VALU_DEP_1) | instskip(NEXT) | instid1(VALU_DEP_1)
	v_add_f32_e32 v12, v11, v12
	v_and_b32_e32 v11, 0x7f800000, v12
	s_delay_alu instid0(VALU_DEP_1) | instskip(SKIP_1) | instid1(SALU_CYCLE_1)
	v_cmp_ne_u32_e32 vcc_lo, 0x7f800000, v11
                                        ; implicit-def: $vgpr11
	s_and_saveexec_b32 s31, vcc_lo
	s_xor_b32 s31, exec_lo, s31
; %bb.132:                              ;   in Loop: Header=BB276_13 Depth=1
	v_bfe_u32 v11, v12, 16, 1
	s_delay_alu instid0(VALU_DEP_1)
	v_add3_u32 v11, v12, v11, 0x7fff
                                        ; implicit-def: $vgpr12
; %bb.133:                              ;   in Loop: Header=BB276_13 Depth=1
	s_and_not1_saveexec_b32 s31, s31
; %bb.134:                              ;   in Loop: Header=BB276_13 Depth=1
	v_and_b32_e32 v11, 0xffff, v12
	v_or_b32_e32 v13, 0x10000, v12
	s_delay_alu instid0(VALU_DEP_2) | instskip(NEXT) | instid1(VALU_DEP_2)
	v_cmp_eq_u32_e32 vcc_lo, 0, v11
	v_cndmask_b32_e32 v11, v13, v12, vcc_lo
; %bb.135:                              ;   in Loop: Header=BB276_13 Depth=1
	s_or_b32 exec_lo, exec_lo, s31
	v_lshlrev_b64 v[12:13], 1, v[70:71]
	s_delay_alu instid0(VALU_DEP_1) | instskip(NEXT) | instid1(VALU_DEP_2)
	v_add_co_u32 v12, vcc_lo, s18, v12
	v_add_co_ci_u32_e32 v13, vcc_lo, s19, v13, vcc_lo
	global_store_d16_hi_b16 v[12:13], v11, off
	s_or_b32 exec_lo, exec_lo, s4
	s_and_saveexec_b32 s4, s1
	s_cbranch_execz .LBB276_69
.LBB276_136:                            ;   in Loop: Header=BB276_13 Depth=1
	s_waitcnt vmcnt(2) lgkmcnt(0)
	v_dual_add_f32 v9, v9, v10 :: v_dual_lshlrev_b32 v10, 16, v27
	s_delay_alu instid0(VALU_DEP_1) | instskip(NEXT) | instid1(VALU_DEP_1)
	v_add_f32_e32 v10, v9, v10
	v_and_b32_e32 v9, 0x7f800000, v10
	s_delay_alu instid0(VALU_DEP_1) | instskip(SKIP_1) | instid1(SALU_CYCLE_1)
	v_cmp_ne_u32_e32 vcc_lo, 0x7f800000, v9
                                        ; implicit-def: $vgpr9
	s_and_saveexec_b32 s1, vcc_lo
	s_xor_b32 s1, exec_lo, s1
; %bb.137:                              ;   in Loop: Header=BB276_13 Depth=1
	v_bfe_u32 v9, v10, 16, 1
	s_delay_alu instid0(VALU_DEP_1)
	v_add3_u32 v9, v10, v9, 0x7fff
                                        ; implicit-def: $vgpr10
; %bb.138:                              ;   in Loop: Header=BB276_13 Depth=1
	s_and_not1_saveexec_b32 s1, s1
; %bb.139:                              ;   in Loop: Header=BB276_13 Depth=1
	v_and_b32_e32 v9, 0xffff, v10
	v_or_b32_e32 v11, 0x10000, v10
	s_delay_alu instid0(VALU_DEP_2) | instskip(NEXT) | instid1(VALU_DEP_2)
	v_cmp_eq_u32_e32 vcc_lo, 0, v9
	v_cndmask_b32_e32 v9, v11, v10, vcc_lo
; %bb.140:                              ;   in Loop: Header=BB276_13 Depth=1
	s_or_b32 exec_lo, exec_lo, s1
	v_dual_mov_b32 v11, v71 :: v_dual_add_nc_u32 v10, 1, v70
	s_delay_alu instid0(VALU_DEP_1) | instskip(NEXT) | instid1(VALU_DEP_1)
	v_lshlrev_b64 v[10:11], 1, v[10:11]
	v_add_co_u32 v10, vcc_lo, s18, v10
	s_delay_alu instid0(VALU_DEP_2)
	v_add_co_ci_u32_e32 v11, vcc_lo, s19, v11, vcc_lo
	global_store_d16_hi_b16 v[10:11], v9, off
	s_or_b32 exec_lo, exec_lo, s4
	s_and_saveexec_b32 s1, s2
	s_cbranch_execz .LBB276_70
.LBB276_141:                            ;   in Loop: Header=BB276_13 Depth=1
	s_waitcnt vmcnt(1) lgkmcnt(0)
	v_dual_add_f32 v7, v7, v8 :: v_dual_lshlrev_b32 v8, 16, v22
	s_delay_alu instid0(VALU_DEP_1) | instskip(NEXT) | instid1(VALU_DEP_1)
	v_add_f32_e32 v8, v7, v8
	v_and_b32_e32 v7, 0x7f800000, v8
	s_delay_alu instid0(VALU_DEP_1) | instskip(SKIP_1) | instid1(SALU_CYCLE_1)
	v_cmp_ne_u32_e32 vcc_lo, 0x7f800000, v7
                                        ; implicit-def: $vgpr7
	s_and_saveexec_b32 s2, vcc_lo
	s_xor_b32 s2, exec_lo, s2
; %bb.142:                              ;   in Loop: Header=BB276_13 Depth=1
	v_bfe_u32 v7, v8, 16, 1
	s_delay_alu instid0(VALU_DEP_1)
	v_add3_u32 v7, v8, v7, 0x7fff
                                        ; implicit-def: $vgpr8
; %bb.143:                              ;   in Loop: Header=BB276_13 Depth=1
	s_and_not1_saveexec_b32 s2, s2
; %bb.144:                              ;   in Loop: Header=BB276_13 Depth=1
	v_and_b32_e32 v7, 0xffff, v8
	v_or_b32_e32 v9, 0x10000, v8
	s_delay_alu instid0(VALU_DEP_2) | instskip(NEXT) | instid1(VALU_DEP_2)
	v_cmp_eq_u32_e32 vcc_lo, 0, v7
	v_cndmask_b32_e32 v7, v9, v8, vcc_lo
; %bb.145:                              ;   in Loop: Header=BB276_13 Depth=1
	s_or_b32 exec_lo, exec_lo, s2
	v_dual_mov_b32 v9, v71 :: v_dual_add_nc_u32 v8, 2, v70
	s_delay_alu instid0(VALU_DEP_1) | instskip(NEXT) | instid1(VALU_DEP_1)
	v_lshlrev_b64 v[8:9], 1, v[8:9]
	v_add_co_u32 v8, vcc_lo, s18, v8
	s_delay_alu instid0(VALU_DEP_2) | instskip(SKIP_2) | instid1(SALU_CYCLE_1)
	v_add_co_ci_u32_e32 v9, vcc_lo, s19, v9, vcc_lo
	global_store_d16_hi_b16 v[8:9], v7, off
	s_or_b32 exec_lo, exec_lo, s1
	s_and_b32 exec_lo, exec_lo, s3
	s_cbranch_execz .LBB276_151
.LBB276_146:                            ;   in Loop: Header=BB276_13 Depth=1
	s_waitcnt vmcnt(0) lgkmcnt(0)
	v_dual_add_f32 v5, v5, v6 :: v_dual_lshlrev_b32 v6, 16, v19
	s_delay_alu instid0(VALU_DEP_1) | instskip(NEXT) | instid1(VALU_DEP_1)
	v_add_f32_e32 v6, v5, v6
	v_and_b32_e32 v5, 0x7f800000, v6
	s_delay_alu instid0(VALU_DEP_1) | instskip(SKIP_1) | instid1(SALU_CYCLE_1)
	v_cmp_ne_u32_e32 vcc_lo, 0x7f800000, v5
                                        ; implicit-def: $vgpr5
	s_and_saveexec_b32 s1, vcc_lo
	s_xor_b32 s1, exec_lo, s1
; %bb.147:                              ;   in Loop: Header=BB276_13 Depth=1
	v_bfe_u32 v5, v6, 16, 1
	s_delay_alu instid0(VALU_DEP_1)
	v_add3_u32 v5, v6, v5, 0x7fff
                                        ; implicit-def: $vgpr6
; %bb.148:                              ;   in Loop: Header=BB276_13 Depth=1
	s_and_not1_saveexec_b32 s1, s1
; %bb.149:                              ;   in Loop: Header=BB276_13 Depth=1
	v_and_b32_e32 v5, 0xffff, v6
	v_or_b32_e32 v7, 0x10000, v6
	s_delay_alu instid0(VALU_DEP_2) | instskip(NEXT) | instid1(VALU_DEP_2)
	v_cmp_eq_u32_e32 vcc_lo, 0, v5
	v_cndmask_b32_e32 v5, v7, v6, vcc_lo
; %bb.150:                              ;   in Loop: Header=BB276_13 Depth=1
	s_or_b32 exec_lo, exec_lo, s1
	v_add_nc_u32_e32 v70, 3, v70
	s_delay_alu instid0(VALU_DEP_1) | instskip(NEXT) | instid1(VALU_DEP_1)
	v_lshlrev_b64 v[6:7], 1, v[70:71]
	v_add_co_u32 v6, vcc_lo, s18, v6
	s_delay_alu instid0(VALU_DEP_2)
	v_add_co_ci_u32_e32 v7, vcc_lo, s19, v7, vcc_lo
	global_store_d16_hi_b16 v[6:7], v5, off
.LBB276_151:                            ;   in Loop: Header=BB276_13 Depth=1
	s_or_b32 exec_lo, exec_lo, s5
	v_add_nc_u32_e32 v69, s20, v69
	s_delay_alu instid0(VALU_DEP_1) | instskip(SKIP_1) | instid1(VALU_DEP_2)
	v_add_nc_u32_e32 v5, 4, v69
	v_cmp_gt_u32_e32 vcc_lo, s11, v69
	v_cmp_le_u32_e64 s1, s11, v5
	s_delay_alu instid0(VALU_DEP_1) | instskip(NEXT) | instid1(SALU_CYCLE_1)
	s_and_b32 s1, vcc_lo, s1
	s_and_saveexec_b32 s31, s1
	s_cbranch_execz .LBB276_12
; %bb.152:                              ;   in Loop: Header=BB276_13 Depth=1
	s_mov_b32 s33, exec_lo
	v_cmpx_ne_u32_e64 s21, v69
	s_cbranch_execz .LBB276_11
; %bb.153:                              ;   in Loop: Header=BB276_13 Depth=1
	v_subrev_nc_u32_e32 v5, s21, v69
	s_mov_b32 s34, 0
	s_mov_b64 s[4:5], 0
	s_delay_alu instid0(VALU_DEP_1)
	v_cmp_lt_u32_e32 vcc_lo, 1, v5
	v_cndmask_b32_e32 v5, 1, v5, vcc_lo
	.p2align	6
.LBB276_154:                            ;   Parent Loop BB276_13 Depth=1
                                        ; =>  This Inner Loop Header: Depth=2
	s_cmp_lg_u32 s4, 3
	s_cselect_b32 vcc_lo, -1, 0
	s_cmp_lg_u32 s4, 2
	v_cndmask_b32_e32 v4, 0, v4, vcc_lo
	s_cselect_b32 s1, -1, 0
	s_cmp_lg_u32 s4, 1
	v_cndmask_b32_e64 v3, 0, v3, s1
	s_cselect_b32 s2, -1, 0
	s_cmp_lg_u32 s4, 0
	v_cndmask_b32_e64 v2, 0, v2, s2
	s_cselect_b32 s3, -1, 0
	s_add_u32 s4, s4, 1
	v_cndmask_b32_e64 v1, 0, v1, s3
	v_cmp_eq_u32_e32 vcc_lo, s4, v5
	s_addc_u32 s5, s5, 0
	s_or_b32 s34, vcc_lo, s34
	s_delay_alu instid0(SALU_CYCLE_1)
	s_and_not1_b32 exec_lo, exec_lo, s34
	s_cbranch_execnz .LBB276_154
; %bb.155:                              ;   in Loop: Header=BB276_13 Depth=1
	s_or_b32 exec_lo, exec_lo, s34
	s_branch .LBB276_11
.LBB276_156:
	s_nop 0
	s_sendmsg sendmsg(MSG_DEALLOC_VGPRS)
	s_endpgm
	.section	.rodata,"a",@progbits
	.p2align	6, 0x0
	.amdhsa_kernel _Z12wvSplitK_hf_I14__hip_bfloat16Li64ELi4ELi16ELi8ELi2ELi4EEviiiiiiPKT_S3_S3_PS1_ii
		.amdhsa_group_segment_fixed_size 65536
		.amdhsa_private_segment_fixed_size 0
		.amdhsa_kernarg_size 64
		.amdhsa_user_sgpr_count 15
		.amdhsa_user_sgpr_dispatch_ptr 0
		.amdhsa_user_sgpr_queue_ptr 0
		.amdhsa_user_sgpr_kernarg_segment_ptr 1
		.amdhsa_user_sgpr_dispatch_id 0
		.amdhsa_user_sgpr_private_segment_size 0
		.amdhsa_wavefront_size32 1
		.amdhsa_uses_dynamic_stack 0
		.amdhsa_enable_private_segment 0
		.amdhsa_system_sgpr_workgroup_id_x 1
		.amdhsa_system_sgpr_workgroup_id_y 0
		.amdhsa_system_sgpr_workgroup_id_z 0
		.amdhsa_system_sgpr_workgroup_info 0
		.amdhsa_system_vgpr_workitem_id 1
		.amdhsa_next_free_vgpr 138
		.amdhsa_next_free_sgpr 35
		.amdhsa_reserve_vcc 1
		.amdhsa_float_round_mode_32 0
		.amdhsa_float_round_mode_16_64 0
		.amdhsa_float_denorm_mode_32 3
		.amdhsa_float_denorm_mode_16_64 3
		.amdhsa_dx10_clamp 1
		.amdhsa_ieee_mode 1
		.amdhsa_fp16_overflow 0
		.amdhsa_workgroup_processor_mode 1
		.amdhsa_memory_ordered 1
		.amdhsa_forward_progress 0
		.amdhsa_shared_vgpr_count 0
		.amdhsa_exception_fp_ieee_invalid_op 0
		.amdhsa_exception_fp_denorm_src 0
		.amdhsa_exception_fp_ieee_div_zero 0
		.amdhsa_exception_fp_ieee_overflow 0
		.amdhsa_exception_fp_ieee_underflow 0
		.amdhsa_exception_fp_ieee_inexact 0
		.amdhsa_exception_int_div_zero 0
	.end_amdhsa_kernel
	.section	.text._Z12wvSplitK_hf_I14__hip_bfloat16Li64ELi4ELi16ELi8ELi2ELi4EEviiiiiiPKT_S3_S3_PS1_ii,"axG",@progbits,_Z12wvSplitK_hf_I14__hip_bfloat16Li64ELi4ELi16ELi8ELi2ELi4EEviiiiiiPKT_S3_S3_PS1_ii,comdat
.Lfunc_end276:
	.size	_Z12wvSplitK_hf_I14__hip_bfloat16Li64ELi4ELi16ELi8ELi2ELi4EEviiiiiiPKT_S3_S3_PS1_ii, .Lfunc_end276-_Z12wvSplitK_hf_I14__hip_bfloat16Li64ELi4ELi16ELi8ELi2ELi4EEviiiiiiPKT_S3_S3_PS1_ii
                                        ; -- End function
	.section	.AMDGPU.csdata,"",@progbits
; Kernel info:
; codeLenInByte = 10652
; NumSgprs: 37
; NumVgprs: 138
; ScratchSize: 0
; MemoryBound: 0
; FloatMode: 240
; IeeeMode: 1
; LDSByteSize: 65536 bytes/workgroup (compile time only)
; SGPRBlocks: 4
; VGPRBlocks: 17
; NumSGPRsForWavesPerEU: 37
; NumVGPRsForWavesPerEU: 138
; Occupancy: 10
; WaveLimiterHint : 0
; COMPUTE_PGM_RSRC2:SCRATCH_EN: 0
; COMPUTE_PGM_RSRC2:USER_SGPR: 15
; COMPUTE_PGM_RSRC2:TRAP_HANDLER: 0
; COMPUTE_PGM_RSRC2:TGID_X_EN: 1
; COMPUTE_PGM_RSRC2:TGID_Y_EN: 0
; COMPUTE_PGM_RSRC2:TGID_Z_EN: 0
; COMPUTE_PGM_RSRC2:TIDIG_COMP_CNT: 1
	.section	.text._Z16wvSplitK_hf_big_I14__hip_bfloat16Li64ELi4ELi16ELi8ELi2ELi4EEviiiiiiPKT_S3_S3_PS1_ii,"axG",@progbits,_Z16wvSplitK_hf_big_I14__hip_bfloat16Li64ELi4ELi16ELi8ELi2ELi4EEviiiiiiPKT_S3_S3_PS1_ii,comdat
	.protected	_Z16wvSplitK_hf_big_I14__hip_bfloat16Li64ELi4ELi16ELi8ELi2ELi4EEviiiiiiPKT_S3_S3_PS1_ii ; -- Begin function _Z16wvSplitK_hf_big_I14__hip_bfloat16Li64ELi4ELi16ELi8ELi2ELi4EEviiiiiiPKT_S3_S3_PS1_ii
	.globl	_Z16wvSplitK_hf_big_I14__hip_bfloat16Li64ELi4ELi16ELi8ELi2ELi4EEviiiiiiPKT_S3_S3_PS1_ii
	.p2align	8
	.type	_Z16wvSplitK_hf_big_I14__hip_bfloat16Li64ELi4ELi16ELi8ELi2ELi4EEviiiiiiPKT_S3_S3_PS1_ii,@function
_Z16wvSplitK_hf_big_I14__hip_bfloat16Li64ELi4ELi16ELi8ELi2ELi4EEviiiiiiPKT_S3_S3_PS1_ii: ; @_Z16wvSplitK_hf_big_I14__hip_bfloat16Li64ELi4ELi16ELi8ELi2ELi4EEviiiiiiPKT_S3_S3_PS1_ii
; %bb.0:
	s_load_b64 s[20:21], s[0:1], 0x38
	v_bfe_u32 v5, v0, 10, 10
	s_mov_b32 s2, exec_lo
	s_waitcnt lgkmcnt(0)
	s_delay_alu instid0(VALU_DEP_1)
	v_cmpx_gt_u32_e64 s20, v5
	s_cbranch_execz .LBB277_136
; %bb.1:
	s_load_b128 s[16:19], s[0:1], 0x0
	s_mul_i32 s15, s15, s20
	s_mov_b32 s4, 1
	v_add_lshl_u32 v69, s15, v5, 2
	s_mov_b32 s5, s4
	s_mov_b32 s6, s4
	;; [unrolled: 1-line block ×3, first 2 shown]
	s_delay_alu instid0(VALU_DEP_1) | instskip(SKIP_2) | instid1(VALU_DEP_2)
	v_add_nc_u32_e32 v1, 4, v69
	s_waitcnt lgkmcnt(0)
	v_cmp_gt_u32_e32 vcc_lo, s19, v69
	v_cmp_le_u32_e64 s2, s19, v1
	v_dual_mov_b32 v1, s4 :: v_dual_mov_b32 v4, s7
	v_dual_mov_b32 v2, s5 :: v_dual_mov_b32 v3, s6
	s_delay_alu instid0(VALU_DEP_3) | instskip(NEXT) | instid1(SALU_CYCLE_1)
	s_and_b32 s2, vcc_lo, s2
	s_and_saveexec_b32 s8, s2
	s_cbranch_execz .LBB277_7
; %bb.2:
	v_dual_mov_b32 v1, s4 :: v_dual_mov_b32 v2, s5
	v_dual_mov_b32 v3, s6 :: v_dual_mov_b32 v4, s7
	s_add_i32 s9, s19, -4
	s_mov_b32 s10, exec_lo
	v_cmpx_ne_u32_e64 s9, v69
	s_cbranch_execz .LBB277_6
; %bb.3:
	v_subrev_nc_u32_e32 v1, s9, v69
	s_mov_b32 s11, 0
	s_mov_b64 s[2:3], 0
	s_mov_b32 s5, s4
	s_mov_b32 s6, s4
	v_cmp_lt_u32_e32 vcc_lo, 1, v1
	s_mov_b32 s7, s4
	v_cndmask_b32_e32 v6, 1, v1, vcc_lo
	.p2align	6
.LBB277_4:                              ; =>This Inner Loop Header: Depth=1
	s_cmp_lg_u32 s2, 3
	s_cselect_b32 s7, s7, 0
	s_cmp_lg_u32 s2, 2
	s_cselect_b32 s6, s6, 0
	;; [unrolled: 2-line block ×4, first 2 shown]
	s_add_u32 s2, s2, 1
	v_dual_mov_b32 v1, s4 :: v_dual_mov_b32 v2, s5
	v_cmp_eq_u32_e32 vcc_lo, s2, v6
	v_dual_mov_b32 v3, s6 :: v_dual_mov_b32 v4, s7
	s_addc_u32 s3, s3, 0
	s_or_b32 s11, vcc_lo, s11
	s_delay_alu instid0(SALU_CYCLE_1)
	s_and_not1_b32 exec_lo, exec_lo, s11
	s_cbranch_execnz .LBB277_4
; %bb.5:
	s_or_b32 exec_lo, exec_lo, s11
	v_mov_b32_e32 v69, s9
.LBB277_6:
	s_or_b32 exec_lo, exec_lo, s10
.LBB277_7:
	s_delay_alu instid0(SALU_CYCLE_1)
	s_or_b32 exec_lo, exec_lo, s8
	s_lshl_b32 s2, s20, 2
	s_abs_i32 s6, s19
	s_abs_i32 s3, s2
	s_mov_b32 s23, 0
	v_cvt_f32_u32_e32 v6, s3
	s_sub_i32 s5, 0, s3
	s_delay_alu instid0(VALU_DEP_1) | instskip(SKIP_2) | instid1(VALU_DEP_1)
	v_rcp_iflag_f32_e32 v6, v6
	s_waitcnt_depctr 0xfff
	v_mul_f32_e32 v6, 0x4f7ffffe, v6
	v_cvt_u32_f32_e32 v6, v6
	s_delay_alu instid0(VALU_DEP_1) | instskip(NEXT) | instid1(VALU_DEP_1)
	v_readfirstlane_b32 s4, v6
	s_mul_i32 s5, s5, s4
	s_delay_alu instid0(SALU_CYCLE_1) | instskip(NEXT) | instid1(SALU_CYCLE_1)
	s_mul_hi_u32 s5, s4, s5
	s_add_i32 s4, s4, s5
	s_ashr_i32 s5, s19, 31
	s_mul_hi_u32 s4, s6, s4
	s_delay_alu instid0(SALU_CYCLE_1) | instskip(NEXT) | instid1(SALU_CYCLE_1)
	s_mul_i32 s4, s4, s3
	s_sub_i32 s4, s6, s4
	s_delay_alu instid0(SALU_CYCLE_1) | instskip(SKIP_2) | instid1(SALU_CYCLE_1)
	s_sub_i32 s6, s4, s3
	s_cmp_ge_u32 s4, s3
	s_cselect_b32 s4, s6, s4
	s_sub_i32 s6, s4, s3
	s_cmp_ge_u32 s4, s3
	s_cselect_b32 s3, s6, s4
	s_add_i32 s2, s2, s19
	s_xor_b32 s3, s3, s5
	s_delay_alu instid0(SALU_CYCLE_1) | instskip(NEXT) | instid1(SALU_CYCLE_1)
	s_sub_i32 s3, s3, s5
	s_sub_i32 s2, s2, s3
	s_cmp_eq_u32 s3, 0
	s_cselect_b32 s22, s19, s2
	s_delay_alu instid0(SALU_CYCLE_1)
	v_cmp_gt_u32_e32 vcc_lo, s22, v69
	s_and_b32 exec_lo, exec_lo, vcc_lo
	s_cbranch_execz .LBB277_136
; %bb.8:
	s_load_b256 s[8:15], s[0:1], 0x10
	s_min_u32 s24, s18, 0x2000
	s_cmp_lg_u32 s16, 0
	s_mul_i32 s2, s21, s20
	s_cselect_b32 s25, -1, 0
	s_cmp_lg_u32 s18, 0
	s_load_b64 s[6:7], s[0:1], 0x30
	s_cselect_b32 s21, -1, 0
	s_lshl_b32 s26, s20, 9
	s_add_i32 s27, s16, -8
	s_add_i32 s28, s19, -1
	s_lshl_b32 s29, s2, 2
	v_and_b32_e32 v0, 0x3ff, v0
	v_mov_b32_e32 v72, 0
	v_mbcnt_lo_u32_b32 v82, -1, 0
	s_delay_alu instid0(VALU_DEP_3)
	v_lshlrev_b32_e32 v83, 3, v0
	v_cmp_eq_u32_e64 s0, 63, v0
	v_lshlrev_b32_e32 v0, 4, v0
	s_waitcnt lgkmcnt(0)
	s_cmp_lg_u64 s[14:15], 0
	v_cvt_f32_u32_e32 v7, s8
	s_cselect_b32 s30, -1, 0
	s_abs_i32 s2, s9
	s_add_i32 s31, s19, -4
	v_cvt_f32_u32_e32 v6, s2
	v_rcp_iflag_f32_e32 v7, v7
	s_sub_i32 s3, 0, s2
	s_sub_i32 s4, 0, s8
	;; [unrolled: 1-line block ×3, first 2 shown]
	v_rcp_iflag_f32_e32 v6, v6
	v_lshl_add_u32 v84, v5, 10, v0
	v_lshl_add_u32 v0, v5, 9, v83
	s_mul_i32 s9, s24, 6
	s_delay_alu instid0(VALU_DEP_1) | instskip(SKIP_4) | instid1(VALU_DEP_2)
	v_mad_u64_u32 v[73:74], null, s18, 3, v[0:1]
	v_lshl_add_u32 v85, s18, 1, v0
	s_waitcnt_depctr 0xfff
	v_mul_f32_e32 v6, 0x4f7ffffe, v6
	v_add_nc_u32_e32 v86, s18, v0
	v_cvt_u32_f32_e32 v6, v6
	s_delay_alu instid0(VALU_DEP_1) | instskip(SKIP_1) | instid1(VALU_DEP_2)
	v_readfirstlane_b32 s1, v6
	v_mul_f32_e32 v6, 0x4f7ffffe, v7
	s_mul_i32 s3, s3, s1
	s_delay_alu instid0(VALU_DEP_1) | instskip(SKIP_1) | instid1(SALU_CYCLE_1)
	v_cvt_u32_f32_e32 v6, v6
	s_mul_hi_u32 s3, s1, s3
	s_add_i32 s1, s1, s3
	s_cmp_lt_u32 s2, 2
	s_delay_alu instid0(VALU_DEP_1) | instskip(SKIP_1) | instid1(SALU_CYCLE_1)
	v_mul_lo_u32 v5, s4, v6
	s_cselect_b32 s3, s5, 1
	s_sub_i32 s5, s3, s2
	s_cmp_ge_u32 s3, s2
	s_cselect_b32 s33, s5, s3
	s_lshr_b32 s3, s1, 31
	s_mul_hi_u32 s1, s1, 3
	s_mul_i32 s3, s3, s2
	s_mul_i32 s1, s1, s2
	s_sub_i32 s3, 2, s3
	v_mul_hi_u32 v5, v6, v5
	s_sub_i32 s4, s3, s2
	s_cmp_ge_u32 s3, s2
	s_mul_i32 s33, s33, s8
	s_cselect_b32 s3, s4, s3
	s_delay_alu instid0(SALU_CYCLE_1) | instskip(SKIP_1) | instid1(VALU_DEP_1)
	s_sub_i32 s4, s3, s2
	s_cmp_ge_u32 s3, s2
	v_add_nc_u32_e32 v87, v6, v5
	s_cselect_b32 s34, s4, s3
	s_sub_i32 s1, 3, s1
	s_mul_i32 s34, s34, s8
	s_sub_i32 s3, s1, s2
	s_cmp_ge_u32 s1, s2
	s_cselect_b32 s1, s3, s1
	s_delay_alu instid0(SALU_CYCLE_1)
	s_sub_i32 s3, s1, s2
	s_cmp_ge_u32 s1, s2
	s_cselect_b32 s38, s3, s1
	s_add_u32 s35, s6, 2
	s_addc_u32 s36, s7, 0
	s_lshl_b32 s20, s20, 10
	s_lshl_b32 s37, s24, 2
	s_mul_i32 s38, s38, s8
	s_lshl_b32 s39, s24, 1
	s_branch .LBB277_12
.LBB277_9:                              ;   in Loop: Header=BB277_12 Depth=1
	s_or_b32 exec_lo, exec_lo, s42
	v_mov_b32_e32 v69, s31
.LBB277_10:                             ;   in Loop: Header=BB277_12 Depth=1
	s_or_b32 exec_lo, exec_lo, s41
.LBB277_11:                             ;   in Loop: Header=BB277_12 Depth=1
	s_delay_alu instid0(SALU_CYCLE_1) | instskip(NEXT) | instid1(VALU_DEP_1)
	s_or_b32 exec_lo, exec_lo, s40
	v_cmp_le_u32_e32 vcc_lo, s22, v69
	s_or_b32 s23, vcc_lo, s23
	s_delay_alu instid0(SALU_CYCLE_1)
	s_and_not1_b32 exec_lo, exec_lo, s23
	s_cbranch_execz .LBB277_136
.LBB277_12:                             ; =>This Loop Header: Depth=1
                                        ;     Child Loop BB277_17 Depth 2
                                        ;       Child Loop BB277_22 Depth 3
                                        ;     Child Loop BB277_134 Depth 2
	v_mov_b32_e32 v70, v72
	v_mov_b32_e32 v88, v72
	;; [unrolled: 1-line block ×16, first 2 shown]
	s_and_not1_b32 vcc_lo, exec_lo, s25
	s_mov_b32 s3, 0
	s_cbranch_vccnz .LBB277_29
; %bb.13:                               ;   in Loop: Header=BB277_12 Depth=1
	v_dual_mov_b32 v97, 0 :: v_dual_add_nc_u32 v6, 2, v69
	v_add_nc_u32_e32 v5, 1, v69
	v_add_nc_u32_e32 v7, 3, v69
	s_waitcnt lgkmcnt(1)
	v_min_u32_e32 v8, s28, v69
	v_min_u32_e32 v6, s28, v6
	s_waitcnt lgkmcnt(0)
	v_dual_mov_b32 v10, v72 :: v_dual_mov_b32 v101, 0
	v_cmp_gt_u32_e64 s1, s19, v69
	v_mul_lo_u32 v71, v8, s17
	v_mov_b32_e32 v8, v72
	v_min_u32_e32 v9, s28, v7
	v_mul_lo_u32 v7, v6, s17
	v_mov_b32_e32 v6, v72
	v_min_u32_e32 v5, s28, v5
	v_dual_mov_b32 v98, 0 :: v_dual_mov_b32 v99, 0
	v_mul_lo_u32 v9, v9, s17
	v_lshlrev_b64 v[74:75], 1, v[71:72]
	s_delay_alu instid0(VALU_DEP_4)
	v_mul_lo_u32 v5, v5, s17
	v_lshlrev_b64 v[78:79], 1, v[7:8]
	v_dual_mov_b32 v100, 0 :: v_dual_mov_b32 v95, 0
	v_dual_mov_b32 v102, 0 :: v_dual_mov_b32 v93, 0
	v_lshlrev_b64 v[80:81], 1, v[9:10]
	v_dual_mov_b32 v94, 0 :: v_dual_mov_b32 v91, 0
	v_lshlrev_b64 v[76:77], 1, v[5:6]
	v_dual_mov_b32 v96, 0 :: v_dual_mov_b32 v89, 0
	v_mov_b32_e32 v92, 0
	v_mov_b32_e32 v90, 0
	;; [unrolled: 1-line block ×4, first 2 shown]
	s_mov_b32 s4, 0
	s_branch .LBB277_17
.LBB277_14:                             ;   in Loop: Header=BB277_17 Depth=2
	s_or_b32 exec_lo, exec_lo, s40
.LBB277_15:                             ;   in Loop: Header=BB277_17 Depth=2
	s_delay_alu instid0(SALU_CYCLE_1)
	s_or_b32 exec_lo, exec_lo, s5
	s_waitcnt lgkmcnt(3)
	v_and_b32_e32 v108, 0xffff0000, v67
	s_waitcnt vmcnt(7)
	v_and_b32_e32 v109, 0xffff0000, v63
	v_and_b32_e32 v103, 0xffff0000, v61
	v_lshlrev_b32_e32 v67, 16, v67
	v_lshlrev_b32_e32 v63, 16, v63
	;; [unrolled: 1-line block ×3, first 2 shown]
	v_mul_f32_e32 v110, v108, v109
	v_and_b32_e32 v71, 0xffff0000, v65
	s_waitcnt vmcnt(6)
	v_lshlrev_b32_e32 v111, 16, v57
	v_and_b32_e32 v116, 0xffff0000, v60
	v_lshlrev_b32_e32 v60, 16, v60
	v_dual_fmac_f32 v110, v67, v63 :: v_dual_lshlrev_b32 v65, 16, v65
	v_dual_mul_f32 v106, v71, v103 :: v_dual_and_b32 v105, 0xffff0000, v62
	s_waitcnt vmcnt(4)
	v_lshlrev_b32_e32 v120, 16, v45
	v_lshlrev_b32_e32 v118, 16, v53
	s_delay_alu instid0(VALU_DEP_3) | instskip(NEXT) | instid1(VALU_DEP_1)
	v_fmac_f32_e32 v106, v65, v61
	v_dual_add_f32 v97, v97, v106 :: v_dual_and_b32 v106, 0xffff0000, v57
	v_and_b32_e32 v104, 0xffff0000, v66
	v_lshlrev_b32_e32 v66, 16, v66
	s_delay_alu instid0(VALU_DEP_3) | instskip(NEXT) | instid1(VALU_DEP_3)
	v_mul_f32_e32 v57, v71, v106
	v_dual_mul_f32 v107, v104, v105 :: v_dual_lshlrev_b32 v62, 16, v62
	s_delay_alu instid0(VALU_DEP_2) | instskip(NEXT) | instid1(VALU_DEP_2)
	v_dual_fmac_f32 v57, v65, v111 :: v_dual_and_b32 v112, 0xffff0000, v58
	v_fmac_f32_e32 v107, v66, v62
	s_delay_alu instid0(VALU_DEP_2) | instskip(NEXT) | instid1(VALU_DEP_2)
	v_add_f32_e32 v57, v101, v57
	v_dual_add_f32 v97, v97, v107 :: v_dual_lshlrev_b32 v58, 16, v58
	s_delay_alu instid0(VALU_DEP_4) | instskip(SKIP_1) | instid1(VALU_DEP_3)
	v_dual_mul_f32 v113, v104, v112 :: v_dual_and_b32 v114, 0xffff0000, v59
	v_and_b32_e32 v107, 0xffff0000, v68
	v_dual_add_f32 v97, v97, v110 :: v_dual_and_b32 v110, 0xffff0000, v64
	s_delay_alu instid0(VALU_DEP_3) | instskip(SKIP_2) | instid1(VALU_DEP_4)
	v_fmac_f32_e32 v113, v66, v58
	v_lshlrev_b32_e32 v59, 16, v59
	v_dual_mul_f32 v101, v108, v114 :: v_dual_lshlrev_b32 v68, 16, v68
	v_dual_mul_f32 v115, v107, v110 :: v_dual_lshlrev_b32 v64, 16, v64
	s_delay_alu instid0(VALU_DEP_4) | instskip(NEXT) | instid1(VALU_DEP_3)
	v_add_f32_e32 v57, v57, v113
	v_fmac_f32_e32 v101, v67, v59
	v_mul_f32_e32 v117, v107, v116
	v_and_b32_e32 v113, 0xffff0000, v53
	v_fmac_f32_e32 v115, v68, v64
	s_delay_alu instid0(VALU_DEP_4) | instskip(NEXT) | instid1(VALU_DEP_4)
	v_add_f32_e32 v53, v57, v101
	v_fmac_f32_e32 v117, v68, v60
	s_delay_alu instid0(VALU_DEP_4) | instskip(SKIP_2) | instid1(VALU_DEP_4)
	v_mul_f32_e32 v119, v71, v113
	v_and_b32_e32 v101, 0xffff0000, v54
	v_dual_add_f32 v57, v97, v115 :: v_dual_lshlrev_b32 v54, 16, v54
	v_add_f32_e32 v53, v53, v117
	v_and_b32_e32 v117, 0xffff0000, v45
	v_fmac_f32_e32 v119, v65, v118
	v_mul_f32_e32 v97, v104, v101
	v_and_b32_e32 v115, 0xffff0000, v55
	s_delay_alu instid0(VALU_DEP_3) | instskip(NEXT) | instid1(VALU_DEP_3)
	v_dual_mul_f32 v45, v71, v117 :: v_dual_add_f32 v98, v98, v119
	v_fmac_f32_e32 v97, v66, v54
	s_delay_alu instid0(VALU_DEP_3) | instskip(NEXT) | instid1(VALU_DEP_3)
	v_mul_f32_e32 v119, v108, v115
	v_fmac_f32_e32 v45, v65, v120
	v_lshlrev_b32_e32 v65, 16, v46
	s_delay_alu instid0(VALU_DEP_2)
	v_add_f32_e32 v45, v99, v45
	s_waitcnt lgkmcnt(2)
	v_and_b32_e32 v99, 0xffff0000, v49
	v_lshlrev_b32_e32 v55, 16, v55
	v_add_f32_e32 v71, v98, v97
	v_and_b32_e32 v97, 0xffff0000, v46
	v_and_b32_e32 v98, 0xffff0000, v56
	s_delay_alu instid0(VALU_DEP_4) | instskip(NEXT) | instid1(VALU_DEP_3)
	v_dual_fmac_f32 v119, v67, v55 :: v_dual_lshlrev_b32 v56, 16, v56
	v_mul_f32_e32 v46, v104, v97
	v_and_b32_e32 v104, 0xffff0000, v47
	s_delay_alu instid0(VALU_DEP_3) | instskip(NEXT) | instid1(VALU_DEP_3)
	v_add_f32_e32 v71, v71, v119
	v_dual_fmac_f32 v46, v66, v65 :: v_dual_lshlrev_b32 v119, 16, v48
	s_delay_alu instid0(VALU_DEP_3) | instskip(NEXT) | instid1(VALU_DEP_1)
	v_dual_mul_f32 v47, v108, v104 :: v_dual_lshlrev_b32 v66, 16, v47
	v_dual_fmac_f32 v47, v67, v66 :: v_dual_lshlrev_b32 v108, 16, v49
	v_and_b32_e32 v67, 0xffff0000, v48
	s_delay_alu instid0(VALU_DEP_4) | instskip(SKIP_1) | instid1(VALU_DEP_2)
	v_dual_add_f32 v45, v45, v46 :: v_dual_mul_f32 v46, v99, v103
	v_and_b32_e32 v48, 0xffff0000, v50
	v_dual_add_f32 v45, v45, v47 :: v_dual_lshlrev_b32 v50, 16, v50
	s_delay_alu instid0(VALU_DEP_3) | instskip(SKIP_1) | instid1(VALU_DEP_4)
	v_dual_fmac_f32 v46, v108, v61 :: v_dual_mul_f32 v121, v107, v98
	v_mul_f32_e32 v107, v107, v67
	v_mul_f32_e32 v47, v48, v105
	s_delay_alu instid0(VALU_DEP_3) | instskip(NEXT) | instid1(VALU_DEP_3)
	v_fmac_f32_e32 v121, v68, v56
	v_fmac_f32_e32 v107, v68, v119
	v_add_f32_e32 v68, v100, v46
	s_delay_alu instid0(VALU_DEP_4) | instskip(NEXT) | instid1(VALU_DEP_4)
	v_fmac_f32_e32 v47, v50, v62
	v_add_f32_e32 v49, v71, v121
	v_and_b32_e32 v71, 0xffff0000, v51
	v_add_f32_e32 v46, v45, v107
	v_lshlrev_b32_e32 v51, 16, v51
	v_dual_add_f32 v47, v68, v47 :: v_dual_and_b32 v68, 0xffff0000, v52
	s_delay_alu instid0(VALU_DEP_4) | instskip(SKIP_2) | instid1(VALU_DEP_3)
	v_mul_f32_e32 v100, v71, v109
	v_dual_mul_f32 v45, v99, v106 :: v_dual_lshlrev_b32 v52, 16, v52
	v_mul_f32_e32 v107, v48, v112
	v_dual_mul_f32 v121, v68, v110 :: v_dual_fmac_f32 v100, v51, v63
	s_delay_alu instid0(VALU_DEP_3) | instskip(NEXT) | instid1(VALU_DEP_3)
	v_fmac_f32_e32 v45, v108, v111
	v_fmac_f32_e32 v107, v50, v58
	s_delay_alu instid0(VALU_DEP_3) | instskip(NEXT) | instid1(VALU_DEP_4)
	v_fmac_f32_e32 v121, v52, v64
	v_add_f32_e32 v47, v47, v100
	v_mul_f32_e32 v100, v99, v113
	v_dual_add_f32 v45, v102, v45 :: v_dual_mul_f32 v102, v71, v114
	s_delay_alu instid0(VALU_DEP_2) | instskip(NEXT) | instid1(VALU_DEP_2)
	v_dual_add_f32 v47, v47, v121 :: v_dual_fmac_f32 v100, v108, v118
	v_dual_mul_f32 v121, v48, v101 :: v_dual_fmac_f32 v102, v51, v59
	v_mul_f32_e32 v99, v99, v117
	s_delay_alu instid0(VALU_DEP_4) | instskip(NEXT) | instid1(VALU_DEP_4)
	v_add_f32_e32 v45, v45, v107
	v_add_f32_e32 v95, v95, v100
	s_delay_alu instid0(VALU_DEP_4) | instskip(NEXT) | instid1(VALU_DEP_4)
	v_dual_fmac_f32 v121, v50, v54 :: v_dual_mul_f32 v100, v71, v115
	v_fmac_f32_e32 v99, v108, v120
	s_delay_alu instid0(VALU_DEP_4) | instskip(NEXT) | instid1(VALU_DEP_3)
	v_dual_mul_f32 v48, v48, v97 :: v_dual_add_f32 v45, v45, v102
	v_add_f32_e32 v95, v95, v121
	s_delay_alu instid0(VALU_DEP_4) | instskip(NEXT) | instid1(VALU_DEP_4)
	v_fmac_f32_e32 v100, v51, v55
	v_add_f32_e32 v94, v94, v99
	s_delay_alu instid0(VALU_DEP_4) | instskip(SKIP_1) | instid1(VALU_DEP_4)
	v_fmac_f32_e32 v48, v50, v65
	v_mul_f32_e32 v50, v71, v104
	v_dual_mul_f32 v102, v68, v98 :: v_dual_add_f32 v71, v95, v100
	s_waitcnt lgkmcnt(1)
	s_delay_alu instid0(VALU_DEP_3) | instskip(NEXT) | instid1(VALU_DEP_3)
	v_dual_add_f32 v94, v94, v48 :: v_dual_and_b32 v95, 0xffff0000, v41
	v_dual_fmac_f32 v50, v51, v66 :: v_dual_lshlrev_b32 v41, 16, v41
	v_mul_f32_e32 v107, v68, v116
	s_delay_alu instid0(VALU_DEP_3) | instskip(NEXT) | instid1(VALU_DEP_3)
	v_dual_mul_f32 v51, v95, v103 :: v_dual_fmac_f32 v102, v52, v56
	v_add_f32_e32 v50, v94, v50
	v_mul_f32_e32 v68, v68, v67
	s_delay_alu instid0(VALU_DEP_3) | instskip(NEXT) | instid1(VALU_DEP_4)
	v_dual_fmac_f32 v51, v41, v61 :: v_dual_lshlrev_b32 v94, 16, v42
	v_add_f32_e32 v48, v71, v102
	v_and_b32_e32 v71, 0xffff0000, v42
	v_fmac_f32_e32 v107, v52, v60
	s_delay_alu instid0(VALU_DEP_4) | instskip(NEXT) | instid1(VALU_DEP_3)
	v_dual_add_f32 v51, v96, v51 :: v_dual_mul_f32 v96, v95, v106
	v_dual_fmac_f32 v68, v52, v119 :: v_dual_mul_f32 v99, v71, v105
	v_and_b32_e32 v52, 0xffff0000, v43
	v_lshlrev_b32_e32 v43, 16, v43
	s_delay_alu instid0(VALU_DEP_4) | instskip(NEXT) | instid1(VALU_DEP_4)
	v_fmac_f32_e32 v96, v41, v111
	v_add_f32_e32 v42, v50, v68
	v_dual_mul_f32 v50, v71, v112 :: v_dual_fmac_f32 v99, v94, v62
	s_delay_alu instid0(VALU_DEP_3) | instskip(SKIP_1) | instid1(VALU_DEP_3)
	v_dual_mul_f32 v100, v52, v109 :: v_dual_add_f32 v93, v93, v96
	v_mul_f32_e32 v96, v52, v114
	v_dual_fmac_f32 v50, v94, v58 :: v_dual_add_f32 v51, v51, v99
	s_delay_alu instid0(VALU_DEP_3) | instskip(SKIP_1) | instid1(VALU_DEP_4)
	v_fmac_f32_e32 v100, v43, v63
	v_and_b32_e32 v68, 0xffff0000, v44
	v_fmac_f32_e32 v96, v43, v59
	s_delay_alu instid0(VALU_DEP_4) | instskip(NEXT) | instid1(VALU_DEP_4)
	v_dual_add_f32 v50, v93, v50 :: v_dual_lshlrev_b32 v99, 16, v44
	v_dual_add_f32 v51, v51, v100 :: v_dual_mul_f32 v100, v52, v115
	v_mul_f32_e32 v52, v52, v104
	s_delay_alu instid0(VALU_DEP_3) | instskip(SKIP_2) | instid1(VALU_DEP_4)
	v_add_f32_e32 v50, v50, v96
	v_mul_f32_e32 v96, v68, v116
	v_dual_mul_f32 v102, v68, v110 :: v_dual_mul_f32 v93, v71, v101
	v_fmac_f32_e32 v52, v43, v66
	v_mul_f32_e32 v44, v95, v113
	v_mul_f32_e32 v95, v95, v117
	v_fmac_f32_e32 v96, v99, v60
	v_fmac_f32_e32 v102, v99, v64
	;; [unrolled: 1-line block ×5, first 2 shown]
	v_dual_add_f32 v41, v50, v96 :: v_dual_mul_f32 v50, v71, v97
	v_mul_f32_e32 v71, v68, v98
	s_delay_alu instid0(VALU_DEP_4) | instskip(NEXT) | instid1(VALU_DEP_3)
	v_dual_add_f32 v92, v92, v44 :: v_dual_add_f32 v45, v45, v107
	v_dual_add_f32 v91, v91, v95 :: v_dual_fmac_f32 v50, v94, v65
	v_add_f32_e32 v44, v51, v102
	s_delay_alu instid0(VALU_DEP_4) | instskip(NEXT) | instid1(VALU_DEP_3)
	v_fmac_f32_e32 v71, v99, v56
	v_add_f32_e32 v50, v91, v50
	s_waitcnt lgkmcnt(0)
	s_delay_alu instid0(VALU_DEP_1) | instskip(SKIP_1) | instid1(VALU_DEP_1)
	v_dual_add_f32 v50, v50, v52 :: v_dual_and_b32 v91, 0xffff0000, v38
	v_dual_fmac_f32 v93, v94, v54 :: v_dual_and_b32 v52, 0xffff0000, v39
	v_add_f32_e32 v51, v92, v93
	v_and_b32_e32 v92, 0xffff0000, v37
	v_lshlrev_b32_e32 v93, 16, v37
	s_delay_alu instid0(VALU_DEP_3) | instskip(NEXT) | instid1(VALU_DEP_3)
	v_add_f32_e32 v51, v51, v100
	v_mul_f32_e32 v37, v92, v103
	s_delay_alu instid0(VALU_DEP_2) | instskip(NEXT) | instid1(VALU_DEP_2)
	v_add_f32_e32 v43, v51, v71
	v_fmac_f32_e32 v37, v93, v61
	v_dual_mul_f32 v38, v91, v105 :: v_dual_lshlrev_b32 v51, 16, v38
	v_dual_mul_f32 v61, v68, v67 :: v_dual_and_b32 v68, 0xffff0000, v40
	s_delay_alu instid0(VALU_DEP_3) | instskip(NEXT) | instid1(VALU_DEP_3)
	v_dual_add_f32 v37, v90, v37 :: v_dual_lshlrev_b32 v40, 16, v40
	v_fmac_f32_e32 v38, v51, v62
	v_dual_mul_f32 v39, v52, v109 :: v_dual_lshlrev_b32 v62, 16, v39
	v_mul_f32_e32 v71, v92, v106
	s_delay_alu instid0(VALU_DEP_2) | instskip(NEXT) | instid1(VALU_DEP_1)
	v_dual_add_f32 v38, v37, v38 :: v_dual_fmac_f32 v39, v62, v63
	v_dual_mul_f32 v63, v68, v110 :: v_dual_add_f32 v38, v38, v39
	s_delay_alu instid0(VALU_DEP_1) | instskip(NEXT) | instid1(VALU_DEP_1)
	v_fmac_f32_e32 v63, v40, v64
	v_dual_mul_f32 v39, v92, v113 :: v_dual_add_f32 v38, v38, v63
	v_mul_f32_e32 v63, v91, v101
	v_fmac_f32_e32 v61, v99, v119
	s_delay_alu instid0(VALU_DEP_2) | instskip(NEXT) | instid1(VALU_DEP_2)
	v_dual_fmac_f32 v63, v51, v54 :: v_dual_mul_f32 v54, v52, v115
	v_dual_add_f32 v37, v50, v61 :: v_dual_mul_f32 v50, v91, v112
	s_delay_alu instid0(VALU_DEP_2) | instskip(NEXT) | instid1(VALU_DEP_2)
	v_dual_fmac_f32 v54, v62, v55 :: v_dual_mul_f32 v55, v91, v97
	v_fmac_f32_e32 v50, v51, v58
	s_delay_alu instid0(VALU_DEP_2) | instskip(SKIP_2) | instid1(VALU_DEP_3)
	v_dual_mul_f32 v58, v52, v114 :: v_dual_fmac_f32 v55, v51, v65
	v_dual_mul_f32 v51, v52, v104 :: v_dual_and_b32 v52, 0xffff0000, v33
	v_fmac_f32_e32 v71, v93, v111
	v_dual_fmac_f32 v58, v62, v59 :: v_dual_lshlrev_b32 v33, 16, v33
	s_delay_alu instid0(VALU_DEP_3) | instskip(NEXT) | instid1(VALU_DEP_3)
	v_dual_fmac_f32 v51, v62, v66 :: v_dual_and_b32 v62, 0xffff0000, v35
	v_add_f32_e32 v61, v89, v71
	v_fmac_f32_e32 v39, v93, v118
	s_waitcnt vmcnt(2)
	v_lshlrev_b32_e32 v65, 16, v25
	v_mul_f32_e32 v59, v68, v116
	v_dual_add_f32 v50, v61, v50 :: v_dual_lshlrev_b32 v35, 16, v35
	v_add_f32_e32 v39, v88, v39
	v_mul_f32_e32 v61, v92, v117
	s_waitcnt vmcnt(0)
	v_dual_fmac_f32 v59, v40, v60 :: v_dual_and_b32 v88, 0xffff0000, v14
	v_add_f32_e32 v50, v50, v58
	s_delay_alu instid0(VALU_DEP_3) | instskip(NEXT) | instid1(VALU_DEP_2)
	v_dual_add_f32 v58, v39, v63 :: v_dual_fmac_f32 v61, v93, v120
	v_dual_add_f32 v39, v50, v59 :: v_dual_lshlrev_b32 v14, 16, v14
	v_mul_f32_e32 v50, v68, v98
	s_delay_alu instid0(VALU_DEP_3) | instskip(NEXT) | instid1(VALU_DEP_4)
	v_add_f32_e32 v54, v58, v54
	v_dual_add_f32 v58, v70, v61 :: v_dual_mul_f32 v61, v68, v67
	v_and_b32_e32 v67, 0xffff0000, v28
	s_delay_alu instid0(VALU_DEP_4) | instskip(NEXT) | instid1(VALU_DEP_3)
	v_fmac_f32_e32 v50, v40, v56
	v_dual_add_f32 v55, v58, v55 :: v_dual_and_b32 v56, 0xffff0000, v29
	s_delay_alu instid0(VALU_DEP_4) | instskip(NEXT) | instid1(VALU_DEP_3)
	v_dual_fmac_f32 v61, v40, v119 :: v_dual_lshlrev_b32 v58, 16, v29
	v_add_f32_e32 v29, v54, v50
	s_delay_alu instid0(VALU_DEP_3) | instskip(NEXT) | instid1(VALU_DEP_4)
	v_dual_mul_f32 v59, v52, v56 :: v_dual_and_b32 v50, 0xffff0000, v34
	v_dual_add_f32 v51, v55, v51 :: v_dual_and_b32 v54, 0xffff0000, v30
	v_lshlrev_b32_e32 v34, 16, v34
	s_delay_alu instid0(VALU_DEP_3) | instskip(SKIP_1) | instid1(VALU_DEP_4)
	v_fmac_f32_e32 v59, v33, v58
	v_lshlrev_b32_e32 v55, 16, v30
	v_mul_f32_e32 v60, v50, v54
	v_lshlrev_b32_e32 v30, 16, v31
	s_delay_alu instid0(VALU_DEP_4) | instskip(NEXT) | instid1(VALU_DEP_3)
	v_dual_add_f32 v57, v57, v59 :: v_dual_lshlrev_b32 v28, 16, v28
	v_dual_fmac_f32 v60, v34, v55 :: v_dual_and_b32 v59, 0xffff0000, v32
	v_lshlrev_b32_e32 v32, 16, v32
	v_and_b32_e32 v70, 0xffff0000, v23
	s_delay_alu instid0(VALU_DEP_3) | instskip(SKIP_4) | instid1(VALU_DEP_4)
	v_add_f32_e32 v40, v57, v60
	v_and_b32_e32 v57, 0xffff0000, v36
	v_and_b32_e32 v63, 0xffff0000, v31
	;; [unrolled: 1-line block ×3, first 2 shown]
	v_dual_add_f32 v25, v51, v61 :: v_dual_lshlrev_b32 v36, 16, v36
	v_mul_f32_e32 v64, v57, v59
	s_delay_alu instid0(VALU_DEP_3) | instskip(NEXT) | instid1(VALU_DEP_2)
	v_dual_mul_f32 v31, v62, v63 :: v_dual_mul_f32 v66, v52, v60
	v_dual_mul_f32 v71, v57, v67 :: v_dual_fmac_f32 v64, v36, v32
	s_delay_alu instid0(VALU_DEP_2) | instskip(NEXT) | instid1(VALU_DEP_2)
	v_dual_fmac_f32 v31, v35, v30 :: v_dual_fmac_f32 v66, v33, v65
	v_fmac_f32_e32 v71, v36, v28
	s_delay_alu instid0(VALU_DEP_2) | instskip(SKIP_1) | instid1(VALU_DEP_4)
	v_dual_add_f32 v31, v40, v31 :: v_dual_and_b32 v40, 0xffff0000, v26
	v_lshlrev_b32_e32 v26, 16, v26
	v_add_f32_e32 v53, v53, v66
	s_delay_alu instid0(VALU_DEP_3) | instskip(NEXT) | instid1(VALU_DEP_4)
	v_add_f32_e32 v97, v31, v64
	v_mul_f32_e32 v51, v50, v40
	v_and_b32_e32 v31, 0xffff0000, v27
	v_lshlrev_b32_e32 v27, 16, v27
	s_delay_alu instid0(VALU_DEP_3) | instskip(NEXT) | instid1(VALU_DEP_3)
	v_fmac_f32_e32 v51, v34, v26
	v_mul_f32_e32 v64, v62, v31
	s_delay_alu instid0(VALU_DEP_2) | instskip(NEXT) | instid1(VALU_DEP_2)
	v_add_f32_e32 v51, v53, v51
	v_dual_fmac_f32 v64, v35, v27 :: v_dual_and_b32 v53, 0xffff0000, v22
	v_lshlrev_b32_e32 v22, 16, v22
	v_and_b32_e32 v61, 0xffff0000, v21
	v_lshlrev_b32_e32 v21, 16, v21
	s_delay_alu instid0(VALU_DEP_4) | instskip(SKIP_1) | instid1(VALU_DEP_4)
	v_dual_add_f32 v51, v51, v64 :: v_dual_and_b32 v64, 0xffff0000, v13
	v_lshlrev_b32_e32 v13, 16, v13
	v_mul_f32_e32 v66, v52, v61
	v_mul_f32_e32 v68, v50, v53
	s_delay_alu instid0(VALU_DEP_4) | instskip(NEXT) | instid1(VALU_DEP_3)
	v_mul_f32_e32 v52, v52, v64
	v_fmac_f32_e32 v66, v33, v21
	s_delay_alu instid0(VALU_DEP_3) | instskip(NEXT) | instid1(VALU_DEP_3)
	v_fmac_f32_e32 v68, v34, v22
	v_dual_fmac_f32 v52, v33, v13 :: v_dual_mul_f32 v33, v50, v88
	s_delay_alu instid0(VALU_DEP_3) | instskip(SKIP_2) | instid1(VALU_DEP_4)
	v_add_f32_e32 v49, v49, v66
	v_mul_f32_e32 v66, v62, v70
	v_and_b32_e32 v50, 0xffff0000, v15
	v_add_f32_e32 v46, v46, v52
	v_fmac_f32_e32 v33, v34, v14
	v_add_f32_e32 v49, v49, v68
	v_and_b32_e32 v68, 0xffff0000, v24
	v_lshlrev_b32_e32 v23, 16, v23
	s_delay_alu instid0(VALU_DEP_4)
	v_dual_add_f32 v33, v46, v33 :: v_dual_lshlrev_b32 v24, 16, v24
	v_and_b32_e32 v46, 0xffff0000, v16
	v_lshlrev_b32_e32 v16, 16, v16
	v_mul_f32_e32 v89, v57, v68
	v_lshlrev_b32_e32 v15, 16, v15
	v_and_b32_e32 v34, 0xffff0000, v17
	v_dual_mul_f32 v52, v57, v46 :: v_dual_lshlrev_b32 v17, 16, v17
	s_delay_alu instid0(VALU_DEP_4) | instskip(NEXT) | instid1(VALU_DEP_2)
	v_fmac_f32_e32 v89, v36, v24
	v_fmac_f32_e32 v52, v36, v16
	;; [unrolled: 1-line block ×3, first 2 shown]
	s_delay_alu instid0(VALU_DEP_1) | instskip(NEXT) | instid1(VALU_DEP_1)
	v_add_f32_e32 v49, v49, v66
	v_dual_add_f32 v98, v49, v89 :: v_dual_mul_f32 v49, v62, v50
	s_delay_alu instid0(VALU_DEP_1) | instskip(SKIP_1) | instid1(VALU_DEP_2)
	v_fmac_f32_e32 v49, v35, v15
	v_and_b32_e32 v35, 0xffff0000, v18
	v_dual_add_f32 v33, v33, v49 :: v_dual_lshlrev_b32 v18, 16, v18
	s_delay_alu instid0(VALU_DEP_2) | instskip(SKIP_2) | instid1(VALU_DEP_4)
	v_mul_f32_e32 v57, v35, v54
	v_and_b32_e32 v49, 0xffff0000, v19
	v_dual_mul_f32 v62, v35, v53 :: v_dual_lshlrev_b32 v19, 16, v19
	v_add_f32_e32 v99, v33, v52
	v_and_b32_e32 v33, 0xffff0000, v20
	v_dual_add_f32 v101, v51, v71 :: v_dual_lshlrev_b32 v20, 16, v20
	v_mul_f32_e32 v51, v34, v56
	v_fmac_f32_e32 v57, v18, v55
	v_fmac_f32_e32 v62, v18, v22
	s_delay_alu instid0(VALU_DEP_3) | instskip(NEXT) | instid1(VALU_DEP_1)
	v_fmac_f32_e32 v51, v17, v58
	v_add_f32_e32 v36, v47, v51
	v_mul_f32_e32 v47, v49, v63
	s_delay_alu instid0(VALU_DEP_2) | instskip(NEXT) | instid1(VALU_DEP_2)
	v_dual_mul_f32 v51, v34, v60 :: v_dual_add_f32 v36, v36, v57
	v_dual_fmac_f32 v47, v19, v30 :: v_dual_mul_f32 v52, v33, v59
	s_delay_alu instid0(VALU_DEP_2) | instskip(NEXT) | instid1(VALU_DEP_2)
	v_fmac_f32_e32 v51, v17, v65
	v_dual_mul_f32 v57, v35, v40 :: v_dual_add_f32 v36, v36, v47
	s_delay_alu instid0(VALU_DEP_2) | instskip(NEXT) | instid1(VALU_DEP_2)
	v_dual_fmac_f32 v52, v20, v32 :: v_dual_add_f32 v45, v45, v51
	v_fmac_f32_e32 v57, v18, v26
	v_mul_f32_e32 v51, v49, v31
	s_delay_alu instid0(VALU_DEP_3) | instskip(SKIP_1) | instid1(VALU_DEP_3)
	v_dual_mul_f32 v47, v34, v61 :: v_dual_add_f32 v100, v36, v52
	v_mul_f32_e32 v34, v34, v64
	v_dual_add_f32 v36, v45, v57 :: v_dual_fmac_f32 v51, v19, v27
	s_delay_alu instid0(VALU_DEP_2) | instskip(NEXT) | instid1(VALU_DEP_2)
	v_fmac_f32_e32 v34, v17, v13
	v_dual_add_f32 v36, v36, v51 :: v_dual_fmac_f32 v47, v17, v21
	s_delay_alu instid0(VALU_DEP_2) | instskip(SKIP_1) | instid1(VALU_DEP_3)
	v_dual_mul_f32 v17, v35, v88 :: v_dual_add_f32 v34, v42, v34
	v_dual_mul_f32 v42, v33, v68 :: v_dual_and_b32 v35, 0xffff0000, v9
	v_add_f32_e32 v45, v48, v47
	v_mul_f32_e32 v48, v33, v67
	s_delay_alu instid0(VALU_DEP_3) | instskip(SKIP_1) | instid1(VALU_DEP_3)
	v_dual_mul_f32 v33, v33, v46 :: v_dual_fmac_f32 v42, v20, v24
	v_fmac_f32_e32 v17, v18, v14
	v_dual_add_f32 v45, v45, v62 :: v_dual_fmac_f32 v48, v20, v28
	s_delay_alu instid0(VALU_DEP_3) | instskip(SKIP_2) | instid1(VALU_DEP_4)
	v_fmac_f32_e32 v33, v20, v16
	v_and_b32_e32 v20, 0xffff0000, v12
	v_lshlrev_b32_e32 v12, 16, v12
	v_dual_add_f32 v102, v36, v48 :: v_dual_lshlrev_b32 v9, 16, v9
	v_mul_f32_e32 v18, v35, v56
	s_delay_alu instid0(VALU_DEP_4) | instskip(NEXT) | instid1(VALU_DEP_2)
	v_dual_mul_f32 v36, v20, v59 :: v_dual_add_f32 v17, v34, v17
	v_fmac_f32_e32 v18, v9, v58
	s_delay_alu instid0(VALU_DEP_2) | instskip(SKIP_1) | instid1(VALU_DEP_2)
	v_dual_fmac_f32 v36, v12, v32 :: v_dual_mul_f32 v47, v49, v70
	v_mul_f32_e32 v49, v49, v50
	v_dual_add_f32 v18, v44, v18 :: v_dual_fmac_f32 v47, v19, v23
	s_delay_alu instid0(VALU_DEP_2) | instskip(SKIP_2) | instid1(VALU_DEP_4)
	v_fmac_f32_e32 v49, v19, v15
	v_and_b32_e32 v19, 0xffff0000, v11
	v_lshlrev_b32_e32 v11, 16, v11
	v_add_f32_e32 v45, v45, v47
	v_and_b32_e32 v47, 0xffff0000, v10
	v_dual_add_f32 v17, v17, v49 :: v_dual_lshlrev_b32 v10, 16, v10
	v_mul_f32_e32 v44, v19, v63
	s_delay_alu instid0(VALU_DEP_3) | instskip(NEXT) | instid1(VALU_DEP_3)
	v_mul_f32_e32 v34, v47, v54
	v_dual_add_f32 v94, v17, v33 :: v_dual_mul_f32 v17, v35, v60
	s_delay_alu instid0(VALU_DEP_2) | instskip(SKIP_1) | instid1(VALU_DEP_3)
	v_dual_mul_f32 v33, v35, v61 :: v_dual_fmac_f32 v34, v10, v55
	v_dual_add_f32 v95, v45, v42 :: v_dual_mul_f32 v42, v47, v53
	v_fmac_f32_e32 v17, v9, v65
	s_delay_alu instid0(VALU_DEP_3) | instskip(SKIP_1) | instid1(VALU_DEP_3)
	v_dual_fmac_f32 v33, v9, v21 :: v_dual_add_f32 v18, v18, v34
	v_mul_f32_e32 v34, v47, v40
	v_dual_fmac_f32 v44, v11, v30 :: v_dual_add_f32 v17, v41, v17
	v_mul_f32_e32 v41, v19, v31
	s_delay_alu instid0(VALU_DEP_3) | instskip(SKIP_2) | instid1(VALU_DEP_4)
	v_dual_add_f32 v33, v43, v33 :: v_dual_fmac_f32 v34, v10, v26
	v_fmac_f32_e32 v42, v10, v22
	v_mul_f32_e32 v43, v19, v70
	v_dual_fmac_f32 v41, v11, v27 :: v_dual_add_f32 v18, v18, v44
	s_delay_alu instid0(VALU_DEP_4) | instskip(NEXT) | instid1(VALU_DEP_4)
	v_dual_add_f32 v17, v17, v34 :: v_dual_mul_f32 v34, v20, v67
	v_add_f32_e32 v33, v33, v42
	s_delay_alu instid0(VALU_DEP_4) | instskip(NEXT) | instid1(VALU_DEP_3)
	v_dual_fmac_f32 v43, v11, v23 :: v_dual_mul_f32 v42, v20, v68
	v_dual_add_f32 v17, v17, v41 :: v_dual_fmac_f32 v34, v12, v28
	v_mul_f32_e32 v35, v35, v64
	s_delay_alu instid0(VALU_DEP_3) | instskip(NEXT) | instid1(VALU_DEP_3)
	v_dual_add_f32 v33, v33, v43 :: v_dual_fmac_f32 v42, v12, v24
	v_dual_add_f32 v96, v18, v36 :: v_dual_add_f32 v93, v17, v34
	v_and_b32_e32 v17, 0xffff0000, v5
	s_delay_alu instid0(VALU_DEP_4)
	v_fmac_f32_e32 v35, v9, v13
	v_mul_f32_e32 v9, v47, v88
	v_lshlrev_b32_e32 v5, 16, v5
	v_and_b32_e32 v34, 0xffff0000, v6
	v_mul_f32_e32 v18, v17, v56
	v_add_f32_e32 v92, v33, v42
	v_add_f32_e32 v33, v37, v35
	v_fmac_f32_e32 v9, v10, v14
	v_mul_f32_e32 v10, v19, v50
	v_fmac_f32_e32 v18, v5, v58
	v_lshlrev_b32_e32 v6, 16, v6
	v_mul_f32_e32 v19, v34, v54
	s_delay_alu instid0(VALU_DEP_4) | instskip(SKIP_2) | instid1(VALU_DEP_4)
	v_dual_add_f32 v9, v33, v9 :: v_dual_fmac_f32 v10, v11, v15
	v_mul_f32_e32 v11, v20, v46
	v_add_f32_e32 v18, v38, v18
	v_dual_fmac_f32 v19, v6, v55 :: v_dual_mul_f32 v20, v17, v60
	s_delay_alu instid0(VALU_DEP_4) | instskip(NEXT) | instid1(VALU_DEP_4)
	v_add_f32_e32 v9, v9, v10
	v_dual_fmac_f32 v11, v12, v16 :: v_dual_and_b32 v10, 0xffff0000, v7
	s_delay_alu instid0(VALU_DEP_3) | instskip(NEXT) | instid1(VALU_DEP_4)
	v_add_f32_e32 v12, v18, v19
	v_fmac_f32_e32 v20, v5, v65
	v_dual_mul_f32 v18, v34, v40 :: v_dual_lshlrev_b32 v7, 16, v7
	s_delay_alu instid0(VALU_DEP_4) | instskip(SKIP_1) | instid1(VALU_DEP_4)
	v_mul_f32_e32 v19, v10, v63
	v_and_b32_e32 v33, 0xffff0000, v8
	v_add_f32_e32 v20, v39, v20
	s_delay_alu instid0(VALU_DEP_4) | instskip(NEXT) | instid1(VALU_DEP_4)
	v_fmac_f32_e32 v18, v6, v26
	v_dual_mul_f32 v26, v10, v31 :: v_dual_fmac_f32 v19, v7, v30
	v_lshlrev_b32_e32 v8, 16, v8
	v_mul_f32_e32 v30, v33, v59
	s_delay_alu instid0(VALU_DEP_4) | instskip(SKIP_3) | instid1(VALU_DEP_3)
	v_add_f32_e32 v18, v20, v18
	v_mul_f32_e32 v20, v17, v61
	v_dual_mul_f32 v17, v17, v64 :: v_dual_add_f32 v12, v12, v19
	v_dual_mul_f32 v19, v34, v53 :: v_dual_fmac_f32 v26, v7, v27
	v_fmac_f32_e32 v20, v5, v21
	s_delay_alu instid0(VALU_DEP_3) | instskip(SKIP_1) | instid1(VALU_DEP_4)
	v_fmac_f32_e32 v17, v5, v13
	v_mul_f32_e32 v5, v34, v88
	v_fmac_f32_e32 v19, v6, v22
	v_mul_f32_e32 v21, v33, v67
	v_dual_add_f32 v13, v29, v20 :: v_dual_mul_f32 v20, v10, v70
	v_add_f32_e32 v17, v25, v17
	v_fmac_f32_e32 v5, v6, v14
	v_mul_f32_e32 v6, v10, v50
	s_delay_alu instid0(VALU_DEP_4) | instskip(SKIP_1) | instid1(VALU_DEP_3)
	v_add_f32_e32 v10, v13, v19
	v_dual_fmac_f32 v20, v7, v23 :: v_dual_mul_f32 v13, v33, v68
	v_dual_add_f32 v5, v17, v5 :: v_dual_fmac_f32 v6, v7, v15
	v_dual_mul_f32 v7, v33, v46 :: v_dual_fmac_f32 v30, v8, v32
	v_dual_add_f32 v18, v18, v26 :: v_dual_fmac_f32 v21, v8, v28
	s_delay_alu instid0(VALU_DEP_4)
	v_add_f32_e32 v10, v10, v20
	v_fmac_f32_e32 v13, v8, v24
	v_add_f32_e32 v5, v5, v6
	v_fmac_f32_e32 v7, v8, v16
	v_dual_add_f32 v91, v9, v11 :: v_dual_add_f32 v90, v12, v30
	v_add_f32_e32 v89, v18, v21
	v_add_f32_e32 v88, v10, v13
	s_delay_alu instid0(VALU_DEP_4)
	v_add_f32_e32 v70, v5, v7
.LBB277_16:                             ;   in Loop: Header=BB277_17 Depth=2
	s_or_b32 exec_lo, exec_lo, s2
	s_addk_i32 s4, 0x400
	s_delay_alu instid0(SALU_CYCLE_1)
	s_cmp_ge_u32 s4, s16
	s_cbranch_scc1 .LBB277_29
.LBB277_17:                             ;   Parent Loop BB277_12 Depth=1
                                        ; =>  This Loop Header: Depth=2
                                        ;       Child Loop BB277_22 Depth 3
	s_cmp_eq_u32 s4, 0
	s_cselect_b32 s5, -1, 0
	s_add_i32 s2, s3, s24
	s_delay_alu instid0(SALU_CYCLE_1) | instskip(SKIP_1) | instid1(SALU_CYCLE_1)
	s_cmp_eq_u32 s4, s2
	s_cselect_b32 s40, -1, 0
	s_or_b32 s40, s5, s40
	s_delay_alu instid0(SALU_CYCLE_1)
	s_and_not1_b32 vcc_lo, exec_lo, s40
	s_cbranch_vccz .LBB277_19
; %bb.18:                               ;   in Loop: Header=BB277_17 Depth=2
	s_and_saveexec_b32 s2, s1
	s_cbranch_execz .LBB277_16
	s_branch .LBB277_26
.LBB277_19:                             ;   in Loop: Header=BB277_17 Depth=2
	s_and_b32 s5, s5, exec_lo
	s_cselect_b32 s3, s3, s2
	s_and_not1_b32 vcc_lo, exec_lo, s21
	s_waitcnt vmcnt(0)
	s_waitcnt_vscnt null, 0x0
	s_barrier
	buffer_gl0_inv
	s_cbranch_vccnz .LBB277_25
; %bb.20:                               ;   in Loop: Header=BB277_17 Depth=2
	v_add_nc_u32_e32 v5, s3, v85
	v_dual_mov_b32 v9, v84 :: v_dual_add_nc_u32 v6, s3, v73
	v_add_nc_u32_e32 v7, s3, v86
	v_add_nc_u32_e32 v8, s3, v0
	s_mov_b32 s5, 0
	s_mov_b32 s40, 0
                                        ; implicit-def: $sgpr41
	s_branch .LBB277_22
.LBB277_21:                             ;   in Loop: Header=BB277_22 Depth=3
	s_or_b32 exec_lo, exec_lo, s2
	s_delay_alu instid0(SALU_CYCLE_1) | instskip(NEXT) | instid1(SALU_CYCLE_1)
	s_and_b32 s2, exec_lo, s41
	s_or_b32 s5, s2, s5
	s_delay_alu instid0(SALU_CYCLE_1)
	s_and_not1_b32 exec_lo, exec_lo, s5
	s_cbranch_execz .LBB277_24
.LBB277_22:                             ;   Parent Loop BB277_12 Depth=1
                                        ;     Parent Loop BB277_17 Depth=2
                                        ; =>    This Inner Loop Header: Depth=3
	s_delay_alu instid0(VALU_DEP_1) | instskip(SKIP_2) | instid1(VALU_DEP_2)
	v_add_nc_u32_e32 v71, s40, v8
	v_add_nc_u32_e32 v10, s40, v0
	s_or_b32 s41, s41, exec_lo
	v_cmp_gt_u32_e32 vcc_lo, s18, v71
	s_delay_alu instid0(VALU_DEP_2) | instskip(NEXT) | instid1(VALU_DEP_1)
	v_cmp_gt_u32_e64 s2, s24, v10
	s_and_b32 s42, s2, vcc_lo
	s_delay_alu instid0(SALU_CYCLE_1)
	s_and_saveexec_b32 s2, s42
	s_cbranch_execz .LBB277_21
; %bb.23:                               ;   in Loop: Header=BB277_22 Depth=3
	v_lshlrev_b64 v[10:11], 1, v[71:72]
	v_add_nc_u32_e32 v71, s40, v7
	v_add_nc_u32_e32 v26, s39, v9
	;; [unrolled: 1-line block ×3, first 2 shown]
	s_delay_alu instid0(VALU_DEP_3) | instskip(SKIP_3) | instid1(VALU_DEP_3)
	v_lshlrev_b64 v[12:13], 1, v[71:72]
	v_add_nc_u32_e32 v71, s40, v5
	v_add_co_u32 v10, vcc_lo, s12, v10
	v_add_co_ci_u32_e32 v11, vcc_lo, s13, v11, vcc_lo
	v_lshlrev_b64 v[18:19], 1, v[71:72]
	v_add_nc_u32_e32 v71, s40, v6
	v_add_co_u32 v14, vcc_lo, s12, v12
	v_add_co_ci_u32_e32 v15, vcc_lo, s13, v13, vcc_lo
	s_delay_alu instid0(VALU_DEP_3)
	v_lshlrev_b64 v[20:21], 1, v[71:72]
	v_add_co_u32 v18, vcc_lo, s12, v18
	v_add_co_ci_u32_e32 v19, vcc_lo, s13, v19, vcc_lo
	s_clause 0x1
	global_load_b128 v[10:13], v[10:11], off
	global_load_b128 v[14:17], v[14:15], off
	v_add_co_u32 v22, vcc_lo, s12, v20
	v_add_co_ci_u32_e32 v23, vcc_lo, s13, v21, vcc_lo
	s_clause 0x1
	global_load_b128 v[18:21], v[18:19], off
	global_load_b128 v[22:25], v[22:23], off
	s_add_i32 s40, s40, s26
	s_waitcnt vmcnt(3)
	ds_store_b128 v9, v[10:13]
	s_waitcnt vmcnt(2)
	ds_store_2addr_b64 v26, v[14:15], v[16:17] offset1:1
	s_cmp_ge_u32 s40, s24
	v_add_nc_u32_e32 v10, s9, v9
	s_cselect_b32 s42, -1, 0
	v_add_nc_u32_e32 v9, s20, v9
	s_and_not1_b32 s41, s41, exec_lo
	s_and_b32 s42, s42, exec_lo
	s_waitcnt vmcnt(1)
	ds_store_2addr_b32 v27, v18, v19 offset1:1
	ds_store_2addr_b32 v27, v20, v21 offset0:2 offset1:3
	s_or_b32 s41, s41, s42
	s_waitcnt vmcnt(0)
	ds_store_2addr_b64 v10, v[22:23], v[24:25] offset1:1
	s_branch .LBB277_21
.LBB277_24:                             ;   in Loop: Header=BB277_17 Depth=2
	s_or_b32 exec_lo, exec_lo, s5
.LBB277_25:                             ;   in Loop: Header=BB277_17 Depth=2
	s_waitcnt lgkmcnt(0)
	s_barrier
	buffer_gl0_inv
	s_and_saveexec_b32 s2, s1
	s_cbranch_execz .LBB277_16
.LBB277_26:                             ;   in Loop: Header=BB277_17 Depth=2
	v_dual_mov_b32 v20, 0 :: v_dual_add_nc_u32 v103, s4, v83
	v_dual_mov_b32 v19, 0 :: v_dual_mov_b32 v18, 0
	v_mov_b32_e32 v17, 0
	s_delay_alu instid0(VALU_DEP_3)
	v_min_u32_e32 v71, s27, v103
	v_add_nc_u32_e32 v104, 0x200, v103
	s_waitcnt vmcnt(4)
	v_dual_mov_b32 v36, 0 :: v_dual_mov_b32 v35, 0
	s_waitcnt vmcnt(3)
	v_dual_mov_b32 v34, 0 :: v_dual_mov_b32 v33, 0
	v_lshlrev_b64 v[5:6], 1, v[71:72]
	v_min_u32_e32 v71, s27, v104
	v_dual_mov_b32 v40, 0 :: v_dual_mov_b32 v39, 0
	v_dual_mov_b32 v38, 0 :: v_dual_mov_b32 v37, 0
	s_delay_alu instid0(VALU_DEP_4) | instskip(SKIP_2) | instid1(VALU_DEP_3)
	v_add_co_u32 v13, vcc_lo, s10, v5
	v_add_co_ci_u32_e32 v14, vcc_lo, s11, v6, vcc_lo
	v_lshlrev_b64 v[5:6], 1, v[71:72]
	v_add_co_u32 v7, vcc_lo, v13, v74
	s_delay_alu instid0(VALU_DEP_3)
	v_add_co_ci_u32_e32 v8, vcc_lo, v14, v75, vcc_lo
	v_add_co_u32 v9, vcc_lo, v13, v76
	v_add_co_ci_u32_e32 v10, vcc_lo, v14, v77, vcc_lo
	v_add_co_u32 v11, vcc_lo, v13, v78
	;; [unrolled: 2-line block ×4, first 2 shown]
	v_add_co_ci_u32_e32 v6, vcc_lo, v14, v81, vcc_lo
	s_clause 0x1
	global_load_b128 v[61:64], v[7:8], off slc dlc
	global_load_b128 v[57:60], v[9:10], off slc dlc
	v_add_co_u32 v7, vcc_lo, v15, v74
	v_add_co_ci_u32_e32 v8, vcc_lo, v16, v75, vcc_lo
	v_add_co_u32 v9, vcc_lo, v15, v76
	v_add_co_ci_u32_e32 v10, vcc_lo, v16, v77, vcc_lo
	v_add_co_u32 v13, vcc_lo, v15, v78
	v_add_co_ci_u32_e32 v14, vcc_lo, v16, v79, vcc_lo
	v_add_co_u32 v15, vcc_lo, v15, v80
	v_add_co_ci_u32_e32 v16, vcc_lo, v16, v81, vcc_lo
	s_clause 0x5
	global_load_b128 v[53:56], v[11:12], off slc dlc
	global_load_b128 v[45:48], v[5:6], off slc dlc
	;; [unrolled: 1-line block ×6, first 2 shown]
	v_mov_b32_e32 v8, 0
	v_cmp_gt_u32_e32 vcc_lo, s16, v103
	v_dual_mov_b32 v7, 0 :: v_dual_mov_b32 v6, 0
	v_dual_mov_b32 v5, 0 :: v_dual_mov_b32 v12, 0
	v_dual_mov_b32 v11, 0 :: v_dual_mov_b32 v10, 0
	v_dual_mov_b32 v9, 0 :: v_dual_mov_b32 v44, 0
	v_dual_mov_b32 v43, 0 :: v_dual_mov_b32 v42, 0
	v_dual_mov_b32 v41, 0 :: v_dual_mov_b32 v52, 0
	v_dual_mov_b32 v51, 0 :: v_dual_mov_b32 v50, 0
	v_dual_mov_b32 v49, 0 :: v_dual_mov_b32 v68, 0
	v_dual_mov_b32 v67, 0 :: v_dual_mov_b32 v66, 0
	v_mov_b32_e32 v65, 0
	s_and_saveexec_b32 s5, vcc_lo
	s_cbranch_execz .LBB277_15
; %bb.27:                               ;   in Loop: Header=BB277_17 Depth=2
	v_subrev_nc_u32_e32 v5, s3, v103
	v_cmp_gt_u32_e32 vcc_lo, s16, v104
	v_dual_mov_b32 v35, 0 :: v_dual_mov_b32 v20, 0
	v_dual_mov_b32 v17, 0 :: v_dual_mov_b32 v10, 0
	s_delay_alu instid0(VALU_DEP_4) | instskip(SKIP_1) | instid1(VALU_DEP_2)
	v_dual_mov_b32 v33, 0 :: v_dual_lshlrev_b32 v106, 1, v5
	v_dual_mov_b32 v19, 0 :: v_dual_mov_b32 v12, 0
	v_dual_mov_b32 v34, 0 :: v_dual_add_nc_u32 v105, s39, v106
	v_dual_mov_b32 v9, 0 :: v_dual_mov_b32 v6, 0
	v_dual_mov_b32 v11, 0 :: v_dual_mov_b32 v8, 0
	s_delay_alu instid0(VALU_DEP_3) | instskip(SKIP_2) | instid1(VALU_DEP_3)
	v_dual_mov_b32 v36, 0 :: v_dual_add_nc_u32 v103, s39, v105
	v_mov_b32_e32 v5, 0
	v_dual_mov_b32 v7, 0 :: v_dual_mov_b32 v18, 0
	v_add_nc_u32_e32 v71, s39, v103
	ds_load_b128 v[65:68], v106
	ds_load_b128 v[49:52], v105
	;; [unrolled: 1-line block ×4, first 2 shown]
	s_and_saveexec_b32 s40, vcc_lo
	s_cbranch_execz .LBB277_14
; %bb.28:                               ;   in Loop: Header=BB277_17 Depth=2
	ds_load_b128 v[33:36], v106 offset:1024
	ds_load_b128 v[17:20], v105 offset:1024
	;; [unrolled: 1-line block ×4, first 2 shown]
	s_branch .LBB277_14
.LBB277_29:                             ;   in Loop: Header=BB277_12 Depth=1
	s_mov_b32 s1, exec_lo
	v_cmpx_le_u32_e64 s19, v69
	s_xor_b32 s1, exec_lo, s1
; %bb.30:                               ;   in Loop: Header=BB277_12 Depth=1
	v_add_nc_u32_e32 v69, s29, v69
                                        ; implicit-def: $vgpr70
                                        ; implicit-def: $vgpr88
                                        ; implicit-def: $vgpr89
                                        ; implicit-def: $vgpr90
                                        ; implicit-def: $vgpr91
                                        ; implicit-def: $vgpr92
                                        ; implicit-def: $vgpr93
                                        ; implicit-def: $vgpr96
                                        ; implicit-def: $vgpr94
                                        ; implicit-def: $vgpr95
                                        ; implicit-def: $vgpr102
                                        ; implicit-def: $vgpr100
                                        ; implicit-def: $vgpr99
                                        ; implicit-def: $vgpr98
                                        ; implicit-def: $vgpr101
                                        ; implicit-def: $vgpr97
; %bb.31:                               ;   in Loop: Header=BB277_12 Depth=1
	s_and_not1_saveexec_b32 s40, s1
	s_cbranch_execz .LBB277_11
; %bb.32:                               ;   in Loop: Header=BB277_12 Depth=1
	v_cvt_i32_f32_e32 v5, v97
	v_xor_b32_e32 v6, 16, v82
	s_waitcnt lgkmcnt(0)
	v_cvt_i32_f32_e32 v10, v100
	v_cvt_i32_f32_e32 v11, v102
	;; [unrolled: 1-line block ×3, first 2 shown]
	v_cvt_f32_i32_dpp v5, v5 row_shr:8 row_mask:0xf bank_mask:0xf bound_ctrl:1
	v_cmp_gt_i32_e32 vcc_lo, 32, v6
	v_cvt_i32_f32_e32 v8, v98
	v_cvt_i32_f32_e32 v9, v99
	v_cvt_f32_i32_dpp v10, v10 row_shr:8 row_mask:0xf bank_mask:0xf bound_ctrl:1
	v_dual_add_f32 v5, v97, v5 :: v_dual_cndmask_b32 v6, v82, v6
	v_cvt_f32_i32_dpp v11, v11 row_shr:8 row_mask:0xf bank_mask:0xf bound_ctrl:1
	v_cvt_f32_i32_dpp v7, v7 row_shr:8 row_mask:0xf bank_mask:0xf bound_ctrl:1
	;; [unrolled: 1-line block ×4, first 2 shown]
	v_cvt_i32_f32_e32 v12, v5
	v_dual_add_f32 v10, v100, v10 :: v_dual_add_f32 v11, v102, v11
	s_waitcnt vmcnt(0)
	v_lshlrev_b32_e32 v22, 2, v6
	v_dual_add_f32 v6, v101, v7 :: v_dual_add_f32 v9, v99, v9
	v_add_f32_e32 v7, v98, v8
	v_cvt_f32_i32_dpp v8, v12 row_shr:4 row_mask:0xf bank_mask:0xf bound_ctrl:1
	v_cvt_i32_f32_e32 v15, v11
	v_cvt_i32_f32_e32 v14, v10
	;; [unrolled: 1-line block ×4, first 2 shown]
	s_delay_alu instid0(VALU_DEP_4)
	v_cvt_f32_i32_dpp v15, v15 row_shr:4 row_mask:0xf bank_mask:0xf bound_ctrl:1
	v_add_f32_e32 v5, v5, v8
	v_cvt_i32_f32_e32 v8, v7
	v_cvt_f32_i32_dpp v13, v13 row_shr:4 row_mask:0xf bank_mask:0xf bound_ctrl:1
	v_cvt_f32_i32_dpp v14, v14 row_shr:4 row_mask:0xf bank_mask:0xf bound_ctrl:1
	v_cvt_f32_i32_dpp v12, v12 row_shr:4 row_mask:0xf bank_mask:0xf bound_ctrl:1
	s_delay_alu instid0(VALU_DEP_4) | instskip(NEXT) | instid1(VALU_DEP_1)
	v_cvt_f32_i32_dpp v8, v8 row_shr:4 row_mask:0xf bank_mask:0xf bound_ctrl:1
	v_dual_add_f32 v7, v7, v8 :: v_dual_add_f32 v8, v9, v13
	s_delay_alu instid0(VALU_DEP_4) | instskip(SKIP_1) | instid1(VALU_DEP_3)
	v_dual_add_f32 v9, v10, v14 :: v_dual_add_f32 v10, v11, v15
	v_cvt_i32_f32_e32 v16, v5
	v_cvt_i32_f32_e32 v14, v8
	s_delay_alu instid0(VALU_DEP_2) | instskip(NEXT) | instid1(VALU_DEP_2)
	v_cvt_f32_i32_dpp v16, v16 row_shr:2 row_mask:0xf bank_mask:0xf bound_ctrl:1
	v_cvt_f32_i32_dpp v14, v14 row_shr:2 row_mask:0xf bank_mask:0xf bound_ctrl:1
	v_add_f32_e32 v6, v6, v12
	v_cvt_i32_f32_e32 v12, v7
	s_delay_alu instid0(VALU_DEP_4) | instskip(SKIP_1) | instid1(VALU_DEP_4)
	v_add_f32_e32 v5, v5, v16
	v_cvt_i32_f32_e32 v16, v10
	v_cvt_i32_f32_e32 v11, v6
	s_delay_alu instid0(VALU_DEP_4) | instskip(NEXT) | instid1(VALU_DEP_4)
	v_cvt_f32_i32_dpp v12, v12 row_shr:2 row_mask:0xf bank_mask:0xf bound_ctrl:1
	v_cvt_i32_f32_e32 v13, v5
	s_delay_alu instid0(VALU_DEP_4) | instskip(NEXT) | instid1(VALU_DEP_4)
	v_cvt_f32_i32_dpp v16, v16 row_shr:2 row_mask:0xf bank_mask:0xf bound_ctrl:1
	v_cvt_f32_i32_dpp v11, v11 row_shr:2 row_mask:0xf bank_mask:0xf bound_ctrl:1
	s_delay_alu instid0(VALU_DEP_3) | instskip(NEXT) | instid1(VALU_DEP_1)
	v_cvt_f32_i32_dpp v13, v13 row_shr:1 row_mask:0xf bank_mask:0xf bound_ctrl:1
	v_add_f32_e32 v42, v5, v13
	v_cvt_i32_f32_e32 v15, v9
	s_delay_alu instid0(VALU_DEP_4)
	v_dual_add_f32 v5, v6, v11 :: v_dual_add_f32 v6, v7, v12
	v_add_f32_e32 v7, v8, v14
	ds_bpermute_b32 v44, v22, v42
	v_cvt_f32_i32_dpp v15, v15 row_shr:2 row_mask:0xf bank_mask:0xf bound_ctrl:1
	v_cvt_i32_f32_e32 v11, v6
	v_cvt_i32_f32_e32 v12, v7
	s_delay_alu instid0(VALU_DEP_3) | instskip(SKIP_1) | instid1(VALU_DEP_4)
	v_dual_add_f32 v8, v9, v15 :: v_dual_add_f32 v9, v10, v16
	v_cvt_i32_f32_e32 v10, v5
	v_cvt_f32_i32_dpp v11, v11 row_shr:1 row_mask:0xf bank_mask:0xf bound_ctrl:1
	s_delay_alu instid0(VALU_DEP_4) | instskip(NEXT) | instid1(VALU_DEP_4)
	v_cvt_f32_i32_dpp v12, v12 row_shr:1 row_mask:0xf bank_mask:0xf bound_ctrl:1
	v_cvt_i32_f32_e32 v13, v8
	v_cvt_i32_f32_e32 v14, v9
	v_cvt_f32_i32_dpp v10, v10 row_shr:1 row_mask:0xf bank_mask:0xf bound_ctrl:1
	v_add_f32_e32 v37, v6, v11
	s_delay_alu instid0(VALU_DEP_4) | instskip(NEXT) | instid1(VALU_DEP_4)
	v_cvt_f32_i32_dpp v13, v13 row_shr:1 row_mask:0xf bank_mask:0xf bound_ctrl:1
	v_cvt_f32_i32_dpp v14, v14 row_shr:1 row_mask:0xf bank_mask:0xf bound_ctrl:1
	s_delay_alu instid0(VALU_DEP_4) | instskip(SKIP_2) | instid1(VALU_DEP_4)
	v_add_f32_e32 v40, v5, v10
	v_cvt_i32_f32_e32 v5, v95
	v_add_f32_e32 v6, v7, v12
	v_dual_add_f32 v32, v8, v13 :: v_dual_add_f32 v27, v9, v14
	v_cvt_i32_f32_e32 v8, v96
	v_cvt_i32_f32_e32 v7, v94
	;; [unrolled: 1-line block ×3, first 2 shown]
	v_cvt_f32_i32_dpp v5, v5 row_shr:8 row_mask:0xf bank_mask:0xf bound_ctrl:1
	v_cvt_i32_f32_e32 v9, v93
	v_cvt_f32_i32_dpp v8, v8 row_shr:8 row_mask:0xf bank_mask:0xf bound_ctrl:1
	v_cvt_f32_i32_dpp v7, v7 row_shr:8 row_mask:0xf bank_mask:0xf bound_ctrl:1
	;; [unrolled: 1-line block ×3, first 2 shown]
	v_add_f32_e32 v5, v95, v5
	v_cvt_f32_i32_dpp v9, v9 row_shr:8 row_mask:0xf bank_mask:0xf bound_ctrl:1
	s_delay_alu instid0(VALU_DEP_4) | instskip(NEXT) | instid1(VALU_DEP_4)
	v_dual_add_f32 v8, v96, v8 :: v_dual_add_f32 v7, v94, v7
	v_add_f32_e32 v10, v92, v10
	s_delay_alu instid0(VALU_DEP_4)
	v_cvt_i32_f32_e32 v11, v5
	ds_bpermute_b32 v41, v22, v40
	v_cvt_i32_f32_e32 v13, v8
	v_cvt_i32_f32_e32 v12, v7
	;; [unrolled: 1-line block ×3, first 2 shown]
	v_cvt_f32_i32_dpp v11, v11 row_shr:4 row_mask:0xf bank_mask:0xf bound_ctrl:1
	ds_bpermute_b32 v38, v22, v37
	v_cvt_f32_i32_dpp v13, v13 row_shr:4 row_mask:0xf bank_mask:0xf bound_ctrl:1
	v_cvt_f32_i32_dpp v12, v12 row_shr:4 row_mask:0xf bank_mask:0xf bound_ctrl:1
	;; [unrolled: 1-line block ×3, first 2 shown]
	v_add_f32_e32 v5, v5, v11
	v_add_f32_e32 v9, v93, v9
	;; [unrolled: 1-line block ×3, first 2 shown]
	ds_bpermute_b32 v35, v22, v6
	v_add_f32_e32 v10, v10, v15
	v_cvt_i32_f32_e32 v11, v5
	v_cvt_i32_f32_e32 v14, v9
	;; [unrolled: 1-line block ×3, first 2 shown]
	ds_bpermute_b32 v33, v22, v32
	v_cvt_i32_f32_e32 v15, v10
	v_cvt_f32_i32_dpp v11, v11 row_shr:2 row_mask:0xf bank_mask:0xf bound_ctrl:1
	v_cvt_f32_i32_dpp v14, v14 row_shr:4 row_mask:0xf bank_mask:0xf bound_ctrl:1
	;; [unrolled: 1-line block ×3, first 2 shown]
	v_add_f32_e32 v7, v7, v12
	v_cvt_f32_i32_dpp v15, v15 row_shr:2 row_mask:0xf bank_mask:0xf bound_ctrl:1
	ds_bpermute_b32 v28, v22, v27
	v_dual_add_f32 v9, v9, v14 :: v_dual_add_f32 v8, v8, v13
	v_cvt_i32_f32_e32 v12, v7
	v_add_f32_e32 v10, v10, v15
	s_delay_alu instid0(VALU_DEP_3) | instskip(NEXT) | instid1(VALU_DEP_4)
	v_cvt_i32_f32_e32 v14, v9
	v_cvt_i32_f32_e32 v13, v8
	s_delay_alu instid0(VALU_DEP_4) | instskip(NEXT) | instid1(VALU_DEP_4)
	v_cvt_f32_i32_dpp v12, v12 row_shr:2 row_mask:0xf bank_mask:0xf bound_ctrl:1
	v_cvt_i32_f32_e32 v15, v10
	s_delay_alu instid0(VALU_DEP_4) | instskip(NEXT) | instid1(VALU_DEP_4)
	v_cvt_f32_i32_dpp v14, v14 row_shr:2 row_mask:0xf bank_mask:0xf bound_ctrl:1
	v_cvt_f32_i32_dpp v13, v13 row_shr:1 row_mask:0xf bank_mask:0xf bound_ctrl:1
	s_delay_alu instid0(VALU_DEP_3) | instskip(NEXT) | instid1(VALU_DEP_2)
	v_cvt_f32_i32_dpp v15, v15 row_shr:1 row_mask:0xf bank_mask:0xf bound_ctrl:1
	v_add_f32_e32 v21, v8, v13
	v_cvt_i32_f32_e32 v8, v89
	s_delay_alu instid0(VALU_DEP_3) | instskip(SKIP_1) | instid1(VALU_DEP_3)
	v_add_f32_e32 v15, v10, v15
	v_cvt_i32_f32_e32 v10, v70
	v_cvt_f32_i32_dpp v8, v8 row_shr:8 row_mask:0xf bank_mask:0xf bound_ctrl:1
	ds_bpermute_b32 v16, v22, v15
	v_cvt_f32_i32_dpp v10, v10 row_shr:8 row_mask:0xf bank_mask:0xf bound_ctrl:1
	v_add_f32_e32 v5, v5, v11
	v_add_f32_e32 v8, v89, v8
	ds_bpermute_b32 v23, v22, v21
	v_add_f32_e32 v10, v70, v10
	v_cvt_i32_f32_e32 v11, v5
	v_cvt_i32_f32_e32 v13, v8
	s_delay_alu instid0(VALU_DEP_3) | instskip(NEXT) | instid1(VALU_DEP_3)
	v_cvt_i32_f32_e32 v17, v10
	v_cvt_f32_i32_dpp v11, v11 row_shr:1 row_mask:0xf bank_mask:0xf bound_ctrl:1
	v_add_f32_e32 v7, v7, v12
	s_delay_alu instid0(VALU_DEP_4)
	v_cvt_f32_i32_dpp v13, v13 row_shr:4 row_mask:0xf bank_mask:0xf bound_ctrl:1
	v_add_f32_e32 v9, v9, v14
	v_cvt_f32_i32_dpp v17, v17 row_shr:4 row_mask:0xf bank_mask:0xf bound_ctrl:1
	v_add_f32_e32 v30, v5, v11
	v_cvt_i32_f32_e32 v12, v7
	v_add_f32_e32 v8, v8, v13
	v_cvt_i32_f32_e32 v14, v9
	v_cvt_i32_f32_e32 v5, v91
	v_add_f32_e32 v10, v10, v17
	v_cvt_f32_i32_dpp v12, v12 row_shr:1 row_mask:0xf bank_mask:0xf bound_ctrl:1
	v_cvt_i32_f32_e32 v13, v8
	v_cvt_f32_i32_dpp v14, v14 row_shr:1 row_mask:0xf bank_mask:0xf bound_ctrl:1
	v_cvt_f32_i32_dpp v5, v5 row_shr:8 row_mask:0xf bank_mask:0xf bound_ctrl:1
	v_cvt_i32_f32_e32 v17, v10
	v_add_f32_e32 v25, v7, v12
	v_cvt_i32_f32_e32 v7, v90
	v_cvt_f32_i32_dpp v13, v13 row_shr:2 row_mask:0xf bank_mask:0xf bound_ctrl:1
	v_add_f32_e32 v19, v9, v14
	v_cvt_i32_f32_e32 v9, v88
	v_add_f32_e32 v5, v91, v5
	v_cvt_f32_i32_dpp v7, v7 row_shr:8 row_mask:0xf bank_mask:0xf bound_ctrl:1
	v_add_f32_e32 v8, v8, v13
	v_cvt_f32_i32_dpp v17, v17 row_shr:2 row_mask:0xf bank_mask:0xf bound_ctrl:1
	v_cvt_f32_i32_dpp v9, v9 row_shr:8 row_mask:0xf bank_mask:0xf bound_ctrl:1
	v_cvt_i32_f32_e32 v11, v5
	v_add_f32_e32 v7, v90, v7
	v_cvt_i32_f32_e32 v13, v8
	v_add_f32_e32 v10, v10, v17
	v_add_f32_e32 v9, v88, v9
	v_cvt_f32_i32_dpp v11, v11 row_shr:4 row_mask:0xf bank_mask:0xf bound_ctrl:1
	v_cvt_i32_f32_e32 v12, v7
	v_cvt_f32_i32_dpp v18, v13 row_shr:1 row_mask:0xf bank_mask:0xf bound_ctrl:1
	v_cvt_i32_f32_e32 v17, v10
	v_cvt_i32_f32_e32 v14, v9
	v_add_f32_e32 v5, v5, v11
	v_cvt_f32_i32_dpp v12, v12 row_shr:4 row_mask:0xf bank_mask:0xf bound_ctrl:1
	ds_bpermute_b32 v31, v22, v30
	v_cvt_f32_i32_dpp v24, v17 row_shr:1 row_mask:0xf bank_mask:0xf bound_ctrl:1
	v_cvt_f32_i32_dpp v14, v14 row_shr:4 row_mask:0xf bank_mask:0xf bound_ctrl:1
	v_cvt_i32_f32_e32 v11, v5
	v_add_f32_e32 v7, v7, v12
	ds_bpermute_b32 v26, v22, v25
	ds_bpermute_b32 v20, v22, v19
	v_add_f32_e32 v9, v9, v14
	v_cvt_f32_i32_dpp v11, v11 row_shr:2 row_mask:0xf bank_mask:0xf bound_ctrl:1
	v_cvt_i32_f32_e32 v12, v7
	s_delay_alu instid0(VALU_DEP_3) | instskip(NEXT) | instid1(VALU_DEP_3)
	v_cvt_i32_f32_e32 v14, v9
	v_add_f32_e32 v5, v5, v11
	s_delay_alu instid0(VALU_DEP_3) | instskip(NEXT) | instid1(VALU_DEP_3)
	v_cvt_f32_i32_dpp v12, v12 row_shr:2 row_mask:0xf bank_mask:0xf bound_ctrl:1
	v_cvt_f32_i32_dpp v14, v14 row_shr:2 row_mask:0xf bank_mask:0xf bound_ctrl:1
	s_delay_alu instid0(VALU_DEP_3) | instskip(NEXT) | instid1(VALU_DEP_3)
	v_cvt_i32_f32_e32 v11, v5
	v_add_f32_e32 v7, v7, v12
	s_delay_alu instid0(VALU_DEP_3) | instskip(NEXT) | instid1(VALU_DEP_3)
	v_add_f32_e32 v9, v9, v14
	v_cvt_f32_i32_dpp v11, v11 row_shr:1 row_mask:0xf bank_mask:0xf bound_ctrl:1
	s_delay_alu instid0(VALU_DEP_3) | instskip(NEXT) | instid1(VALU_DEP_3)
	v_cvt_i32_f32_e32 v12, v7
	v_cvt_i32_f32_e32 v14, v9
	s_delay_alu instid0(VALU_DEP_3) | instskip(NEXT) | instid1(VALU_DEP_3)
	v_add_f32_e32 v17, v5, v11
	v_cvt_f32_i32_dpp v12, v12 row_shr:1 row_mask:0xf bank_mask:0xf bound_ctrl:1
	v_add_f32_e32 v11, v8, v18
	s_delay_alu instid0(VALU_DEP_4)
	v_cvt_f32_i32_dpp v14, v14 row_shr:1 row_mask:0xf bank_mask:0xf bound_ctrl:1
	ds_bpermute_b32 v18, v22, v17
	v_add_f32_e32 v13, v7, v12
	v_add_f32_e32 v7, v10, v24
	ds_bpermute_b32 v12, v22, v11
	v_add_f32_e32 v9, v9, v14
	ds_bpermute_b32 v14, v22, v13
	ds_bpermute_b32 v8, v22, v7
	;; [unrolled: 1-line block ×3, first 2 shown]
	s_and_saveexec_b32 s5, s0
	s_cbranch_execz .LBB277_131
; %bb.33:                               ;   in Loop: Header=BB277_12 Depth=1
	v_dual_mov_b32 v53, 0 :: v_dual_mov_b32 v52, 0
	v_dual_mov_b32 v50, 0 :: v_dual_add_nc_u32 v71, 2, v69
	v_dual_mov_b32 v48, 0 :: v_dual_add_nc_u32 v5, 3, v69
	v_dual_mov_b32 v51, 0 :: v_dual_mov_b32 v46, 0
	v_dual_mov_b32 v49, 0 :: v_dual_mov_b32 v36, 0
	;; [unrolled: 1-line block ×5, first 2 shown]
	v_mov_b32_e32 v39, 0
	v_mov_b32_e32 v29, 0
	s_and_not1_b32 vcc_lo, exec_lo, s30
	s_cbranch_vccnz .LBB277_35
; %bb.34:                               ;   in Loop: Header=BB277_12 Depth=1
	v_mul_hi_u32 v22, v69, v87
	v_dual_mov_b32 v47, v72 :: v_dual_add_nc_u32 v24, 1, v69
	v_mul_hi_u32 v29, v71, v87
	v_mul_hi_u32 v34, v5, v87
	v_mov_b32_e32 v79, v72
	s_delay_alu instid0(VALU_DEP_4) | instskip(SKIP_3) | instid1(VALU_DEP_4)
	v_mul_hi_u32 v36, v24, v87
	v_mul_lo_u32 v22, v22, s8
	v_mul_lo_u32 v29, v29, s8
	;; [unrolled: 1-line block ×4, first 2 shown]
	s_delay_alu instid0(VALU_DEP_4) | instskip(NEXT) | instid1(VALU_DEP_4)
	v_sub_nc_u32_e32 v22, v69, v22
	v_sub_nc_u32_e32 v29, v71, v29
	s_delay_alu instid0(VALU_DEP_4) | instskip(NEXT) | instid1(VALU_DEP_3)
	v_sub_nc_u32_e32 v34, v5, v34
	v_subrev_nc_u32_e32 v39, s8, v22
	v_cmp_le_u32_e32 vcc_lo, s8, v22
	v_mov_b32_e32 v55, v72
	v_sub_nc_u32_e32 v24, v24, v36
	v_subrev_nc_u32_e32 v36, s8, v29
	v_subrev_nc_u32_e32 v43, s8, v34
	v_cndmask_b32_e32 v22, v22, v39, vcc_lo
	v_cmp_le_u32_e32 vcc_lo, s8, v29
	v_subrev_nc_u32_e32 v39, s8, v24
	v_cndmask_b32_e32 v29, v29, v36, vcc_lo
	v_cmp_le_u32_e32 vcc_lo, s8, v34
	v_mov_b32_e32 v57, v72
	v_subrev_nc_u32_e32 v36, s8, v22
	v_cndmask_b32_e32 v34, v34, v43, vcc_lo
	v_cmp_le_u32_e32 vcc_lo, s8, v24
	s_delay_alu instid0(VALU_DEP_2)
	v_subrev_nc_u32_e32 v43, s8, v34
	v_cndmask_b32_e32 v24, v24, v39, vcc_lo
	v_cmp_le_u32_e32 vcc_lo, s8, v22
	v_mov_b32_e32 v59, v72
	v_subrev_nc_u32_e32 v39, s8, v29
	v_cndmask_b32_e32 v46, v22, v36, vcc_lo
	v_cmp_le_u32_e32 vcc_lo, s8, v29
	v_subrev_nc_u32_e32 v22, s8, v24
	s_delay_alu instid0(VALU_DEP_3) | instskip(SKIP_4) | instid1(VALU_DEP_4)
	v_dual_mov_b32 v64, v72 :: v_dual_add_nc_u32 v61, s33, v46
	v_cndmask_b32_e32 v56, v29, v39, vcc_lo
	v_cmp_le_u32_e32 vcc_lo, s8, v34
	v_lshlrev_b64 v[47:48], 1, v[46:47]
	v_mov_b32_e32 v68, v72
	v_lshlrev_b64 v[49:50], 1, v[56:57]
	v_cndmask_b32_e32 v58, v34, v43, vcc_lo
	v_cmp_le_u32_e32 vcc_lo, s8, v24
	v_cndmask_b32_e32 v54, v24, v22, vcc_lo
	v_add_co_u32 v47, vcc_lo, s14, v47
	v_add_co_ci_u32_e32 v48, vcc_lo, s15, v48, vcc_lo
	s_delay_alu instid0(VALU_DEP_3) | instskip(SKIP_3) | instid1(VALU_DEP_2)
	v_add_nc_u32_e32 v63, s33, v54
	v_lshlrev_b64 v[51:52], 1, v[58:59]
	v_lshlrev_b64 v[59:60], 1, v[54:55]
	v_dual_mov_b32 v62, v72 :: v_dual_add_nc_u32 v67, s33, v58
	v_add_co_u32 v59, vcc_lo, s14, v59
	s_delay_alu instid0(VALU_DEP_3)
	v_add_co_ci_u32_e32 v60, vcc_lo, s15, v60, vcc_lo
	v_add_co_u32 v49, vcc_lo, s14, v49
	v_add_co_ci_u32_e32 v50, vcc_lo, s15, v50, vcc_lo
	v_lshlrev_b64 v[61:62], 1, v[61:62]
	v_add_co_u32 v65, vcc_lo, s14, v51
	v_add_co_ci_u32_e32 v66, vcc_lo, s15, v52, vcc_lo
	v_lshlrev_b64 v[51:52], 1, v[63:64]
	v_add_nc_u32_e32 v63, s33, v56
	v_add_co_u32 v61, vcc_lo, s14, v61
	v_add_co_ci_u32_e32 v62, vcc_lo, s15, v62, vcc_lo
	s_delay_alu instid0(VALU_DEP_4)
	v_add_co_u32 v74, vcc_lo, s14, v51
	v_add_co_ci_u32_e32 v75, vcc_lo, s15, v52, vcc_lo
	v_lshlrev_b64 v[51:52], 1, v[67:68]
	v_add_nc_u32_e32 v67, s34, v46
	v_lshlrev_b64 v[63:64], 1, v[63:64]
	v_add_nc_u32_e32 v78, s34, v54
	v_add_nc_u32_e32 v54, s38, v54
	s_delay_alu instid0(VALU_DEP_3) | instskip(NEXT) | instid1(VALU_DEP_4)
	v_add_co_u32 v63, vcc_lo, s14, v63
	v_add_co_ci_u32_e32 v64, vcc_lo, s15, v64, vcc_lo
	v_add_co_u32 v76, vcc_lo, s14, v51
	v_add_co_ci_u32_e32 v77, vcc_lo, s15, v52, vcc_lo
	s_clause 0x7
	global_load_u16 v53, v[47:48], off
	global_load_u16 v52, v[59:60], off
	;; [unrolled: 1-line block ×8, first 2 shown]
	v_mov_b32_e32 v75, v72
	v_add_nc_u32_e32 v61, s34, v56
	v_lshlrev_b64 v[67:68], 1, v[67:68]
	v_dual_mov_b32 v62, v72 :: v_dual_add_nc_u32 v65, s34, v58
	v_lshlrev_b64 v[59:60], 1, v[78:79]
	v_mov_b32_e32 v66, v72
	v_add_nc_u32_e32 v56, s38, v56
	v_add_co_u32 v63, vcc_lo, s14, v67
	v_add_nc_u32_e32 v67, s38, v46
	v_lshlrev_b64 v[61:62], 1, v[61:62]
	v_add_co_ci_u32_e32 v64, vcc_lo, s15, v68, vcc_lo
	v_mov_b32_e32 v68, v72
	v_add_co_u32 v59, vcc_lo, s14, v59
	v_lshlrev_b64 v[65:66], 1, v[65:66]
	v_add_co_ci_u32_e32 v60, vcc_lo, s15, v60, vcc_lo
	v_add_co_u32 v61, vcc_lo, s14, v61
	v_lshlrev_b64 v[67:68], 1, v[67:68]
	v_add_co_ci_u32_e32 v62, vcc_lo, s15, v62, vcc_lo
	v_add_co_u32 v65, vcc_lo, s14, v65
	v_lshlrev_b64 v[54:55], 1, v[54:55]
	v_add_nc_u32_e32 v74, s38, v58
	v_add_co_ci_u32_e32 v66, vcc_lo, s15, v66, vcc_lo
	v_add_co_u32 v67, vcc_lo, s14, v67
	v_lshlrev_b64 v[56:57], 1, v[56:57]
	v_add_co_ci_u32_e32 v68, vcc_lo, s15, v68, vcc_lo
	v_add_co_u32 v54, vcc_lo, s14, v54
	v_lshlrev_b64 v[74:75], 1, v[74:75]
	v_add_co_ci_u32_e32 v55, vcc_lo, s15, v55, vcc_lo
	v_add_co_u32 v56, vcc_lo, s14, v56
	v_add_co_ci_u32_e32 v57, vcc_lo, s15, v57, vcc_lo
	s_delay_alu instid0(VALU_DEP_4)
	v_add_co_u32 v74, vcc_lo, s14, v74
	v_add_co_ci_u32_e32 v75, vcc_lo, s15, v75, vcc_lo
	s_clause 0x7
	global_load_u16 v46, v[63:64], off
	global_load_u16 v43, v[59:60], off
	;; [unrolled: 1-line block ×8, first 2 shown]
.LBB277_35:                             ;   in Loop: Header=BB277_12 Depth=1
	v_cmp_ne_u32_e32 vcc_lo, 0, v1
	s_and_saveexec_b32 s2, vcc_lo
	s_cbranch_execnz .LBB277_51
; %bb.36:                               ;   in Loop: Header=BB277_12 Depth=1
	s_or_b32 exec_lo, exec_lo, s2
	v_cmp_ne_u32_e64 s1, 0, v2
	s_delay_alu instid0(VALU_DEP_1)
	s_and_saveexec_b32 s3, s1
	s_cbranch_execnz .LBB277_56
.LBB277_37:                             ;   in Loop: Header=BB277_12 Depth=1
	s_or_b32 exec_lo, exec_lo, s3
	v_cmp_ne_u32_e64 s2, 0, v3
	s_delay_alu instid0(VALU_DEP_1)
	s_and_saveexec_b32 s4, s2
	s_cbranch_execnz .LBB277_61
.LBB277_38:                             ;   in Loop: Header=BB277_12 Depth=1
	s_or_b32 exec_lo, exec_lo, s4
	v_cmp_ne_u32_e64 s3, 0, v4
	s_delay_alu instid0(VALU_DEP_1)
	s_and_saveexec_b32 s41, s3
	s_cbranch_execnz .LBB277_66
.LBB277_39:                             ;   in Loop: Header=BB277_12 Depth=1
	s_or_b32 exec_lo, exec_lo, s41
	v_add_nc_u32_e32 v71, s19, v69
	s_and_saveexec_b32 s41, vcc_lo
	s_cbranch_execnz .LBB277_71
.LBB277_40:                             ;   in Loop: Header=BB277_12 Depth=1
	s_or_b32 exec_lo, exec_lo, s41
	s_and_saveexec_b32 s41, s1
	s_cbranch_execnz .LBB277_76
.LBB277_41:                             ;   in Loop: Header=BB277_12 Depth=1
	s_or_b32 exec_lo, exec_lo, s41
	s_and_saveexec_b32 s41, s2
	s_cbranch_execnz .LBB277_81
.LBB277_42:                             ;   in Loop: Header=BB277_12 Depth=1
	s_or_b32 exec_lo, exec_lo, s41
	s_and_saveexec_b32 s41, s3
	s_cbranch_execnz .LBB277_86
.LBB277_43:                             ;   in Loop: Header=BB277_12 Depth=1
	s_or_b32 exec_lo, exec_lo, s41
	v_add_nc_u32_e32 v71, s19, v71
	s_and_saveexec_b32 s41, vcc_lo
	s_cbranch_execnz .LBB277_91
.LBB277_44:                             ;   in Loop: Header=BB277_12 Depth=1
	s_or_b32 exec_lo, exec_lo, s41
	s_and_saveexec_b32 s41, s1
	s_cbranch_execnz .LBB277_96
.LBB277_45:                             ;   in Loop: Header=BB277_12 Depth=1
	s_or_b32 exec_lo, exec_lo, s41
	s_and_saveexec_b32 s41, s2
	s_cbranch_execnz .LBB277_101
.LBB277_46:                             ;   in Loop: Header=BB277_12 Depth=1
	s_or_b32 exec_lo, exec_lo, s41
	s_and_saveexec_b32 s41, s3
	s_cbranch_execnz .LBB277_106
.LBB277_47:                             ;   in Loop: Header=BB277_12 Depth=1
	s_or_b32 exec_lo, exec_lo, s41
	v_add_nc_u32_e32 v71, s19, v71
	s_and_saveexec_b32 s4, vcc_lo
	s_cbranch_execnz .LBB277_111
.LBB277_48:                             ;   in Loop: Header=BB277_12 Depth=1
	s_or_b32 exec_lo, exec_lo, s4
	s_and_saveexec_b32 s4, s1
	s_cbranch_execnz .LBB277_116
.LBB277_49:                             ;   in Loop: Header=BB277_12 Depth=1
	s_or_b32 exec_lo, exec_lo, s4
	s_and_saveexec_b32 s1, s2
	s_cbranch_execnz .LBB277_121
.LBB277_50:                             ;   in Loop: Header=BB277_12 Depth=1
	s_or_b32 exec_lo, exec_lo, s1
	s_delay_alu instid0(SALU_CYCLE_1)
	s_and_b32 exec_lo, exec_lo, s3
	s_cbranch_execnz .LBB277_126
	s_branch .LBB277_131
.LBB277_51:                             ;   in Loop: Header=BB277_12 Depth=1
	s_waitcnt lgkmcnt(15)
	v_add_f32_e32 v42, v42, v44
	s_waitcnt vmcnt(15)
	v_lshlrev_b32_e32 v44, 16, v53
	s_delay_alu instid0(VALU_DEP_1) | instskip(NEXT) | instid1(VALU_DEP_1)
	v_add_f32_e32 v44, v42, v44
	v_and_b32_e32 v42, 0x7f800000, v44
	s_delay_alu instid0(VALU_DEP_1) | instskip(NEXT) | instid1(VALU_DEP_1)
	v_cmp_ne_u32_e64 s1, 0x7f800000, v42
                                        ; implicit-def: $vgpr42
	s_and_saveexec_b32 s3, s1
	s_delay_alu instid0(SALU_CYCLE_1)
	s_xor_b32 s1, exec_lo, s3
; %bb.52:                               ;   in Loop: Header=BB277_12 Depth=1
	v_bfe_u32 v42, v44, 16, 1
	s_delay_alu instid0(VALU_DEP_1)
	v_add3_u32 v42, v44, v42, 0x7fff
                                        ; implicit-def: $vgpr44
; %bb.53:                               ;   in Loop: Header=BB277_12 Depth=1
	s_and_not1_saveexec_b32 s3, s1
; %bb.54:                               ;   in Loop: Header=BB277_12 Depth=1
	v_and_b32_e32 v42, 0xffff, v44
	v_or_b32_e32 v53, 0x10000, v44
	s_delay_alu instid0(VALU_DEP_2) | instskip(NEXT) | instid1(VALU_DEP_1)
	v_cmp_eq_u32_e64 s1, 0, v42
	v_cndmask_b32_e64 v42, v53, v44, s1
; %bb.55:                               ;   in Loop: Header=BB277_12 Depth=1
	s_or_b32 exec_lo, exec_lo, s3
	v_mov_b32_e32 v70, v72
	s_delay_alu instid0(VALU_DEP_1) | instskip(NEXT) | instid1(VALU_DEP_1)
	v_lshlrev_b64 v[53:54], 1, v[69:70]
	v_add_co_u32 v53, s1, s6, v53
	s_delay_alu instid0(VALU_DEP_1) | instskip(SKIP_3) | instid1(VALU_DEP_1)
	v_add_co_ci_u32_e64 v54, s1, s7, v54, s1
	global_store_d16_hi_b16 v[53:54], v42, off
	s_or_b32 exec_lo, exec_lo, s2
	v_cmp_ne_u32_e64 s1, 0, v2
	s_and_saveexec_b32 s3, s1
	s_cbranch_execz .LBB277_37
.LBB277_56:                             ;   in Loop: Header=BB277_12 Depth=1
	s_waitcnt vmcnt(14) lgkmcnt(14)
	v_dual_add_f32 v40, v40, v41 :: v_dual_lshlrev_b32 v41, 16, v52
	s_delay_alu instid0(VALU_DEP_1) | instskip(NEXT) | instid1(VALU_DEP_1)
	v_add_f32_e32 v41, v40, v41
	v_and_b32_e32 v40, 0x7f800000, v41
	s_delay_alu instid0(VALU_DEP_1) | instskip(NEXT) | instid1(VALU_DEP_1)
	v_cmp_ne_u32_e64 s2, 0x7f800000, v40
                                        ; implicit-def: $vgpr40
	s_and_saveexec_b32 s4, s2
	s_delay_alu instid0(SALU_CYCLE_1)
	s_xor_b32 s2, exec_lo, s4
; %bb.57:                               ;   in Loop: Header=BB277_12 Depth=1
	v_bfe_u32 v40, v41, 16, 1
	s_delay_alu instid0(VALU_DEP_1)
	v_add3_u32 v40, v41, v40, 0x7fff
                                        ; implicit-def: $vgpr41
; %bb.58:                               ;   in Loop: Header=BB277_12 Depth=1
	s_and_not1_saveexec_b32 s4, s2
; %bb.59:                               ;   in Loop: Header=BB277_12 Depth=1
	v_and_b32_e32 v40, 0xffff, v41
	v_or_b32_e32 v42, 0x10000, v41
	s_delay_alu instid0(VALU_DEP_2) | instskip(NEXT) | instid1(VALU_DEP_1)
	v_cmp_eq_u32_e64 s2, 0, v40
	v_cndmask_b32_e64 v40, v42, v41, s2
; %bb.60:                               ;   in Loop: Header=BB277_12 Depth=1
	s_or_b32 exec_lo, exec_lo, s4
	v_mov_b32_e32 v70, v72
	s_delay_alu instid0(VALU_DEP_1) | instskip(NEXT) | instid1(VALU_DEP_1)
	v_lshlrev_b64 v[41:42], 1, v[69:70]
	v_add_co_u32 v41, s2, s35, v41
	s_delay_alu instid0(VALU_DEP_1) | instskip(SKIP_3) | instid1(VALU_DEP_1)
	v_add_co_ci_u32_e64 v42, s2, s36, v42, s2
	global_store_d16_hi_b16 v[41:42], v40, off
	s_or_b32 exec_lo, exec_lo, s3
	v_cmp_ne_u32_e64 s2, 0, v3
	s_and_saveexec_b32 s4, s2
	s_cbranch_execz .LBB277_38
.LBB277_61:                             ;   in Loop: Header=BB277_12 Depth=1
	s_waitcnt vmcnt(13) lgkmcnt(13)
	v_dual_add_f32 v37, v37, v38 :: v_dual_lshlrev_b32 v38, 16, v51
	s_delay_alu instid0(VALU_DEP_1) | instskip(NEXT) | instid1(VALU_DEP_1)
	v_add_f32_e32 v38, v37, v38
	v_and_b32_e32 v37, 0x7f800000, v38
	s_delay_alu instid0(VALU_DEP_1) | instskip(NEXT) | instid1(VALU_DEP_1)
	v_cmp_ne_u32_e64 s3, 0x7f800000, v37
                                        ; implicit-def: $vgpr37
	s_and_saveexec_b32 s41, s3
	s_delay_alu instid0(SALU_CYCLE_1)
	s_xor_b32 s3, exec_lo, s41
; %bb.62:                               ;   in Loop: Header=BB277_12 Depth=1
	v_bfe_u32 v37, v38, 16, 1
	s_delay_alu instid0(VALU_DEP_1)
	v_add3_u32 v37, v38, v37, 0x7fff
                                        ; implicit-def: $vgpr38
; %bb.63:                               ;   in Loop: Header=BB277_12 Depth=1
	s_and_not1_saveexec_b32 s41, s3
; %bb.64:                               ;   in Loop: Header=BB277_12 Depth=1
	v_and_b32_e32 v37, 0xffff, v38
	v_or_b32_e32 v40, 0x10000, v38
	s_delay_alu instid0(VALU_DEP_2) | instskip(NEXT) | instid1(VALU_DEP_1)
	v_cmp_eq_u32_e64 s3, 0, v37
	v_cndmask_b32_e64 v37, v40, v38, s3
; %bb.65:                               ;   in Loop: Header=BB277_12 Depth=1
	s_or_b32 exec_lo, exec_lo, s41
	v_lshlrev_b64 v[40:41], 1, v[71:72]
	s_delay_alu instid0(VALU_DEP_1) | instskip(NEXT) | instid1(VALU_DEP_1)
	v_add_co_u32 v40, s3, s6, v40
	v_add_co_ci_u32_e64 v41, s3, s7, v41, s3
	global_store_d16_hi_b16 v[40:41], v37, off
	s_or_b32 exec_lo, exec_lo, s4
	v_cmp_ne_u32_e64 s3, 0, v4
	s_delay_alu instid0(VALU_DEP_1)
	s_and_saveexec_b32 s41, s3
	s_cbranch_execz .LBB277_39
.LBB277_66:                             ;   in Loop: Header=BB277_12 Depth=1
	s_waitcnt vmcnt(12) lgkmcnt(12)
	v_dual_add_f32 v6, v6, v35 :: v_dual_lshlrev_b32 v35, 16, v50
	s_delay_alu instid0(VALU_DEP_1) | instskip(NEXT) | instid1(VALU_DEP_1)
	v_add_f32_e32 v6, v6, v35
	v_and_b32_e32 v35, 0x7f800000, v6
	s_delay_alu instid0(VALU_DEP_1) | instskip(NEXT) | instid1(VALU_DEP_1)
	v_cmp_ne_u32_e64 s4, 0x7f800000, v35
                                        ; implicit-def: $vgpr35
	s_and_saveexec_b32 s42, s4
	s_delay_alu instid0(SALU_CYCLE_1)
	s_xor_b32 s4, exec_lo, s42
; %bb.67:                               ;   in Loop: Header=BB277_12 Depth=1
	v_bfe_u32 v35, v6, 16, 1
	s_delay_alu instid0(VALU_DEP_1)
	v_add3_u32 v35, v6, v35, 0x7fff
                                        ; implicit-def: $vgpr6
; %bb.68:                               ;   in Loop: Header=BB277_12 Depth=1
	s_and_not1_saveexec_b32 s42, s4
; %bb.69:                               ;   in Loop: Header=BB277_12 Depth=1
	v_and_b32_e32 v35, 0xffff, v6
	v_or_b32_e32 v37, 0x10000, v6
	s_delay_alu instid0(VALU_DEP_2) | instskip(NEXT) | instid1(VALU_DEP_1)
	v_cmp_eq_u32_e64 s4, 0, v35
	v_cndmask_b32_e64 v35, v37, v6, s4
; %bb.70:                               ;   in Loop: Header=BB277_12 Depth=1
	s_or_b32 exec_lo, exec_lo, s42
	v_mov_b32_e32 v6, v72
	s_delay_alu instid0(VALU_DEP_1) | instskip(NEXT) | instid1(VALU_DEP_1)
	v_lshlrev_b64 v[5:6], 1, v[5:6]
	v_add_co_u32 v5, s4, s6, v5
	s_delay_alu instid0(VALU_DEP_1)
	v_add_co_ci_u32_e64 v6, s4, s7, v6, s4
	global_store_d16_hi_b16 v[5:6], v35, off
	s_or_b32 exec_lo, exec_lo, s41
	v_add_nc_u32_e32 v71, s19, v69
	s_and_saveexec_b32 s41, vcc_lo
	s_cbranch_execz .LBB277_40
.LBB277_71:                             ;   in Loop: Header=BB277_12 Depth=1
	s_waitcnt lgkmcnt(11)
	v_add_f32_e32 v5, v32, v33
	s_waitcnt vmcnt(11)
	v_lshlrev_b32_e32 v6, 16, v49
	s_delay_alu instid0(VALU_DEP_1) | instskip(NEXT) | instid1(VALU_DEP_1)
	v_add_f32_e32 v6, v5, v6
	v_and_b32_e32 v5, 0x7f800000, v6
	s_delay_alu instid0(VALU_DEP_1) | instskip(NEXT) | instid1(VALU_DEP_1)
	v_cmp_ne_u32_e64 s4, 0x7f800000, v5
                                        ; implicit-def: $vgpr5
	s_and_saveexec_b32 s42, s4
	s_delay_alu instid0(SALU_CYCLE_1)
	s_xor_b32 s4, exec_lo, s42
; %bb.72:                               ;   in Loop: Header=BB277_12 Depth=1
	v_bfe_u32 v5, v6, 16, 1
	s_delay_alu instid0(VALU_DEP_1)
	v_add3_u32 v5, v6, v5, 0x7fff
                                        ; implicit-def: $vgpr6
; %bb.73:                               ;   in Loop: Header=BB277_12 Depth=1
	s_and_not1_saveexec_b32 s42, s4
; %bb.74:                               ;   in Loop: Header=BB277_12 Depth=1
	v_and_b32_e32 v5, 0xffff, v6
	v_or_b32_e32 v32, 0x10000, v6
	s_delay_alu instid0(VALU_DEP_2) | instskip(NEXT) | instid1(VALU_DEP_1)
	v_cmp_eq_u32_e64 s4, 0, v5
	v_cndmask_b32_e64 v5, v32, v6, s4
; %bb.75:                               ;   in Loop: Header=BB277_12 Depth=1
	s_or_b32 exec_lo, exec_lo, s42
	v_lshlrev_b64 v[32:33], 1, v[71:72]
	s_delay_alu instid0(VALU_DEP_1) | instskip(NEXT) | instid1(VALU_DEP_1)
	v_add_co_u32 v32, s4, s6, v32
	v_add_co_ci_u32_e64 v33, s4, s7, v33, s4
	global_store_d16_hi_b16 v[32:33], v5, off
	s_or_b32 exec_lo, exec_lo, s41
	s_and_saveexec_b32 s41, s1
	s_cbranch_execz .LBB277_41
.LBB277_76:                             ;   in Loop: Header=BB277_12 Depth=1
	s_waitcnt lgkmcnt(10)
	v_add_f32_e32 v5, v27, v28
	s_waitcnt vmcnt(10)
	v_lshlrev_b32_e32 v6, 16, v48
	s_delay_alu instid0(VALU_DEP_1) | instskip(NEXT) | instid1(VALU_DEP_1)
	v_add_f32_e32 v6, v5, v6
	v_and_b32_e32 v5, 0x7f800000, v6
	s_delay_alu instid0(VALU_DEP_1) | instskip(NEXT) | instid1(VALU_DEP_1)
	v_cmp_ne_u32_e64 s4, 0x7f800000, v5
                                        ; implicit-def: $vgpr5
	s_and_saveexec_b32 s42, s4
	s_delay_alu instid0(SALU_CYCLE_1)
	s_xor_b32 s4, exec_lo, s42
; %bb.77:                               ;   in Loop: Header=BB277_12 Depth=1
	v_bfe_u32 v5, v6, 16, 1
	s_delay_alu instid0(VALU_DEP_1)
	v_add3_u32 v5, v6, v5, 0x7fff
                                        ; implicit-def: $vgpr6
; %bb.78:                               ;   in Loop: Header=BB277_12 Depth=1
	s_and_not1_saveexec_b32 s42, s4
; %bb.79:                               ;   in Loop: Header=BB277_12 Depth=1
	v_and_b32_e32 v5, 0xffff, v6
	v_or_b32_e32 v27, 0x10000, v6
	s_delay_alu instid0(VALU_DEP_2) | instskip(NEXT) | instid1(VALU_DEP_1)
	v_cmp_eq_u32_e64 s4, 0, v5
	v_cndmask_b32_e64 v5, v27, v6, s4
; %bb.80:                               ;   in Loop: Header=BB277_12 Depth=1
	s_or_b32 exec_lo, exec_lo, s42
	v_dual_mov_b32 v28, v72 :: v_dual_add_nc_u32 v27, 1, v71
	s_delay_alu instid0(VALU_DEP_1) | instskip(NEXT) | instid1(VALU_DEP_1)
	v_lshlrev_b64 v[27:28], 1, v[27:28]
	v_add_co_u32 v27, s4, s6, v27
	s_delay_alu instid0(VALU_DEP_1)
	v_add_co_ci_u32_e64 v28, s4, s7, v28, s4
	global_store_d16_hi_b16 v[27:28], v5, off
	s_or_b32 exec_lo, exec_lo, s41
	s_and_saveexec_b32 s41, s2
	s_cbranch_execz .LBB277_42
.LBB277_81:                             ;   in Loop: Header=BB277_12 Depth=1
	s_waitcnt lgkmcnt(7)
	v_add_f32_e32 v5, v30, v31
	s_waitcnt vmcnt(9)
	v_lshlrev_b32_e32 v6, 16, v47
	s_delay_alu instid0(VALU_DEP_1) | instskip(NEXT) | instid1(VALU_DEP_1)
	v_add_f32_e32 v6, v5, v6
	v_and_b32_e32 v5, 0x7f800000, v6
	s_delay_alu instid0(VALU_DEP_1) | instskip(NEXT) | instid1(VALU_DEP_1)
	v_cmp_ne_u32_e64 s4, 0x7f800000, v5
                                        ; implicit-def: $vgpr5
	s_and_saveexec_b32 s42, s4
	s_delay_alu instid0(SALU_CYCLE_1)
	s_xor_b32 s4, exec_lo, s42
; %bb.82:                               ;   in Loop: Header=BB277_12 Depth=1
	v_bfe_u32 v5, v6, 16, 1
	s_delay_alu instid0(VALU_DEP_1)
	v_add3_u32 v5, v6, v5, 0x7fff
                                        ; implicit-def: $vgpr6
; %bb.83:                               ;   in Loop: Header=BB277_12 Depth=1
	s_and_not1_saveexec_b32 s42, s4
; %bb.84:                               ;   in Loop: Header=BB277_12 Depth=1
	v_and_b32_e32 v5, 0xffff, v6
	v_or_b32_e32 v27, 0x10000, v6
	s_delay_alu instid0(VALU_DEP_2) | instskip(NEXT) | instid1(VALU_DEP_1)
	v_cmp_eq_u32_e64 s4, 0, v5
	v_cndmask_b32_e64 v5, v27, v6, s4
; %bb.85:                               ;   in Loop: Header=BB277_12 Depth=1
	s_or_b32 exec_lo, exec_lo, s42
	v_dual_mov_b32 v28, v72 :: v_dual_add_nc_u32 v27, 2, v71
	s_delay_alu instid0(VALU_DEP_1) | instskip(NEXT) | instid1(VALU_DEP_1)
	v_lshlrev_b64 v[27:28], 1, v[27:28]
	v_add_co_u32 v27, s4, s6, v27
	s_delay_alu instid0(VALU_DEP_1)
	v_add_co_ci_u32_e64 v28, s4, s7, v28, s4
	global_store_d16_hi_b16 v[27:28], v5, off
	s_or_b32 exec_lo, exec_lo, s41
	s_and_saveexec_b32 s41, s3
	s_cbranch_execz .LBB277_43
.LBB277_86:                             ;   in Loop: Header=BB277_12 Depth=1
	s_waitcnt vmcnt(8) lgkmcnt(6)
	v_dual_add_f32 v5, v25, v26 :: v_dual_lshlrev_b32 v6, 16, v45
	s_delay_alu instid0(VALU_DEP_1) | instskip(NEXT) | instid1(VALU_DEP_1)
	v_add_f32_e32 v6, v5, v6
	v_and_b32_e32 v5, 0x7f800000, v6
	s_delay_alu instid0(VALU_DEP_1) | instskip(NEXT) | instid1(VALU_DEP_1)
	v_cmp_ne_u32_e64 s4, 0x7f800000, v5
                                        ; implicit-def: $vgpr5
	s_and_saveexec_b32 s42, s4
	s_delay_alu instid0(SALU_CYCLE_1)
	s_xor_b32 s4, exec_lo, s42
; %bb.87:                               ;   in Loop: Header=BB277_12 Depth=1
	v_bfe_u32 v5, v6, 16, 1
	s_delay_alu instid0(VALU_DEP_1)
	v_add3_u32 v5, v6, v5, 0x7fff
                                        ; implicit-def: $vgpr6
; %bb.88:                               ;   in Loop: Header=BB277_12 Depth=1
	s_and_not1_saveexec_b32 s42, s4
; %bb.89:                               ;   in Loop: Header=BB277_12 Depth=1
	v_and_b32_e32 v5, 0xffff, v6
	v_or_b32_e32 v25, 0x10000, v6
	s_delay_alu instid0(VALU_DEP_2) | instskip(NEXT) | instid1(VALU_DEP_1)
	v_cmp_eq_u32_e64 s4, 0, v5
	v_cndmask_b32_e64 v5, v25, v6, s4
; %bb.90:                               ;   in Loop: Header=BB277_12 Depth=1
	s_or_b32 exec_lo, exec_lo, s42
	v_dual_mov_b32 v26, v72 :: v_dual_add_nc_u32 v25, 3, v71
	s_delay_alu instid0(VALU_DEP_1) | instskip(NEXT) | instid1(VALU_DEP_1)
	v_lshlrev_b64 v[25:26], 1, v[25:26]
	v_add_co_u32 v25, s4, s6, v25
	s_delay_alu instid0(VALU_DEP_1)
	v_add_co_ci_u32_e64 v26, s4, s7, v26, s4
	global_store_d16_hi_b16 v[25:26], v5, off
	s_or_b32 exec_lo, exec_lo, s41
	v_add_nc_u32_e32 v71, s19, v71
	s_and_saveexec_b32 s41, vcc_lo
	s_cbranch_execz .LBB277_44
.LBB277_91:                             ;   in Loop: Header=BB277_12 Depth=1
	s_waitcnt vmcnt(7) lgkmcnt(8)
	v_dual_add_f32 v5, v21, v23 :: v_dual_lshlrev_b32 v6, 16, v46
	s_delay_alu instid0(VALU_DEP_1) | instskip(NEXT) | instid1(VALU_DEP_1)
	v_add_f32_e32 v6, v5, v6
	v_and_b32_e32 v5, 0x7f800000, v6
	s_delay_alu instid0(VALU_DEP_1) | instskip(NEXT) | instid1(VALU_DEP_1)
	v_cmp_ne_u32_e64 s4, 0x7f800000, v5
                                        ; implicit-def: $vgpr5
	s_and_saveexec_b32 s42, s4
	s_delay_alu instid0(SALU_CYCLE_1)
	s_xor_b32 s4, exec_lo, s42
; %bb.92:                               ;   in Loop: Header=BB277_12 Depth=1
	v_bfe_u32 v5, v6, 16, 1
	s_delay_alu instid0(VALU_DEP_1)
	v_add3_u32 v5, v6, v5, 0x7fff
                                        ; implicit-def: $vgpr6
; %bb.93:                               ;   in Loop: Header=BB277_12 Depth=1
	s_and_not1_saveexec_b32 s42, s4
; %bb.94:                               ;   in Loop: Header=BB277_12 Depth=1
	v_and_b32_e32 v5, 0xffff, v6
	v_or_b32_e32 v21, 0x10000, v6
	s_delay_alu instid0(VALU_DEP_2) | instskip(NEXT) | instid1(VALU_DEP_1)
	v_cmp_eq_u32_e64 s4, 0, v5
	v_cndmask_b32_e64 v5, v21, v6, s4
; %bb.95:                               ;   in Loop: Header=BB277_12 Depth=1
	s_or_b32 exec_lo, exec_lo, s42
	s_waitcnt lgkmcnt(6)
	v_lshlrev_b64 v[25:26], 1, v[71:72]
	s_delay_alu instid0(VALU_DEP_1) | instskip(NEXT) | instid1(VALU_DEP_1)
	v_add_co_u32 v25, s4, s6, v25
	v_add_co_ci_u32_e64 v26, s4, s7, v26, s4
	global_store_d16_hi_b16 v[25:26], v5, off
	s_or_b32 exec_lo, exec_lo, s41
	s_and_saveexec_b32 s41, s1
	s_cbranch_execz .LBB277_45
.LBB277_96:                             ;   in Loop: Header=BB277_12 Depth=1
	s_waitcnt vmcnt(6) lgkmcnt(5)
	v_dual_add_f32 v5, v19, v20 :: v_dual_lshlrev_b32 v6, 16, v43
	s_delay_alu instid0(VALU_DEP_1) | instskip(NEXT) | instid1(VALU_DEP_1)
	v_add_f32_e32 v6, v5, v6
	v_and_b32_e32 v5, 0x7f800000, v6
	s_delay_alu instid0(VALU_DEP_1) | instskip(NEXT) | instid1(VALU_DEP_1)
	v_cmp_ne_u32_e64 s4, 0x7f800000, v5
                                        ; implicit-def: $vgpr5
	s_and_saveexec_b32 s42, s4
	s_delay_alu instid0(SALU_CYCLE_1)
	s_xor_b32 s4, exec_lo, s42
; %bb.97:                               ;   in Loop: Header=BB277_12 Depth=1
	v_bfe_u32 v5, v6, 16, 1
	s_delay_alu instid0(VALU_DEP_1)
	v_add3_u32 v5, v6, v5, 0x7fff
                                        ; implicit-def: $vgpr6
; %bb.98:                               ;   in Loop: Header=BB277_12 Depth=1
	s_and_not1_saveexec_b32 s42, s4
; %bb.99:                               ;   in Loop: Header=BB277_12 Depth=1
	v_and_b32_e32 v5, 0xffff, v6
	v_or_b32_e32 v19, 0x10000, v6
	s_delay_alu instid0(VALU_DEP_2) | instskip(NEXT) | instid1(VALU_DEP_1)
	v_cmp_eq_u32_e64 s4, 0, v5
	v_cndmask_b32_e64 v5, v19, v6, s4
; %bb.100:                              ;   in Loop: Header=BB277_12 Depth=1
	s_or_b32 exec_lo, exec_lo, s42
	v_dual_mov_b32 v20, v72 :: v_dual_add_nc_u32 v19, 1, v71
	s_delay_alu instid0(VALU_DEP_1) | instskip(NEXT) | instid1(VALU_DEP_1)
	v_lshlrev_b64 v[19:20], 1, v[19:20]
	v_add_co_u32 v19, s4, s6, v19
	s_delay_alu instid0(VALU_DEP_1)
	v_add_co_ci_u32_e64 v20, s4, s7, v20, s4
	global_store_d16_hi_b16 v[19:20], v5, off
	s_or_b32 exec_lo, exec_lo, s41
	s_and_saveexec_b32 s41, s2
	s_cbranch_execz .LBB277_46
.LBB277_101:                            ;   in Loop: Header=BB277_12 Depth=1
	s_waitcnt vmcnt(5) lgkmcnt(9)
	v_dual_add_f32 v5, v15, v16 :: v_dual_lshlrev_b32 v6, 16, v39
	s_delay_alu instid0(VALU_DEP_1) | instskip(NEXT) | instid1(VALU_DEP_1)
	v_add_f32_e32 v6, v5, v6
	v_and_b32_e32 v5, 0x7f800000, v6
	s_delay_alu instid0(VALU_DEP_1) | instskip(NEXT) | instid1(VALU_DEP_1)
	v_cmp_ne_u32_e64 s4, 0x7f800000, v5
                                        ; implicit-def: $vgpr5
	s_and_saveexec_b32 s42, s4
	s_delay_alu instid0(SALU_CYCLE_1)
	s_xor_b32 s4, exec_lo, s42
; %bb.102:                              ;   in Loop: Header=BB277_12 Depth=1
	v_bfe_u32 v5, v6, 16, 1
	s_delay_alu instid0(VALU_DEP_1)
	v_add3_u32 v5, v6, v5, 0x7fff
                                        ; implicit-def: $vgpr6
; %bb.103:                              ;   in Loop: Header=BB277_12 Depth=1
	s_and_not1_saveexec_b32 s42, s4
; %bb.104:                              ;   in Loop: Header=BB277_12 Depth=1
	v_and_b32_e32 v5, 0xffff, v6
	v_or_b32_e32 v15, 0x10000, v6
	s_delay_alu instid0(VALU_DEP_2) | instskip(NEXT) | instid1(VALU_DEP_1)
	v_cmp_eq_u32_e64 s4, 0, v5
	v_cndmask_b32_e64 v5, v15, v6, s4
; %bb.105:                              ;   in Loop: Header=BB277_12 Depth=1
	s_or_b32 exec_lo, exec_lo, s42
	v_dual_mov_b32 v16, v72 :: v_dual_add_nc_u32 v15, 2, v71
	s_delay_alu instid0(VALU_DEP_1) | instskip(NEXT) | instid1(VALU_DEP_1)
	v_lshlrev_b64 v[15:16], 1, v[15:16]
	v_add_co_u32 v15, s4, s6, v15
	s_delay_alu instid0(VALU_DEP_1)
	v_add_co_ci_u32_e64 v16, s4, s7, v16, s4
	global_store_d16_hi_b16 v[15:16], v5, off
	s_or_b32 exec_lo, exec_lo, s41
	s_and_saveexec_b32 s41, s3
	s_cbranch_execz .LBB277_47
.LBB277_106:                            ;   in Loop: Header=BB277_12 Depth=1
	s_waitcnt vmcnt(4) lgkmcnt(4)
	v_dual_add_f32 v5, v17, v18 :: v_dual_lshlrev_b32 v6, 16, v36
	s_delay_alu instid0(VALU_DEP_1) | instskip(NEXT) | instid1(VALU_DEP_1)
	v_add_f32_e32 v6, v5, v6
	v_and_b32_e32 v5, 0x7f800000, v6
	s_delay_alu instid0(VALU_DEP_1) | instskip(NEXT) | instid1(VALU_DEP_1)
	v_cmp_ne_u32_e64 s4, 0x7f800000, v5
                                        ; implicit-def: $vgpr5
	s_and_saveexec_b32 s42, s4
	s_delay_alu instid0(SALU_CYCLE_1)
	s_xor_b32 s4, exec_lo, s42
; %bb.107:                              ;   in Loop: Header=BB277_12 Depth=1
	v_bfe_u32 v5, v6, 16, 1
	s_delay_alu instid0(VALU_DEP_1)
	v_add3_u32 v5, v6, v5, 0x7fff
                                        ; implicit-def: $vgpr6
; %bb.108:                              ;   in Loop: Header=BB277_12 Depth=1
	s_and_not1_saveexec_b32 s42, s4
; %bb.109:                              ;   in Loop: Header=BB277_12 Depth=1
	v_and_b32_e32 v5, 0xffff, v6
	v_or_b32_e32 v15, 0x10000, v6
	s_delay_alu instid0(VALU_DEP_2) | instskip(NEXT) | instid1(VALU_DEP_1)
	v_cmp_eq_u32_e64 s4, 0, v5
	v_cndmask_b32_e64 v5, v15, v6, s4
; %bb.110:                              ;   in Loop: Header=BB277_12 Depth=1
	s_or_b32 exec_lo, exec_lo, s42
	v_dual_mov_b32 v16, v72 :: v_dual_add_nc_u32 v15, 3, v71
	s_delay_alu instid0(VALU_DEP_1) | instskip(NEXT) | instid1(VALU_DEP_1)
	v_lshlrev_b64 v[15:16], 1, v[15:16]
	v_add_co_u32 v15, s4, s6, v15
	s_delay_alu instid0(VALU_DEP_1)
	v_add_co_ci_u32_e64 v16, s4, s7, v16, s4
	global_store_d16_hi_b16 v[15:16], v5, off
	s_or_b32 exec_lo, exec_lo, s41
	v_add_nc_u32_e32 v71, s19, v71
	s_and_saveexec_b32 s4, vcc_lo
	s_cbranch_execz .LBB277_48
.LBB277_111:                            ;   in Loop: Header=BB277_12 Depth=1
	s_waitcnt lgkmcnt(2)
	v_add_f32_e32 v5, v13, v14
	s_waitcnt vmcnt(3)
	v_lshlrev_b32_e32 v6, 16, v34
	s_delay_alu instid0(VALU_DEP_1) | instskip(NEXT) | instid1(VALU_DEP_1)
	v_add_f32_e32 v6, v5, v6
	v_and_b32_e32 v5, 0x7f800000, v6
	s_delay_alu instid0(VALU_DEP_1) | instskip(SKIP_1) | instid1(SALU_CYCLE_1)
	v_cmp_ne_u32_e32 vcc_lo, 0x7f800000, v5
                                        ; implicit-def: $vgpr5
	s_and_saveexec_b32 s41, vcc_lo
	s_xor_b32 s41, exec_lo, s41
; %bb.112:                              ;   in Loop: Header=BB277_12 Depth=1
	v_bfe_u32 v5, v6, 16, 1
	s_delay_alu instid0(VALU_DEP_1)
	v_add3_u32 v5, v6, v5, 0x7fff
                                        ; implicit-def: $vgpr6
; %bb.113:                              ;   in Loop: Header=BB277_12 Depth=1
	s_and_not1_saveexec_b32 s41, s41
; %bb.114:                              ;   in Loop: Header=BB277_12 Depth=1
	v_and_b32_e32 v5, 0xffff, v6
	v_or_b32_e32 v13, 0x10000, v6
	s_delay_alu instid0(VALU_DEP_2) | instskip(NEXT) | instid1(VALU_DEP_2)
	v_cmp_eq_u32_e32 vcc_lo, 0, v5
	v_cndmask_b32_e32 v5, v13, v6, vcc_lo
; %bb.115:                              ;   in Loop: Header=BB277_12 Depth=1
	s_or_b32 exec_lo, exec_lo, s41
	v_lshlrev_b64 v[13:14], 1, v[71:72]
	s_delay_alu instid0(VALU_DEP_1) | instskip(NEXT) | instid1(VALU_DEP_2)
	v_add_co_u32 v13, vcc_lo, s6, v13
	v_add_co_ci_u32_e32 v14, vcc_lo, s7, v14, vcc_lo
	global_store_d16_hi_b16 v[13:14], v5, off
	s_or_b32 exec_lo, exec_lo, s4
	s_and_saveexec_b32 s4, s1
	s_cbranch_execz .LBB277_49
.LBB277_116:                            ;   in Loop: Header=BB277_12 Depth=1
	s_waitcnt vmcnt(2) lgkmcnt(3)
	v_dual_add_f32 v5, v11, v12 :: v_dual_lshlrev_b32 v6, 16, v29
	s_delay_alu instid0(VALU_DEP_1) | instskip(NEXT) | instid1(VALU_DEP_1)
	v_add_f32_e32 v6, v5, v6
	v_and_b32_e32 v5, 0x7f800000, v6
	s_delay_alu instid0(VALU_DEP_1) | instskip(SKIP_1) | instid1(SALU_CYCLE_1)
	v_cmp_ne_u32_e32 vcc_lo, 0x7f800000, v5
                                        ; implicit-def: $vgpr5
	s_and_saveexec_b32 s1, vcc_lo
	s_xor_b32 s1, exec_lo, s1
; %bb.117:                              ;   in Loop: Header=BB277_12 Depth=1
	v_bfe_u32 v5, v6, 16, 1
	s_delay_alu instid0(VALU_DEP_1)
	v_add3_u32 v5, v6, v5, 0x7fff
                                        ; implicit-def: $vgpr6
; %bb.118:                              ;   in Loop: Header=BB277_12 Depth=1
	s_and_not1_saveexec_b32 s1, s1
; %bb.119:                              ;   in Loop: Header=BB277_12 Depth=1
	v_and_b32_e32 v5, 0xffff, v6
	v_or_b32_e32 v11, 0x10000, v6
	s_delay_alu instid0(VALU_DEP_2) | instskip(NEXT) | instid1(VALU_DEP_2)
	v_cmp_eq_u32_e32 vcc_lo, 0, v5
	v_cndmask_b32_e32 v5, v11, v6, vcc_lo
; %bb.120:                              ;   in Loop: Header=BB277_12 Depth=1
	s_or_b32 exec_lo, exec_lo, s1
	v_dual_mov_b32 v12, v72 :: v_dual_add_nc_u32 v11, 1, v71
	s_delay_alu instid0(VALU_DEP_1) | instskip(NEXT) | instid1(VALU_DEP_1)
	v_lshlrev_b64 v[11:12], 1, v[11:12]
	v_add_co_u32 v11, vcc_lo, s6, v11
	s_delay_alu instid0(VALU_DEP_2)
	v_add_co_ci_u32_e32 v12, vcc_lo, s7, v12, vcc_lo
	global_store_d16_hi_b16 v[11:12], v5, off
	s_or_b32 exec_lo, exec_lo, s4
	s_and_saveexec_b32 s1, s2
	s_cbranch_execz .LBB277_50
.LBB277_121:                            ;   in Loop: Header=BB277_12 Depth=1
	s_waitcnt vmcnt(1) lgkmcnt(0)
	v_dual_add_f32 v5, v9, v10 :: v_dual_lshlrev_b32 v6, 16, v24
	s_delay_alu instid0(VALU_DEP_1) | instskip(NEXT) | instid1(VALU_DEP_1)
	v_add_f32_e32 v6, v5, v6
	v_and_b32_e32 v5, 0x7f800000, v6
	s_delay_alu instid0(VALU_DEP_1) | instskip(SKIP_1) | instid1(SALU_CYCLE_1)
	v_cmp_ne_u32_e32 vcc_lo, 0x7f800000, v5
                                        ; implicit-def: $vgpr5
	s_and_saveexec_b32 s2, vcc_lo
	s_xor_b32 s2, exec_lo, s2
; %bb.122:                              ;   in Loop: Header=BB277_12 Depth=1
	v_bfe_u32 v5, v6, 16, 1
	s_delay_alu instid0(VALU_DEP_1)
	v_add3_u32 v5, v6, v5, 0x7fff
                                        ; implicit-def: $vgpr6
; %bb.123:                              ;   in Loop: Header=BB277_12 Depth=1
	s_and_not1_saveexec_b32 s2, s2
; %bb.124:                              ;   in Loop: Header=BB277_12 Depth=1
	v_and_b32_e32 v5, 0xffff, v6
	v_or_b32_e32 v9, 0x10000, v6
	s_delay_alu instid0(VALU_DEP_2) | instskip(NEXT) | instid1(VALU_DEP_2)
	v_cmp_eq_u32_e32 vcc_lo, 0, v5
	v_cndmask_b32_e32 v5, v9, v6, vcc_lo
; %bb.125:                              ;   in Loop: Header=BB277_12 Depth=1
	s_or_b32 exec_lo, exec_lo, s2
	v_dual_mov_b32 v10, v72 :: v_dual_add_nc_u32 v9, 2, v71
	s_delay_alu instid0(VALU_DEP_1) | instskip(NEXT) | instid1(VALU_DEP_1)
	v_lshlrev_b64 v[9:10], 1, v[9:10]
	v_add_co_u32 v9, vcc_lo, s6, v9
	s_delay_alu instid0(VALU_DEP_2) | instskip(SKIP_2) | instid1(SALU_CYCLE_1)
	v_add_co_ci_u32_e32 v10, vcc_lo, s7, v10, vcc_lo
	global_store_d16_hi_b16 v[9:10], v5, off
	s_or_b32 exec_lo, exec_lo, s1
	s_and_b32 exec_lo, exec_lo, s3
	s_cbranch_execz .LBB277_131
.LBB277_126:                            ;   in Loop: Header=BB277_12 Depth=1
	s_waitcnt vmcnt(0) lgkmcnt(1)
	v_dual_add_f32 v5, v7, v8 :: v_dual_lshlrev_b32 v6, 16, v22
	s_delay_alu instid0(VALU_DEP_1) | instskip(NEXT) | instid1(VALU_DEP_1)
	v_add_f32_e32 v6, v5, v6
	v_and_b32_e32 v5, 0x7f800000, v6
	s_delay_alu instid0(VALU_DEP_1) | instskip(SKIP_1) | instid1(SALU_CYCLE_1)
	v_cmp_ne_u32_e32 vcc_lo, 0x7f800000, v5
                                        ; implicit-def: $vgpr5
	s_and_saveexec_b32 s1, vcc_lo
	s_xor_b32 s1, exec_lo, s1
; %bb.127:                              ;   in Loop: Header=BB277_12 Depth=1
	v_bfe_u32 v5, v6, 16, 1
	s_delay_alu instid0(VALU_DEP_1)
	v_add3_u32 v5, v6, v5, 0x7fff
                                        ; implicit-def: $vgpr6
; %bb.128:                              ;   in Loop: Header=BB277_12 Depth=1
	s_and_not1_saveexec_b32 s1, s1
; %bb.129:                              ;   in Loop: Header=BB277_12 Depth=1
	v_and_b32_e32 v5, 0xffff, v6
	v_or_b32_e32 v7, 0x10000, v6
	s_delay_alu instid0(VALU_DEP_2) | instskip(NEXT) | instid1(VALU_DEP_2)
	v_cmp_eq_u32_e32 vcc_lo, 0, v5
	v_cndmask_b32_e32 v5, v7, v6, vcc_lo
; %bb.130:                              ;   in Loop: Header=BB277_12 Depth=1
	s_or_b32 exec_lo, exec_lo, s1
	v_add_nc_u32_e32 v71, 3, v71
	s_delay_alu instid0(VALU_DEP_1) | instskip(NEXT) | instid1(VALU_DEP_1)
	v_lshlrev_b64 v[6:7], 1, v[71:72]
	v_add_co_u32 v6, vcc_lo, s6, v6
	s_delay_alu instid0(VALU_DEP_2)
	v_add_co_ci_u32_e32 v7, vcc_lo, s7, v7, vcc_lo
	global_store_d16_hi_b16 v[6:7], v5, off
.LBB277_131:                            ;   in Loop: Header=BB277_12 Depth=1
	s_or_b32 exec_lo, exec_lo, s5
	v_add_nc_u32_e32 v69, s29, v69
	s_delay_alu instid0(VALU_DEP_1) | instskip(SKIP_1) | instid1(VALU_DEP_2)
	v_add_nc_u32_e32 v5, 4, v69
	v_cmp_gt_u32_e32 vcc_lo, s19, v69
	v_cmp_le_u32_e64 s1, s19, v5
	s_delay_alu instid0(VALU_DEP_1) | instskip(NEXT) | instid1(SALU_CYCLE_1)
	s_and_b32 s1, vcc_lo, s1
	s_and_saveexec_b32 s41, s1
	s_cbranch_execz .LBB277_10
; %bb.132:                              ;   in Loop: Header=BB277_12 Depth=1
	s_mov_b32 s42, exec_lo
	v_cmpx_ne_u32_e64 s31, v69
	s_cbranch_execz .LBB277_9
; %bb.133:                              ;   in Loop: Header=BB277_12 Depth=1
	v_subrev_nc_u32_e32 v5, s31, v69
	s_mov_b32 s43, 0
	s_mov_b64 s[4:5], 0
	s_delay_alu instid0(VALU_DEP_1)
	v_cmp_lt_u32_e32 vcc_lo, 1, v5
	v_cndmask_b32_e32 v5, 1, v5, vcc_lo
	.p2align	6
.LBB277_134:                            ;   Parent Loop BB277_12 Depth=1
                                        ; =>  This Inner Loop Header: Depth=2
	s_cmp_lg_u32 s4, 3
	s_cselect_b32 vcc_lo, -1, 0
	s_cmp_lg_u32 s4, 2
	v_cndmask_b32_e32 v4, 0, v4, vcc_lo
	s_cselect_b32 s1, -1, 0
	s_cmp_lg_u32 s4, 1
	v_cndmask_b32_e64 v3, 0, v3, s1
	s_cselect_b32 s2, -1, 0
	s_cmp_lg_u32 s4, 0
	v_cndmask_b32_e64 v2, 0, v2, s2
	s_cselect_b32 s3, -1, 0
	s_add_u32 s4, s4, 1
	v_cndmask_b32_e64 v1, 0, v1, s3
	v_cmp_eq_u32_e32 vcc_lo, s4, v5
	s_addc_u32 s5, s5, 0
	s_or_b32 s43, vcc_lo, s43
	s_delay_alu instid0(SALU_CYCLE_1)
	s_and_not1_b32 exec_lo, exec_lo, s43
	s_cbranch_execnz .LBB277_134
; %bb.135:                              ;   in Loop: Header=BB277_12 Depth=1
	s_or_b32 exec_lo, exec_lo, s43
	s_branch .LBB277_9
.LBB277_136:
	s_nop 0
	s_sendmsg sendmsg(MSG_DEALLOC_VGPRS)
	s_endpgm
	.section	.rodata,"a",@progbits
	.p2align	6, 0x0
	.amdhsa_kernel _Z16wvSplitK_hf_big_I14__hip_bfloat16Li64ELi4ELi16ELi8ELi2ELi4EEviiiiiiPKT_S3_S3_PS1_ii
		.amdhsa_group_segment_fixed_size 65536
		.amdhsa_private_segment_fixed_size 0
		.amdhsa_kernarg_size 64
		.amdhsa_user_sgpr_count 15
		.amdhsa_user_sgpr_dispatch_ptr 0
		.amdhsa_user_sgpr_queue_ptr 0
		.amdhsa_user_sgpr_kernarg_segment_ptr 1
		.amdhsa_user_sgpr_dispatch_id 0
		.amdhsa_user_sgpr_private_segment_size 0
		.amdhsa_wavefront_size32 1
		.amdhsa_uses_dynamic_stack 0
		.amdhsa_enable_private_segment 0
		.amdhsa_system_sgpr_workgroup_id_x 1
		.amdhsa_system_sgpr_workgroup_id_y 0
		.amdhsa_system_sgpr_workgroup_id_z 0
		.amdhsa_system_sgpr_workgroup_info 0
		.amdhsa_system_vgpr_workitem_id 1
		.amdhsa_next_free_vgpr 122
		.amdhsa_next_free_sgpr 44
		.amdhsa_reserve_vcc 1
		.amdhsa_float_round_mode_32 0
		.amdhsa_float_round_mode_16_64 0
		.amdhsa_float_denorm_mode_32 3
		.amdhsa_float_denorm_mode_16_64 3
		.amdhsa_dx10_clamp 1
		.amdhsa_ieee_mode 1
		.amdhsa_fp16_overflow 0
		.amdhsa_workgroup_processor_mode 1
		.amdhsa_memory_ordered 1
		.amdhsa_forward_progress 0
		.amdhsa_shared_vgpr_count 0
		.amdhsa_exception_fp_ieee_invalid_op 0
		.amdhsa_exception_fp_denorm_src 0
		.amdhsa_exception_fp_ieee_div_zero 0
		.amdhsa_exception_fp_ieee_overflow 0
		.amdhsa_exception_fp_ieee_underflow 0
		.amdhsa_exception_fp_ieee_inexact 0
		.amdhsa_exception_int_div_zero 0
	.end_amdhsa_kernel
	.section	.text._Z16wvSplitK_hf_big_I14__hip_bfloat16Li64ELi4ELi16ELi8ELi2ELi4EEviiiiiiPKT_S3_S3_PS1_ii,"axG",@progbits,_Z16wvSplitK_hf_big_I14__hip_bfloat16Li64ELi4ELi16ELi8ELi2ELi4EEviiiiiiPKT_S3_S3_PS1_ii,comdat
.Lfunc_end277:
	.size	_Z16wvSplitK_hf_big_I14__hip_bfloat16Li64ELi4ELi16ELi8ELi2ELi4EEviiiiiiPKT_S3_S3_PS1_ii, .Lfunc_end277-_Z16wvSplitK_hf_big_I14__hip_bfloat16Li64ELi4ELi16ELi8ELi2ELi4EEviiiiiiPKT_S3_S3_PS1_ii
                                        ; -- End function
	.section	.AMDGPU.csdata,"",@progbits
; Kernel info:
; codeLenInByte = 10452
; NumSgprs: 46
; NumVgprs: 122
; ScratchSize: 0
; MemoryBound: 0
; FloatMode: 240
; IeeeMode: 1
; LDSByteSize: 65536 bytes/workgroup (compile time only)
; SGPRBlocks: 5
; VGPRBlocks: 15
; NumSGPRsForWavesPerEU: 46
; NumVGPRsForWavesPerEU: 122
; Occupancy: 10
; WaveLimiterHint : 0
; COMPUTE_PGM_RSRC2:SCRATCH_EN: 0
; COMPUTE_PGM_RSRC2:USER_SGPR: 15
; COMPUTE_PGM_RSRC2:TRAP_HANDLER: 0
; COMPUTE_PGM_RSRC2:TGID_X_EN: 1
; COMPUTE_PGM_RSRC2:TGID_Y_EN: 0
; COMPUTE_PGM_RSRC2:TGID_Z_EN: 0
; COMPUTE_PGM_RSRC2:TIDIG_COMP_CNT: 1
	.section	.text._Z16wvSplitK_hf_sml_I14__hip_bfloat16Li32ELi1ELi16ELi8ELi4ELi5EEviiiiiiPKT_S3_S3_PS1_ii,"axG",@progbits,_Z16wvSplitK_hf_sml_I14__hip_bfloat16Li32ELi1ELi16ELi8ELi4ELi5EEviiiiiiPKT_S3_S3_PS1_ii,comdat
	.protected	_Z16wvSplitK_hf_sml_I14__hip_bfloat16Li32ELi1ELi16ELi8ELi4ELi5EEviiiiiiPKT_S3_S3_PS1_ii ; -- Begin function _Z16wvSplitK_hf_sml_I14__hip_bfloat16Li32ELi1ELi16ELi8ELi4ELi5EEviiiiiiPKT_S3_S3_PS1_ii
	.globl	_Z16wvSplitK_hf_sml_I14__hip_bfloat16Li32ELi1ELi16ELi8ELi4ELi5EEviiiiiiPKT_S3_S3_PS1_ii
	.p2align	8
	.type	_Z16wvSplitK_hf_sml_I14__hip_bfloat16Li32ELi1ELi16ELi8ELi4ELi5EEviiiiiiPKT_S3_S3_PS1_ii,@function
_Z16wvSplitK_hf_sml_I14__hip_bfloat16Li32ELi1ELi16ELi8ELi4ELi5EEviiiiiiPKT_S3_S3_PS1_ii: ; @_Z16wvSplitK_hf_sml_I14__hip_bfloat16Li32ELi1ELi16ELi8ELi4ELi5EEviiiiiiPKT_S3_S3_PS1_ii
; %bb.0:
	s_load_b128 s[4:7], s[0:1], 0x0
	v_and_b32_e32 v1, 0x3ff, v0
	v_bfe_u32 v0, v0, 10, 10
	s_mov_b32 s8, exec_lo
	s_delay_alu instid0(VALU_DEP_2) | instskip(NEXT) | instid1(VALU_DEP_1)
	v_lshlrev_b32_e32 v99, 3, v1
	v_lshl_add_u32 v3, v0, 8, v99
	s_waitcnt lgkmcnt(0)
	s_mul_i32 s2, s6, 5
	s_delay_alu instid0(SALU_CYCLE_1)
	s_min_u32 s9, s2, 0x8000
	s_delay_alu instid0(VALU_DEP_1) | instid1(SALU_CYCLE_1)
	v_cmpx_gt_u32_e64 s9, v3
	s_cbranch_execz .LBB278_9
; %bb.1:
	s_load_b64 s[2:3], s[0:1], 0x20
	v_lshlrev_b32_e32 v2, 1, v3
	v_add_nc_u32_e32 v8, 0x1000, v3
	s_mov_b32 s10, exec_lo
	s_waitcnt lgkmcnt(0)
	global_load_b128 v[4:7], v2, s[2:3]
	s_waitcnt vmcnt(0)
	ds_store_b128 v2, v[4:7]
	v_cmpx_gt_u32_e64 s9, v8
	s_xor_b32 s10, exec_lo, s10
	s_cbranch_execz .LBB278_9
; %bb.2:
	v_add_co_u32 v4, s2, s2, v2
	s_delay_alu instid0(VALU_DEP_1) | instskip(SKIP_1) | instid1(VALU_DEP_3)
	v_add_co_ci_u32_e64 v5, null, s3, 0, s2
	v_add_nc_u32_e32 v10, 0x2000, v3
	v_add_co_u32 v6, vcc_lo, 0x2000, v4
	s_delay_alu instid0(VALU_DEP_3)
	v_add_co_ci_u32_e32 v7, vcc_lo, 0, v5, vcc_lo
	s_mov_b32 s2, exec_lo
	global_load_b128 v[6:9], v[6:7], off
	s_waitcnt vmcnt(0)
	ds_store_b128 v2, v[6:9] offset:8192
	v_cmpx_gt_u32_e64 s9, v10
	s_xor_b32 s2, exec_lo, s2
	s_cbranch_execz .LBB278_9
; %bb.3:
	v_add_co_u32 v6, vcc_lo, 0x4000, v4
	v_add_co_ci_u32_e32 v7, vcc_lo, 0, v5, vcc_lo
	v_add_nc_u32_e32 v10, 0x3000, v3
	s_mov_b32 s2, exec_lo
	global_load_b128 v[6:9], v[6:7], off
	s_waitcnt vmcnt(0)
	ds_store_b128 v2, v[6:9] offset:16384
	v_cmpx_gt_u32_e64 s9, v10
	s_xor_b32 s2, exec_lo, s2
	s_cbranch_execz .LBB278_9
; %bb.4:
	v_add_co_u32 v6, vcc_lo, 0x6000, v4
	v_add_co_ci_u32_e32 v7, vcc_lo, 0, v5, vcc_lo
	v_add_nc_u32_e32 v10, 0x4000, v3
	;; [unrolled: 11-line block ×5, first 2 shown]
	s_mov_b32 s2, exec_lo
	global_load_b128 v[6:9], v[6:7], off
	s_waitcnt vmcnt(0)
	ds_store_b128 v2, v[6:9] offset:49152
	v_cmpx_gt_u32_e64 s9, v3
	s_xor_b32 s2, exec_lo, s2
	s_cbranch_execz .LBB278_9
; %bb.8:
	v_add_co_u32 v3, vcc_lo, 0xe000, v4
	v_add_co_ci_u32_e32 v4, vcc_lo, 0, v5, vcc_lo
	global_load_b128 v[3:6], v[3:4], off
	s_waitcnt vmcnt(0)
	ds_store_b128 v2, v[3:6] offset:57344
.LBB278_9:
	s_or_b32 exec_lo, exec_lo, s8
	s_load_b64 s[16:17], s[0:1], 0x38
	s_waitcnt lgkmcnt(0)
	s_barrier
	buffer_gl0_inv
	s_mov_b32 s2, exec_lo
	v_cmpx_gt_u32_e64 s16, v0
	s_cbranch_execz .LBB278_48
; %bb.10:
	s_load_b64 s[2:3], s[0:1], 0x10
	v_mad_u64_u32 v[80:81], null, s15, s16, v[0:1]
	s_delay_alu instid0(VALU_DEP_1)
	v_cmp_gt_u32_e32 vcc_lo, s7, v80
	s_and_b32 exec_lo, exec_lo, vcc_lo
	s_cbranch_execz .LBB278_48
; %bb.11:
	s_clause 0x1
	s_load_b128 s[8:11], s[0:1], 0x28
	s_load_b64 s[12:13], s[0:1], 0x18
	s_cmp_lg_u32 s4, 0
	s_waitcnt lgkmcnt(0)
	v_cvt_f32_u32_e32 v2, s2
	s_cselect_b32 s1, -1, 0
	s_add_i32 s14, s4, -8
	s_add_i32 s15, s7, -1
	s_mul_i32 s16, s17, s16
	v_rcp_iflag_f32_e32 v2, v2
	v_lshlrev_b32_e32 v100, 4, v1
	v_mov_b32_e32 v82, 0
	s_cmp_lg_u64 s[8:9], 0
	s_cselect_b32 s18, -1, 0
	s_abs_i32 s21, s3
	s_sub_i32 s20, 0, s2
	v_cvt_f32_u32_e32 v0, s21
	s_sub_i32 s19, 0, s21
	s_sub_i32 s22, 1, s21
	s_mov_b32 s3, 0
	s_delay_alu instid0(VALU_DEP_1) | instskip(SKIP_2) | instid1(VALU_DEP_1)
	v_rcp_iflag_f32_e32 v0, v0
	s_waitcnt_depctr 0xfff
	v_mul_f32_e32 v0, 0x4f7ffffe, v0
	v_cvt_u32_f32_e32 v0, v0
	s_delay_alu instid0(VALU_DEP_1) | instskip(SKIP_1) | instid1(VALU_DEP_2)
	v_readfirstlane_b32 s0, v0
	v_mbcnt_lo_u32_b32 v0, -1, 0
	s_mul_i32 s19, s19, s0
	s_delay_alu instid0(VALU_DEP_1) | instskip(SKIP_1) | instid1(SALU_CYCLE_1)
	v_xor_b32_e32 v3, 16, v0
	s_mul_hi_u32 s19, s0, s19
	s_add_i32 s19, s0, s19
	s_cmp_lt_u32 s21, 2
	s_delay_alu instid0(VALU_DEP_1)
	v_cmp_gt_i32_e32 vcc_lo, 32, v3
	s_cselect_b32 s22, s22, 1
	v_cmp_eq_u32_e64 s0, 31, v1
	s_sub_i32 s17, s22, s21
	s_cmp_ge_u32 s22, s21
	v_cndmask_b32_e32 v0, v0, v3, vcc_lo
	v_mul_f32_e32 v2, 0x4f7ffffe, v2
	s_cselect_b32 s22, s17, s22
	s_lshr_b32 s17, s19, 31
	s_delay_alu instid0(VALU_DEP_2) | instskip(SKIP_3) | instid1(SALU_CYCLE_1)
	v_lshlrev_b32_e32 v101, 2, v0
	s_mul_i32 s17, s17, s21
	v_cvt_u32_f32_e32 v2, v2
	s_sub_i32 s17, 2, s17
	s_sub_i32 s23, s17, s21
	s_cmp_ge_u32 s17, s21
	s_delay_alu instid0(VALU_DEP_1)
	v_mul_lo_u32 v1, s20, v2
	s_cselect_b32 s17, s23, s17
	s_mul_hi_u32 s20, s19, 3
	s_sub_i32 s23, s17, s21
	s_cmp_ge_u32 s17, s21
	s_mul_i32 s20, s20, s21
	s_cselect_b32 s23, s23, s17
	s_sub_i32 s20, 3, s20
	v_mul_hi_u32 v1, v2, v1
	s_sub_i32 s24, s20, s21
	s_cmp_ge_u32 s20, s21
	s_mul_i32 s17, s6, 6
	s_cselect_b32 s20, s24, s20
	s_delay_alu instid0(SALU_CYCLE_1) | instskip(SKIP_1) | instid1(VALU_DEP_1)
	s_sub_i32 s24, s20, s21
	s_cmp_ge_u32 s20, s21
	v_add_nc_u32_e32 v102, v2, v1
	s_cselect_b32 s24, s24, s20
	s_lshr_b32 s19, s19, 30
	s_delay_alu instid0(SALU_CYCLE_1) | instskip(NEXT) | instid1(SALU_CYCLE_1)
	s_mul_i32 s19, s19, s21
	s_sub_i32 s20, 4, s19
	s_mul_i32 s19, s22, s2
	s_sub_i32 s25, s20, s21
	s_cmp_ge_u32 s20, s21
	s_cselect_b32 s22, s25, s20
	s_mul_i32 s20, s23, s2
	s_sub_i32 s23, s22, s21
	s_cmp_ge_u32 s22, s21
	s_mul_i32 s21, s24, s2
	s_cselect_b32 s24, s23, s22
	s_lshl_b32 s22, s6, 3
	s_lshl_b32 s23, s6, 2
	s_mul_i32 s24, s24, s2
	s_lshl_b32 s6, s6, 1
	s_branch .LBB278_14
.LBB278_12:                             ;   in Loop: Header=BB278_14 Depth=1
	s_or_b32 exec_lo, exec_lo, s26
	v_add_nc_u32_e32 v81, s7, v81
	s_delay_alu instid0(VALU_DEP_1) | instskip(NEXT) | instid1(VALU_DEP_1)
	v_lshlrev_b64 v[1:2], 1, v[81:82]
	v_add_co_u32 v1, vcc_lo, s10, v1
	s_delay_alu instid0(VALU_DEP_2)
	v_add_co_ci_u32_e32 v2, vcc_lo, s11, v2, vcc_lo
	global_store_d16_hi_b16 v[1:2], v0, off
.LBB278_13:                             ;   in Loop: Header=BB278_14 Depth=1
	s_or_b32 exec_lo, exec_lo, s25
	v_add_nc_u32_e32 v80, s16, v80
	s_delay_alu instid0(VALU_DEP_1) | instskip(SKIP_1) | instid1(SALU_CYCLE_1)
	v_cmp_le_u32_e32 vcc_lo, s7, v80
	s_or_b32 s3, vcc_lo, s3
	s_and_not1_b32 exec_lo, exec_lo, s3
	s_cbranch_execz .LBB278_48
.LBB278_14:                             ; =>This Loop Header: Depth=1
                                        ;     Child Loop BB278_20 Depth 2
	v_mov_b32_e32 v106, v82
	v_mov_b32_e32 v107, v82
	;; [unrolled: 1-line block ×5, first 2 shown]
	s_and_not1_b32 vcc_lo, exec_lo, s1
	s_cbranch_vccnz .LBB278_25
; %bb.15:                               ;   in Loop: Header=BB278_14 Depth=1
	v_min_u32_e32 v0, s15, v80
	v_dual_mov_b32 v110, 0 :: v_dual_mov_b32 v103, v100
	v_dual_mov_b32 v109, 0 :: v_dual_mov_b32 v108, 0
	s_delay_alu instid0(VALU_DEP_3) | instskip(SKIP_3) | instid1(VALU_DEP_2)
	v_mul_lo_u32 v81, v0, s5
	v_dual_mov_b32 v107, 0 :: v_dual_mov_b32 v106, 0
	s_mov_b32 s25, 0
	s_waitcnt lgkmcnt(0)
	v_lshlrev_b64 v[0:1], 1, v[81:82]
	s_delay_alu instid0(VALU_DEP_1) | instskip(NEXT) | instid1(VALU_DEP_2)
	v_add_co_u32 v104, vcc_lo, s12, v0
	v_add_co_ci_u32_e32 v105, vcc_lo, s13, v1, vcc_lo
	s_branch .LBB278_20
.LBB278_16:                             ;   in Loop: Header=BB278_20 Depth=2
	s_or_b32 exec_lo, exec_lo, s29
.LBB278_17:                             ;   in Loop: Header=BB278_20 Depth=2
	s_delay_alu instid0(SALU_CYCLE_1)
	s_or_b32 exec_lo, exec_lo, s28
.LBB278_18:                             ;   in Loop: Header=BB278_20 Depth=2
	s_delay_alu instid0(SALU_CYCLE_1)
	s_or_b32 exec_lo, exec_lo, s27
.LBB278_19:                             ;   in Loop: Header=BB278_20 Depth=2
	s_delay_alu instid0(SALU_CYCLE_1)
	s_or_b32 exec_lo, exec_lo, s26
	s_waitcnt lgkmcnt(1)
	v_and_b32_e32 v112, 0xffff0000, v77
	v_and_b32_e32 v114, 0xffff0000, v78
	v_lshlrev_b32_e32 v78, 16, v78
	s_waitcnt vmcnt(3)
	v_and_b32_e32 v113, 0xffff0000, v69
	v_and_b32_e32 v81, 0xffff0000, v76
	v_lshlrev_b32_e32 v77, 16, v77
	v_lshlrev_b32_e32 v69, 16, v69
	s_addk_i32 s25, 0x400
	v_dual_mul_f32 v112, v112, v113 :: v_dual_and_b32 v111, 0xffff0000, v68
	v_lshlrev_b32_e32 v68, 16, v68
	s_cmp_ge_u32 s25, s4
	s_delay_alu instid0(VALU_DEP_2) | instskip(NEXT) | instid1(VALU_DEP_3)
	v_dual_fmac_f32 v112, v77, v69 :: v_dual_add_nc_u32 v103, 0x800, v103
	v_dual_mul_f32 v81, v81, v111 :: v_dual_lshlrev_b32 v76, 16, v76
	v_and_b32_e32 v77, 0xffff0000, v72
	v_lshlrev_b32_e32 v72, 16, v72
	s_delay_alu instid0(VALU_DEP_3) | instskip(NEXT) | instid1(VALU_DEP_3)
	v_fmac_f32_e32 v81, v76, v68
	v_mul_f32_e32 v77, v77, v111
	s_delay_alu instid0(VALU_DEP_2) | instskip(NEXT) | instid1(VALU_DEP_2)
	v_dual_add_f32 v81, v110, v81 :: v_dual_and_b32 v76, 0xffff0000, v70
	v_dual_fmac_f32 v77, v72, v68 :: v_dual_lshlrev_b32 v70, 16, v70
	v_lshlrev_b32_e32 v72, 16, v73
	s_delay_alu instid0(VALU_DEP_2) | instskip(NEXT) | instid1(VALU_DEP_1)
	v_dual_mul_f32 v110, v114, v76 :: v_dual_add_f32 v77, v109, v77
	v_fmac_f32_e32 v110, v78, v70
	v_add_f32_e32 v78, v81, v112
	s_delay_alu instid0(VALU_DEP_1) | instskip(SKIP_4) | instid1(VALU_DEP_2)
	v_add_f32_e32 v78, v78, v110
	v_and_b32_e32 v110, 0xffff0000, v71
	v_and_b32_e32 v109, 0xffff0000, v75
	;; [unrolled: 1-line block ×3, first 2 shown]
	v_lshlrev_b32_e32 v71, 16, v71
	v_mul_f32_e32 v73, v112, v113
	s_delay_alu instid0(VALU_DEP_1) | instskip(NEXT) | instid1(VALU_DEP_1)
	v_dual_fmac_f32 v73, v72, v69 :: v_dual_and_b32 v112, 0xffff0000, v74
	v_dual_add_f32 v73, v77, v73 :: v_dual_lshlrev_b32 v72, 16, v74
	s_delay_alu instid0(VALU_DEP_2) | instskip(SKIP_1) | instid1(VALU_DEP_2)
	v_dual_mul_f32 v74, v112, v76 :: v_dual_and_b32 v81, 0xffff0000, v79
	v_lshlrev_b32_e32 v79, 16, v79
	v_mul_f32_e32 v81, v81, v110
	s_delay_alu instid0(VALU_DEP_3) | instskip(SKIP_1) | instid1(VALU_DEP_3)
	v_fmac_f32_e32 v74, v72, v70
	v_lshlrev_b32_e32 v72, 16, v75
	v_fmac_f32_e32 v81, v79, v71
	s_delay_alu instid0(VALU_DEP_3) | instskip(NEXT) | instid1(VALU_DEP_2)
	v_add_f32_e32 v73, v73, v74
	v_dual_add_f32 v78, v78, v81 :: v_dual_and_b32 v79, 0xffff0000, v98
	s_delay_alu instid0(VALU_DEP_1) | instskip(SKIP_1) | instid1(VALU_DEP_2)
	v_dual_mul_f32 v75, v109, v110 :: v_dual_mul_f32 v74, v79, v113
	v_lshlrev_b32_e32 v79, 16, v95
	v_dual_fmac_f32 v75, v72, v71 :: v_dual_lshlrev_b32 v72, 16, v98
	s_delay_alu instid0(VALU_DEP_1) | instskip(SKIP_2) | instid1(VALU_DEP_2)
	v_dual_add_f32 v73, v73, v75 :: v_dual_fmac_f32 v74, v72, v69
	v_and_b32_e32 v72, 0xffff0000, v95
	v_and_b32_e32 v77, 0xffff0000, v97
	v_dual_mul_f32 v72, v72, v76 :: v_dual_lshlrev_b32 v97, 16, v97
	s_delay_alu instid0(VALU_DEP_2) | instskip(SKIP_2) | instid1(VALU_DEP_3)
	v_mul_f32_e32 v77, v77, v111
	v_and_b32_e32 v75, 0xffff0000, v64
	v_lshlrev_b32_e32 v64, 16, v64
	v_dual_fmac_f32 v72, v79, v70 :: v_dual_fmac_f32 v77, v97, v68
	s_delay_alu instid0(VALU_DEP_3) | instskip(SKIP_1) | instid1(VALU_DEP_2)
	v_mul_f32_e32 v75, v75, v111
	v_and_b32_e32 v81, 0xffff0000, v65
	v_dual_fmac_f32 v75, v64, v68 :: v_dual_lshlrev_b32 v64, 16, v65
	s_delay_alu instid0(VALU_DEP_4) | instskip(NEXT) | instid1(VALU_DEP_3)
	v_add_f32_e32 v77, v108, v77
	v_mul_f32_e32 v65, v81, v113
	s_waitcnt lgkmcnt(0)
	v_and_b32_e32 v81, 0xffff0000, v60
	v_dual_add_f32 v75, v107, v75 :: v_dual_lshlrev_b32 v60, 16, v60
	s_delay_alu instid0(VALU_DEP_3) | instskip(SKIP_1) | instid1(VALU_DEP_1)
	v_dual_fmac_f32 v65, v64, v69 :: v_dual_lshlrev_b32 v64, 16, v66
	v_add_f32_e32 v74, v77, v74
	v_dual_add_f32 v72, v74, v72 :: v_dual_and_b32 v77, 0xffff0000, v66
	s_delay_alu instid0(VALU_DEP_1) | instskip(SKIP_1) | instid1(VALU_DEP_2)
	v_mul_f32_e32 v66, v77, v76
	v_and_b32_e32 v74, 0xffff0000, v61
	v_dual_add_f32 v65, v75, v65 :: v_dual_fmac_f32 v66, v64, v70
	v_mul_f32_e32 v64, v81, v111
	s_delay_alu instid0(VALU_DEP_2) | instskip(SKIP_1) | instid1(VALU_DEP_3)
	v_dual_add_f32 v65, v65, v66 :: v_dual_and_b32 v66, 0xffff0000, v67
	v_and_b32_e32 v79, 0xffff0000, v96
	v_fmac_f32_e32 v64, v60, v68
	v_lshlrev_b32_e32 v60, 16, v61
	v_dual_mul_f32 v61, v74, v113 :: v_dual_and_b32 v68, 0xffff0000, v62
	v_mul_f32_e32 v66, v66, v110
	v_mul_f32_e32 v79, v79, v110
	v_lshlrev_b32_e32 v67, 16, v67
	s_delay_alu instid0(VALU_DEP_4)
	v_dual_fmac_f32 v61, v60, v69 :: v_dual_lshlrev_b32 v60, 16, v62
	v_mul_f32_e32 v62, v68, v76
	v_and_b32_e32 v68, 0xffff0000, v56
	v_lshlrev_b32_e32 v77, 16, v96
	v_add_f32_e32 v64, v106, v64
	v_lshlrev_b32_e32 v56, 16, v56
	v_fmac_f32_e32 v62, v60, v70
	s_waitcnt vmcnt(2)
	v_dual_fmac_f32 v79, v77, v71 :: v_dual_and_b32 v70, 0xffff0000, v49
	v_add_f32_e32 v61, v64, v61
	v_lshlrev_b32_e32 v49, 16, v49
	v_and_b32_e32 v64, 0xffff0000, v63
	v_dual_fmac_f32 v66, v67, v71 :: v_dual_and_b32 v69, 0xffff0000, v48
	s_delay_alu instid0(VALU_DEP_4) | instskip(NEXT) | instid1(VALU_DEP_3)
	v_add_f32_e32 v61, v61, v62
	v_mul_f32_e32 v64, v64, v110
	s_delay_alu instid0(VALU_DEP_3) | instskip(SKIP_1) | instid1(VALU_DEP_2)
	v_dual_mul_f32 v60, v68, v69 :: v_dual_lshlrev_b32 v63, 16, v63
	v_and_b32_e32 v68, 0xffff0000, v57
	v_dual_fmac_f32 v64, v63, v71 :: v_dual_and_b32 v63, 0xffff0000, v53
	s_delay_alu instid0(VALU_DEP_1) | instskip(SKIP_2) | instid1(VALU_DEP_2)
	v_add_f32_e32 v61, v61, v64
	v_lshlrev_b32_e32 v48, 16, v48
	v_and_b32_e32 v64, 0xffff0000, v51
	v_dual_fmac_f32 v60, v56, v48 :: v_dual_lshlrev_b32 v51, 16, v51
	v_dual_mul_f32 v57, v68, v70 :: v_dual_lshlrev_b32 v56, 16, v57
	s_delay_alu instid0(VALU_DEP_2) | instskip(NEXT) | instid1(VALU_DEP_2)
	v_add_f32_e32 v60, v78, v60
	v_dual_fmac_f32 v57, v56, v49 :: v_dual_and_b32 v74, 0xffff0000, v50
	v_and_b32_e32 v68, 0xffff0000, v58
	v_lshlrev_b32_e32 v56, 16, v58
	s_delay_alu instid0(VALU_DEP_3) | instskip(NEXT) | instid1(VALU_DEP_3)
	v_dual_add_f32 v57, v60, v57 :: v_dual_lshlrev_b32 v50, 16, v50
	v_mul_f32_e32 v58, v68, v74
	v_and_b32_e32 v60, 0xffff0000, v52
	v_lshlrev_b32_e32 v52, 16, v52
	s_delay_alu instid0(VALU_DEP_3) | instskip(NEXT) | instid1(VALU_DEP_1)
	v_fmac_f32_e32 v58, v56, v50
	v_dual_add_f32 v56, v72, v79 :: v_dual_add_f32 v57, v57, v58
	s_delay_alu instid0(VALU_DEP_4) | instskip(NEXT) | instid1(VALU_DEP_1)
	v_mul_f32_e32 v58, v60, v69
	v_fmac_f32_e32 v58, v52, v48
	v_dual_mul_f32 v53, v63, v70 :: v_dual_lshlrev_b32 v52, 16, v53
	v_and_b32_e32 v63, 0xffff0000, v54
	s_delay_alu instid0(VALU_DEP_2) | instskip(SKIP_4) | instid1(VALU_DEP_4)
	v_dual_add_f32 v62, v65, v66 :: v_dual_fmac_f32 v53, v52, v49
	v_and_b32_e32 v60, 0xffff0000, v59
	v_lshlrev_b32_e32 v59, 16, v59
	v_lshlrev_b32_e32 v52, 16, v54
	v_mul_f32_e32 v54, v63, v74
	v_mul_f32_e32 v60, v60, v64
	s_delay_alu instid0(VALU_DEP_2) | instskip(SKIP_1) | instid1(VALU_DEP_3)
	v_fmac_f32_e32 v54, v52, v50
	v_lshlrev_b32_e32 v52, 16, v55
	v_fmac_f32_e32 v60, v59, v51
	v_and_b32_e32 v59, 0xffff0000, v55
	s_delay_alu instid0(VALU_DEP_1) | instskip(SKIP_1) | instid1(VALU_DEP_2)
	v_mul_f32_e32 v55, v59, v64
	v_lshlrev_b32_e32 v59, 16, v93
	v_dual_fmac_f32 v55, v52, v51 :: v_dual_add_f32 v52, v57, v60
	v_lshlrev_b32_e32 v57, 16, v94
	v_add_f32_e32 v58, v73, v58
	s_delay_alu instid0(VALU_DEP_1) | instskip(NEXT) | instid1(VALU_DEP_1)
	v_add_f32_e32 v53, v58, v53
	v_add_f32_e32 v53, v53, v54
	s_delay_alu instid0(VALU_DEP_1) | instskip(NEXT) | instid1(VALU_DEP_1)
	v_dual_add_f32 v53, v53, v55 :: v_dual_and_b32 v54, 0xffff0000, v94
	v_dual_mul_f32 v54, v54, v70 :: v_dual_and_b32 v55, 0xffff0000, v91
	s_delay_alu instid0(VALU_DEP_1) | instskip(NEXT) | instid1(VALU_DEP_2)
	v_dual_fmac_f32 v54, v57, v49 :: v_dual_lshlrev_b32 v57, 16, v91
	v_mul_f32_e32 v55, v55, v74
	s_delay_alu instid0(VALU_DEP_1) | instskip(SKIP_1) | instid1(VALU_DEP_1)
	v_fmac_f32_e32 v55, v57, v50
	v_and_b32_e32 v57, 0xffff0000, v92
	v_dual_mul_f32 v57, v57, v64 :: v_dual_and_b32 v58, 0xffff0000, v93
	s_delay_alu instid0(VALU_DEP_1) | instskip(NEXT) | instid1(VALU_DEP_1)
	v_mul_f32_e32 v58, v58, v69
	v_dual_fmac_f32 v58, v59, v48 :: v_dual_and_b32 v59, 0xffff0000, v46
	s_delay_alu instid0(VALU_DEP_1) | instskip(SKIP_2) | instid1(VALU_DEP_3)
	v_add_f32_e32 v56, v56, v58
	v_and_b32_e32 v58, 0xffff0000, v44
	v_lshlrev_b32_e32 v44, 16, v44
	v_add_f32_e32 v54, v56, v54
	s_delay_alu instid0(VALU_DEP_3) | instskip(SKIP_1) | instid1(VALU_DEP_3)
	v_mul_f32_e32 v58, v58, v69
	v_and_b32_e32 v56, 0xffff0000, v45
	v_add_f32_e32 v54, v54, v55
	s_delay_alu instid0(VALU_DEP_3) | instskip(NEXT) | instid1(VALU_DEP_3)
	v_fmac_f32_e32 v58, v44, v48
	v_dual_mul_f32 v45, v56, v70 :: v_dual_lshlrev_b32 v44, 16, v45
	v_and_b32_e32 v55, 0xffff0000, v40
	s_delay_alu instid0(VALU_DEP_2) | instskip(SKIP_2) | instid1(VALU_DEP_1)
	v_dual_fmac_f32 v45, v44, v49 :: v_dual_lshlrev_b32 v40, 16, v40
	v_lshlrev_b32_e32 v44, 16, v46
	v_mul_f32_e32 v46, v59, v74
	v_fmac_f32_e32 v46, v44, v50
	v_mul_f32_e32 v44, v55, v69
	s_delay_alu instid0(VALU_DEP_1) | instskip(NEXT) | instid1(VALU_DEP_1)
	v_dual_fmac_f32 v44, v40, v48 :: v_dual_and_b32 v55, 0xffff0000, v41
	v_dual_mul_f32 v41, v55, v70 :: v_dual_lshlrev_b32 v40, 16, v41
	v_and_b32_e32 v48, 0xffff0000, v42
	s_delay_alu instid0(VALU_DEP_2)
	v_dual_add_f32 v44, v61, v44 :: v_dual_fmac_f32 v41, v40, v49
	v_lshlrev_b32_e32 v56, 16, v92
	v_lshlrev_b32_e32 v40, 16, v42
	s_waitcnt vmcnt(1)
	v_dual_mul_f32 v42, v48, v74 :: v_dual_and_b32 v49, 0xffff0000, v25
	v_dual_add_f32 v41, v44, v41 :: v_dual_and_b32 v44, 0xffff0000, v43
	v_dual_add_f32 v58, v62, v58 :: v_dual_lshlrev_b32 v25, 16, v25
	s_delay_alu instid0(VALU_DEP_3) | instskip(NEXT) | instid1(VALU_DEP_2)
	v_dual_fmac_f32 v42, v40, v50 :: v_dual_lshlrev_b32 v43, 16, v43
	v_dual_mul_f32 v44, v44, v64 :: v_dual_add_f32 v45, v58, v45
	s_delay_alu instid0(VALU_DEP_2) | instskip(SKIP_1) | instid1(VALU_DEP_3)
	v_dual_add_f32 v41, v41, v42 :: v_dual_and_b32 v48, 0xffff0000, v24
	v_lshlrev_b32_e32 v24, 16, v24
	v_fmac_f32_e32 v44, v43, v51
	v_and_b32_e32 v50, 0xffff0000, v26
	v_dual_fmac_f32 v57, v56, v51 :: v_dual_lshlrev_b32 v26, 16, v26
	v_and_b32_e32 v43, 0xffff0000, v34
	s_delay_alu instid0(VALU_DEP_4) | instskip(SKIP_3) | instid1(VALU_DEP_3)
	v_add_f32_e32 v41, v41, v44
	v_dual_add_f32 v45, v45, v46 :: v_dual_and_b32 v46, 0xffff0000, v47
	v_lshlrev_b32_e32 v47, 16, v47
	v_and_b32_e32 v42, 0xffff0000, v39
	v_dual_mul_f32 v46, v46, v64 :: v_dual_lshlrev_b32 v39, 16, v39
	s_delay_alu instid0(VALU_DEP_1) | instskip(SKIP_1) | instid1(VALU_DEP_2)
	v_dual_fmac_f32 v46, v47, v51 :: v_dual_and_b32 v47, 0xffff0000, v36
	v_lshlrev_b32_e32 v36, 16, v36
	v_dual_mul_f32 v40, v47, v48 :: v_dual_and_b32 v47, 0xffff0000, v37
	s_delay_alu instid0(VALU_DEP_1) | instskip(SKIP_1) | instid1(VALU_DEP_3)
	v_fmac_f32_e32 v40, v36, v24
	v_lshlrev_b32_e32 v36, 16, v37
	v_mul_f32_e32 v37, v47, v49
	s_delay_alu instid0(VALU_DEP_3) | instskip(NEXT) | instid1(VALU_DEP_2)
	v_dual_add_f32 v40, v52, v40 :: v_dual_and_b32 v47, 0xffff0000, v38
	v_dual_fmac_f32 v37, v36, v25 :: v_dual_lshlrev_b32 v36, 16, v38
	s_delay_alu instid0(VALU_DEP_1) | instskip(SKIP_1) | instid1(VALU_DEP_2)
	v_dual_mul_f32 v38, v47, v50 :: v_dual_add_f32 v37, v40, v37
	v_and_b32_e32 v40, 0xffff0000, v32
	v_fmac_f32_e32 v38, v36, v26
	v_lshlrev_b32_e32 v32, 16, v32
	v_add_f32_e32 v54, v54, v57
	s_delay_alu instid0(VALU_DEP_3) | instskip(SKIP_1) | instid1(VALU_DEP_2)
	v_dual_mul_f32 v40, v40, v48 :: v_dual_add_f32 v37, v37, v38
	v_and_b32_e32 v38, 0xffff0000, v33
	v_fmac_f32_e32 v40, v32, v24
	v_lshlrev_b32_e32 v32, 16, v33
	s_delay_alu instid0(VALU_DEP_3) | instskip(NEXT) | instid1(VALU_DEP_3)
	v_dual_mul_f32 v33, v38, v49 :: v_dual_and_b32 v38, 0xffff0000, v27
	v_dual_add_f32 v40, v53, v40 :: v_dual_lshlrev_b32 v27, 16, v27
	s_delay_alu instid0(VALU_DEP_2) | instskip(SKIP_1) | instid1(VALU_DEP_2)
	v_dual_fmac_f32 v33, v32, v25 :: v_dual_lshlrev_b32 v32, 16, v34
	v_dual_mul_f32 v34, v43, v50 :: v_dual_and_b32 v43, 0xffff0000, v35
	v_dual_mul_f32 v42, v42, v38 :: v_dual_add_f32 v33, v40, v33
	v_and_b32_e32 v40, 0xffff0000, v89
	s_delay_alu instid0(VALU_DEP_3) | instskip(NEXT) | instid1(VALU_DEP_4)
	v_fmac_f32_e32 v34, v32, v26
	v_dual_mul_f32 v35, v43, v38 :: v_dual_lshlrev_b32 v32, 16, v35
	s_delay_alu instid0(VALU_DEP_4) | instskip(NEXT) | instid1(VALU_DEP_3)
	v_dual_fmac_f32 v42, v39, v27 :: v_dual_lshlrev_b32 v43, 16, v89
	v_dual_add_f32 v33, v33, v34 :: v_dual_mul_f32 v40, v40, v48
	s_delay_alu instid0(VALU_DEP_3) | instskip(SKIP_1) | instid1(VALU_DEP_4)
	v_fmac_f32_e32 v35, v32, v27
	v_and_b32_e32 v39, 0xffff0000, v90
	v_dual_add_f32 v37, v37, v42 :: v_dual_and_b32 v42, 0xffff0000, v29
	s_delay_alu instid0(VALU_DEP_3) | instskip(SKIP_3) | instid1(VALU_DEP_3)
	v_dual_add_f32 v33, v33, v35 :: v_dual_lshlrev_b32 v32, 16, v90
	v_and_b32_e32 v35, 0xffff0000, v28
	v_lshlrev_b32_e32 v28, 16, v28
	v_mul_f32_e32 v34, v39, v49
	v_dual_add_f32 v36, v45, v46 :: v_dual_mul_f32 v35, v35, v48
	s_delay_alu instid0(VALU_DEP_2) | instskip(NEXT) | instid1(VALU_DEP_2)
	v_fmac_f32_e32 v34, v32, v25
	v_dual_fmac_f32 v35, v28, v24 :: v_dual_and_b32 v32, 0xffff0000, v87
	v_lshlrev_b32_e32 v28, 16, v29
	v_dual_mul_f32 v29, v42, v49 :: v_dual_fmac_f32 v40, v43, v24
	s_delay_alu instid0(VALU_DEP_3) | instskip(NEXT) | instid1(VALU_DEP_4)
	v_mul_f32_e32 v32, v32, v50
	v_add_f32_e32 v35, v36, v35
	s_delay_alu instid0(VALU_DEP_3) | instskip(NEXT) | instid1(VALU_DEP_4)
	v_fmac_f32_e32 v29, v28, v25
	v_dual_add_f32 v39, v54, v40 :: v_dual_lshlrev_b32 v40, 16, v87
	s_delay_alu instid0(VALU_DEP_2) | instskip(NEXT) | instid1(VALU_DEP_2)
	v_dual_add_f32 v29, v35, v29 :: v_dual_lshlrev_b32 v28, 16, v30
	v_add_f32_e32 v34, v39, v34
	v_and_b32_e32 v39, 0xffff0000, v30
	s_delay_alu instid0(VALU_DEP_4) | instskip(NEXT) | instid1(VALU_DEP_2)
	v_fmac_f32_e32 v32, v40, v26
	v_dual_mul_f32 v30, v39, v50 :: v_dual_and_b32 v39, 0xffff0000, v20
	v_lshlrev_b32_e32 v20, 16, v20
	s_delay_alu instid0(VALU_DEP_3) | instskip(SKIP_1) | instid1(VALU_DEP_4)
	v_add_f32_e32 v32, v34, v32
	v_and_b32_e32 v34, 0xffff0000, v21
	v_fmac_f32_e32 v30, v28, v26
	s_delay_alu instid0(VALU_DEP_1) | instskip(NEXT) | instid1(VALU_DEP_1)
	v_dual_mul_f32 v28, v39, v48 :: v_dual_add_f32 v29, v29, v30
	v_fmac_f32_e32 v28, v20, v24
	v_lshlrev_b32_e32 v20, 16, v21
	v_dual_mul_f32 v21, v34, v49 :: v_dual_and_b32 v30, 0xffff0000, v22
	v_and_b32_e32 v24, 0xffff0000, v31
	s_delay_alu instid0(VALU_DEP_4) | instskip(SKIP_1) | instid1(VALU_DEP_3)
	v_add_f32_e32 v28, v41, v28
	s_waitcnt vmcnt(0)
	v_dual_fmac_f32 v21, v20, v25 :: v_dual_and_b32 v34, 0xffff0000, v2
	v_lshlrev_b32_e32 v20, 16, v22
	v_dual_mul_f32 v22, v30, v50 :: v_dual_and_b32 v25, 0xffff0000, v16
	s_delay_alu instid0(VALU_DEP_3) | instskip(SKIP_1) | instid1(VALU_DEP_3)
	v_dual_add_f32 v21, v28, v21 :: v_dual_and_b32 v30, 0xffff0000, v0
	v_lshlrev_b32_e32 v16, 16, v16
	v_fmac_f32_e32 v22, v20, v26
	v_lshlrev_b32_e32 v0, 16, v0
	s_delay_alu instid0(VALU_DEP_4) | instskip(SKIP_3) | instid1(VALU_DEP_4)
	v_mul_f32_e32 v20, v25, v30
	v_and_b32_e32 v26, 0xffff0000, v17
	v_and_b32_e32 v28, 0xffff0000, v1
	v_lshlrev_b32_e32 v1, 16, v1
	v_dual_fmac_f32 v20, v16, v0 :: v_dual_and_b32 v25, 0xffff0000, v23
	s_delay_alu instid0(VALU_DEP_3) | instskip(SKIP_2) | instid1(VALU_DEP_4)
	v_dual_mul_f32 v17, v26, v28 :: v_dual_lshlrev_b32 v16, 16, v17
	v_lshlrev_b32_e32 v23, 16, v23
	v_and_b32_e32 v26, 0xffff0000, v18
	v_add_f32_e32 v20, v37, v20
	v_add_f32_e32 v21, v21, v22
	v_dual_fmac_f32 v17, v16, v1 :: v_dual_and_b32 v22, 0xffff0000, v12
	v_lshlrev_b32_e32 v31, 16, v31
	v_lshlrev_b32_e32 v16, 16, v18
	s_delay_alu instid0(VALU_DEP_3) | instskip(SKIP_4) | instid1(VALU_DEP_4)
	v_dual_add_f32 v17, v20, v17 :: v_dual_lshlrev_b32 v2, 16, v2
	v_mul_f32_e32 v25, v25, v38
	v_mul_f32_e32 v24, v24, v38
	;; [unrolled: 1-line block ×3, first 2 shown]
	v_lshlrev_b32_e32 v12, 16, v12
	v_dual_mul_f32 v22, v22, v30 :: v_dual_fmac_f32 v25, v23, v27
	s_delay_alu instid0(VALU_DEP_4) | instskip(NEXT) | instid1(VALU_DEP_4)
	v_dual_fmac_f32 v24, v31, v27 :: v_dual_and_b32 v23, 0xffff0000, v13
	v_fmac_f32_e32 v18, v16, v2
	s_delay_alu instid0(VALU_DEP_3) | instskip(NEXT) | instid1(VALU_DEP_3)
	v_fmac_f32_e32 v22, v12, v0
	v_dual_mul_f32 v13, v23, v28 :: v_dual_lshlrev_b32 v12, 16, v13
	s_delay_alu instid0(VALU_DEP_4) | instskip(NEXT) | instid1(VALU_DEP_4)
	v_add_f32_e32 v20, v29, v24
	v_dual_add_f32 v17, v17, v18 :: v_dual_and_b32 v18, 0xffff0000, v19
	v_and_b32_e32 v24, 0xffff0000, v3
	s_delay_alu instid0(VALU_DEP_4) | instskip(SKIP_1) | instid1(VALU_DEP_3)
	v_dual_add_f32 v22, v33, v22 :: v_dual_fmac_f32 v13, v12, v1
	v_lshlrev_b32_e32 v19, 16, v19
	v_dual_mul_f32 v18, v18, v24 :: v_dual_lshlrev_b32 v3, 16, v3
	v_and_b32_e32 v23, 0xffff0000, v14
	s_delay_alu instid0(VALU_DEP_4) | instskip(SKIP_1) | instid1(VALU_DEP_4)
	v_dual_add_f32 v13, v22, v13 :: v_dual_and_b32 v22, 0xffff0000, v86
	v_lshlrev_b32_e32 v12, 16, v14
	v_fmac_f32_e32 v18, v19, v3
	s_delay_alu instid0(VALU_DEP_4) | instskip(NEXT) | instid1(VALU_DEP_4)
	v_dual_mul_f32 v14, v23, v34 :: v_dual_add_f32 v21, v21, v25
	v_dual_mul_f32 v19, v22, v28 :: v_dual_and_b32 v22, 0xffff0000, v15
	s_delay_alu instid0(VALU_DEP_2) | instskip(SKIP_1) | instid1(VALU_DEP_3)
	v_dual_fmac_f32 v14, v12, v2 :: v_dual_lshlrev_b32 v15, 16, v15
	v_and_b32_e32 v25, 0xffff0000, v85
	v_dual_mul_f32 v22, v22, v24 :: v_dual_lshlrev_b32 v23, 16, v85
	v_lshlrev_b32_e32 v12, 16, v86
	s_delay_alu instid0(VALU_DEP_4) | instskip(SKIP_1) | instid1(VALU_DEP_3)
	v_dual_add_f32 v13, v13, v14 :: v_dual_and_b32 v14, 0xffff0000, v83
	v_add_f32_e32 v110, v17, v18
	v_dual_fmac_f32 v22, v15, v3 :: v_dual_fmac_f32 v19, v12, v1
	v_lshlrev_b32_e32 v12, 16, v83
	s_delay_alu instid0(VALU_DEP_4) | instskip(NEXT) | instid1(VALU_DEP_3)
	v_dual_mul_f32 v14, v14, v34 :: v_dual_and_b32 v15, 0xffff0000, v5
	v_add_f32_e32 v109, v13, v22
	v_mul_f32_e32 v25, v25, v30
	s_delay_alu instid0(VALU_DEP_1) | instskip(SKIP_2) | instid1(VALU_DEP_2)
	v_dual_fmac_f32 v14, v12, v2 :: v_dual_fmac_f32 v25, v23, v0
	v_and_b32_e32 v23, 0xffff0000, v4
	v_lshlrev_b32_e32 v4, 16, v4
	v_mul_f32_e32 v12, v23, v30
	s_delay_alu instid0(VALU_DEP_1) | instskip(SKIP_3) | instid1(VALU_DEP_4)
	v_fmac_f32_e32 v12, v4, v0
	v_dual_mul_f32 v5, v15, v28 :: v_dual_lshlrev_b32 v4, 16, v5
	v_and_b32_e32 v40, 0xffff0000, v88
	v_lshlrev_b32_e32 v15, 16, v84
	v_add_f32_e32 v12, v20, v12
	v_and_b32_e32 v20, 0xffff0000, v9
	v_dual_fmac_f32 v5, v4, v1 :: v_dual_and_b32 v4, 0xffff0000, v6
	v_lshlrev_b32_e32 v6, 16, v6
	v_mul_f32_e32 v40, v40, v38
	s_delay_alu instid0(VALU_DEP_3) | instskip(NEXT) | instid1(VALU_DEP_4)
	v_add_f32_e32 v5, v12, v5
	v_mul_f32_e32 v4, v4, v34
	s_delay_alu instid0(VALU_DEP_1) | instskip(SKIP_2) | instid1(VALU_DEP_3)
	v_fmac_f32_e32 v4, v6, v2
	v_and_b32_e32 v6, 0xffff0000, v10
	v_lshlrev_b32_e32 v36, 16, v88
	v_add_f32_e32 v4, v5, v4
	s_delay_alu instid0(VALU_DEP_2) | instskip(NEXT) | instid1(VALU_DEP_1)
	v_fmac_f32_e32 v40, v36, v27
	v_add_f32_e32 v16, v32, v40
	s_delay_alu instid0(VALU_DEP_1) | instskip(NEXT) | instid1(VALU_DEP_1)
	v_add_f32_e32 v16, v16, v25
	v_dual_add_f32 v16, v16, v19 :: v_dual_and_b32 v19, 0xffff0000, v8
	v_lshlrev_b32_e32 v8, 16, v8
	s_delay_alu instid0(VALU_DEP_2) | instskip(NEXT) | instid1(VALU_DEP_3)
	v_add_f32_e32 v14, v16, v14
	v_dual_mul_f32 v19, v19, v30 :: v_dual_and_b32 v16, 0xffff0000, v84
	s_delay_alu instid0(VALU_DEP_1) | instskip(SKIP_1) | instid1(VALU_DEP_3)
	v_dual_fmac_f32 v19, v8, v0 :: v_dual_lshlrev_b32 v0, 16, v9
	v_dual_mul_f32 v8, v20, v28 :: v_dual_and_b32 v9, 0xffff0000, v7
	v_mul_f32_e32 v16, v16, v24
	s_delay_alu instid0(VALU_DEP_3) | instskip(NEXT) | instid1(VALU_DEP_3)
	v_add_f32_e32 v12, v21, v19
	v_fmac_f32_e32 v8, v0, v1
	v_lshlrev_b32_e32 v0, 16, v10
	v_dual_mul_f32 v1, v6, v34 :: v_dual_lshlrev_b32 v6, 16, v7
	v_and_b32_e32 v7, 0xffff0000, v11
	v_mul_f32_e32 v9, v9, v24
	v_add_f32_e32 v8, v12, v8
	s_delay_alu instid0(VALU_DEP_4) | instskip(NEXT) | instid1(VALU_DEP_4)
	v_dual_fmac_f32 v1, v0, v2 :: v_dual_lshlrev_b32 v0, 16, v11
	v_mul_f32_e32 v2, v7, v24
	v_fmac_f32_e32 v16, v15, v3
	v_fmac_f32_e32 v9, v6, v3
	s_delay_alu instid0(VALU_DEP_4) | instskip(NEXT) | instid1(VALU_DEP_4)
	v_add_f32_e32 v1, v8, v1
	v_fmac_f32_e32 v2, v0, v3
	s_delay_alu instid0(VALU_DEP_3) | instskip(NEXT) | instid1(VALU_DEP_2)
	v_dual_add_f32 v108, v14, v16 :: v_dual_add_f32 v107, v4, v9
	v_add_f32_e32 v106, v1, v2
	s_cbranch_scc1 .LBB278_25
.LBB278_20:                             ;   Parent Loop BB278_14 Depth=1
                                        ; =>  This Inner Loop Header: Depth=2
	v_dual_mov_b32 v11, 0 :: v_dual_add_nc_u32 v8, s25, v99
	v_dual_mov_b32 v84, 0 :: v_dual_mov_b32 v15, 0
	v_dual_mov_b32 v86, 0 :: v_dual_mov_b32 v13, 0
	s_delay_alu instid0(VALU_DEP_3) | instskip(SKIP_3) | instid1(VALU_DEP_4)
	v_min_u32_e32 v81, s14, v8
	v_dual_mov_b32 v9, 0 :: v_dual_add_nc_u32 v116, 0x100, v8
	v_add_nc_u32_e32 v112, 0x200, v8
	v_dual_mov_b32 v10, 0 :: v_dual_add_nc_u32 v111, 0x300, v8
	v_lshlrev_b64 v[0:1], 1, v[81:82]
	s_delay_alu instid0(VALU_DEP_4) | instskip(SKIP_2) | instid1(VALU_DEP_3)
	v_min_u32_e32 v81, s14, v116
	v_dual_mov_b32 v14, 0 :: v_dual_mov_b32 v19, 0
	v_dual_mov_b32 v12, 0 :: v_dual_mov_b32 v17, 0
	v_lshlrev_b64 v[2:3], 1, v[81:82]
	v_min_u32_e32 v81, s14, v112
	v_add_co_u32 v0, vcc_lo, v104, v0
	v_add_co_ci_u32_e32 v1, vcc_lo, v105, v1, vcc_lo
	s_delay_alu instid0(VALU_DEP_3) | instskip(SKIP_3) | instid1(VALU_DEP_3)
	v_lshlrev_b64 v[4:5], 1, v[81:82]
	v_min_u32_e32 v81, s14, v111
	v_add_co_u32 v2, vcc_lo, v104, v2
	v_add_co_ci_u32_e32 v3, vcc_lo, v105, v3, vcc_lo
	v_lshlrev_b64 v[6:7], 1, v[81:82]
	v_add_co_u32 v4, vcc_lo, v104, v4
	v_add_co_ci_u32_e32 v5, vcc_lo, v105, v5, vcc_lo
	v_mov_b32_e32 v83, 0
	s_delay_alu instid0(VALU_DEP_4)
	v_add_co_u32 v6, vcc_lo, v104, v6
	v_add_co_ci_u32_e32 v7, vcc_lo, v105, v7, vcc_lo
	s_clause 0x3
	global_load_b128 v[68:71], v[0:1], off slc dlc
	global_load_b128 v[48:51], v[2:3], off slc dlc
	;; [unrolled: 1-line block ×4, first 2 shown]
	v_cmp_gt_u32_e32 vcc_lo, s4, v8
	v_dual_mov_b32 v8, 0 :: v_dual_mov_b32 v5, 0
	v_dual_mov_b32 v7, 0 :: v_dual_mov_b32 v6, 0
	;; [unrolled: 1-line block ×33, first 2 shown]
	v_mov_b32_e32 v78, 0
	v_mov_b32_e32 v76, 0
	s_and_saveexec_b32 s26, vcc_lo
	s_cbranch_execz .LBB278_19
; %bb.21:                               ;   in Loop: Header=BB278_20 Depth=2
	v_dual_mov_b32 v56, 0 :: v_dual_add_nc_u32 v113, s6, v103
	v_dual_mov_b32 v58, 0 :: v_dual_add_nc_u32 v115, s23, v103
	;; [unrolled: 1-line block ×4, first 2 shown]
	ds_load_b128 v[72:75], v113
	ds_load_2addr_b32 v[97:98], v115 offset1:1
	ds_load_2addr_b32 v[95:96], v115 offset0:2 offset1:3
	ds_load_b128 v[64:67], v114
	ds_load_b128 v[76:79], v103
	ds_load_2addr_b64 v[60:63], v81 offset1:1
	v_cmp_gt_u32_e32 vcc_lo, s4, v116
	v_dual_mov_b32 v59, 0 :: v_dual_mov_b32 v54, 0
	v_dual_mov_b32 v53, 0 :: v_dual_mov_b32 v94, 0
	;; [unrolled: 1-line block ×27, first 2 shown]
	v_mov_b32_e32 v9, 0
	v_mov_b32_e32 v11, 0
	s_and_saveexec_b32 s27, vcc_lo
	s_cbranch_execz .LBB278_18
; %bb.22:                               ;   in Loop: Header=BB278_20 Depth=2
	ds_load_b128 v[52:55], v113 offset:512
	ds_load_2addr_b32 v[93:94], v115 offset0:128 offset1:129
	ds_load_2addr_b32 v[91:92], v115 offset0:130 offset1:131
	ds_load_b128 v[44:47], v114 offset:512
	ds_load_b128 v[56:59], v103 offset:512
	ds_load_2addr_b64 v[40:43], v81 offset0:64 offset1:65
	v_cmp_gt_u32_e32 vcc_lo, s4, v112
	v_dual_mov_b32 v36, 0 :: v_dual_mov_b32 v37, 0
	v_dual_mov_b32 v38, 0 :: v_dual_mov_b32 v39, 0
	;; [unrolled: 1-line block ×20, first 2 shown]
	s_and_saveexec_b32 s28, vcc_lo
	s_cbranch_execz .LBB278_17
; %bb.23:                               ;   in Loop: Header=BB278_20 Depth=2
	v_dual_mov_b32 v17, 0 :: v_dual_add_nc_u32 v4, 0x408, v115
	v_dual_mov_b32 v16, 0 :: v_dual_add_nc_u32 v5, 0x400, v115
	ds_load_b128 v[32:35], v113 offset:1024
	ds_load_b128 v[28:31], v114 offset:1024
	;; [unrolled: 1-line block ×3, first 2 shown]
	ds_load_2addr_b32 v[87:88], v4 offset1:1
	ds_load_2addr_b32 v[89:90], v5 offset1:1
	ds_load_2addr_b64 v[20:23], v81 offset0:128 offset1:129
	v_cmp_gt_u32_e32 vcc_lo, s4, v111
	v_dual_mov_b32 v18, 0 :: v_dual_mov_b32 v19, 0
	v_dual_mov_b32 v12, 0 :: v_dual_mov_b32 v13, 0
	;; [unrolled: 1-line block ×9, first 2 shown]
	s_and_saveexec_b32 s29, vcc_lo
	s_cbranch_execz .LBB278_16
; %bb.24:                               ;   in Loop: Header=BB278_20 Depth=2
	v_add_nc_u32_e32 v8, 0x608, v115
	v_add_nc_u32_e32 v9, 0x600, v115
	ds_load_b128 v[12:15], v113 offset:1536
	ds_load_b128 v[4:7], v114 offset:1536
	;; [unrolled: 1-line block ×3, first 2 shown]
	ds_load_2addr_b32 v[83:84], v8 offset1:1
	ds_load_2addr_b32 v[85:86], v9 offset1:1
	ds_load_2addr_b64 v[8:11], v81 offset0:192 offset1:193
	s_branch .LBB278_16
.LBB278_25:                             ;   in Loop: Header=BB278_14 Depth=1
	; sched_barrier mask(0x00000000)
	s_delay_alu instid0(VALU_DEP_1)
	v_cvt_i32_f32_e32 v0, v110
	s_waitcnt lgkmcnt(0)
	v_cvt_i32_f32_e32 v1, v109
	v_cvt_i32_f32_e32 v2, v108
	;; [unrolled: 1-line block ×4, first 2 shown]
	v_cvt_f32_i32_dpp v0, v0 row_shr:8 row_mask:0xf bank_mask:0xf bound_ctrl:1
	v_cvt_f32_i32_dpp v1, v1 row_shr:8 row_mask:0xf bank_mask:0xf bound_ctrl:1
	;; [unrolled: 1-line block ×5, first 2 shown]
	s_delay_alu instid0(VALU_DEP_4) | instskip(NEXT) | instid1(VALU_DEP_3)
	v_dual_add_f32 v0, v110, v0 :: v_dual_add_f32 v1, v109, v1
	v_dual_add_f32 v2, v108, v2 :: v_dual_add_f32 v3, v107, v3
	s_delay_alu instid0(VALU_DEP_2) | instskip(NEXT) | instid1(VALU_DEP_3)
	v_cvt_i32_f32_e32 v5, v0
	v_cvt_i32_f32_e32 v6, v1
	s_delay_alu instid0(VALU_DEP_3) | instskip(NEXT) | instid1(VALU_DEP_4)
	v_cvt_i32_f32_e32 v7, v2
	v_cvt_i32_f32_e32 v8, v3
	s_delay_alu instid0(VALU_DEP_4) | instskip(NEXT) | instid1(VALU_DEP_4)
	v_cvt_f32_i32_dpp v5, v5 row_shr:4 row_mask:0xf bank_mask:0xf bound_ctrl:1
	v_cvt_f32_i32_dpp v6, v6 row_shr:4 row_mask:0xf bank_mask:0xf bound_ctrl:1
	v_add_f32_e32 v4, v106, v4
	v_cvt_f32_i32_dpp v7, v7 row_shr:4 row_mask:0xf bank_mask:0xf bound_ctrl:1
	v_cvt_f32_i32_dpp v8, v8 row_shr:4 row_mask:0xf bank_mask:0xf bound_ctrl:1
	s_delay_alu instid0(VALU_DEP_4) | instskip(NEXT) | instid1(VALU_DEP_4)
	v_dual_add_f32 v0, v0, v5 :: v_dual_add_f32 v1, v1, v6
	v_cvt_i32_f32_e32 v9, v4
	s_delay_alu instid0(VALU_DEP_3) | instskip(NEXT) | instid1(VALU_DEP_3)
	v_add_f32_e32 v3, v3, v8
	v_cvt_i32_f32_e32 v5, v0
	s_delay_alu instid0(VALU_DEP_4) | instskip(NEXT) | instid1(VALU_DEP_4)
	v_cvt_i32_f32_e32 v6, v1
	v_cvt_f32_i32_dpp v9, v9 row_shr:4 row_mask:0xf bank_mask:0xf bound_ctrl:1
	s_delay_alu instid0(VALU_DEP_4) | instskip(NEXT) | instid1(VALU_DEP_4)
	v_cvt_i32_f32_e32 v8, v3
	v_cvt_f32_i32_dpp v5, v5 row_shr:2 row_mask:0xf bank_mask:0xf bound_ctrl:1
	s_delay_alu instid0(VALU_DEP_4) | instskip(SKIP_1) | instid1(VALU_DEP_4)
	v_cvt_f32_i32_dpp v6, v6 row_shr:2 row_mask:0xf bank_mask:0xf bound_ctrl:1
	v_add_f32_e32 v2, v2, v7
	v_cvt_f32_i32_dpp v8, v8 row_shr:2 row_mask:0xf bank_mask:0xf bound_ctrl:1
	s_delay_alu instid0(VALU_DEP_3) | instskip(NEXT) | instid1(VALU_DEP_3)
	v_dual_add_f32 v4, v4, v9 :: v_dual_add_f32 v1, v1, v6
	v_cvt_i32_f32_e32 v7, v2
	s_delay_alu instid0(VALU_DEP_3) | instskip(NEXT) | instid1(VALU_DEP_3)
	v_add_f32_e32 v3, v3, v8
	v_cvt_i32_f32_e32 v9, v4
	s_delay_alu instid0(VALU_DEP_4) | instskip(NEXT) | instid1(VALU_DEP_4)
	v_cvt_i32_f32_e32 v6, v1
	v_cvt_f32_i32_dpp v7, v7 row_shr:2 row_mask:0xf bank_mask:0xf bound_ctrl:1
	s_delay_alu instid0(VALU_DEP_4) | instskip(NEXT) | instid1(VALU_DEP_4)
	v_cvt_i32_f32_e32 v8, v3
	v_cvt_f32_i32_dpp v9, v9 row_shr:2 row_mask:0xf bank_mask:0xf bound_ctrl:1
	s_delay_alu instid0(VALU_DEP_4) | instskip(NEXT) | instid1(VALU_DEP_4)
	v_cvt_f32_i32_dpp v6, v6 row_shr:1 row_mask:0xf bank_mask:0xf bound_ctrl:1
	v_add_f32_e32 v2, v2, v7
	s_delay_alu instid0(VALU_DEP_4) | instskip(NEXT) | instid1(VALU_DEP_4)
	v_cvt_f32_i32_dpp v10, v8 row_shr:1 row_mask:0xf bank_mask:0xf bound_ctrl:1
	v_add_f32_e32 v4, v4, v9
	s_delay_alu instid0(VALU_DEP_4) | instskip(NEXT) | instid1(VALU_DEP_4)
	v_add_f32_e32 v8, v1, v6
	v_cvt_i32_f32_e32 v7, v2
	s_delay_alu instid0(VALU_DEP_3) | instskip(NEXT) | instid1(VALU_DEP_2)
	v_cvt_i32_f32_e32 v9, v4
	v_cvt_f32_i32_dpp v7, v7 row_shr:1 row_mask:0xf bank_mask:0xf bound_ctrl:1
	v_add_f32_e32 v0, v0, v5
	s_delay_alu instid0(VALU_DEP_3) | instskip(NEXT) | instid1(VALU_DEP_2)
	v_cvt_f32_i32_dpp v9, v9 row_shr:1 row_mask:0xf bank_mask:0xf bound_ctrl:1
	v_cvt_i32_f32_e32 v5, v0
	s_delay_alu instid0(VALU_DEP_1) | instskip(NEXT) | instid1(VALU_DEP_1)
	v_cvt_f32_i32_dpp v5, v5 row_shr:1 row_mask:0xf bank_mask:0xf bound_ctrl:1
	v_add_f32_e32 v11, v0, v5
	v_dual_add_f32 v5, v2, v7 :: v_dual_add_f32 v2, v3, v10
	v_add_f32_e32 v0, v4, v9
	ds_bpermute_b32 v9, v101, v8
	ds_bpermute_b32 v12, v101, v11
	;; [unrolled: 1-line block ×5, first 2 shown]
	s_and_saveexec_b32 s25, s0
	s_cbranch_execz .LBB278_13
; %bb.26:                               ;   in Loop: Header=BB278_14 Depth=1
	v_dual_mov_b32 v14, 0 :: v_dual_mov_b32 v13, 0
	v_dual_mov_b32 v10, 0 :: v_dual_mov_b32 v7, 0
	v_mov_b32_e32 v4, 0
	s_and_not1_b32 vcc_lo, exec_lo, s18
	s_cbranch_vccnz .LBB278_28
; %bb.27:                               ;   in Loop: Header=BB278_14 Depth=1
	v_mul_hi_u32 v4, v80, v102
	v_mov_b32_e32 v14, v82
	s_delay_alu instid0(VALU_DEP_2) | instskip(NEXT) | instid1(VALU_DEP_1)
	v_mul_lo_u32 v4, v4, s2
	v_sub_nc_u32_e32 v4, v80, v4
	s_delay_alu instid0(VALU_DEP_1) | instskip(SKIP_1) | instid1(VALU_DEP_2)
	v_subrev_nc_u32_e32 v7, s2, v4
	v_cmp_le_u32_e32 vcc_lo, s2, v4
	v_cndmask_b32_e32 v4, v4, v7, vcc_lo
	s_delay_alu instid0(VALU_DEP_1) | instskip(SKIP_1) | instid1(VALU_DEP_2)
	v_subrev_nc_u32_e32 v7, s2, v4
	v_cmp_le_u32_e32 vcc_lo, s2, v4
	v_dual_cndmask_b32 v81, v4, v7 :: v_dual_mov_b32 v16, v82
	s_delay_alu instid0(VALU_DEP_1)
	v_dual_mov_b32 v18, v82 :: v_dual_add_nc_u32 v17, s21, v81
	v_add_nc_u32_e32 v13, s19, v81
	v_lshlrev_b64 v[19:20], 1, v[81:82]
	v_add_nc_u32_e32 v15, s20, v81
	v_add_nc_u32_e32 v81, s24, v81
	v_lshlrev_b64 v[17:18], 1, v[17:18]
	v_lshlrev_b64 v[13:14], 1, v[13:14]
	s_delay_alu instid0(VALU_DEP_4) | instskip(SKIP_2) | instid1(VALU_DEP_4)
	v_lshlrev_b64 v[15:16], 1, v[15:16]
	v_add_co_u32 v19, vcc_lo, s8, v19
	v_add_co_ci_u32_e32 v20, vcc_lo, s9, v20, vcc_lo
	v_add_co_u32 v23, vcc_lo, s8, v13
	v_add_co_ci_u32_e32 v24, vcc_lo, s9, v14, vcc_lo
	v_lshlrev_b64 v[21:22], 1, v[81:82]
	v_add_co_u32 v15, vcc_lo, s8, v15
	v_add_co_ci_u32_e32 v16, vcc_lo, s9, v16, vcc_lo
	v_add_co_u32 v17, vcc_lo, s8, v17
	v_add_co_ci_u32_e32 v18, vcc_lo, s9, v18, vcc_lo
	;; [unrolled: 2-line block ×3, first 2 shown]
	s_clause 0x4
	global_load_u16 v14, v[19:20], off
	global_load_u16 v13, v[23:24], off
	;; [unrolled: 1-line block ×5, first 2 shown]
.LBB278_28:                             ;   in Loop: Header=BB278_14 Depth=1
	s_waitcnt vmcnt(4) lgkmcnt(3)
	v_dual_add_f32 v11, v11, v12 :: v_dual_lshlrev_b32 v12, 16, v14
	s_delay_alu instid0(VALU_DEP_1) | instskip(NEXT) | instid1(VALU_DEP_1)
	v_add_f32_e32 v12, v11, v12
	v_and_b32_e32 v11, 0x7f800000, v12
	s_delay_alu instid0(VALU_DEP_1) | instskip(SKIP_1) | instid1(SALU_CYCLE_1)
	v_cmp_ne_u32_e32 vcc_lo, 0x7f800000, v11
                                        ; implicit-def: $vgpr11
	s_and_saveexec_b32 s26, vcc_lo
	s_xor_b32 s26, exec_lo, s26
; %bb.29:                               ;   in Loop: Header=BB278_14 Depth=1
	v_bfe_u32 v11, v12, 16, 1
	s_delay_alu instid0(VALU_DEP_1)
	v_add3_u32 v11, v12, v11, 0x7fff
                                        ; implicit-def: $vgpr12
; %bb.30:                               ;   in Loop: Header=BB278_14 Depth=1
	s_and_not1_saveexec_b32 s26, s26
; %bb.31:                               ;   in Loop: Header=BB278_14 Depth=1
	v_and_b32_e32 v11, 0xffff, v12
	v_or_b32_e32 v14, 0x10000, v12
	s_delay_alu instid0(VALU_DEP_2) | instskip(NEXT) | instid1(VALU_DEP_2)
	v_cmp_eq_u32_e32 vcc_lo, 0, v11
	v_cndmask_b32_e32 v11, v14, v12, vcc_lo
; %bb.32:                               ;   in Loop: Header=BB278_14 Depth=1
	s_or_b32 exec_lo, exec_lo, s26
	v_dual_add_f32 v8, v8, v9 :: v_dual_mov_b32 v81, v82
	s_waitcnt vmcnt(3)
	v_lshlrev_b32_e32 v9, 16, v13
	s_delay_alu instid0(VALU_DEP_2) | instskip(NEXT) | instid1(VALU_DEP_2)
	v_lshlrev_b64 v[12:13], 1, v[80:81]
	v_add_f32_e32 v9, v8, v9
	s_delay_alu instid0(VALU_DEP_1) | instskip(NEXT) | instid1(VALU_DEP_3)
	v_and_b32_e32 v8, 0x7f800000, v9
	v_add_co_u32 v12, vcc_lo, s10, v12
	s_delay_alu instid0(VALU_DEP_4) | instskip(NEXT) | instid1(VALU_DEP_3)
	v_add_co_ci_u32_e32 v13, vcc_lo, s11, v13, vcc_lo
	v_cmp_ne_u32_e32 vcc_lo, 0x7f800000, v8
                                        ; implicit-def: $vgpr8
	global_store_d16_hi_b16 v[12:13], v11, off
	s_and_saveexec_b32 s26, vcc_lo
	s_delay_alu instid0(SALU_CYCLE_1)
	s_xor_b32 s26, exec_lo, s26
; %bb.33:                               ;   in Loop: Header=BB278_14 Depth=1
	v_bfe_u32 v8, v9, 16, 1
	s_delay_alu instid0(VALU_DEP_1)
	v_add3_u32 v8, v9, v8, 0x7fff
                                        ; implicit-def: $vgpr9
; %bb.34:                               ;   in Loop: Header=BB278_14 Depth=1
	s_and_not1_saveexec_b32 s26, s26
; %bb.35:                               ;   in Loop: Header=BB278_14 Depth=1
	v_and_b32_e32 v8, 0xffff, v9
	v_or_b32_e32 v11, 0x10000, v9
	s_delay_alu instid0(VALU_DEP_2) | instskip(NEXT) | instid1(VALU_DEP_2)
	v_cmp_eq_u32_e32 vcc_lo, 0, v8
	v_cndmask_b32_e32 v8, v11, v9, vcc_lo
; %bb.36:                               ;   in Loop: Header=BB278_14 Depth=1
	s_or_b32 exec_lo, exec_lo, s26
	s_waitcnt lgkmcnt(2)
	v_add_f32_e32 v5, v5, v6
	s_waitcnt vmcnt(2)
	v_lshlrev_b32_e32 v6, 16, v10
	s_delay_alu instid0(VALU_DEP_1) | instskip(NEXT) | instid1(VALU_DEP_1)
	v_dual_add_f32 v6, v5, v6 :: v_dual_add_nc_u32 v81, s7, v80
	v_lshlrev_b64 v[9:10], 1, v[81:82]
	s_delay_alu instid0(VALU_DEP_2) | instskip(NEXT) | instid1(VALU_DEP_2)
	v_and_b32_e32 v5, 0x7f800000, v6
	v_add_co_u32 v9, vcc_lo, s10, v9
	s_delay_alu instid0(VALU_DEP_3) | instskip(NEXT) | instid1(VALU_DEP_3)
	v_add_co_ci_u32_e32 v10, vcc_lo, s11, v10, vcc_lo
	v_cmp_ne_u32_e32 vcc_lo, 0x7f800000, v5
                                        ; implicit-def: $vgpr5
	global_store_d16_hi_b16 v[9:10], v8, off
	s_and_saveexec_b32 s26, vcc_lo
	s_delay_alu instid0(SALU_CYCLE_1)
	s_xor_b32 s26, exec_lo, s26
; %bb.37:                               ;   in Loop: Header=BB278_14 Depth=1
	v_bfe_u32 v5, v6, 16, 1
	s_delay_alu instid0(VALU_DEP_1)
	v_add3_u32 v5, v6, v5, 0x7fff
                                        ; implicit-def: $vgpr6
; %bb.38:                               ;   in Loop: Header=BB278_14 Depth=1
	s_and_not1_saveexec_b32 s26, s26
; %bb.39:                               ;   in Loop: Header=BB278_14 Depth=1
	v_and_b32_e32 v5, 0xffff, v6
	v_or_b32_e32 v8, 0x10000, v6
	s_delay_alu instid0(VALU_DEP_2) | instskip(NEXT) | instid1(VALU_DEP_2)
	v_cmp_eq_u32_e32 vcc_lo, 0, v5
	v_cndmask_b32_e32 v5, v8, v6, vcc_lo
; %bb.40:                               ;   in Loop: Header=BB278_14 Depth=1
	s_or_b32 exec_lo, exec_lo, s26
	s_waitcnt lgkmcnt(1)
	v_dual_add_f32 v2, v2, v3 :: v_dual_add_nc_u32 v81, s7, v81
	s_waitcnt vmcnt(1)
	v_lshlrev_b32_e32 v3, 16, v7
	s_delay_alu instid0(VALU_DEP_2) | instskip(NEXT) | instid1(VALU_DEP_2)
	v_lshlrev_b64 v[6:7], 1, v[81:82]
	v_add_f32_e32 v3, v2, v3
	s_delay_alu instid0(VALU_DEP_1) | instskip(NEXT) | instid1(VALU_DEP_3)
	v_and_b32_e32 v2, 0x7f800000, v3
	v_add_co_u32 v6, vcc_lo, s10, v6
	s_delay_alu instid0(VALU_DEP_4) | instskip(NEXT) | instid1(VALU_DEP_3)
	v_add_co_ci_u32_e32 v7, vcc_lo, s11, v7, vcc_lo
	v_cmp_ne_u32_e32 vcc_lo, 0x7f800000, v2
                                        ; implicit-def: $vgpr2
	global_store_d16_hi_b16 v[6:7], v5, off
	s_and_saveexec_b32 s26, vcc_lo
	s_delay_alu instid0(SALU_CYCLE_1)
	s_xor_b32 s26, exec_lo, s26
; %bb.41:                               ;   in Loop: Header=BB278_14 Depth=1
	v_bfe_u32 v2, v3, 16, 1
	s_delay_alu instid0(VALU_DEP_1)
	v_add3_u32 v2, v3, v2, 0x7fff
                                        ; implicit-def: $vgpr3
; %bb.42:                               ;   in Loop: Header=BB278_14 Depth=1
	s_and_not1_saveexec_b32 s26, s26
; %bb.43:                               ;   in Loop: Header=BB278_14 Depth=1
	v_and_b32_e32 v2, 0xffff, v3
	v_or_b32_e32 v5, 0x10000, v3
	s_delay_alu instid0(VALU_DEP_2) | instskip(NEXT) | instid1(VALU_DEP_2)
	v_cmp_eq_u32_e32 vcc_lo, 0, v2
	v_cndmask_b32_e32 v2, v5, v3, vcc_lo
; %bb.44:                               ;   in Loop: Header=BB278_14 Depth=1
	s_or_b32 exec_lo, exec_lo, s26
	s_waitcnt vmcnt(0) lgkmcnt(0)
	v_dual_add_f32 v0, v0, v1 :: v_dual_lshlrev_b32 v1, 16, v4
	v_add_nc_u32_e32 v81, s7, v81
	s_delay_alu instid0(VALU_DEP_2) | instskip(NEXT) | instid1(VALU_DEP_2)
	v_add_f32_e32 v1, v0, v1
	v_lshlrev_b64 v[3:4], 1, v[81:82]
	s_delay_alu instid0(VALU_DEP_2) | instskip(NEXT) | instid1(VALU_DEP_2)
	v_and_b32_e32 v0, 0x7f800000, v1
	v_add_co_u32 v3, vcc_lo, s10, v3
	s_delay_alu instid0(VALU_DEP_3) | instskip(NEXT) | instid1(VALU_DEP_3)
	v_add_co_ci_u32_e32 v4, vcc_lo, s11, v4, vcc_lo
	v_cmp_ne_u32_e32 vcc_lo, 0x7f800000, v0
                                        ; implicit-def: $vgpr0
	global_store_d16_hi_b16 v[3:4], v2, off
	s_and_saveexec_b32 s26, vcc_lo
	s_delay_alu instid0(SALU_CYCLE_1)
	s_xor_b32 s26, exec_lo, s26
; %bb.45:                               ;   in Loop: Header=BB278_14 Depth=1
	v_bfe_u32 v0, v1, 16, 1
	s_delay_alu instid0(VALU_DEP_1)
	v_add3_u32 v0, v1, v0, 0x7fff
                                        ; implicit-def: $vgpr1
; %bb.46:                               ;   in Loop: Header=BB278_14 Depth=1
	s_and_not1_saveexec_b32 s26, s26
	s_cbranch_execz .LBB278_12
; %bb.47:                               ;   in Loop: Header=BB278_14 Depth=1
	v_and_b32_e32 v0, 0xffff, v1
	v_or_b32_e32 v2, 0x10000, v1
	s_delay_alu instid0(VALU_DEP_2) | instskip(NEXT) | instid1(VALU_DEP_2)
	v_cmp_eq_u32_e32 vcc_lo, 0, v0
	v_cndmask_b32_e32 v0, v2, v1, vcc_lo
	s_branch .LBB278_12
.LBB278_48:
	s_nop 0
	s_sendmsg sendmsg(MSG_DEALLOC_VGPRS)
	s_endpgm
	.section	.rodata,"a",@progbits
	.p2align	6, 0x0
	.amdhsa_kernel _Z16wvSplitK_hf_sml_I14__hip_bfloat16Li32ELi1ELi16ELi8ELi4ELi5EEviiiiiiPKT_S3_S3_PS1_ii
		.amdhsa_group_segment_fixed_size 65536
		.amdhsa_private_segment_fixed_size 0
		.amdhsa_kernarg_size 64
		.amdhsa_user_sgpr_count 15
		.amdhsa_user_sgpr_dispatch_ptr 0
		.amdhsa_user_sgpr_queue_ptr 0
		.amdhsa_user_sgpr_kernarg_segment_ptr 1
		.amdhsa_user_sgpr_dispatch_id 0
		.amdhsa_user_sgpr_private_segment_size 0
		.amdhsa_wavefront_size32 1
		.amdhsa_uses_dynamic_stack 0
		.amdhsa_enable_private_segment 0
		.amdhsa_system_sgpr_workgroup_id_x 1
		.amdhsa_system_sgpr_workgroup_id_y 0
		.amdhsa_system_sgpr_workgroup_id_z 0
		.amdhsa_system_sgpr_workgroup_info 0
		.amdhsa_system_vgpr_workitem_id 1
		.amdhsa_next_free_vgpr 117
		.amdhsa_next_free_sgpr 30
		.amdhsa_reserve_vcc 1
		.amdhsa_float_round_mode_32 0
		.amdhsa_float_round_mode_16_64 0
		.amdhsa_float_denorm_mode_32 3
		.amdhsa_float_denorm_mode_16_64 3
		.amdhsa_dx10_clamp 1
		.amdhsa_ieee_mode 1
		.amdhsa_fp16_overflow 0
		.amdhsa_workgroup_processor_mode 1
		.amdhsa_memory_ordered 1
		.amdhsa_forward_progress 0
		.amdhsa_shared_vgpr_count 0
		.amdhsa_exception_fp_ieee_invalid_op 0
		.amdhsa_exception_fp_denorm_src 0
		.amdhsa_exception_fp_ieee_div_zero 0
		.amdhsa_exception_fp_ieee_overflow 0
		.amdhsa_exception_fp_ieee_underflow 0
		.amdhsa_exception_fp_ieee_inexact 0
		.amdhsa_exception_int_div_zero 0
	.end_amdhsa_kernel
	.section	.text._Z16wvSplitK_hf_sml_I14__hip_bfloat16Li32ELi1ELi16ELi8ELi4ELi5EEviiiiiiPKT_S3_S3_PS1_ii,"axG",@progbits,_Z16wvSplitK_hf_sml_I14__hip_bfloat16Li32ELi1ELi16ELi8ELi4ELi5EEviiiiiiPKT_S3_S3_PS1_ii,comdat
.Lfunc_end278:
	.size	_Z16wvSplitK_hf_sml_I14__hip_bfloat16Li32ELi1ELi16ELi8ELi4ELi5EEviiiiiiPKT_S3_S3_PS1_ii, .Lfunc_end278-_Z16wvSplitK_hf_sml_I14__hip_bfloat16Li32ELi1ELi16ELi8ELi4ELi5EEviiiiiiPKT_S3_S3_PS1_ii
                                        ; -- End function
	.section	.AMDGPU.csdata,"",@progbits
; Kernel info:
; codeLenInByte = 6464
; NumSgprs: 32
; NumVgprs: 117
; ScratchSize: 0
; MemoryBound: 0
; FloatMode: 240
; IeeeMode: 1
; LDSByteSize: 65536 bytes/workgroup (compile time only)
; SGPRBlocks: 3
; VGPRBlocks: 14
; NumSGPRsForWavesPerEU: 32
; NumVGPRsForWavesPerEU: 117
; Occupancy: 8
; WaveLimiterHint : 0
; COMPUTE_PGM_RSRC2:SCRATCH_EN: 0
; COMPUTE_PGM_RSRC2:USER_SGPR: 15
; COMPUTE_PGM_RSRC2:TRAP_HANDLER: 0
; COMPUTE_PGM_RSRC2:TGID_X_EN: 1
; COMPUTE_PGM_RSRC2:TGID_Y_EN: 0
; COMPUTE_PGM_RSRC2:TGID_Z_EN: 0
; COMPUTE_PGM_RSRC2:TIDIG_COMP_CNT: 1
	.section	.text._Z12wvSplitK_hf_I14__hip_bfloat16Li32ELi1ELi16ELi8ELi4ELi5EEviiiiiiPKT_S3_S3_PS1_ii,"axG",@progbits,_Z12wvSplitK_hf_I14__hip_bfloat16Li32ELi1ELi16ELi8ELi4ELi5EEviiiiiiPKT_S3_S3_PS1_ii,comdat
	.protected	_Z12wvSplitK_hf_I14__hip_bfloat16Li32ELi1ELi16ELi8ELi4ELi5EEviiiiiiPKT_S3_S3_PS1_ii ; -- Begin function _Z12wvSplitK_hf_I14__hip_bfloat16Li32ELi1ELi16ELi8ELi4ELi5EEviiiiiiPKT_S3_S3_PS1_ii
	.globl	_Z12wvSplitK_hf_I14__hip_bfloat16Li32ELi1ELi16ELi8ELi4ELi5EEviiiiiiPKT_S3_S3_PS1_ii
	.p2align	8
	.type	_Z12wvSplitK_hf_I14__hip_bfloat16Li32ELi1ELi16ELi8ELi4ELi5EEviiiiiiPKT_S3_S3_PS1_ii,@function
_Z12wvSplitK_hf_I14__hip_bfloat16Li32ELi1ELi16ELi8ELi4ELi5EEviiiiiiPKT_S3_S3_PS1_ii: ; @_Z12wvSplitK_hf_I14__hip_bfloat16Li32ELi1ELi16ELi8ELi4ELi5EEviiiiiiPKT_S3_S3_PS1_ii
; %bb.0:
	s_clause 0x1
	s_load_b64 s[18:19], s[0:1], 0x38
	s_load_b128 s[4:7], s[0:1], 0x0
	v_bfe_u32 v1, v0, 10, 10
	s_clause 0x1
	s_load_b64 s[12:13], s[0:1], 0x20
	s_load_b64 s[16:17], s[0:1], 0x10
	v_mov_b32_e32 v113, 1
	s_waitcnt lgkmcnt(0)
	v_mad_u64_u32 v[96:97], null, s15, s18, v[1:2]
	s_delay_alu instid0(VALU_DEP_1) | instskip(SKIP_1) | instid1(VALU_DEP_2)
	v_add_nc_u32_e32 v2, 1, v96
	v_cmp_gt_u32_e32 vcc_lo, s7, v96
	v_cmp_le_u32_e64 s2, s7, v2
	s_delay_alu instid0(VALU_DEP_1) | instskip(NEXT) | instid1(SALU_CYCLE_1)
	s_and_b32 s3, vcc_lo, s2
	s_and_saveexec_b32 s2, s3
; %bb.1:
	v_subrev_nc_u32_e32 v2, s7, v96
	s_add_i32 s3, s7, -1
	s_delay_alu instid0(SALU_CYCLE_1) | instskip(NEXT) | instid1(VALU_DEP_2)
	v_mov_b32_e32 v96, s3
	v_cmp_eq_u32_e32 vcc_lo, -1, v2
	v_cndmask_b32_e64 v113, 0, 1, vcc_lo
; %bb.2:
	s_or_b32 exec_lo, exec_lo, s2
	v_and_b32_e32 v0, 0x3ff, v0
	s_mul_i32 s2, s6, 5
	s_delay_alu instid0(SALU_CYCLE_1) | instskip(SKIP_1) | instid1(VALU_DEP_1)
	s_min_u32 s3, s2, 0x8000
	s_mov_b32 s2, exec_lo
	v_lshlrev_b32_e32 v98, 3, v0
	s_delay_alu instid0(VALU_DEP_1) | instskip(NEXT) | instid1(VALU_DEP_1)
	v_lshl_add_u32 v3, v1, 8, v98
	v_cmpx_gt_u32_e64 s3, v3
	s_cbranch_execz .LBB279_11
; %bb.3:
	v_lshlrev_b32_e32 v2, 1, v3
	v_add_nc_u32_e32 v8, 0x1000, v3
	s_mov_b32 s8, exec_lo
	global_load_b128 v[4:7], v2, s[12:13]
	s_waitcnt vmcnt(0)
	ds_store_b128 v2, v[4:7]
	v_cmpx_gt_u32_e64 s3, v8
	s_xor_b32 s8, exec_lo, s8
	s_cbranch_execz .LBB279_11
; %bb.4:
	v_add_co_u32 v4, s8, s12, v2
	s_delay_alu instid0(VALU_DEP_1) | instskip(SKIP_1) | instid1(VALU_DEP_3)
	v_add_co_ci_u32_e64 v5, null, s13, 0, s8
	v_add_nc_u32_e32 v10, 0x2000, v3
	v_add_co_u32 v6, vcc_lo, 0x2000, v4
	s_delay_alu instid0(VALU_DEP_3)
	v_add_co_ci_u32_e32 v7, vcc_lo, 0, v5, vcc_lo
	s_mov_b32 s8, exec_lo
	global_load_b128 v[6:9], v[6:7], off
	s_waitcnt vmcnt(0)
	ds_store_b128 v2, v[6:9] offset:8192
	v_cmpx_gt_u32_e64 s3, v10
	s_xor_b32 s8, exec_lo, s8
	s_cbranch_execz .LBB279_11
; %bb.5:
	v_add_co_u32 v6, vcc_lo, 0x4000, v4
	v_add_co_ci_u32_e32 v7, vcc_lo, 0, v5, vcc_lo
	v_add_nc_u32_e32 v10, 0x3000, v3
	s_mov_b32 s8, exec_lo
	global_load_b128 v[6:9], v[6:7], off
	s_waitcnt vmcnt(0)
	ds_store_b128 v2, v[6:9] offset:16384
	v_cmpx_gt_u32_e64 s3, v10
	s_xor_b32 s8, exec_lo, s8
	s_cbranch_execz .LBB279_11
; %bb.6:
	v_add_co_u32 v6, vcc_lo, 0x6000, v4
	v_add_co_ci_u32_e32 v7, vcc_lo, 0, v5, vcc_lo
	v_add_nc_u32_e32 v10, 0x4000, v3
	;; [unrolled: 11-line block ×5, first 2 shown]
	global_load_b128 v[6:9], v[6:7], off
	v_cmp_gt_u32_e32 vcc_lo, s3, v3
	s_waitcnt vmcnt(0)
	ds_store_b128 v2, v[6:9] offset:49152
	s_and_saveexec_b32 s3, vcc_lo
	s_delay_alu instid0(SALU_CYCLE_1)
	s_xor_b32 s3, exec_lo, s3
	s_cbranch_execz .LBB279_11
; %bb.10:
	v_add_co_u32 v3, vcc_lo, 0xe000, v4
	v_add_co_ci_u32_e32 v4, vcc_lo, 0, v5, vcc_lo
	global_load_b128 v[3:6], v[3:4], off
	s_waitcnt vmcnt(0)
	ds_store_b128 v2, v[3:6] offset:57344
.LBB279_11:
	s_or_b32 exec_lo, exec_lo, s2
	v_cmp_gt_u32_e32 vcc_lo, s18, v1
	v_cmp_gt_u32_e64 s2, s7, v96
	s_waitcnt lgkmcnt(0)
	s_barrier
	buffer_gl0_inv
	s_and_b32 s2, vcc_lo, s2
	s_delay_alu instid0(SALU_CYCLE_1)
	s_and_saveexec_b32 s3, s2
	s_cbranch_execz .LBB279_130
; %bb.12:
	s_clause 0x1
	s_load_b128 s[8:11], s[0:1], 0x28
	s_load_b64 s[14:15], s[0:1], 0x18
	s_cmp_lg_u32 s4, 0
	v_cvt_f32_u32_e32 v3, s16
	s_cselect_b32 s3, -1, 0
	s_add_i32 s20, s4, -8
	s_add_i32 s21, s7, -1
	s_mul_i32 s18, s19, s18
	v_mbcnt_lo_u32_b32 v2, -1, 0
	v_rcp_iflag_f32_e32 v3, v3
	v_cmp_eq_u32_e64 s0, 31, v0
	v_mad_u64_u32 v[101:102], null, s6, 3, v[98:99]
	v_dual_mov_b32 v100, 0 :: v_dual_add_nc_u32 v115, s6, v98
	s_waitcnt lgkmcnt(0)
	s_cmp_lg_u64 s[8:9], 0
	s_cselect_b32 s22, -1, 0
	s_abs_i32 s1, s17
	s_sub_i32 s24, s18, s7
	v_cvt_f32_u32_e32 v1, s1
	s_sub_i32 s25, 0, s1
	s_lshl_b32 s19, s6, 1
	s_lshl_b32 s23, s6, 2
	s_sub_i32 s26, 0, s16
	v_rcp_iflag_f32_e32 v1, v1
	s_add_i32 s24, s24, 2
	s_sub_i32 s27, 1, s1
	v_add_nc_u32_e32 v117, s19, v98
	v_add_nc_u32_e32 v118, s23, v98
	s_mov_b32 s17, 0
	s_waitcnt_depctr 0xfff
	v_mul_f32_e32 v1, 0x4f7ffffe, v1
	s_delay_alu instid0(VALU_DEP_1) | instskip(NEXT) | instid1(VALU_DEP_1)
	v_cvt_u32_f32_e32 v1, v1
	v_readfirstlane_b32 s2, v1
	v_xor_b32_e32 v1, 16, v2
	s_delay_alu instid0(VALU_DEP_2) | instskip(NEXT) | instid1(VALU_DEP_1)
	s_mul_i32 s25, s25, s2
	v_cmp_gt_i32_e32 vcc_lo, 32, v1
	s_mul_hi_u32 s25, s2, s25
	v_lshlrev_b32_e32 v114, 4, v0
	s_add_i32 s2, s2, s25
	s_cmp_lt_u32 s1, 2
	v_cndmask_b32_e32 v1, v2, v1, vcc_lo
	s_cselect_b32 s25, s27, 1
	v_mul_f32_e32 v0, 0x4f7ffffe, v3
	s_sub_i32 s27, s25, s1
	s_cmp_ge_u32 s25, s1
	v_lshlrev_b32_e32 v116, 2, v1
	s_cselect_b32 s25, s27, s25
	s_lshr_b32 s27, s2, 31
	v_cvt_u32_f32_e32 v0, v0
	s_mul_i32 s27, s27, s1
	s_mul_i32 s25, s25, s16
	s_sub_i32 s27, 2, s27
	s_delay_alu instid0(SALU_CYCLE_1)
	s_sub_i32 s28, s27, s1
	s_cmp_ge_u32 s27, s1
	v_mul_lo_u32 v3, s26, v0
	s_cselect_b32 s26, s28, s27
	s_mul_hi_u32 s27, s2, 3
	s_sub_i32 s28, s26, s1
	s_cmp_ge_u32 s26, s1
	s_mul_i32 s27, s27, s1
	s_cselect_b32 s26, s28, s26
	s_sub_i32 s27, 3, s27
	v_mul_hi_u32 v2, v0, v3
	s_sub_i32 s28, s27, s1
	s_cmp_ge_u32 s27, s1
	s_mul_i32 s26, s26, s16
	s_cselect_b32 s27, s28, s27
	s_delay_alu instid0(SALU_CYCLE_1) | instskip(SKIP_1) | instid1(VALU_DEP_1)
	s_sub_i32 s28, s27, s1
	s_cmp_ge_u32 s27, s1
	v_add_nc_u32_e32 v119, v0, v2
	s_cselect_b32 s27, s28, s27
	s_lshr_b32 s2, s2, 30
	s_mul_i32 s27, s27, s16
	s_mul_i32 s2, s2, s1
	s_delay_alu instid0(SALU_CYCLE_1) | instskip(NEXT) | instid1(SALU_CYCLE_1)
	s_sub_i32 s2, 4, s2
	s_sub_i32 s28, s2, s1
	s_cmp_ge_u32 s2, s1
	s_cselect_b32 s2, s28, s2
	s_delay_alu instid0(SALU_CYCLE_1)
	s_sub_i32 s28, s2, s1
	s_cmp_ge_u32 s2, s1
	s_cselect_b32 s29, s28, s2
	s_lshl_b32 s28, s6, 3
	s_mul_i32 s29, s29, s16
	s_mul_i32 s6, s6, 6
	s_branch .LBB279_15
.LBB279_13:                             ;   in Loop: Header=BB279_15 Depth=1
	s_or_b32 exec_lo, exec_lo, s2
	v_add_nc_u32_e32 v99, s7, v99
	s_delay_alu instid0(VALU_DEP_1) | instskip(NEXT) | instid1(VALU_DEP_1)
	v_lshlrev_b64 v[1:2], 1, v[99:100]
	v_add_co_u32 v1, vcc_lo, s10, v1
	s_delay_alu instid0(VALU_DEP_2)
	v_add_co_ci_u32_e32 v2, vcc_lo, s11, v2, vcc_lo
	global_store_d16_hi_b16 v[1:2], v0, off
.LBB279_14:                             ;   in Loop: Header=BB279_15 Depth=1
	s_or_b32 exec_lo, exec_lo, s1
	v_add_nc_u32_e32 v0, s18, v96
	s_waitcnt lgkmcnt(0)
	s_delay_alu instid0(VALU_DEP_1) | instskip(SKIP_1) | instid1(VALU_DEP_2)
	v_add_nc_u32_e32 v1, 1, v0
	v_cmp_le_u32_e32 vcc_lo, s7, v0
	v_cmp_gt_u32_e64 s1, s7, v1
	v_add_nc_u32_e32 v1, s24, v96
	s_delay_alu instid0(VALU_DEP_2) | instskip(NEXT) | instid1(VALU_DEP_1)
	s_or_b32 vcc_lo, vcc_lo, s1
	v_cmp_eq_u32_e64 s1, 1, v1
	v_cndmask_b32_e32 v96, s21, v0, vcc_lo
	s_delay_alu instid0(VALU_DEP_2) | instskip(NEXT) | instid1(VALU_DEP_1)
	s_or_b32 vcc_lo, vcc_lo, s1
	v_cmp_le_u32_e64 s2, s7, v96
	v_cndmask_b32_e32 v113, 0, v113, vcc_lo
	s_delay_alu instid0(VALU_DEP_2) | instskip(NEXT) | instid1(SALU_CYCLE_1)
	s_or_b32 s17, s2, s17
	s_and_not1_b32 exec_lo, exec_lo, s17
	s_cbranch_execz .LBB279_130
.LBB279_15:                             ; =>This Loop Header: Depth=1
                                        ;     Child Loop BB279_22 Depth 2
	v_mov_b32_e32 v122, v100
	v_mov_b32_e32 v123, v100
	v_mov_b32_e32 v124, v100
	v_mov_b32_e32 v125, v100
	v_mov_b32_e32 v126, v100
	s_and_not1_b32 vcc_lo, exec_lo, s3
	s_cbranch_vccnz .LBB279_106
; %bb.16:                               ;   in Loop: Header=BB279_15 Depth=1
	v_min_u32_e32 v0, s21, v96
	v_dual_mov_b32 v126, 0 :: v_dual_mov_b32 v97, v114
	v_dual_mov_b32 v125, 0 :: v_dual_mov_b32 v124, 0
	s_delay_alu instid0(VALU_DEP_3) | instskip(SKIP_2) | instid1(VALU_DEP_2)
	v_mul_lo_u32 v99, v0, s5
	v_dual_mov_b32 v123, 0 :: v_dual_mov_b32 v122, 0
	s_mov_b32 s1, 0
	v_lshlrev_b64 v[0:1], 1, v[99:100]
	s_delay_alu instid0(VALU_DEP_1) | instskip(NEXT) | instid1(VALU_DEP_2)
	v_add_co_u32 v120, vcc_lo, s14, v0
	v_add_co_ci_u32_e32 v121, vcc_lo, s15, v1, vcc_lo
	s_branch .LBB279_22
.LBB279_17:                             ;   in Loop: Header=BB279_22 Depth=2
	s_or_b32 exec_lo, exec_lo, s34
.LBB279_18:                             ;   in Loop: Header=BB279_22 Depth=2
	s_delay_alu instid0(SALU_CYCLE_1)
	s_or_b32 exec_lo, exec_lo, s33
.LBB279_19:                             ;   in Loop: Header=BB279_22 Depth=2
	s_delay_alu instid0(SALU_CYCLE_1)
	s_or_b32 exec_lo, exec_lo, s31
.LBB279_20:                             ;   in Loop: Header=BB279_22 Depth=2
	s_delay_alu instid0(SALU_CYCLE_1)
	s_or_b32 exec_lo, exec_lo, s30
.LBB279_21:                             ;   in Loop: Header=BB279_22 Depth=2
	s_delay_alu instid0(SALU_CYCLE_1)
	s_or_b32 exec_lo, exec_lo, s2
	s_waitcnt vmcnt(0) lgkmcnt(0)
	v_and_b32_e32 v104, 0xffff0000, v37
	v_lshlrev_b32_e32 v105, 16, v37
	v_and_b32_e32 v37, 0xffff0000, v30
	v_and_b32_e32 v102, 0xffff0000, v36
	v_lshlrev_b32_e32 v103, 16, v36
	v_and_b32_e32 v36, 0xffff0000, v29
	v_lshlrev_b32_e32 v29, 16, v29
	v_lshlrev_b32_e32 v106, 16, v38
	v_lshlrev_b32_e32 v30, 16, v30
	s_addk_i32 s1, 0x400
	v_mul_f32_e32 v104, v104, v36
	v_and_b32_e32 v99, 0xffff0000, v28
	v_lshlrev_b32_e32 v28, 16, v28
	s_cmp_ge_u32 s1, s4
	v_add_nc_u32_e32 v97, 0x800, v97
	v_fmac_f32_e32 v104, v105, v29
	v_mul_f32_e32 v102, v102, v99
	s_delay_alu instid0(VALU_DEP_1) | instskip(NEXT) | instid1(VALU_DEP_1)
	v_dual_fmac_f32 v102, v103, v28 :: v_dual_and_b32 v105, 0xffff0000, v39
	v_add_f32_e32 v102, v126, v102
	v_and_b32_e32 v103, 0xffff0000, v38
	v_and_b32_e32 v38, 0xffff0000, v31
	s_delay_alu instid0(VALU_DEP_2) | instskip(NEXT) | instid1(VALU_DEP_2)
	v_dual_add_f32 v102, v102, v104 :: v_dual_mul_f32 v103, v103, v37
	v_dual_mul_f32 v105, v105, v38 :: v_dual_lshlrev_b32 v104, 16, v39
	v_and_b32_e32 v39, 0xffff0000, v20
	s_delay_alu instid0(VALU_DEP_3) | instskip(SKIP_1) | instid1(VALU_DEP_2)
	v_dual_fmac_f32 v103, v106, v30 :: v_dual_lshlrev_b32 v20, 16, v20
	v_and_b32_e32 v106, 0xffff0000, v60
	v_add_f32_e32 v102, v102, v103
	v_lshlrev_b32_e32 v31, 16, v31
	v_lshlrev_b32_e32 v103, 16, v60
	s_delay_alu instid0(VALU_DEP_2) | instskip(SKIP_2) | instid1(VALU_DEP_3)
	v_dual_fmac_f32 v105, v104, v31 :: v_dual_and_b32 v60, 0xffff0000, v21
	v_mul_f32_e32 v104, v106, v39
	v_and_b32_e32 v106, 0xffff0000, v61
	v_add_f32_e32 v102, v102, v105
	s_delay_alu instid0(VALU_DEP_3) | instskip(SKIP_1) | instid1(VALU_DEP_4)
	v_dual_fmac_f32 v104, v103, v20 :: v_dual_lshlrev_b32 v103, 16, v61
	v_lshlrev_b32_e32 v21, 16, v21
	v_dual_mul_f32 v105, v106, v60 :: v_dual_and_b32 v106, 0xffff0000, v62
	s_delay_alu instid0(VALU_DEP_1) | instskip(SKIP_2) | instid1(VALU_DEP_3)
	v_dual_add_f32 v102, v102, v104 :: v_dual_fmac_f32 v105, v103, v21
	v_and_b32_e32 v61, 0xffff0000, v22
	v_lshlrev_b32_e32 v22, 16, v22
	v_dual_add_f32 v102, v102, v105 :: v_dual_lshlrev_b32 v103, 16, v62
	s_delay_alu instid0(VALU_DEP_3) | instskip(SKIP_2) | instid1(VALU_DEP_3)
	v_mul_f32_e32 v104, v106, v61
	v_and_b32_e32 v106, 0xffff0000, v63
	v_and_b32_e32 v62, 0xffff0000, v23
	v_dual_fmac_f32 v104, v103, v22 :: v_dual_lshlrev_b32 v103, 16, v63
	s_delay_alu instid0(VALU_DEP_2) | instskip(SKIP_1) | instid1(VALU_DEP_3)
	v_dual_mul_f32 v105, v106, v62 :: v_dual_and_b32 v106, 0xffff0000, v84
	v_and_b32_e32 v63, 0xffff0000, v16
	v_dual_add_f32 v102, v102, v104 :: v_dual_lshlrev_b32 v23, 16, v23
	v_lshlrev_b32_e32 v16, 16, v16
	s_delay_alu instid0(VALU_DEP_3) | instskip(NEXT) | instid1(VALU_DEP_3)
	v_mul_f32_e32 v104, v106, v63
	v_dual_fmac_f32 v105, v103, v23 :: v_dual_and_b32 v106, 0xffff0000, v85
	v_lshlrev_b32_e32 v103, 16, v84
	v_and_b32_e32 v84, 0xffff0000, v17
	s_delay_alu instid0(VALU_DEP_3) | instskip(NEXT) | instid1(VALU_DEP_3)
	v_add_f32_e32 v102, v102, v105
	v_dual_fmac_f32 v104, v103, v16 :: v_dual_lshlrev_b32 v103, 16, v85
	v_lshlrev_b32_e32 v17, 16, v17
	s_delay_alu instid0(VALU_DEP_4) | instskip(NEXT) | instid1(VALU_DEP_1)
	v_dual_mul_f32 v105, v106, v84 :: v_dual_and_b32 v106, 0xffff0000, v86
	v_dual_add_f32 v102, v102, v104 :: v_dual_fmac_f32 v105, v103, v17
	v_and_b32_e32 v85, 0xffff0000, v18
	v_lshlrev_b32_e32 v18, 16, v18
	s_delay_alu instid0(VALU_DEP_3) | instskip(NEXT) | instid1(VALU_DEP_3)
	v_dual_add_f32 v102, v102, v105 :: v_dual_lshlrev_b32 v103, 16, v86
	v_mul_f32_e32 v104, v106, v85
	v_and_b32_e32 v106, 0xffff0000, v87
	v_and_b32_e32 v86, 0xffff0000, v19
	s_delay_alu instid0(VALU_DEP_3) | instskip(NEXT) | instid1(VALU_DEP_2)
	v_dual_fmac_f32 v104, v103, v18 :: v_dual_lshlrev_b32 v103, 16, v87
	v_mul_f32_e32 v105, v106, v86
	v_and_b32_e32 v106, 0xffff0000, v26
	v_and_b32_e32 v87, 0xffff0000, v4
	s_delay_alu instid0(VALU_DEP_4) | instskip(SKIP_2) | instid1(VALU_DEP_3)
	v_dual_add_f32 v102, v102, v104 :: v_dual_lshlrev_b32 v19, 16, v19
	v_and_b32_e32 v104, 0xffff0000, v92
	v_lshlrev_b32_e32 v92, 16, v92
	v_dual_fmac_f32 v105, v103, v19 :: v_dual_lshlrev_b32 v4, 16, v4
	s_delay_alu instid0(VALU_DEP_1) | instskip(SKIP_2) | instid1(VALU_DEP_2)
	v_add_f32_e32 v102, v102, v105
	v_and_b32_e32 v105, 0xffff0000, v25
	v_lshlrev_b32_e32 v25, 16, v25
	v_mul_f32_e32 v105, v105, v36
	s_delay_alu instid0(VALU_DEP_1) | instskip(SKIP_4) | instid1(VALU_DEP_3)
	v_fmac_f32_e32 v105, v25, v29
	v_dual_mul_f32 v26, v106, v37 :: v_dual_lshlrev_b32 v25, 16, v26
	v_dual_mul_f32 v104, v104, v87 :: v_dual_and_b32 v103, 0xffff0000, v24
	v_lshlrev_b32_e32 v24, 16, v24
	v_and_b32_e32 v106, 0xffff0000, v27
	v_dual_fmac_f32 v26, v25, v30 :: v_dual_mul_f32 v103, v103, v99
	s_delay_alu instid0(VALU_DEP_4) | instskip(NEXT) | instid1(VALU_DEP_2)
	v_fmac_f32_e32 v104, v92, v4
	v_dual_fmac_f32 v103, v24, v28 :: v_dual_and_b32 v24, 0xffff0000, v5
	s_delay_alu instid0(VALU_DEP_2) | instskip(NEXT) | instid1(VALU_DEP_2)
	v_dual_add_f32 v102, v102, v104 :: v_dual_lshlrev_b32 v5, 16, v5
	v_dual_add_f32 v103, v125, v103 :: v_dual_and_b32 v104, 0xffff0000, v52
	s_delay_alu instid0(VALU_DEP_1) | instskip(SKIP_2) | instid1(VALU_DEP_3)
	v_add_f32_e32 v103, v103, v105
	v_lshlrev_b32_e32 v25, 16, v27
	v_dual_mul_f32 v27, v106, v38 :: v_dual_and_b32 v92, 0xffff0000, v93
	v_dual_add_f32 v26, v103, v26 :: v_dual_lshlrev_b32 v93, 16, v93
	s_delay_alu instid0(VALU_DEP_2) | instskip(SKIP_1) | instid1(VALU_DEP_2)
	v_dual_fmac_f32 v27, v25, v31 :: v_dual_mul_f32 v92, v92, v24
	v_dual_mul_f32 v52, v104, v39 :: v_dual_lshlrev_b32 v25, 16, v52
	v_add_f32_e32 v26, v26, v27
	s_delay_alu instid0(VALU_DEP_3) | instskip(NEXT) | instid1(VALU_DEP_3)
	v_fmac_f32_e32 v92, v93, v5
	v_dual_fmac_f32 v52, v25, v20 :: v_dual_and_b32 v93, 0xffff0000, v53
	v_lshlrev_b32_e32 v25, 16, v53
	s_delay_alu instid0(VALU_DEP_3) | instskip(NEXT) | instid1(VALU_DEP_3)
	v_dual_add_f32 v92, v102, v92 :: v_dual_lshlrev_b32 v53, 16, v94
	v_dual_mul_f32 v27, v93, v60 :: v_dual_and_b32 v102, 0xffff0000, v94
	s_delay_alu instid0(VALU_DEP_4) | instskip(SKIP_1) | instid1(VALU_DEP_3)
	v_dual_add_f32 v26, v26, v52 :: v_dual_and_b32 v93, 0xffff0000, v54
	v_and_b32_e32 v94, 0xffff0000, v6
	v_dual_fmac_f32 v27, v25, v21 :: v_dual_lshlrev_b32 v6, 16, v6
	s_delay_alu instid0(VALU_DEP_3) | instskip(NEXT) | instid1(VALU_DEP_3)
	v_dual_mul_f32 v52, v93, v61 :: v_dual_lshlrev_b32 v25, 16, v54
	v_dual_mul_f32 v93, v102, v94 :: v_dual_and_b32 v54, 0xffff0000, v55
	s_delay_alu instid0(VALU_DEP_3) | instskip(NEXT) | instid1(VALU_DEP_3)
	v_add_f32_e32 v26, v26, v27
	v_dual_fmac_f32 v52, v25, v22 :: v_dual_lshlrev_b32 v25, 16, v55
	s_delay_alu instid0(VALU_DEP_3) | instskip(NEXT) | instid1(VALU_DEP_4)
	v_mul_f32_e32 v27, v54, v62
	v_fmac_f32_e32 v93, v53, v6
	v_and_b32_e32 v53, 0xffff0000, v76
	s_delay_alu instid0(VALU_DEP_4) | instskip(SKIP_2) | instid1(VALU_DEP_4)
	v_add_f32_e32 v26, v26, v52
	v_and_b32_e32 v54, 0xffff0000, v95
	v_fmac_f32_e32 v27, v25, v23
	v_dual_mul_f32 v52, v53, v63 :: v_dual_lshlrev_b32 v25, 16, v76
	v_lshlrev_b32_e32 v53, 16, v95
	s_delay_alu instid0(VALU_DEP_3) | instskip(NEXT) | instid1(VALU_DEP_3)
	v_dual_add_f32 v26, v26, v27 :: v_dual_and_b32 v55, 0xffff0000, v77
	v_dual_fmac_f32 v52, v25, v16 :: v_dual_lshlrev_b32 v25, 16, v77
	s_delay_alu instid0(VALU_DEP_2) | instskip(SKIP_1) | instid1(VALU_DEP_3)
	v_mul_f32_e32 v27, v55, v84
	v_and_b32_e32 v55, 0xffff0000, v78
	v_dual_add_f32 v26, v26, v52 :: v_dual_and_b32 v77, 0xffff0000, v13
	s_delay_alu instid0(VALU_DEP_3) | instskip(NEXT) | instid1(VALU_DEP_3)
	v_fmac_f32_e32 v27, v25, v17
	v_dual_mul_f32 v52, v55, v85 :: v_dual_lshlrev_b32 v25, 16, v78
	s_delay_alu instid0(VALU_DEP_2) | instskip(NEXT) | instid1(VALU_DEP_2)
	v_dual_add_f32 v55, v92, v93 :: v_dual_add_f32 v26, v26, v27
	v_dual_fmac_f32 v52, v25, v18 :: v_dual_and_b32 v25, 0xffff0000, v79
	s_delay_alu instid0(VALU_DEP_1) | instskip(SKIP_2) | instid1(VALU_DEP_4)
	v_add_f32_e32 v26, v26, v52
	v_and_b32_e32 v76, 0xffff0000, v7
	v_lshlrev_b32_e32 v7, 16, v7
	v_mul_f32_e32 v25, v25, v86
	v_and_b32_e32 v52, 0xffff0000, v14
	s_delay_alu instid0(VALU_DEP_4) | instskip(NEXT) | instid1(VALU_DEP_1)
	v_mul_f32_e32 v54, v54, v76
	v_dual_fmac_f32 v54, v53, v7 :: v_dual_and_b32 v53, 0xffff0000, v12
	s_delay_alu instid0(VALU_DEP_1) | instskip(SKIP_1) | instid1(VALU_DEP_1)
	v_dual_add_f32 v126, v55, v54 :: v_dual_mul_f32 v27, v53, v99
	v_lshlrev_b32_e32 v53, 16, v79
	v_fmac_f32_e32 v25, v53, v19
	v_and_b32_e32 v53, 0xffff0000, v88
	s_delay_alu instid0(VALU_DEP_1) | instskip(NEXT) | instid1(VALU_DEP_1)
	v_dual_mul_f32 v53, v53, v87 :: v_dual_lshlrev_b32 v12, 16, v12
	v_dual_fmac_f32 v27, v12, v28 :: v_dual_lshlrev_b32 v12, 16, v13
	v_mul_f32_e32 v13, v77, v36
	v_and_b32_e32 v77, 0xffff0000, v15
	v_add_f32_e32 v25, v26, v25
	s_delay_alu instid0(VALU_DEP_4) | instskip(NEXT) | instid1(VALU_DEP_4)
	v_add_f32_e32 v27, v124, v27
	v_dual_fmac_f32 v13, v12, v29 :: v_dual_lshlrev_b32 v12, 16, v14
	v_mul_f32_e32 v14, v52, v37
	s_delay_alu instid0(VALU_DEP_2) | instskip(SKIP_1) | instid1(VALU_DEP_2)
	v_dual_add_f32 v13, v27, v13 :: v_dual_lshlrev_b32 v52, 16, v88
	v_and_b32_e32 v27, 0xffff0000, v89
	v_fmac_f32_e32 v53, v52, v4
	s_delay_alu instid0(VALU_DEP_2) | instskip(NEXT) | instid1(VALU_DEP_2)
	v_mul_f32_e32 v27, v27, v24
	v_dual_add_f32 v25, v25, v53 :: v_dual_fmac_f32 v14, v12, v30
	s_delay_alu instid0(VALU_DEP_1) | instskip(NEXT) | instid1(VALU_DEP_1)
	v_dual_add_f32 v13, v13, v14 :: v_dual_and_b32 v26, 0xffff0000, v44
	v_mul_f32_e32 v14, v26, v39
	v_and_b32_e32 v26, 0xffff0000, v45
	v_dual_mul_f32 v15, v77, v38 :: v_dual_lshlrev_b32 v12, 16, v15
	s_delay_alu instid0(VALU_DEP_1) | instskip(NEXT) | instid1(VALU_DEP_1)
	v_fmac_f32_e32 v15, v12, v31
	v_add_f32_e32 v13, v13, v15
	s_delay_alu instid0(VALU_DEP_4) | instskip(SKIP_2) | instid1(VALU_DEP_1)
	v_mul_f32_e32 v15, v26, v60
	v_lshlrev_b32_e32 v12, 16, v44
	v_lshlrev_b32_e32 v26, 16, v89
	v_dual_fmac_f32 v14, v12, v20 :: v_dual_fmac_f32 v27, v26, v5
	s_delay_alu instid0(VALU_DEP_1) | instskip(NEXT) | instid1(VALU_DEP_2)
	v_dual_add_f32 v13, v13, v14 :: v_dual_lshlrev_b32 v12, 16, v45
	v_dual_add_f32 v25, v25, v27 :: v_dual_and_b32 v44, 0xffff0000, v46
	v_and_b32_e32 v27, 0xffff0000, v69
	s_delay_alu instid0(VALU_DEP_3) | instskip(SKIP_1) | instid1(VALU_DEP_4)
	v_dual_fmac_f32 v15, v12, v21 :: v_dual_and_b32 v26, 0xffff0000, v47
	v_lshlrev_b32_e32 v12, 16, v46
	v_dual_mul_f32 v14, v44, v61 :: v_dual_and_b32 v45, 0xffff0000, v68
	s_delay_alu instid0(VALU_DEP_3) | instskip(NEXT) | instid1(VALU_DEP_4)
	v_add_f32_e32 v13, v13, v15
	v_mul_f32_e32 v15, v26, v62
	s_delay_alu instid0(VALU_DEP_3) | instskip(SKIP_2) | instid1(VALU_DEP_3)
	v_fmac_f32_e32 v14, v12, v22
	v_lshlrev_b32_e32 v12, 16, v47
	v_and_b32_e32 v44, 0xffff0000, v90
	v_add_f32_e32 v13, v13, v14
	s_delay_alu instid0(VALU_DEP_3) | instskip(NEXT) | instid1(VALU_DEP_3)
	v_dual_fmac_f32 v15, v12, v23 :: v_dual_lshlrev_b32 v26, 16, v90
	v_mul_f32_e32 v44, v44, v94
	v_lshlrev_b32_e32 v12, 16, v68
	v_mul_f32_e32 v14, v45, v63
	s_delay_alu instid0(VALU_DEP_4) | instskip(NEXT) | instid1(VALU_DEP_4)
	v_add_f32_e32 v13, v13, v15
	v_dual_fmac_f32 v44, v26, v6 :: v_dual_lshlrev_b32 v45, 16, v91
	v_mul_f32_e32 v15, v27, v84
	s_delay_alu instid0(VALU_DEP_4) | instskip(NEXT) | instid1(VALU_DEP_3)
	v_dual_fmac_f32 v14, v12, v16 :: v_dual_and_b32 v27, 0xffff0000, v70
	v_dual_add_f32 v25, v25, v44 :: v_dual_lshlrev_b32 v12, 16, v69
	s_delay_alu instid0(VALU_DEP_2) | instskip(NEXT) | instid1(VALU_DEP_2)
	v_dual_add_f32 v13, v13, v14 :: v_dual_and_b32 v26, 0xffff0000, v91
	v_fmac_f32_e32 v15, v12, v17
	s_delay_alu instid0(VALU_DEP_4) | instskip(SKIP_1) | instid1(VALU_DEP_3)
	v_dual_mul_f32 v14, v27, v85 :: v_dual_and_b32 v27, 0xffff0000, v8
	v_lshlrev_b32_e32 v12, 16, v70
	v_dual_add_f32 v13, v13, v15 :: v_dual_lshlrev_b32 v8, 16, v8
	v_dual_mul_f32 v26, v26, v76 :: v_dual_and_b32 v15, 0xffff0000, v71
	s_delay_alu instid0(VALU_DEP_4) | instskip(NEXT) | instid1(VALU_DEP_2)
	v_mul_f32_e32 v27, v27, v99
	v_dual_mul_f32 v15, v15, v86 :: v_dual_fmac_f32 v26, v45, v7
	s_delay_alu instid0(VALU_DEP_2) | instskip(SKIP_2) | instid1(VALU_DEP_4)
	v_fmac_f32_e32 v27, v8, v28
	v_fmac_f32_e32 v14, v12, v18
	v_lshlrev_b32_e32 v12, 16, v71
	v_dual_add_f32 v125, v25, v26 :: v_dual_lshlrev_b32 v8, 16, v9
	s_delay_alu instid0(VALU_DEP_3) | instskip(NEXT) | instid1(VALU_DEP_3)
	v_dual_add_f32 v13, v13, v14 :: v_dual_and_b32 v14, 0xffff0000, v80
	v_dual_fmac_f32 v15, v12, v19 :: v_dual_and_b32 v12, 0xffff0000, v9
	s_delay_alu instid0(VALU_DEP_1) | instskip(SKIP_1) | instid1(VALU_DEP_3)
	v_dual_mul_f32 v14, v14, v87 :: v_dual_mul_f32 v9, v12, v36
	v_lshlrev_b32_e32 v44, 16, v80
	v_dual_add_f32 v12, v13, v15 :: v_dual_and_b32 v13, 0xffff0000, v10
	v_add_f32_e32 v15, v123, v27
	s_delay_alu instid0(VALU_DEP_4) | instskip(NEXT) | instid1(VALU_DEP_4)
	v_fmac_f32_e32 v9, v8, v29
	v_fmac_f32_e32 v14, v44, v4
	v_lshlrev_b32_e32 v8, 16, v10
	v_dual_mul_f32 v10, v13, v37 :: v_dual_and_b32 v13, 0xffff0000, v11
	s_delay_alu instid0(VALU_DEP_4) | instskip(NEXT) | instid1(VALU_DEP_4)
	v_add_f32_e32 v9, v15, v9
	v_dual_add_f32 v12, v12, v14 :: v_dual_and_b32 v15, 0xffff0000, v40
	s_delay_alu instid0(VALU_DEP_3) | instskip(NEXT) | instid1(VALU_DEP_4)
	v_fmac_f32_e32 v10, v8, v30
	v_dual_mul_f32 v11, v13, v38 :: v_dual_lshlrev_b32 v8, 16, v11
	v_and_b32_e32 v14, 0xffff0000, v81
	v_lshlrev_b32_e32 v13, 16, v81
	v_and_b32_e32 v27, 0xffff0000, v42
	s_delay_alu instid0(VALU_DEP_3) | instskip(NEXT) | instid1(VALU_DEP_1)
	v_dual_fmac_f32 v11, v8, v31 :: v_dual_mul_f32 v14, v14, v24
	v_fmac_f32_e32 v14, v13, v5
	v_and_b32_e32 v13, 0xffff0000, v41
	v_dual_add_f32 v9, v9, v10 :: v_dual_mul_f32 v10, v15, v39
	v_and_b32_e32 v15, 0xffff0000, v82
	v_lshlrev_b32_e32 v8, 16, v40
	s_delay_alu instid0(VALU_DEP_3) | instskip(SKIP_2) | instid1(VALU_DEP_4)
	v_dual_add_f32 v12, v12, v14 :: v_dual_add_f32 v9, v9, v11
	v_mul_f32_e32 v11, v13, v60
	v_lshlrev_b32_e32 v13, 16, v82
	v_dual_mul_f32 v15, v15, v94 :: v_dual_fmac_f32 v10, v8, v20
	s_delay_alu instid0(VALU_DEP_1) | instskip(NEXT) | instid1(VALU_DEP_2)
	v_dual_fmac_f32 v15, v13, v6 :: v_dual_lshlrev_b32 v8, 16, v41
	v_add_f32_e32 v9, v9, v10
	s_delay_alu instid0(VALU_DEP_2) | instskip(SKIP_1) | instid1(VALU_DEP_4)
	v_dual_add_f32 v12, v12, v15 :: v_dual_and_b32 v13, 0xffff0000, v56
	v_and_b32_e32 v15, 0xffff0000, v57
	v_dual_fmac_f32 v11, v8, v21 :: v_dual_lshlrev_b32 v8, 16, v42
	v_mul_f32_e32 v10, v27, v61
	s_delay_alu instid0(VALU_DEP_3) | instskip(NEXT) | instid1(VALU_DEP_2)
	v_mul_f32_e32 v15, v15, v84
	v_dual_add_f32 v9, v9, v11 :: v_dual_fmac_f32 v10, v8, v22
	s_delay_alu instid0(VALU_DEP_1) | instskip(NEXT) | instid1(VALU_DEP_1)
	v_dual_add_f32 v9, v9, v10 :: v_dual_and_b32 v14, 0xffff0000, v43
	v_dual_mul_f32 v11, v14, v62 :: v_dual_lshlrev_b32 v8, 16, v43
	v_mul_f32_e32 v10, v13, v63
	v_and_b32_e32 v14, 0xffff0000, v83
	v_lshlrev_b32_e32 v13, 16, v83
	s_delay_alu instid0(VALU_DEP_4) | instskip(NEXT) | instid1(VALU_DEP_1)
	v_dual_fmac_f32 v11, v8, v23 :: v_dual_lshlrev_b32 v8, 16, v56
	v_add_f32_e32 v9, v9, v11
	v_and_b32_e32 v11, 0xffff0000, v0
	s_delay_alu instid0(VALU_DEP_3) | instskip(SKIP_1) | instid1(VALU_DEP_3)
	v_fmac_f32_e32 v10, v8, v16
	v_lshlrev_b32_e32 v8, 16, v57
	v_dual_mul_f32 v11, v11, v99 :: v_dual_lshlrev_b32 v0, 16, v0
	s_delay_alu instid0(VALU_DEP_3) | instskip(NEXT) | instid1(VALU_DEP_3)
	v_dual_add_f32 v9, v9, v10 :: v_dual_and_b32 v10, 0xffff0000, v1
	v_dual_fmac_f32 v15, v8, v17 :: v_dual_mul_f32 v8, v14, v76
	s_delay_alu instid0(VALU_DEP_3) | instskip(NEXT) | instid1(VALU_DEP_3)
	v_dual_fmac_f32 v11, v0, v28 :: v_dual_lshlrev_b32 v0, 16, v1
	v_mul_f32_e32 v1, v10, v36
	s_delay_alu instid0(VALU_DEP_3) | instskip(NEXT) | instid1(VALU_DEP_3)
	v_dual_add_f32 v9, v9, v15 :: v_dual_and_b32 v10, 0xffff0000, v2
	v_dual_add_f32 v11, v122, v11 :: v_dual_and_b32 v14, 0xffff0000, v58
	s_delay_alu instid0(VALU_DEP_3) | instskip(NEXT) | instid1(VALU_DEP_3)
	v_dual_fmac_f32 v1, v0, v29 :: v_dual_lshlrev_b32 v0, 16, v2
	v_dual_mul_f32 v2, v10, v37 :: v_dual_and_b32 v15, 0xffff0000, v3
	s_delay_alu instid0(VALU_DEP_2) | instskip(NEXT) | instid1(VALU_DEP_4)
	v_dual_add_f32 v1, v11, v1 :: v_dual_lshlrev_b32 v10, 16, v58
	v_mul_f32_e32 v14, v14, v85
	s_delay_alu instid0(VALU_DEP_3) | instskip(NEXT) | instid1(VALU_DEP_4)
	v_dual_fmac_f32 v2, v0, v30 :: v_dual_and_b32 v11, 0xffff0000, v59
	v_dual_mul_f32 v3, v15, v38 :: v_dual_lshlrev_b32 v0, 16, v3
	v_and_b32_e32 v15, 0xffff0000, v33
	s_delay_alu instid0(VALU_DEP_3) | instskip(SKIP_3) | instid1(VALU_DEP_2)
	v_add_f32_e32 v1, v1, v2
	v_fmac_f32_e32 v14, v10, v18
	v_dual_mul_f32 v11, v11, v86 :: v_dual_and_b32 v10, 0xffff0000, v32
	v_dual_fmac_f32 v3, v0, v31 :: v_dual_lshlrev_b32 v0, 16, v32
	v_dual_add_f32 v9, v9, v14 :: v_dual_mul_f32 v2, v10, v39
	v_lshlrev_b32_e32 v10, 16, v59
	s_delay_alu instid0(VALU_DEP_3) | instskip(SKIP_1) | instid1(VALU_DEP_4)
	v_add_f32_e32 v1, v1, v3
	v_mul_f32_e32 v3, v15, v60
	v_dual_fmac_f32 v2, v0, v20 :: v_dual_and_b32 v15, 0xffff0000, v50
	s_delay_alu instid0(VALU_DEP_4) | instskip(SKIP_1) | instid1(VALU_DEP_2)
	v_dual_fmac_f32 v11, v10, v19 :: v_dual_lshlrev_b32 v0, 16, v33
	v_and_b32_e32 v14, 0xffff0000, v34
	v_dual_fmac_f32 v8, v13, v7 :: v_dual_fmac_f32 v3, v0, v21
	s_delay_alu instid0(VALU_DEP_2) | instskip(NEXT) | instid1(VALU_DEP_4)
	v_dual_add_f32 v1, v1, v2 :: v_dual_mul_f32 v2, v14, v61
	v_dual_add_f32 v9, v9, v11 :: v_dual_lshlrev_b32 v0, 16, v34
	v_and_b32_e32 v11, 0xffff0000, v64
	s_delay_alu instid0(VALU_DEP_2) | instskip(SKIP_1) | instid1(VALU_DEP_3)
	v_dual_add_f32 v1, v1, v3 :: v_dual_fmac_f32 v2, v0, v22
	v_and_b32_e32 v10, 0xffff0000, v35
	v_dual_mul_f32 v11, v11, v87 :: v_dual_and_b32 v14, 0xffff0000, v48
	s_delay_alu instid0(VALU_DEP_3) | instskip(NEXT) | instid1(VALU_DEP_3)
	v_dual_add_f32 v1, v1, v2 :: v_dual_lshlrev_b32 v0, 16, v35
	v_dual_mul_f32 v3, v10, v62 :: v_dual_lshlrev_b32 v10, 16, v64
	s_delay_alu instid0(VALU_DEP_3) | instskip(NEXT) | instid1(VALU_DEP_2)
	v_mul_f32_e32 v2, v14, v63
	v_dual_fmac_f32 v3, v0, v23 :: v_dual_lshlrev_b32 v0, 16, v48
	s_delay_alu instid0(VALU_DEP_3) | instskip(NEXT) | instid1(VALU_DEP_2)
	v_dual_fmac_f32 v11, v10, v4 :: v_dual_and_b32 v10, 0xffff0000, v49
	v_dual_add_f32 v1, v1, v3 :: v_dual_and_b32 v14, 0xffff0000, v65
	s_delay_alu instid0(VALU_DEP_2) | instskip(NEXT) | instid1(VALU_DEP_3)
	v_dual_fmac_f32 v2, v0, v16 :: v_dual_add_f32 v9, v9, v11
	v_dual_mul_f32 v3, v10, v84 :: v_dual_lshlrev_b32 v0, 16, v49
	s_delay_alu instid0(VALU_DEP_2) | instskip(NEXT) | instid1(VALU_DEP_4)
	v_dual_add_f32 v1, v1, v2 :: v_dual_lshlrev_b32 v10, 16, v65
	v_mul_f32_e32 v14, v14, v24
	v_dual_mul_f32 v2, v15, v85 :: v_dual_and_b32 v11, 0xffff0000, v51
	s_delay_alu instid0(VALU_DEP_4) | instskip(NEXT) | instid1(VALU_DEP_1)
	v_dual_fmac_f32 v3, v0, v17 :: v_dual_lshlrev_b32 v0, 16, v50
	v_dual_fmac_f32 v14, v10, v5 :: v_dual_add_f32 v1, v1, v3
	s_delay_alu instid0(VALU_DEP_3) | instskip(NEXT) | instid1(VALU_DEP_3)
	v_mul_f32_e32 v3, v11, v86
	v_fmac_f32_e32 v2, v0, v18
	s_delay_alu instid0(VALU_DEP_3) | instskip(SKIP_2) | instid1(VALU_DEP_4)
	v_dual_add_f32 v9, v9, v14 :: v_dual_lshlrev_b32 v0, 16, v51
	v_and_b32_e32 v10, 0xffff0000, v72
	v_and_b32_e32 v11, 0xffff0000, v66
	v_add_f32_e32 v1, v1, v2
	s_delay_alu instid0(VALU_DEP_4) | instskip(NEXT) | instid1(VALU_DEP_4)
	v_dual_fmac_f32 v3, v0, v19 :: v_dual_lshlrev_b32 v0, 16, v72
	v_mul_f32_e32 v2, v10, v87
	s_delay_alu instid0(VALU_DEP_4) | instskip(NEXT) | instid1(VALU_DEP_3)
	v_dual_mul_f32 v11, v11, v94 :: v_dual_and_b32 v14, 0xffff0000, v73
	v_dual_add_f32 v1, v1, v3 :: v_dual_lshlrev_b32 v10, 16, v66
	s_delay_alu instid0(VALU_DEP_2) | instskip(NEXT) | instid1(VALU_DEP_2)
	v_mul_f32_e32 v3, v14, v24
	v_dual_fmac_f32 v2, v0, v4 :: v_dual_fmac_f32 v11, v10, v6
	s_delay_alu instid0(VALU_DEP_1) | instskip(NEXT) | instid1(VALU_DEP_1)
	v_dual_add_f32 v1, v1, v2 :: v_dual_lshlrev_b32 v0, 16, v73
	v_dual_fmac_f32 v3, v0, v5 :: v_dual_and_b32 v4, 0xffff0000, v74
	v_lshlrev_b32_e32 v0, 16, v74
	v_and_b32_e32 v5, 0xffff0000, v75
	v_and_b32_e32 v10, 0xffff0000, v67
	s_delay_alu instid0(VALU_DEP_4) | instskip(NEXT) | instid1(VALU_DEP_3)
	v_dual_mul_f32 v2, v4, v94 :: v_dual_add_f32 v1, v1, v3
	v_mul_f32_e32 v3, v5, v76
	s_delay_alu instid0(VALU_DEP_3) | instskip(NEXT) | instid1(VALU_DEP_3)
	v_dual_mul_f32 v10, v10, v76 :: v_dual_add_f32 v5, v9, v11
	v_fmac_f32_e32 v2, v0, v6
	v_lshlrev_b32_e32 v4, 16, v67
	s_delay_alu instid0(VALU_DEP_2) | instskip(NEXT) | instid1(VALU_DEP_2)
	v_dual_add_f32 v1, v1, v2 :: v_dual_lshlrev_b32 v0, 16, v75
	v_fmac_f32_e32 v10, v4, v7
	s_delay_alu instid0(VALU_DEP_2) | instskip(NEXT) | instid1(VALU_DEP_2)
	v_fmac_f32_e32 v3, v0, v7
	v_dual_add_f32 v124, v12, v8 :: v_dual_add_f32 v123, v5, v10
	s_delay_alu instid0(VALU_DEP_2)
	v_add_f32_e32 v122, v1, v3
	s_cbranch_scc1 .LBB279_106
.LBB279_22:                             ;   Parent Loop BB279_15 Depth=1
                                        ; =>  This Inner Loop Header: Depth=2
	v_dual_mov_b32 v74, 0 :: v_dual_add_nc_u32 v103, s1, v98
	v_dual_mov_b32 v67, 0 :: v_dual_mov_b32 v66, 0
	v_dual_mov_b32 v65, 0 :: v_dual_mov_b32 v64, 0
	s_delay_alu instid0(VALU_DEP_3) | instskip(SKIP_2) | instid1(VALU_DEP_3)
	v_min_u32_e32 v99, s20, v103
	v_dual_mov_b32 v72, 0 :: v_dual_add_nc_u32 v111, 0x100, v103
	v_dual_mov_b32 v75, 0 :: v_dual_add_nc_u32 v110, 0x200, v103
	v_lshlrev_b64 v[0:1], 1, v[99:100]
	s_delay_alu instid0(VALU_DEP_3) | instskip(SKIP_2) | instid1(VALU_DEP_3)
	v_min_u32_e32 v99, s20, v111
	v_dual_mov_b32 v73, 0 :: v_dual_add_nc_u32 v102, 0x300, v103
	v_dual_mov_b32 v83, 0 :: v_dual_mov_b32 v82, 0
	v_lshlrev_b64 v[2:3], 1, v[99:100]
	v_min_u32_e32 v99, s20, v110
	v_add_co_u32 v0, vcc_lo, v120, v0
	v_add_co_ci_u32_e32 v1, vcc_lo, v121, v1, vcc_lo
	s_waitcnt vmcnt(0)
	s_delay_alu instid0(VALU_DEP_3) | instskip(SKIP_3) | instid1(VALU_DEP_3)
	v_lshlrev_b64 v[4:5], 1, v[99:100]
	v_min_u32_e32 v99, s20, v102
	v_add_co_u32 v2, vcc_lo, v120, v2
	v_add_co_ci_u32_e32 v3, vcc_lo, v121, v3, vcc_lo
	v_lshlrev_b64 v[6:7], 1, v[99:100]
	v_add_co_u32 v4, vcc_lo, v120, v4
	v_add_co_ci_u32_e32 v5, vcc_lo, v121, v5, vcc_lo
	v_dual_mov_b32 v81, 0 :: v_dual_mov_b32 v80, 0
	s_delay_alu instid0(VALU_DEP_4)
	v_add_co_u32 v6, vcc_lo, v120, v6
	v_add_co_ci_u32_e32 v7, vcc_lo, v121, v7, vcc_lo
	s_clause 0x3
	global_load_b128 v[28:31], v[0:1], off slc dlc
	global_load_b128 v[20:23], v[2:3], off slc dlc
	;; [unrolled: 1-line block ×4, first 2 shown]
	v_cmp_gt_u32_e32 vcc_lo, s4, v103
	v_dual_mov_b32 v91, 0 :: v_dual_mov_b32 v90, 0
	v_dual_mov_b32 v89, 0 :: v_dual_mov_b32 v88, 0
	;; [unrolled: 1-line block ×34, first 2 shown]
	s_and_saveexec_b32 s2, vcc_lo
	s_cbranch_execz .LBB279_21
; %bb.23:                               ;   in Loop: Header=BB279_22 Depth=2
	s_mov_b32 s30, exec_lo
                                        ; implicit-def: $vgpr39
	v_cmpx_lt_u32_e32 0x7fff, v103
	s_xor_b32 s30, exec_lo, s30
	s_cbranch_execz .LBB279_25
; %bb.24:                               ;   in Loop: Header=BB279_22 Depth=2
	v_mov_b32_e32 v104, v100
	s_delay_alu instid0(VALU_DEP_1) | instskip(NEXT) | instid1(VALU_DEP_1)
	v_lshlrev_b64 v[0:1], 1, v[103:104]
	v_add_co_u32 v0, vcc_lo, s12, v0
	s_delay_alu instid0(VALU_DEP_2)
	v_add_co_ci_u32_e32 v1, vcc_lo, s13, v1, vcc_lo
	global_load_b128 v[36:39], v[0:1], off
.LBB279_25:                             ;   in Loop: Header=BB279_22 Depth=2
	s_and_not1_saveexec_b32 s30, s30
	s_cbranch_execz .LBB279_27
; %bb.26:                               ;   in Loop: Header=BB279_22 Depth=2
	s_waitcnt vmcnt(0)
	ds_load_b128 v[36:39], v97
.LBB279_27:                             ;   in Loop: Header=BB279_22 Depth=2
	s_or_b32 exec_lo, exec_lo, s30
	v_add_nc_u32_e32 v99, s1, v115
	s_mov_b32 s30, exec_lo
                                        ; implicit-def: $vgpr27
	s_delay_alu instid0(VALU_DEP_1)
	v_cmpx_lt_u32_e32 0x7fff, v99
	s_xor_b32 s30, exec_lo, s30
	s_cbranch_execz .LBB279_29
; %bb.28:                               ;   in Loop: Header=BB279_22 Depth=2
	v_lshlrev_b64 v[0:1], 1, v[99:100]
	s_delay_alu instid0(VALU_DEP_1) | instskip(NEXT) | instid1(VALU_DEP_2)
	v_add_co_u32 v0, vcc_lo, s12, v0
	v_add_co_ci_u32_e32 v1, vcc_lo, s13, v1, vcc_lo
	global_load_b128 v[24:27], v[0:1], off
.LBB279_29:                             ;   in Loop: Header=BB279_22 Depth=2
	s_and_not1_saveexec_b32 s30, s30
	s_cbranch_execz .LBB279_31
; %bb.30:                               ;   in Loop: Header=BB279_22 Depth=2
	v_add_nc_u32_e32 v0, s19, v97
	s_waitcnt vmcnt(0)
	ds_load_b128 v[24:27], v0
.LBB279_31:                             ;   in Loop: Header=BB279_22 Depth=2
	s_or_b32 exec_lo, exec_lo, s30
	v_add_nc_u32_e32 v108, s1, v117
	s_mov_b32 s30, exec_lo
                                        ; implicit-def: $vgpr15
	s_delay_alu instid0(VALU_DEP_1)
	v_cmpx_lt_u32_e32 0x7fff, v108
	s_xor_b32 s30, exec_lo, s30
	s_cbranch_execz .LBB279_33
; %bb.32:                               ;   in Loop: Header=BB279_22 Depth=2
	v_mov_b32_e32 v109, v100
	s_delay_alu instid0(VALU_DEP_1) | instskip(NEXT) | instid1(VALU_DEP_1)
	v_lshlrev_b64 v[0:1], 1, v[108:109]
	v_add_co_u32 v0, vcc_lo, s12, v0
	s_delay_alu instid0(VALU_DEP_2)
	v_add_co_ci_u32_e32 v1, vcc_lo, s13, v1, vcc_lo
	global_load_b128 v[12:15], v[0:1], off
.LBB279_33:                             ;   in Loop: Header=BB279_22 Depth=2
	s_and_not1_saveexec_b32 s30, s30
	s_cbranch_execz .LBB279_35
; %bb.34:                               ;   in Loop: Header=BB279_22 Depth=2
	v_add_nc_u32_e32 v0, s23, v97
	s_waitcnt vmcnt(0)
	ds_load_2addr_b32 v[12:13], v0 offset1:1
	ds_load_2addr_b32 v[14:15], v0 offset0:2 offset1:3
.LBB279_35:                             ;   in Loop: Header=BB279_22 Depth=2
	s_or_b32 exec_lo, exec_lo, s30
	v_add_nc_u32_e32 v106, s1, v101
	s_mov_b32 s30, exec_lo
                                        ; implicit-def: $vgpr11
	s_delay_alu instid0(VALU_DEP_1)
	v_cmpx_lt_u32_e32 0x7fff, v106
	s_xor_b32 s30, exec_lo, s30
	s_cbranch_execz .LBB279_37
; %bb.36:                               ;   in Loop: Header=BB279_22 Depth=2
	v_mov_b32_e32 v107, v100
	s_delay_alu instid0(VALU_DEP_1) | instskip(NEXT) | instid1(VALU_DEP_1)
	v_lshlrev_b64 v[0:1], 1, v[106:107]
	v_add_co_u32 v0, vcc_lo, s12, v0
	s_delay_alu instid0(VALU_DEP_2)
	v_add_co_ci_u32_e32 v1, vcc_lo, s13, v1, vcc_lo
	global_load_b128 v[8:11], v[0:1], off
.LBB279_37:                             ;   in Loop: Header=BB279_22 Depth=2
	s_and_not1_saveexec_b32 s30, s30
	s_cbranch_execz .LBB279_39
; %bb.38:                               ;   in Loop: Header=BB279_22 Depth=2
	v_add_nc_u32_e32 v0, s6, v97
	s_waitcnt vmcnt(0)
	ds_load_b128 v[8:11], v0
.LBB279_39:                             ;   in Loop: Header=BB279_22 Depth=2
	s_or_b32 exec_lo, exec_lo, s30
	v_add_nc_u32_e32 v104, s1, v118
	s_mov_b32 s30, exec_lo
                                        ; implicit-def: $vgpr3
	s_delay_alu instid0(VALU_DEP_1)
	v_cmpx_lt_u32_e32 0x7fff, v104
	s_xor_b32 s30, exec_lo, s30
	s_cbranch_execz .LBB279_41
; %bb.40:                               ;   in Loop: Header=BB279_22 Depth=2
	v_mov_b32_e32 v105, v100
	s_delay_alu instid0(VALU_DEP_1) | instskip(NEXT) | instid1(VALU_DEP_1)
	v_lshlrev_b64 v[0:1], 1, v[104:105]
	v_add_co_u32 v0, vcc_lo, s12, v0
	s_delay_alu instid0(VALU_DEP_2)
	v_add_co_ci_u32_e32 v1, vcc_lo, s13, v1, vcc_lo
	global_load_b128 v[0:3], v[0:1], off
.LBB279_41:                             ;   in Loop: Header=BB279_22 Depth=2
	s_and_not1_saveexec_b32 s30, s30
	s_cbranch_execz .LBB279_43
; %bb.42:                               ;   in Loop: Header=BB279_22 Depth=2
	s_waitcnt vmcnt(0)
	v_add_nc_u32_e32 v0, s28, v97
	ds_load_2addr_b64 v[0:3], v0 offset1:1
.LBB279_43:                             ;   in Loop: Header=BB279_22 Depth=2
	s_or_b32 exec_lo, exec_lo, s30
	v_cmp_gt_u32_e32 vcc_lo, s4, v111
	v_dual_mov_b32 v75, 0 :: v_dual_mov_b32 v74, 0
	v_dual_mov_b32 v73, 0 :: v_dual_mov_b32 v72, 0
	;; [unrolled: 1-line block ×30, first 2 shown]
	s_and_saveexec_b32 s30, vcc_lo
	s_cbranch_execz .LBB279_20
; %bb.44:                               ;   in Loop: Header=BB279_22 Depth=2
	s_mov_b32 s31, exec_lo
                                        ; implicit-def: $vgpr63
	v_cmpx_lt_u32_e32 0x7fff, v111
	s_xor_b32 s31, exec_lo, s31
	s_cbranch_execz .LBB279_46
; %bb.45:                               ;   in Loop: Header=BB279_22 Depth=2
	v_mov_b32_e32 v112, v100
	s_delay_alu instid0(VALU_DEP_1) | instskip(NEXT) | instid1(VALU_DEP_1)
	v_lshlrev_b64 v[32:33], 1, v[111:112]
	v_add_co_u32 v32, vcc_lo, s12, v32
	s_delay_alu instid0(VALU_DEP_2)
	v_add_co_ci_u32_e32 v33, vcc_lo, s13, v33, vcc_lo
	global_load_b128 v[60:63], v[32:33], off
.LBB279_46:                             ;   in Loop: Header=BB279_22 Depth=2
	s_and_not1_saveexec_b32 s31, s31
	s_cbranch_execz .LBB279_48
; %bb.47:                               ;   in Loop: Header=BB279_22 Depth=2
	s_waitcnt vmcnt(0)
	ds_load_b128 v[60:63], v97 offset:512
.LBB279_48:                             ;   in Loop: Header=BB279_22 Depth=2
	s_or_b32 exec_lo, exec_lo, s31
	v_add_nc_u32_e32 v32, 0x100, v99
	s_mov_b32 s31, exec_lo
                                        ; implicit-def: $vgpr55
	s_delay_alu instid0(VALU_DEP_1)
	v_cmpx_lt_u32_e32 0x7fff, v32
	s_xor_b32 s31, exec_lo, s31
	s_cbranch_execz .LBB279_50
; %bb.49:                               ;   in Loop: Header=BB279_22 Depth=2
	v_mov_b32_e32 v33, v100
	s_delay_alu instid0(VALU_DEP_1) | instskip(NEXT) | instid1(VALU_DEP_1)
	v_lshlrev_b64 v[32:33], 1, v[32:33]
	v_add_co_u32 v32, vcc_lo, s12, v32
	s_delay_alu instid0(VALU_DEP_2)
	v_add_co_ci_u32_e32 v33, vcc_lo, s13, v33, vcc_lo
	global_load_b128 v[52:55], v[32:33], off
.LBB279_50:                             ;   in Loop: Header=BB279_22 Depth=2
	s_and_not1_saveexec_b32 s31, s31
	s_cbranch_execz .LBB279_52
; %bb.51:                               ;   in Loop: Header=BB279_22 Depth=2
	v_add_nc_u32_e32 v32, s19, v97
	s_waitcnt vmcnt(0)
	ds_load_b128 v[52:55], v32 offset:512
.LBB279_52:                             ;   in Loop: Header=BB279_22 Depth=2
	s_or_b32 exec_lo, exec_lo, s31
	v_add_nc_u32_e32 v32, 0x100, v108
	s_mov_b32 s31, exec_lo
                                        ; implicit-def: $vgpr47
	s_delay_alu instid0(VALU_DEP_1)
	v_cmpx_lt_u32_e32 0x7fff, v32
	s_xor_b32 s31, exec_lo, s31
	s_cbranch_execz .LBB279_54
; %bb.53:                               ;   in Loop: Header=BB279_22 Depth=2
	v_mov_b32_e32 v33, v100
	s_delay_alu instid0(VALU_DEP_1) | instskip(NEXT) | instid1(VALU_DEP_1)
	v_lshlrev_b64 v[32:33], 1, v[32:33]
	v_add_co_u32 v32, vcc_lo, s12, v32
	s_delay_alu instid0(VALU_DEP_2)
	v_add_co_ci_u32_e32 v33, vcc_lo, s13, v33, vcc_lo
	global_load_b128 v[44:47], v[32:33], off
.LBB279_54:                             ;   in Loop: Header=BB279_22 Depth=2
	s_and_not1_saveexec_b32 s31, s31
	s_cbranch_execz .LBB279_56
; %bb.55:                               ;   in Loop: Header=BB279_22 Depth=2
	v_add_nc_u32_e32 v32, s23, v97
	s_waitcnt vmcnt(0)
	ds_load_2addr_b32 v[44:45], v32 offset0:128 offset1:129
	ds_load_2addr_b32 v[46:47], v32 offset0:130 offset1:131
.LBB279_56:                             ;   in Loop: Header=BB279_22 Depth=2
	s_or_b32 exec_lo, exec_lo, s31
	v_add_nc_u32_e32 v32, 0x100, v106
	s_mov_b32 s31, exec_lo
                                        ; implicit-def: $vgpr43
	s_delay_alu instid0(VALU_DEP_1)
	v_cmpx_lt_u32_e32 0x7fff, v32
	s_xor_b32 s31, exec_lo, s31
	s_cbranch_execz .LBB279_58
; %bb.57:                               ;   in Loop: Header=BB279_22 Depth=2
	v_mov_b32_e32 v33, v100
	s_delay_alu instid0(VALU_DEP_1) | instskip(NEXT) | instid1(VALU_DEP_1)
	v_lshlrev_b64 v[32:33], 1, v[32:33]
	v_add_co_u32 v32, vcc_lo, s12, v32
	s_delay_alu instid0(VALU_DEP_2)
	v_add_co_ci_u32_e32 v33, vcc_lo, s13, v33, vcc_lo
	global_load_b128 v[40:43], v[32:33], off
.LBB279_58:                             ;   in Loop: Header=BB279_22 Depth=2
	s_and_not1_saveexec_b32 s31, s31
	s_cbranch_execz .LBB279_60
; %bb.59:                               ;   in Loop: Header=BB279_22 Depth=2
	v_add_nc_u32_e32 v32, s6, v97
	s_waitcnt vmcnt(0)
	ds_load_b128 v[40:43], v32 offset:512
.LBB279_60:                             ;   in Loop: Header=BB279_22 Depth=2
	s_or_b32 exec_lo, exec_lo, s31
	v_add_nc_u32_e32 v32, 0x100, v104
	s_mov_b32 s31, exec_lo
                                        ; implicit-def: $vgpr35
	s_delay_alu instid0(VALU_DEP_1)
	v_cmpx_lt_u32_e32 0x7fff, v32
	s_xor_b32 s31, exec_lo, s31
	s_cbranch_execz .LBB279_62
; %bb.61:                               ;   in Loop: Header=BB279_22 Depth=2
	v_mov_b32_e32 v33, v100
	s_delay_alu instid0(VALU_DEP_1) | instskip(NEXT) | instid1(VALU_DEP_1)
	v_lshlrev_b64 v[32:33], 1, v[32:33]
	v_add_co_u32 v32, vcc_lo, s12, v32
	s_delay_alu instid0(VALU_DEP_2)
	v_add_co_ci_u32_e32 v33, vcc_lo, s13, v33, vcc_lo
	global_load_b128 v[32:35], v[32:33], off
.LBB279_62:                             ;   in Loop: Header=BB279_22 Depth=2
	s_and_not1_saveexec_b32 s31, s31
	s_cbranch_execz .LBB279_64
; %bb.63:                               ;   in Loop: Header=BB279_22 Depth=2
	s_waitcnt vmcnt(0)
	v_add_nc_u32_e32 v32, s28, v97
	ds_load_2addr_b64 v[32:35], v32 offset0:64 offset1:65
.LBB279_64:                             ;   in Loop: Header=BB279_22 Depth=2
	s_or_b32 exec_lo, exec_lo, s31
	v_cmp_gt_u32_e32 vcc_lo, s4, v110
	v_dual_mov_b32 v75, 0 :: v_dual_mov_b32 v74, 0
	v_dual_mov_b32 v73, 0 :: v_dual_mov_b32 v72, 0
	;; [unrolled: 1-line block ×20, first 2 shown]
	s_and_saveexec_b32 s31, vcc_lo
	s_cbranch_execz .LBB279_19
; %bb.65:                               ;   in Loop: Header=BB279_22 Depth=2
	s_mov_b32 s33, exec_lo
                                        ; implicit-def: $vgpr87
	v_cmpx_lt_u32_e32 0x7fff, v110
	s_xor_b32 s33, exec_lo, s33
	s_cbranch_execz .LBB279_67
; %bb.66:                               ;   in Loop: Header=BB279_22 Depth=2
	v_mov_b32_e32 v111, v100
	s_delay_alu instid0(VALU_DEP_1) | instskip(NEXT) | instid1(VALU_DEP_1)
	v_lshlrev_b64 v[48:49], 1, v[110:111]
	v_add_co_u32 v48, vcc_lo, s12, v48
	s_delay_alu instid0(VALU_DEP_2)
	v_add_co_ci_u32_e32 v49, vcc_lo, s13, v49, vcc_lo
	global_load_b128 v[84:87], v[48:49], off
.LBB279_67:                             ;   in Loop: Header=BB279_22 Depth=2
	s_and_not1_saveexec_b32 s33, s33
	s_cbranch_execz .LBB279_69
; %bb.68:                               ;   in Loop: Header=BB279_22 Depth=2
	s_waitcnt vmcnt(0)
	ds_load_b128 v[84:87], v97 offset:1024
.LBB279_69:                             ;   in Loop: Header=BB279_22 Depth=2
	s_or_b32 exec_lo, exec_lo, s33
	v_add_nc_u32_e32 v48, 0x200, v99
	s_mov_b32 s33, exec_lo
                                        ; implicit-def: $vgpr79
	s_delay_alu instid0(VALU_DEP_1)
	v_cmpx_lt_u32_e32 0x7fff, v48
	s_xor_b32 s33, exec_lo, s33
	s_cbranch_execz .LBB279_71
; %bb.70:                               ;   in Loop: Header=BB279_22 Depth=2
	v_mov_b32_e32 v49, v100
	s_delay_alu instid0(VALU_DEP_1) | instskip(NEXT) | instid1(VALU_DEP_1)
	v_lshlrev_b64 v[48:49], 1, v[48:49]
	v_add_co_u32 v48, vcc_lo, s12, v48
	s_delay_alu instid0(VALU_DEP_2)
	v_add_co_ci_u32_e32 v49, vcc_lo, s13, v49, vcc_lo
	global_load_b128 v[76:79], v[48:49], off
.LBB279_71:                             ;   in Loop: Header=BB279_22 Depth=2
	s_and_not1_saveexec_b32 s33, s33
	s_cbranch_execz .LBB279_73
; %bb.72:                               ;   in Loop: Header=BB279_22 Depth=2
	v_add_nc_u32_e32 v48, s19, v97
	s_waitcnt vmcnt(0)
	ds_load_b128 v[76:79], v48 offset:1024
.LBB279_73:                             ;   in Loop: Header=BB279_22 Depth=2
	s_or_b32 exec_lo, exec_lo, s33
	v_add_nc_u32_e32 v48, 0x200, v108
	s_mov_b32 s33, exec_lo
                                        ; implicit-def: $vgpr71
	s_delay_alu instid0(VALU_DEP_1)
	v_cmpx_lt_u32_e32 0x7fff, v48
	s_xor_b32 s33, exec_lo, s33
	s_cbranch_execz .LBB279_75
; %bb.74:                               ;   in Loop: Header=BB279_22 Depth=2
	v_mov_b32_e32 v49, v100
	s_delay_alu instid0(VALU_DEP_1) | instskip(NEXT) | instid1(VALU_DEP_1)
	v_lshlrev_b64 v[48:49], 1, v[48:49]
	v_add_co_u32 v48, vcc_lo, s12, v48
	s_delay_alu instid0(VALU_DEP_2)
	v_add_co_ci_u32_e32 v49, vcc_lo, s13, v49, vcc_lo
	global_load_b128 v[68:71], v[48:49], off
.LBB279_75:                             ;   in Loop: Header=BB279_22 Depth=2
	s_and_not1_saveexec_b32 s33, s33
	s_cbranch_execz .LBB279_77
; %bb.76:                               ;   in Loop: Header=BB279_22 Depth=2
	v_add_nc_u32_e32 v48, s23, v97
	s_delay_alu instid0(VALU_DEP_1)
	v_add_nc_u32_e32 v49, 0x400, v48
	v_add_nc_u32_e32 v48, 0x408, v48
	s_waitcnt vmcnt(0)
	ds_load_2addr_b32 v[68:69], v49 offset1:1
	ds_load_2addr_b32 v[70:71], v48 offset1:1
.LBB279_77:                             ;   in Loop: Header=BB279_22 Depth=2
	s_or_b32 exec_lo, exec_lo, s33
	v_add_nc_u32_e32 v48, 0x200, v106
	s_mov_b32 s33, exec_lo
                                        ; implicit-def: $vgpr59
	s_delay_alu instid0(VALU_DEP_1)
	v_cmpx_lt_u32_e32 0x7fff, v48
	s_xor_b32 s33, exec_lo, s33
	s_cbranch_execz .LBB279_79
; %bb.78:                               ;   in Loop: Header=BB279_22 Depth=2
	v_mov_b32_e32 v49, v100
	s_delay_alu instid0(VALU_DEP_1) | instskip(NEXT) | instid1(VALU_DEP_1)
	v_lshlrev_b64 v[48:49], 1, v[48:49]
	v_add_co_u32 v48, vcc_lo, s12, v48
	s_delay_alu instid0(VALU_DEP_2)
	v_add_co_ci_u32_e32 v49, vcc_lo, s13, v49, vcc_lo
	global_load_b128 v[56:59], v[48:49], off
.LBB279_79:                             ;   in Loop: Header=BB279_22 Depth=2
	s_and_not1_saveexec_b32 s33, s33
	s_cbranch_execz .LBB279_81
; %bb.80:                               ;   in Loop: Header=BB279_22 Depth=2
	v_add_nc_u32_e32 v48, s6, v97
	s_waitcnt vmcnt(0)
	ds_load_b128 v[56:59], v48 offset:1024
.LBB279_81:                             ;   in Loop: Header=BB279_22 Depth=2
	s_or_b32 exec_lo, exec_lo, s33
	v_add_nc_u32_e32 v48, 0x200, v104
	s_mov_b32 s33, exec_lo
                                        ; implicit-def: $vgpr51
	s_delay_alu instid0(VALU_DEP_1)
	v_cmpx_lt_u32_e32 0x7fff, v48
	s_xor_b32 s33, exec_lo, s33
	s_cbranch_execz .LBB279_83
; %bb.82:                               ;   in Loop: Header=BB279_22 Depth=2
	v_mov_b32_e32 v49, v100
	s_delay_alu instid0(VALU_DEP_1) | instskip(NEXT) | instid1(VALU_DEP_1)
	v_lshlrev_b64 v[48:49], 1, v[48:49]
	v_add_co_u32 v48, vcc_lo, s12, v48
	s_delay_alu instid0(VALU_DEP_2)
	v_add_co_ci_u32_e32 v49, vcc_lo, s13, v49, vcc_lo
	global_load_b128 v[48:51], v[48:49], off
.LBB279_83:                             ;   in Loop: Header=BB279_22 Depth=2
	s_and_not1_saveexec_b32 s33, s33
	s_cbranch_execz .LBB279_85
; %bb.84:                               ;   in Loop: Header=BB279_22 Depth=2
	s_waitcnt vmcnt(0)
	v_add_nc_u32_e32 v48, s28, v97
	ds_load_2addr_b64 v[48:51], v48 offset0:128 offset1:129
.LBB279_85:                             ;   in Loop: Header=BB279_22 Depth=2
	s_or_b32 exec_lo, exec_lo, s33
	v_cmp_gt_u32_e32 vcc_lo, s4, v102
	v_dual_mov_b32 v75, 0 :: v_dual_mov_b32 v74, 0
	v_dual_mov_b32 v73, 0 :: v_dual_mov_b32 v72, 0
	;; [unrolled: 1-line block ×10, first 2 shown]
	s_and_saveexec_b32 s33, vcc_lo
	s_cbranch_execz .LBB279_18
; %bb.86:                               ;   in Loop: Header=BB279_22 Depth=2
	s_mov_b32 s34, exec_lo
                                        ; implicit-def: $vgpr95
	v_cmpx_lt_u32_e32 0x7fff, v102
	s_xor_b32 s34, exec_lo, s34
	s_cbranch_execz .LBB279_88
; %bb.87:                               ;   in Loop: Header=BB279_22 Depth=2
	v_mov_b32_e32 v103, v100
	s_delay_alu instid0(VALU_DEP_1) | instskip(NEXT) | instid1(VALU_DEP_1)
	v_lshlrev_b64 v[64:65], 1, v[102:103]
	v_add_co_u32 v64, vcc_lo, s12, v64
	s_delay_alu instid0(VALU_DEP_2)
	v_add_co_ci_u32_e32 v65, vcc_lo, s13, v65, vcc_lo
	global_load_b128 v[92:95], v[64:65], off
.LBB279_88:                             ;   in Loop: Header=BB279_22 Depth=2
	s_and_not1_saveexec_b32 s34, s34
	s_cbranch_execz .LBB279_90
; %bb.89:                               ;   in Loop: Header=BB279_22 Depth=2
	s_waitcnt vmcnt(0)
	ds_load_b128 v[92:95], v97 offset:1536
.LBB279_90:                             ;   in Loop: Header=BB279_22 Depth=2
	s_or_b32 exec_lo, exec_lo, s34
	v_add_nc_u32_e32 v99, 0x300, v99
	s_mov_b32 s34, exec_lo
                                        ; implicit-def: $vgpr91
	s_delay_alu instid0(VALU_DEP_1)
	v_cmpx_lt_u32_e32 0x7fff, v99
	s_xor_b32 s34, exec_lo, s34
	s_cbranch_execz .LBB279_92
; %bb.91:                               ;   in Loop: Header=BB279_22 Depth=2
	v_lshlrev_b64 v[64:65], 1, v[99:100]
	s_delay_alu instid0(VALU_DEP_1) | instskip(NEXT) | instid1(VALU_DEP_2)
	v_add_co_u32 v64, vcc_lo, s12, v64
	v_add_co_ci_u32_e32 v65, vcc_lo, s13, v65, vcc_lo
	global_load_b128 v[88:91], v[64:65], off
.LBB279_92:                             ;   in Loop: Header=BB279_22 Depth=2
	s_and_not1_saveexec_b32 s34, s34
	s_cbranch_execz .LBB279_94
; %bb.93:                               ;   in Loop: Header=BB279_22 Depth=2
	v_add_nc_u32_e32 v64, s19, v97
	s_waitcnt vmcnt(0)
	ds_load_b128 v[88:91], v64 offset:1536
.LBB279_94:                             ;   in Loop: Header=BB279_22 Depth=2
	s_or_b32 exec_lo, exec_lo, s34
	v_add_nc_u32_e32 v99, 0x300, v108
	s_mov_b32 s34, exec_lo
                                        ; implicit-def: $vgpr83
	s_delay_alu instid0(VALU_DEP_1)
	v_cmpx_lt_u32_e32 0x7fff, v99
	s_xor_b32 s34, exec_lo, s34
	s_cbranch_execz .LBB279_96
; %bb.95:                               ;   in Loop: Header=BB279_22 Depth=2
	v_lshlrev_b64 v[64:65], 1, v[99:100]
	s_delay_alu instid0(VALU_DEP_1) | instskip(NEXT) | instid1(VALU_DEP_2)
	v_add_co_u32 v64, vcc_lo, s12, v64
	v_add_co_ci_u32_e32 v65, vcc_lo, s13, v65, vcc_lo
	global_load_b128 v[80:83], v[64:65], off
.LBB279_96:                             ;   in Loop: Header=BB279_22 Depth=2
	s_and_not1_saveexec_b32 s34, s34
	s_cbranch_execz .LBB279_98
; %bb.97:                               ;   in Loop: Header=BB279_22 Depth=2
	v_add_nc_u32_e32 v64, s23, v97
	s_delay_alu instid0(VALU_DEP_1)
	v_add_nc_u32_e32 v65, 0x600, v64
	v_add_nc_u32_e32 v64, 0x608, v64
	s_waitcnt vmcnt(0)
	ds_load_2addr_b32 v[80:81], v65 offset1:1
	ds_load_2addr_b32 v[82:83], v64 offset1:1
.LBB279_98:                             ;   in Loop: Header=BB279_22 Depth=2
	s_or_b32 exec_lo, exec_lo, s34
	v_add_nc_u32_e32 v99, 0x300, v106
	s_mov_b32 s34, exec_lo
                                        ; implicit-def: $vgpr67
	s_delay_alu instid0(VALU_DEP_1)
	v_cmpx_lt_u32_e32 0x7fff, v99
	s_xor_b32 s34, exec_lo, s34
	s_cbranch_execz .LBB279_100
; %bb.99:                               ;   in Loop: Header=BB279_22 Depth=2
	v_lshlrev_b64 v[64:65], 1, v[99:100]
	s_delay_alu instid0(VALU_DEP_1) | instskip(NEXT) | instid1(VALU_DEP_2)
	v_add_co_u32 v64, vcc_lo, s12, v64
	v_add_co_ci_u32_e32 v65, vcc_lo, s13, v65, vcc_lo
	global_load_b128 v[64:67], v[64:65], off
.LBB279_100:                            ;   in Loop: Header=BB279_22 Depth=2
	s_and_not1_saveexec_b32 s34, s34
	s_cbranch_execz .LBB279_102
; %bb.101:                              ;   in Loop: Header=BB279_22 Depth=2
	s_waitcnt vmcnt(0)
	v_add_nc_u32_e32 v64, s6, v97
	ds_load_b128 v[64:67], v64 offset:1536
.LBB279_102:                            ;   in Loop: Header=BB279_22 Depth=2
	s_or_b32 exec_lo, exec_lo, s34
	v_add_nc_u32_e32 v99, 0x300, v104
	s_mov_b32 s34, exec_lo
                                        ; implicit-def: $vgpr75
	s_delay_alu instid0(VALU_DEP_1)
	v_cmpx_lt_u32_e32 0x7fff, v99
	s_xor_b32 s34, exec_lo, s34
	s_cbranch_execz .LBB279_104
; %bb.103:                              ;   in Loop: Header=BB279_22 Depth=2
	v_lshlrev_b64 v[72:73], 1, v[99:100]
	s_delay_alu instid0(VALU_DEP_1) | instskip(NEXT) | instid1(VALU_DEP_2)
	v_add_co_u32 v72, vcc_lo, s12, v72
	v_add_co_ci_u32_e32 v73, vcc_lo, s13, v73, vcc_lo
	global_load_b128 v[72:75], v[72:73], off
.LBB279_104:                            ;   in Loop: Header=BB279_22 Depth=2
	s_and_not1_saveexec_b32 s34, s34
	s_cbranch_execz .LBB279_17
; %bb.105:                              ;   in Loop: Header=BB279_22 Depth=2
	s_waitcnt vmcnt(0)
	v_add_nc_u32_e32 v72, s28, v97
	ds_load_2addr_b64 v[72:75], v72 offset0:192 offset1:193
	s_branch .LBB279_17
.LBB279_106:                            ;   in Loop: Header=BB279_15 Depth=1
	s_delay_alu instid0(VALU_DEP_1)
	v_cvt_i32_f32_e32 v0, v126
	v_cvt_i32_f32_e32 v1, v125
	;; [unrolled: 1-line block ×4, first 2 shown]
	s_waitcnt vmcnt(0)
	v_cvt_i32_f32_e32 v4, v122
	v_cvt_f32_i32_dpp v0, v0 row_shr:8 row_mask:0xf bank_mask:0xf bound_ctrl:1
	v_cvt_f32_i32_dpp v1, v1 row_shr:8 row_mask:0xf bank_mask:0xf bound_ctrl:1
	;; [unrolled: 1-line block ×5, first 2 shown]
	s_delay_alu instid0(VALU_DEP_4) | instskip(NEXT) | instid1(VALU_DEP_3)
	v_dual_add_f32 v0, v126, v0 :: v_dual_add_f32 v1, v125, v1
	v_dual_add_f32 v2, v124, v2 :: v_dual_add_f32 v3, v123, v3
	s_delay_alu instid0(VALU_DEP_2) | instskip(NEXT) | instid1(VALU_DEP_3)
	v_cvt_i32_f32_e32 v5, v0
	v_cvt_i32_f32_e32 v6, v1
	s_delay_alu instid0(VALU_DEP_3) | instskip(NEXT) | instid1(VALU_DEP_4)
	v_cvt_i32_f32_e32 v7, v2
	v_cvt_i32_f32_e32 v8, v3
	s_delay_alu instid0(VALU_DEP_4) | instskip(NEXT) | instid1(VALU_DEP_4)
	v_cvt_f32_i32_dpp v5, v5 row_shr:4 row_mask:0xf bank_mask:0xf bound_ctrl:1
	v_cvt_f32_i32_dpp v6, v6 row_shr:4 row_mask:0xf bank_mask:0xf bound_ctrl:1
	v_add_f32_e32 v4, v122, v4
	v_cvt_f32_i32_dpp v7, v7 row_shr:4 row_mask:0xf bank_mask:0xf bound_ctrl:1
	v_cvt_f32_i32_dpp v8, v8 row_shr:4 row_mask:0xf bank_mask:0xf bound_ctrl:1
	s_delay_alu instid0(VALU_DEP_4) | instskip(NEXT) | instid1(VALU_DEP_4)
	v_dual_add_f32 v0, v0, v5 :: v_dual_add_f32 v1, v1, v6
	v_cvt_i32_f32_e32 v9, v4
	s_delay_alu instid0(VALU_DEP_3) | instskip(NEXT) | instid1(VALU_DEP_3)
	v_add_f32_e32 v3, v3, v8
	v_cvt_i32_f32_e32 v5, v0
	s_delay_alu instid0(VALU_DEP_4) | instskip(NEXT) | instid1(VALU_DEP_4)
	v_cvt_i32_f32_e32 v6, v1
	v_cvt_f32_i32_dpp v9, v9 row_shr:4 row_mask:0xf bank_mask:0xf bound_ctrl:1
	s_delay_alu instid0(VALU_DEP_4) | instskip(NEXT) | instid1(VALU_DEP_4)
	v_cvt_i32_f32_e32 v8, v3
	v_cvt_f32_i32_dpp v5, v5 row_shr:2 row_mask:0xf bank_mask:0xf bound_ctrl:1
	s_delay_alu instid0(VALU_DEP_4) | instskip(SKIP_1) | instid1(VALU_DEP_4)
	v_cvt_f32_i32_dpp v6, v6 row_shr:2 row_mask:0xf bank_mask:0xf bound_ctrl:1
	v_add_f32_e32 v2, v2, v7
	v_cvt_f32_i32_dpp v8, v8 row_shr:2 row_mask:0xf bank_mask:0xf bound_ctrl:1
	s_delay_alu instid0(VALU_DEP_3) | instskip(NEXT) | instid1(VALU_DEP_3)
	v_dual_add_f32 v4, v4, v9 :: v_dual_add_f32 v1, v1, v6
	v_cvt_i32_f32_e32 v7, v2
	s_delay_alu instid0(VALU_DEP_3) | instskip(NEXT) | instid1(VALU_DEP_3)
	v_add_f32_e32 v3, v3, v8
	v_cvt_i32_f32_e32 v9, v4
	s_delay_alu instid0(VALU_DEP_4) | instskip(NEXT) | instid1(VALU_DEP_4)
	v_cvt_i32_f32_e32 v6, v1
	v_cvt_f32_i32_dpp v7, v7 row_shr:2 row_mask:0xf bank_mask:0xf bound_ctrl:1
	s_delay_alu instid0(VALU_DEP_4) | instskip(NEXT) | instid1(VALU_DEP_4)
	v_cvt_i32_f32_e32 v8, v3
	v_cvt_f32_i32_dpp v9, v9 row_shr:2 row_mask:0xf bank_mask:0xf bound_ctrl:1
	s_delay_alu instid0(VALU_DEP_4) | instskip(NEXT) | instid1(VALU_DEP_4)
	v_cvt_f32_i32_dpp v6, v6 row_shr:1 row_mask:0xf bank_mask:0xf bound_ctrl:1
	v_add_f32_e32 v2, v2, v7
	s_delay_alu instid0(VALU_DEP_4) | instskip(NEXT) | instid1(VALU_DEP_4)
	v_cvt_f32_i32_dpp v10, v8 row_shr:1 row_mask:0xf bank_mask:0xf bound_ctrl:1
	v_add_f32_e32 v4, v4, v9
	s_delay_alu instid0(VALU_DEP_4) | instskip(NEXT) | instid1(VALU_DEP_4)
	v_add_f32_e32 v8, v1, v6
	v_cvt_i32_f32_e32 v7, v2
	s_delay_alu instid0(VALU_DEP_3) | instskip(NEXT) | instid1(VALU_DEP_2)
	v_cvt_i32_f32_e32 v9, v4
	v_cvt_f32_i32_dpp v7, v7 row_shr:1 row_mask:0xf bank_mask:0xf bound_ctrl:1
	v_add_f32_e32 v0, v0, v5
	s_delay_alu instid0(VALU_DEP_3) | instskip(NEXT) | instid1(VALU_DEP_2)
	v_cvt_f32_i32_dpp v9, v9 row_shr:1 row_mask:0xf bank_mask:0xf bound_ctrl:1
	v_cvt_i32_f32_e32 v5, v0
	s_delay_alu instid0(VALU_DEP_1) | instskip(NEXT) | instid1(VALU_DEP_1)
	v_cvt_f32_i32_dpp v5, v5 row_shr:1 row_mask:0xf bank_mask:0xf bound_ctrl:1
	v_add_f32_e32 v11, v0, v5
	v_dual_add_f32 v5, v2, v7 :: v_dual_add_f32 v2, v3, v10
	v_add_f32_e32 v0, v4, v9
	ds_bpermute_b32 v9, v116, v8
	ds_bpermute_b32 v12, v116, v11
	;; [unrolled: 1-line block ×5, first 2 shown]
	s_and_saveexec_b32 s1, s0
	s_cbranch_execz .LBB279_14
; %bb.107:                              ;   in Loop: Header=BB279_15 Depth=1
	v_dual_mov_b32 v14, 0 :: v_dual_mov_b32 v13, 0
	v_dual_mov_b32 v10, 0 :: v_dual_mov_b32 v7, 0
	v_mov_b32_e32 v4, 0
	s_and_not1_b32 vcc_lo, exec_lo, s22
	s_cbranch_vccnz .LBB279_109
; %bb.108:                              ;   in Loop: Header=BB279_15 Depth=1
	v_mul_hi_u32 v4, v96, v119
	s_delay_alu instid0(VALU_DEP_1) | instskip(NEXT) | instid1(VALU_DEP_1)
	v_mul_lo_u32 v4, v4, s16
	v_sub_nc_u32_e32 v4, v96, v4
	s_delay_alu instid0(VALU_DEP_1) | instskip(SKIP_1) | instid1(VALU_DEP_2)
	v_subrev_nc_u32_e32 v7, s16, v4
	v_cmp_le_u32_e32 vcc_lo, s16, v4
	v_cndmask_b32_e32 v4, v4, v7, vcc_lo
	s_delay_alu instid0(VALU_DEP_1) | instskip(SKIP_1) | instid1(VALU_DEP_2)
	v_subrev_nc_u32_e32 v7, s16, v4
	v_cmp_le_u32_e32 vcc_lo, s16, v4
	v_cndmask_b32_e32 v99, v4, v7, vcc_lo
	v_mov_b32_e32 v14, v100
	v_mov_b32_e32 v16, v100
	s_delay_alu instid0(VALU_DEP_3)
	v_dual_mov_b32 v18, v100 :: v_dual_add_nc_u32 v17, s27, v99
	v_add_nc_u32_e32 v13, s25, v99
	v_lshlrev_b64 v[19:20], 1, v[99:100]
	v_add_nc_u32_e32 v15, s26, v99
	v_add_nc_u32_e32 v99, s29, v99
	v_lshlrev_b64 v[17:18], 1, v[17:18]
	v_lshlrev_b64 v[13:14], 1, v[13:14]
	s_delay_alu instid0(VALU_DEP_4) | instskip(SKIP_2) | instid1(VALU_DEP_4)
	v_lshlrev_b64 v[15:16], 1, v[15:16]
	v_add_co_u32 v19, vcc_lo, s8, v19
	v_add_co_ci_u32_e32 v20, vcc_lo, s9, v20, vcc_lo
	v_add_co_u32 v23, vcc_lo, s8, v13
	v_add_co_ci_u32_e32 v24, vcc_lo, s9, v14, vcc_lo
	v_lshlrev_b64 v[21:22], 1, v[99:100]
	v_add_co_u32 v15, vcc_lo, s8, v15
	v_add_co_ci_u32_e32 v16, vcc_lo, s9, v16, vcc_lo
	v_add_co_u32 v17, vcc_lo, s8, v17
	v_add_co_ci_u32_e32 v18, vcc_lo, s9, v18, vcc_lo
	;; [unrolled: 2-line block ×3, first 2 shown]
	s_clause 0x4
	global_load_u16 v14, v[19:20], off
	global_load_u16 v13, v[23:24], off
	global_load_u16 v10, v[15:16], off
	global_load_u16 v7, v[17:18], off
	global_load_u16 v4, v[21:22], off
.LBB279_109:                            ;   in Loop: Header=BB279_15 Depth=1
	v_cmp_ne_u32_e32 vcc_lo, 0, v113
	s_and_b32 exec_lo, exec_lo, vcc_lo
	s_cbranch_execz .LBB279_14
; %bb.110:                              ;   in Loop: Header=BB279_15 Depth=1
	s_waitcnt vmcnt(4) lgkmcnt(3)
	v_dual_add_f32 v11, v11, v12 :: v_dual_lshlrev_b32 v12, 16, v14
	s_delay_alu instid0(VALU_DEP_1) | instskip(NEXT) | instid1(VALU_DEP_1)
	v_add_f32_e32 v12, v11, v12
	v_and_b32_e32 v11, 0x7f800000, v12
	s_delay_alu instid0(VALU_DEP_1) | instskip(SKIP_1) | instid1(SALU_CYCLE_1)
	v_cmp_ne_u32_e32 vcc_lo, 0x7f800000, v11
                                        ; implicit-def: $vgpr11
	s_and_saveexec_b32 s2, vcc_lo
	s_xor_b32 s2, exec_lo, s2
; %bb.111:                              ;   in Loop: Header=BB279_15 Depth=1
	v_bfe_u32 v11, v12, 16, 1
	s_delay_alu instid0(VALU_DEP_1)
	v_add3_u32 v11, v12, v11, 0x7fff
                                        ; implicit-def: $vgpr12
; %bb.112:                              ;   in Loop: Header=BB279_15 Depth=1
	s_and_not1_saveexec_b32 s2, s2
; %bb.113:                              ;   in Loop: Header=BB279_15 Depth=1
	v_and_b32_e32 v11, 0xffff, v12
	v_or_b32_e32 v14, 0x10000, v12
	s_delay_alu instid0(VALU_DEP_2) | instskip(NEXT) | instid1(VALU_DEP_2)
	v_cmp_eq_u32_e32 vcc_lo, 0, v11
	v_cndmask_b32_e32 v11, v14, v12, vcc_lo
; %bb.114:                              ;   in Loop: Header=BB279_15 Depth=1
	s_or_b32 exec_lo, exec_lo, s2
	v_add_f32_e32 v8, v8, v9
	s_waitcnt vmcnt(3)
	v_lshlrev_b32_e32 v9, 16, v13
	s_delay_alu instid0(VALU_DEP_1) | instskip(NEXT) | instid1(VALU_DEP_1)
	v_add_f32_e32 v9, v8, v9
	v_dual_mov_b32 v97, v100 :: v_dual_and_b32 v8, 0x7f800000, v9
	s_delay_alu instid0(VALU_DEP_1) | instskip(NEXT) | instid1(VALU_DEP_1)
	v_lshlrev_b64 v[12:13], 1, v[96:97]
	v_add_co_u32 v12, vcc_lo, s10, v12
	s_delay_alu instid0(VALU_DEP_2) | instskip(NEXT) | instid1(VALU_DEP_4)
	v_add_co_ci_u32_e32 v13, vcc_lo, s11, v13, vcc_lo
	v_cmp_ne_u32_e32 vcc_lo, 0x7f800000, v8
                                        ; implicit-def: $vgpr8
	global_store_d16_hi_b16 v[12:13], v11, off
	s_and_saveexec_b32 s2, vcc_lo
	s_delay_alu instid0(SALU_CYCLE_1)
	s_xor_b32 s2, exec_lo, s2
; %bb.115:                              ;   in Loop: Header=BB279_15 Depth=1
	v_bfe_u32 v8, v9, 16, 1
	s_delay_alu instid0(VALU_DEP_1)
	v_add3_u32 v8, v9, v8, 0x7fff
                                        ; implicit-def: $vgpr9
; %bb.116:                              ;   in Loop: Header=BB279_15 Depth=1
	s_and_not1_saveexec_b32 s2, s2
; %bb.117:                              ;   in Loop: Header=BB279_15 Depth=1
	v_and_b32_e32 v8, 0xffff, v9
	v_or_b32_e32 v11, 0x10000, v9
	s_delay_alu instid0(VALU_DEP_2) | instskip(NEXT) | instid1(VALU_DEP_2)
	v_cmp_eq_u32_e32 vcc_lo, 0, v8
	v_cndmask_b32_e32 v8, v11, v9, vcc_lo
; %bb.118:                              ;   in Loop: Header=BB279_15 Depth=1
	s_or_b32 exec_lo, exec_lo, s2
	s_waitcnt lgkmcnt(2)
	v_add_f32_e32 v5, v5, v6
	s_waitcnt vmcnt(2)
	v_lshlrev_b32_e32 v6, 16, v10
	s_delay_alu instid0(VALU_DEP_1) | instskip(NEXT) | instid1(VALU_DEP_1)
	v_dual_add_f32 v6, v5, v6 :: v_dual_add_nc_u32 v99, s7, v96
	v_lshlrev_b64 v[9:10], 1, v[99:100]
	s_delay_alu instid0(VALU_DEP_2) | instskip(NEXT) | instid1(VALU_DEP_2)
	v_and_b32_e32 v5, 0x7f800000, v6
	v_add_co_u32 v9, vcc_lo, s10, v9
	s_delay_alu instid0(VALU_DEP_3) | instskip(NEXT) | instid1(VALU_DEP_3)
	v_add_co_ci_u32_e32 v10, vcc_lo, s11, v10, vcc_lo
	v_cmp_ne_u32_e32 vcc_lo, 0x7f800000, v5
                                        ; implicit-def: $vgpr5
	global_store_d16_hi_b16 v[9:10], v8, off
	s_and_saveexec_b32 s2, vcc_lo
	s_delay_alu instid0(SALU_CYCLE_1)
	s_xor_b32 s2, exec_lo, s2
; %bb.119:                              ;   in Loop: Header=BB279_15 Depth=1
	v_bfe_u32 v5, v6, 16, 1
	s_delay_alu instid0(VALU_DEP_1)
	v_add3_u32 v5, v6, v5, 0x7fff
                                        ; implicit-def: $vgpr6
; %bb.120:                              ;   in Loop: Header=BB279_15 Depth=1
	s_and_not1_saveexec_b32 s2, s2
; %bb.121:                              ;   in Loop: Header=BB279_15 Depth=1
	v_and_b32_e32 v5, 0xffff, v6
	v_or_b32_e32 v8, 0x10000, v6
	s_delay_alu instid0(VALU_DEP_2) | instskip(NEXT) | instid1(VALU_DEP_2)
	v_cmp_eq_u32_e32 vcc_lo, 0, v5
	v_cndmask_b32_e32 v5, v8, v6, vcc_lo
; %bb.122:                              ;   in Loop: Header=BB279_15 Depth=1
	s_or_b32 exec_lo, exec_lo, s2
	s_waitcnt lgkmcnt(1)
	v_add_f32_e32 v2, v2, v3
	s_waitcnt vmcnt(1)
	v_lshlrev_b32_e32 v3, 16, v7
	v_add_nc_u32_e32 v99, s7, v99
	s_delay_alu instid0(VALU_DEP_2) | instskip(NEXT) | instid1(VALU_DEP_2)
	v_add_f32_e32 v3, v2, v3
	v_lshlrev_b64 v[6:7], 1, v[99:100]
	s_delay_alu instid0(VALU_DEP_2) | instskip(NEXT) | instid1(VALU_DEP_2)
	v_and_b32_e32 v2, 0x7f800000, v3
	v_add_co_u32 v6, vcc_lo, s10, v6
	s_delay_alu instid0(VALU_DEP_3) | instskip(NEXT) | instid1(VALU_DEP_3)
	v_add_co_ci_u32_e32 v7, vcc_lo, s11, v7, vcc_lo
	v_cmp_ne_u32_e32 vcc_lo, 0x7f800000, v2
                                        ; implicit-def: $vgpr2
	global_store_d16_hi_b16 v[6:7], v5, off
	s_and_saveexec_b32 s2, vcc_lo
	s_delay_alu instid0(SALU_CYCLE_1)
	s_xor_b32 s2, exec_lo, s2
; %bb.123:                              ;   in Loop: Header=BB279_15 Depth=1
	v_bfe_u32 v2, v3, 16, 1
	s_delay_alu instid0(VALU_DEP_1)
	v_add3_u32 v2, v3, v2, 0x7fff
                                        ; implicit-def: $vgpr3
; %bb.124:                              ;   in Loop: Header=BB279_15 Depth=1
	s_and_not1_saveexec_b32 s2, s2
; %bb.125:                              ;   in Loop: Header=BB279_15 Depth=1
	v_and_b32_e32 v2, 0xffff, v3
	v_or_b32_e32 v5, 0x10000, v3
	s_delay_alu instid0(VALU_DEP_2) | instskip(NEXT) | instid1(VALU_DEP_2)
	v_cmp_eq_u32_e32 vcc_lo, 0, v2
	v_cndmask_b32_e32 v2, v5, v3, vcc_lo
; %bb.126:                              ;   in Loop: Header=BB279_15 Depth=1
	s_or_b32 exec_lo, exec_lo, s2
	s_waitcnt vmcnt(0) lgkmcnt(0)
	v_dual_add_f32 v0, v0, v1 :: v_dual_lshlrev_b32 v1, 16, v4
	v_add_nc_u32_e32 v99, s7, v99
	s_delay_alu instid0(VALU_DEP_2) | instskip(NEXT) | instid1(VALU_DEP_2)
	v_add_f32_e32 v1, v0, v1
	v_lshlrev_b64 v[3:4], 1, v[99:100]
	s_delay_alu instid0(VALU_DEP_2) | instskip(NEXT) | instid1(VALU_DEP_2)
	v_and_b32_e32 v0, 0x7f800000, v1
	v_add_co_u32 v3, vcc_lo, s10, v3
	s_delay_alu instid0(VALU_DEP_3) | instskip(NEXT) | instid1(VALU_DEP_3)
	v_add_co_ci_u32_e32 v4, vcc_lo, s11, v4, vcc_lo
	v_cmp_ne_u32_e32 vcc_lo, 0x7f800000, v0
                                        ; implicit-def: $vgpr0
	global_store_d16_hi_b16 v[3:4], v2, off
	s_and_saveexec_b32 s2, vcc_lo
	s_delay_alu instid0(SALU_CYCLE_1)
	s_xor_b32 s2, exec_lo, s2
; %bb.127:                              ;   in Loop: Header=BB279_15 Depth=1
	v_bfe_u32 v0, v1, 16, 1
	s_delay_alu instid0(VALU_DEP_1)
	v_add3_u32 v0, v1, v0, 0x7fff
                                        ; implicit-def: $vgpr1
; %bb.128:                              ;   in Loop: Header=BB279_15 Depth=1
	s_and_not1_saveexec_b32 s2, s2
	s_cbranch_execz .LBB279_13
; %bb.129:                              ;   in Loop: Header=BB279_15 Depth=1
	v_and_b32_e32 v0, 0xffff, v1
	v_or_b32_e32 v2, 0x10000, v1
	s_delay_alu instid0(VALU_DEP_2) | instskip(NEXT) | instid1(VALU_DEP_2)
	v_cmp_eq_u32_e32 vcc_lo, 0, v0
	v_cndmask_b32_e32 v0, v2, v1, vcc_lo
	s_branch .LBB279_13
.LBB279_130:
	s_nop 0
	s_sendmsg sendmsg(MSG_DEALLOC_VGPRS)
	s_endpgm
	.section	.rodata,"a",@progbits
	.p2align	6, 0x0
	.amdhsa_kernel _Z12wvSplitK_hf_I14__hip_bfloat16Li32ELi1ELi16ELi8ELi4ELi5EEviiiiiiPKT_S3_S3_PS1_ii
		.amdhsa_group_segment_fixed_size 65536
		.amdhsa_private_segment_fixed_size 0
		.amdhsa_kernarg_size 64
		.amdhsa_user_sgpr_count 15
		.amdhsa_user_sgpr_dispatch_ptr 0
		.amdhsa_user_sgpr_queue_ptr 0
		.amdhsa_user_sgpr_kernarg_segment_ptr 1
		.amdhsa_user_sgpr_dispatch_id 0
		.amdhsa_user_sgpr_private_segment_size 0
		.amdhsa_wavefront_size32 1
		.amdhsa_uses_dynamic_stack 0
		.amdhsa_enable_private_segment 0
		.amdhsa_system_sgpr_workgroup_id_x 1
		.amdhsa_system_sgpr_workgroup_id_y 0
		.amdhsa_system_sgpr_workgroup_id_z 0
		.amdhsa_system_sgpr_workgroup_info 0
		.amdhsa_system_vgpr_workitem_id 1
		.amdhsa_next_free_vgpr 127
		.amdhsa_next_free_sgpr 35
		.amdhsa_reserve_vcc 1
		.amdhsa_float_round_mode_32 0
		.amdhsa_float_round_mode_16_64 0
		.amdhsa_float_denorm_mode_32 3
		.amdhsa_float_denorm_mode_16_64 3
		.amdhsa_dx10_clamp 1
		.amdhsa_ieee_mode 1
		.amdhsa_fp16_overflow 0
		.amdhsa_workgroup_processor_mode 1
		.amdhsa_memory_ordered 1
		.amdhsa_forward_progress 0
		.amdhsa_shared_vgpr_count 0
		.amdhsa_exception_fp_ieee_invalid_op 0
		.amdhsa_exception_fp_denorm_src 0
		.amdhsa_exception_fp_ieee_div_zero 0
		.amdhsa_exception_fp_ieee_overflow 0
		.amdhsa_exception_fp_ieee_underflow 0
		.amdhsa_exception_fp_ieee_inexact 0
		.amdhsa_exception_int_div_zero 0
	.end_amdhsa_kernel
	.section	.text._Z12wvSplitK_hf_I14__hip_bfloat16Li32ELi1ELi16ELi8ELi4ELi5EEviiiiiiPKT_S3_S3_PS1_ii,"axG",@progbits,_Z12wvSplitK_hf_I14__hip_bfloat16Li32ELi1ELi16ELi8ELi4ELi5EEviiiiiiPKT_S3_S3_PS1_ii,comdat
.Lfunc_end279:
	.size	_Z12wvSplitK_hf_I14__hip_bfloat16Li32ELi1ELi16ELi8ELi4ELi5EEviiiiiiPKT_S3_S3_PS1_ii, .Lfunc_end279-_Z12wvSplitK_hf_I14__hip_bfloat16Li32ELi1ELi16ELi8ELi4ELi5EEviiiiiiPKT_S3_S3_PS1_ii
                                        ; -- End function
	.section	.AMDGPU.csdata,"",@progbits
; Kernel info:
; codeLenInByte = 8348
; NumSgprs: 37
; NumVgprs: 127
; ScratchSize: 0
; MemoryBound: 0
; FloatMode: 240
; IeeeMode: 1
; LDSByteSize: 65536 bytes/workgroup (compile time only)
; SGPRBlocks: 4
; VGPRBlocks: 15
; NumSGPRsForWavesPerEU: 37
; NumVGPRsForWavesPerEU: 127
; Occupancy: 8
; WaveLimiterHint : 0
; COMPUTE_PGM_RSRC2:SCRATCH_EN: 0
; COMPUTE_PGM_RSRC2:USER_SGPR: 15
; COMPUTE_PGM_RSRC2:TRAP_HANDLER: 0
; COMPUTE_PGM_RSRC2:TGID_X_EN: 1
; COMPUTE_PGM_RSRC2:TGID_Y_EN: 0
; COMPUTE_PGM_RSRC2:TGID_Z_EN: 0
; COMPUTE_PGM_RSRC2:TIDIG_COMP_CNT: 1
	.section	.text._Z16wvSplitK_hf_big_I14__hip_bfloat16Li32ELi1ELi16ELi8ELi4ELi5EEviiiiiiPKT_S3_S3_PS1_ii,"axG",@progbits,_Z16wvSplitK_hf_big_I14__hip_bfloat16Li32ELi1ELi16ELi8ELi4ELi5EEviiiiiiPKT_S3_S3_PS1_ii,comdat
	.protected	_Z16wvSplitK_hf_big_I14__hip_bfloat16Li32ELi1ELi16ELi8ELi4ELi5EEviiiiiiPKT_S3_S3_PS1_ii ; -- Begin function _Z16wvSplitK_hf_big_I14__hip_bfloat16Li32ELi1ELi16ELi8ELi4ELi5EEviiiiiiPKT_S3_S3_PS1_ii
	.globl	_Z16wvSplitK_hf_big_I14__hip_bfloat16Li32ELi1ELi16ELi8ELi4ELi5EEviiiiiiPKT_S3_S3_PS1_ii
	.p2align	8
	.type	_Z16wvSplitK_hf_big_I14__hip_bfloat16Li32ELi1ELi16ELi8ELi4ELi5EEviiiiiiPKT_S3_S3_PS1_ii,@function
_Z16wvSplitK_hf_big_I14__hip_bfloat16Li32ELi1ELi16ELi8ELi4ELi5EEviiiiiiPKT_S3_S3_PS1_ii: ; @_Z16wvSplitK_hf_big_I14__hip_bfloat16Li32ELi1ELi16ELi8ELi4ELi5EEviiiiiiPKT_S3_S3_PS1_ii
; %bb.0:
	s_load_b64 s[20:21], s[0:1], 0x38
	v_bfe_u32 v1, v0, 10, 10
	s_mov_b32 s2, exec_lo
	s_waitcnt lgkmcnt(0)
	s_delay_alu instid0(VALU_DEP_1)
	v_cmpx_gt_u32_e64 s20, v1
	s_cbranch_execz .LBB280_58
; %bb.1:
	s_load_b128 s[16:19], s[0:1], 0x0
	v_mad_u64_u32 v[93:94], null, s15, s20, v[1:2]
	s_delay_alu instid0(VALU_DEP_1) | instskip(SKIP_2) | instid1(VALU_DEP_2)
	v_dual_mov_b32 v99, 1 :: v_dual_add_nc_u32 v2, 1, v93
	s_waitcnt lgkmcnt(0)
	v_cmp_gt_u32_e32 vcc_lo, s19, v93
	v_cmp_le_u32_e64 s2, s19, v2
	s_delay_alu instid0(VALU_DEP_1) | instskip(NEXT) | instid1(SALU_CYCLE_1)
	s_and_b32 s3, vcc_lo, s2
	s_and_saveexec_b32 s2, s3
; %bb.2:
	v_subrev_nc_u32_e32 v2, s19, v93
	s_add_i32 s3, s19, -1
	s_delay_alu instid0(SALU_CYCLE_1) | instskip(NEXT) | instid1(VALU_DEP_2)
	v_mov_b32_e32 v93, s3
	v_cmp_eq_u32_e32 vcc_lo, -1, v2
	v_cndmask_b32_e64 v99, 0, 1, vcc_lo
; %bb.3:
	s_or_b32 exec_lo, exec_lo, s2
	s_abs_i32 s2, s20
	s_abs_i32 s5, s19
	v_cvt_f32_u32_e32 v2, s2
	s_sub_i32 s4, 0, s2
	s_mov_b32 s14, 0
	s_delay_alu instid0(VALU_DEP_1) | instskip(SKIP_2) | instid1(VALU_DEP_1)
	v_rcp_iflag_f32_e32 v2, v2
	s_waitcnt_depctr 0xfff
	v_mul_f32_e32 v2, 0x4f7ffffe, v2
	v_cvt_u32_f32_e32 v2, v2
	s_delay_alu instid0(VALU_DEP_1) | instskip(NEXT) | instid1(VALU_DEP_1)
	v_readfirstlane_b32 s3, v2
	s_mul_i32 s4, s4, s3
	s_delay_alu instid0(SALU_CYCLE_1) | instskip(NEXT) | instid1(SALU_CYCLE_1)
	s_mul_hi_u32 s4, s3, s4
	s_add_i32 s3, s3, s4
	s_ashr_i32 s4, s19, 31
	s_mul_hi_u32 s3, s5, s3
	s_delay_alu instid0(SALU_CYCLE_1) | instskip(NEXT) | instid1(SALU_CYCLE_1)
	s_mul_i32 s3, s3, s2
	s_sub_i32 s3, s5, s3
	s_delay_alu instid0(SALU_CYCLE_1) | instskip(SKIP_2) | instid1(SALU_CYCLE_1)
	s_sub_i32 s5, s3, s2
	s_cmp_ge_u32 s3, s2
	s_cselect_b32 s3, s5, s3
	s_sub_i32 s5, s3, s2
	s_cmp_ge_u32 s3, s2
	s_cselect_b32 s2, s5, s3
	s_add_i32 s3, s20, s19
	s_xor_b32 s2, s2, s4
	s_delay_alu instid0(SALU_CYCLE_1) | instskip(NEXT) | instid1(SALU_CYCLE_1)
	s_sub_i32 s2, s2, s4
	s_sub_i32 s3, s3, s2
	s_cmp_eq_u32 s2, 0
	s_cselect_b32 s3, s19, s3
	s_delay_alu instid0(SALU_CYCLE_1)
	v_cmp_gt_u32_e32 vcc_lo, s3, v93
	s_and_b32 exec_lo, exec_lo, vcc_lo
	s_cbranch_execz .LBB280_58
; %bb.4:
	s_load_b256 s[4:11], s[0:1], 0x10
	s_min_u32 s15, s18, 0x1800
	s_cmp_lg_u32 s16, 0
	s_load_b64 s[12:13], s[0:1], 0x30
	s_cselect_b32 s22, -1, 0
	s_cmp_lg_u32 s18, 0
	v_and_b32_e32 v0, 0x3ff, v0
	s_cselect_b32 s23, -1, 0
	s_lshl_b32 s24, s20, 8
	s_add_i32 s25, s16, -8
	s_add_i32 s26, s19, -1
	v_mbcnt_lo_u32_b32 v100, -1, 0
	v_mov_b32_e32 v95, 0
	s_waitcnt lgkmcnt(0)
	s_cmp_lg_u64 s[10:11], 0
	v_cvt_f32_u32_e32 v3, s4
	s_cselect_b32 s27, -1, 0
	s_abs_i32 s2, s5
	s_mul_i32 s5, s21, s20
	v_cvt_f32_u32_e32 v2, s2
	s_sub_i32 s29, 0, s2
	s_sub_i32 s28, s5, s19
	s_sub_i32 s1, 0, s4
	s_add_i32 s28, s28, 2
	v_rcp_iflag_f32_e32 v2, v2
	s_sub_i32 s30, 1, s2
	s_mul_i32 s21, s15, 6
	s_waitcnt_depctr 0xfff
	v_mul_f32_e32 v2, 0x4f7ffffe, v2
	s_delay_alu instid0(VALU_DEP_1) | instskip(NEXT) | instid1(VALU_DEP_1)
	v_cvt_u32_f32_e32 v2, v2
	v_readfirstlane_b32 s0, v2
	v_rcp_iflag_f32_e32 v2, v3
	v_lshlrev_b32_e32 v101, 3, v0
	s_delay_alu instid0(VALU_DEP_2) | instskip(NEXT) | instid1(SALU_CYCLE_1)
	s_mul_i32 s29, s29, s0
	s_mul_hi_u32 s29, s0, s29
	s_delay_alu instid0(SALU_CYCLE_1)
	s_add_i32 s29, s0, s29
	s_cmp_lt_u32 s2, 2
	s_waitcnt_depctr 0xfff
	v_mul_f32_e32 v2, 0x4f7ffffe, v2
	s_cselect_b32 s30, s30, 1
	v_cmp_eq_u32_e64 s0, 31, v0
	s_sub_i32 s31, s30, s2
	s_cmp_ge_u32 s30, s2
	v_cvt_u32_f32_e32 v2, v2
	s_cselect_b32 s30, s31, s30
	s_lshr_b32 s31, s29, 31
	v_lshlrev_b32_e32 v0, 4, v0
	s_mul_i32 s31, s31, s2
	v_mul_lo_u32 v3, s1, v2
	s_sub_i32 s31, 2, s31
	v_lshl_add_u32 v96, v1, 8, v101
	s_sub_i32 s33, s31, s2
	s_cmp_ge_u32 s31, s2
	v_lshl_add_u32 v102, v1, 9, v0
	s_cselect_b32 s1, s33, s31
	s_mul_hi_u32 s31, s29, 3
	s_sub_i32 s33, s1, s2
	s_cmp_ge_u32 s1, s2
	s_mul_i32 s31, s31, s2
	s_cselect_b32 s1, s33, s1
	s_sub_i32 s31, 3, s31
	v_mul_hi_u32 v0, v2, v3
	s_sub_i32 s33, s31, s2
	s_cmp_ge_u32 s31, s2
	v_mad_u64_u32 v[97:98], null, s18, 3, v[96:97]
	s_cselect_b32 s31, s33, s31
	v_lshl_add_u32 v103, s18, 1, v96
	s_sub_i32 s33, s31, s2
	s_cmp_ge_u32 s31, s2
	v_lshl_add_u32 v98, s18, 2, v96
	s_cselect_b32 s31, s33, s31
	s_lshr_b32 s29, s29, 30
	v_add_nc_u32_e32 v104, s18, v96
	s_mul_i32 s29, s29, s2
	v_add_nc_u32_e32 v105, v2, v0
	s_sub_i32 s33, 4, s29
	s_mul_i32 s29, s30, s4
	s_sub_i32 s34, s33, s2
	s_cmp_ge_u32 s33, s2
	s_mul_i32 s30, s1, s4
	s_cselect_b32 s33, s34, s33
	s_mul_i32 s31, s31, s4
	s_sub_i32 s1, s33, s2
	s_cmp_ge_u32 s33, s2
	s_cselect_b32 s35, s1, s33
	s_lshl_b32 s33, s15, 3
	s_lshl_b32 s20, s20, 9
	;; [unrolled: 1-line block ×3, first 2 shown]
	s_mul_i32 s35, s35, s4
	s_lshl_b32 s36, s15, 1
	s_branch .LBB280_7
.LBB280_5:                              ;   in Loop: Header=BB280_7 Depth=1
	s_or_b32 exec_lo, exec_lo, s1
.LBB280_6:                              ;   in Loop: Header=BB280_7 Depth=1
	s_delay_alu instid0(SALU_CYCLE_1) | instskip(NEXT) | instid1(VALU_DEP_1)
	s_or_b32 exec_lo, exec_lo, s2
	v_cmp_le_u32_e32 vcc_lo, s3, v0
	v_mov_b32_e32 v93, v0
	s_or_b32 s14, vcc_lo, s14
	s_delay_alu instid0(SALU_CYCLE_1)
	s_and_not1_b32 exec_lo, exec_lo, s14
	s_cbranch_execz .LBB280_58
.LBB280_7:                              ; =>This Loop Header: Depth=1
                                        ;     Child Loop BB280_14 Depth 2
                                        ;       Child Loop BB280_19 Depth 3
	v_mov_b32_e32 v108, v95
	v_mov_b32_e32 v109, v95
	;; [unrolled: 1-line block ×5, first 2 shown]
	s_and_not1_b32 vcc_lo, exec_lo, s22
	s_mov_b32 s37, 0
	s_cbranch_vccnz .LBB280_28
; %bb.8:                                ;   in Loop: Header=BB280_7 Depth=1
	v_min_u32_e32 v0, s26, v93
	v_cmp_gt_u32_e64 s1, s19, v93
	v_dual_mov_b32 v112, 0 :: v_dual_mov_b32 v111, 0
	v_dual_mov_b32 v110, 0 :: v_dual_mov_b32 v109, 0
	s_delay_alu instid0(VALU_DEP_4) | instskip(SKIP_2) | instid1(VALU_DEP_2)
	v_mul_lo_u32 v94, v0, s17
	v_mov_b32_e32 v108, 0
	s_mov_b32 s38, 0
	v_lshlrev_b64 v[0:1], 1, v[94:95]
	s_delay_alu instid0(VALU_DEP_1) | instskip(NEXT) | instid1(VALU_DEP_2)
	v_add_co_u32 v106, vcc_lo, s6, v0
	v_add_co_ci_u32_e32 v107, vcc_lo, s7, v1, vcc_lo
	s_branch .LBB280_14
.LBB280_9:                              ;   in Loop: Header=BB280_14 Depth=2
	s_or_b32 exec_lo, exec_lo, s42
.LBB280_10:                             ;   in Loop: Header=BB280_14 Depth=2
	s_delay_alu instid0(SALU_CYCLE_1)
	s_or_b32 exec_lo, exec_lo, s41
.LBB280_11:                             ;   in Loop: Header=BB280_14 Depth=2
	s_delay_alu instid0(SALU_CYCLE_1)
	s_or_b32 exec_lo, exec_lo, s40
.LBB280_12:                             ;   in Loop: Header=BB280_14 Depth=2
	s_delay_alu instid0(SALU_CYCLE_1)
	s_or_b32 exec_lo, exec_lo, s39
	s_waitcnt lgkmcnt(4)
	v_and_b32_e32 v117, 0xffff0000, v81
	s_waitcnt vmcnt(3)
	v_and_b32_e32 v118, 0xffff0000, v65
	v_and_b32_e32 v116, 0xffff0000, v64
	v_lshlrev_b32_e32 v81, 16, v81
	v_lshlrev_b32_e32 v65, 16, v65
	v_and_b32_e32 v119, 0xffff0000, v82
	v_dual_mul_f32 v117, v117, v118 :: v_dual_lshlrev_b32 v64, 16, v64
	s_delay_alu instid0(VALU_DEP_1) | instskip(SKIP_4) | instid1(VALU_DEP_3)
	v_dual_fmac_f32 v117, v81, v65 :: v_dual_lshlrev_b32 v82, 16, v82
	v_and_b32_e32 v115, 0xffff0000, v80
	v_lshlrev_b32_e32 v80, 16, v80
	s_waitcnt lgkmcnt(3)
	v_and_b32_e32 v81, 0xffff0000, v76
	v_mul_f32_e32 v115, v115, v116
	s_delay_alu instid0(VALU_DEP_2) | instskip(NEXT) | instid1(VALU_DEP_2)
	v_mul_f32_e32 v81, v81, v116
	v_dual_fmac_f32 v115, v80, v64 :: v_dual_and_b32 v80, 0xffff0000, v66
	v_lshlrev_b32_e32 v66, 16, v66
	s_delay_alu instid0(VALU_DEP_2) | instskip(NEXT) | instid1(VALU_DEP_1)
	v_dual_add_f32 v112, v112, v115 :: v_dual_mul_f32 v115, v119, v80
	v_dual_fmac_f32 v115, v82, v66 :: v_dual_add_f32 v82, v112, v117
	v_and_b32_e32 v117, 0xffff0000, v77
	v_lshlrev_b32_e32 v76, 16, v76
	v_and_b32_e32 v112, 0xffff0000, v83
	v_lshlrev_b32_e32 v83, 16, v83
	v_add_f32_e32 v82, v82, v115
	v_and_b32_e32 v115, 0xffff0000, v67
	v_dual_fmac_f32 v81, v76, v64 :: v_dual_lshlrev_b32 v76, 16, v77
	v_mul_f32_e32 v77, v117, v118
	v_and_b32_e32 v117, 0xffff0000, v78
	v_lshlrev_b32_e32 v67, 16, v67
	s_delay_alu instid0(VALU_DEP_4) | instskip(SKIP_3) | instid1(VALU_DEP_3)
	v_add_f32_e32 v81, v111, v81
	v_mul_f32_e32 v111, v112, v115
	v_dual_fmac_f32 v77, v76, v65 :: v_dual_and_b32 v112, 0xffff0000, v79
	v_lshlrev_b32_e32 v76, 16, v78
	v_dual_mul_f32 v78, v117, v80 :: v_dual_fmac_f32 v111, v83, v67
	s_delay_alu instid0(VALU_DEP_3) | instskip(SKIP_1) | instid1(VALU_DEP_2)
	v_add_f32_e32 v77, v81, v77
	s_waitcnt lgkmcnt(2)
	v_dual_fmac_f32 v78, v76, v66 :: v_dual_and_b32 v83, 0xffff0000, v73
	s_delay_alu instid0(VALU_DEP_1) | instskip(SKIP_3) | instid1(VALU_DEP_2)
	v_dual_add_f32 v77, v77, v78 :: v_dual_lshlrev_b32 v76, 16, v79
	s_waitcnt lgkmcnt(1)
	v_and_b32_e32 v78, 0xffff0000, v68
	v_lshlrev_b32_e32 v68, 16, v68
	v_mul_f32_e32 v78, v78, v116
	s_delay_alu instid0(VALU_DEP_1) | instskip(SKIP_3) | instid1(VALU_DEP_4)
	v_fmac_f32_e32 v78, v68, v64
	v_and_b32_e32 v81, 0xffff0000, v72
	v_dual_mul_f32 v79, v112, v115 :: v_dual_lshlrev_b32 v72, 16, v72
	v_lshlrev_b32_e32 v68, 16, v69
	v_add_f32_e32 v78, v109, v78
	s_delay_alu instid0(VALU_DEP_4) | instskip(NEXT) | instid1(VALU_DEP_1)
	v_mul_f32_e32 v81, v81, v116
	v_dual_fmac_f32 v81, v72, v64 :: v_dual_lshlrev_b32 v72, 16, v73
	v_mul_f32_e32 v73, v83, v118
	s_delay_alu instid0(VALU_DEP_1) | instskip(SKIP_1) | instid1(VALU_DEP_2)
	v_dual_fmac_f32 v73, v72, v65 :: v_dual_and_b32 v72, 0xffff0000, v74
	v_lshlrev_b32_e32 v74, 16, v74
	v_mul_f32_e32 v72, v72, v80
	s_delay_alu instid0(VALU_DEP_1) | instskip(SKIP_2) | instid1(VALU_DEP_3)
	v_dual_fmac_f32 v72, v74, v66 :: v_dual_fmac_f32 v79, v76, v67
	v_and_b32_e32 v74, 0xffff0000, v70
	v_add_f32_e32 v76, v82, v111
	v_add_f32_e32 v77, v77, v79
	;; [unrolled: 1-line block ×3, first 2 shown]
	v_and_b32_e32 v81, 0xffff0000, v69
	s_delay_alu instid0(VALU_DEP_1) | instskip(NEXT) | instid1(VALU_DEP_1)
	v_mul_f32_e32 v69, v81, v118
	v_dual_fmac_f32 v69, v68, v65 :: v_dual_lshlrev_b32 v68, 16, v70
	s_delay_alu instid0(VALU_DEP_4)
	v_add_f32_e32 v73, v79, v73
	v_dual_mul_f32 v70, v74, v80 :: v_dual_and_b32 v79, 0xffff0000, v75
	v_lshlrev_b32_e32 v74, 16, v75
	s_waitcnt lgkmcnt(0)
	v_and_b32_e32 v75, 0xffff0000, v60
	v_lshlrev_b32_e32 v60, 16, v60
	v_add_f32_e32 v72, v73, v72
	v_dual_fmac_f32 v70, v68, v66 :: v_dual_mul_f32 v79, v79, v115
	s_delay_alu instid0(VALU_DEP_4) | instskip(NEXT) | instid1(VALU_DEP_1)
	v_mul_f32_e32 v68, v75, v116
	v_fmac_f32_e32 v68, v60, v64
	v_lshlrev_b32_e32 v60, 16, v61
	v_and_b32_e32 v73, 0xffff0000, v61
	v_dual_add_f32 v69, v78, v69 :: v_dual_and_b32 v64, 0xffff0000, v71
	s_delay_alu instid0(VALU_DEP_4) | instskip(NEXT) | instid1(VALU_DEP_2)
	v_dual_add_f32 v68, v108, v68 :: v_dual_fmac_f32 v79, v74, v67
	v_dual_mul_f32 v61, v73, v118 :: v_dual_mul_f32 v64, v64, v115
	s_delay_alu instid0(VALU_DEP_3) | instskip(NEXT) | instid1(VALU_DEP_2)
	v_add_f32_e32 v69, v69, v70
	v_dual_fmac_f32 v61, v60, v65 :: v_dual_and_b32 v70, 0xffff0000, v62
	v_lshlrev_b32_e32 v60, 16, v62
	s_delay_alu instid0(VALU_DEP_2) | instskip(SKIP_3) | instid1(VALU_DEP_3)
	v_dual_mul_f32 v62, v70, v80 :: v_dual_lshlrev_b32 v71, 16, v71
	s_waitcnt vmcnt(2)
	v_and_b32_e32 v70, 0xffff0000, v44
	v_lshlrev_b32_e32 v44, 16, v44
	v_fmac_f32_e32 v62, v60, v66
	v_dual_fmac_f32 v64, v71, v67 :: v_dual_and_b32 v73, 0xffff0000, v46
	v_and_b32_e32 v65, 0xffff0000, v56
	v_dual_add_f32 v61, v68, v61 :: v_dual_lshlrev_b32 v56, 16, v56
	v_and_b32_e32 v68, 0xffff0000, v45
	s_delay_alu instid0(VALU_DEP_3) | instskip(SKIP_2) | instid1(VALU_DEP_3)
	v_dual_mul_f32 v60, v65, v70 :: v_dual_and_b32 v65, 0xffff0000, v63
	v_and_b32_e32 v66, 0xffff0000, v57
	v_lshlrev_b32_e32 v63, 16, v63
	v_dual_add_f32 v61, v61, v62 :: v_dual_fmac_f32 v60, v56, v44
	v_lshlrev_b32_e32 v45, 16, v45
	v_dual_mul_f32 v65, v65, v115 :: v_dual_lshlrev_b32 v56, 16, v57
	v_mul_f32_e32 v57, v66, v68
	s_delay_alu instid0(VALU_DEP_4) | instskip(NEXT) | instid1(VALU_DEP_3)
	v_add_f32_e32 v60, v76, v60
	v_dual_fmac_f32 v65, v63, v67 :: v_dual_and_b32 v66, 0xffff0000, v58
	v_dual_add_f32 v62, v69, v64 :: v_dual_and_b32 v63, 0xffff0000, v53
	s_delay_alu instid0(VALU_DEP_4) | instskip(SKIP_1) | instid1(VALU_DEP_4)
	v_dual_fmac_f32 v57, v56, v45 :: v_dual_lshlrev_b32 v56, 16, v58
	v_lshlrev_b32_e32 v46, 16, v46
	v_mul_f32_e32 v58, v66, v73
	v_add_f32_e32 v61, v61, v65
	s_delay_alu instid0(VALU_DEP_4) | instskip(SKIP_1) | instid1(VALU_DEP_4)
	v_dual_add_f32 v57, v60, v57 :: v_dual_and_b32 v60, 0xffff0000, v52
	v_lshlrev_b32_e32 v52, 16, v52
	v_fmac_f32_e32 v58, v56, v46
	s_delay_alu instid0(VALU_DEP_1) | instskip(NEXT) | instid1(VALU_DEP_4)
	v_dual_add_f32 v56, v72, v79 :: v_dual_add_f32 v57, v57, v58
	v_mul_f32_e32 v58, v60, v70
	v_and_b32_e32 v60, 0xffff0000, v59
	s_delay_alu instid0(VALU_DEP_2) | instskip(SKIP_2) | instid1(VALU_DEP_2)
	v_dual_fmac_f32 v58, v52, v44 :: v_dual_lshlrev_b32 v59, 16, v59
	v_dual_mul_f32 v53, v63, v68 :: v_dual_lshlrev_b32 v52, 16, v53
	v_and_b32_e32 v63, 0xffff0000, v54
	v_dual_add_f32 v58, v77, v58 :: v_dual_fmac_f32 v53, v52, v45
	v_lshlrev_b32_e32 v52, 16, v54
	s_delay_alu instid0(VALU_DEP_3) | instskip(NEXT) | instid1(VALU_DEP_1)
	v_mul_f32_e32 v54, v63, v73
	v_dual_add_f32 v53, v58, v53 :: v_dual_fmac_f32 v54, v52, v46
	v_and_b32_e32 v64, 0xffff0000, v47
	v_lshlrev_b32_e32 v47, 16, v47
	s_delay_alu instid0(VALU_DEP_3) | instskip(NEXT) | instid1(VALU_DEP_3)
	v_dual_add_f32 v53, v53, v54 :: v_dual_and_b32 v58, 0xffff0000, v48
	v_mul_f32_e32 v60, v60, v64
	v_lshlrev_b32_e32 v48, 16, v48
	v_and_b32_e32 v54, 0xffff0000, v49
	s_delay_alu instid0(VALU_DEP_4) | instskip(NEXT) | instid1(VALU_DEP_1)
	v_mul_f32_e32 v58, v58, v70
	v_fmac_f32_e32 v58, v48, v44
	v_fmac_f32_e32 v60, v59, v47
	v_and_b32_e32 v59, 0xffff0000, v55
	v_dual_mul_f32 v49, v54, v68 :: v_dual_lshlrev_b32 v48, 16, v49
	v_lshlrev_b32_e32 v52, 16, v55
	s_delay_alu instid0(VALU_DEP_3) | instskip(NEXT) | instid1(VALU_DEP_3)
	v_dual_mul_f32 v55, v59, v64 :: v_dual_and_b32 v54, 0xffff0000, v50
	v_dual_fmac_f32 v49, v48, v45 :: v_dual_lshlrev_b32 v48, 16, v50
	s_delay_alu instid0(VALU_DEP_2) | instskip(NEXT) | instid1(VALU_DEP_1)
	v_dual_mul_f32 v50, v54, v73 :: v_dual_fmac_f32 v55, v52, v47
	v_dual_fmac_f32 v50, v48, v46 :: v_dual_add_f32 v53, v53, v55
	v_dual_add_f32 v55, v56, v58 :: v_dual_and_b32 v56, 0xffff0000, v40
	v_lshlrev_b32_e32 v40, 16, v40
	v_and_b32_e32 v48, 0xffff0000, v51
	v_dual_add_f32 v52, v57, v60 :: v_dual_lshlrev_b32 v51, 16, v51
	s_delay_alu instid0(VALU_DEP_4) | instskip(NEXT) | instid1(VALU_DEP_3)
	v_dual_mul_f32 v54, v56, v70 :: v_dual_add_f32 v49, v55, v49
	v_dual_mul_f32 v48, v48, v64 :: v_dual_and_b32 v55, 0xffff0000, v41
	s_delay_alu instid0(VALU_DEP_2) | instskip(NEXT) | instid1(VALU_DEP_2)
	v_fmac_f32_e32 v54, v40, v44
	v_dual_mul_f32 v41, v55, v68 :: v_dual_lshlrev_b32 v40, 16, v41
	v_and_b32_e32 v55, 0xffff0000, v42
	v_add_f32_e32 v49, v49, v50
	v_and_b32_e32 v50, 0xffff0000, v114
	s_delay_alu instid0(VALU_DEP_4) | instskip(SKIP_2) | instid1(VALU_DEP_4)
	v_dual_fmac_f32 v48, v51, v47 :: v_dual_fmac_f32 v41, v40, v45
	v_lshlrev_b32_e32 v40, 16, v42
	v_mul_f32_e32 v42, v55, v73
	v_mul_f32_e32 v50, v50, v70
	s_delay_alu instid0(VALU_DEP_4) | instskip(NEXT) | instid1(VALU_DEP_3)
	v_dual_add_f32 v48, v49, v48 :: v_dual_and_b32 v49, 0xffff0000, v90
	v_dual_fmac_f32 v42, v40, v46 :: v_dual_lshlrev_b32 v51, 16, v92
	v_lshlrev_b32_e32 v40, 16, v114
	s_delay_alu instid0(VALU_DEP_1) | instskip(SKIP_2) | instid1(VALU_DEP_3)
	v_fmac_f32_e32 v50, v40, v44
	v_lshlrev_b32_e32 v40, 16, v90
	v_dual_mul_f32 v44, v49, v68 :: v_dual_and_b32 v49, 0xffff0000, v91
	v_add_f32_e32 v50, v61, v50
	s_delay_alu instid0(VALU_DEP_2) | instskip(NEXT) | instid1(VALU_DEP_3)
	v_fmac_f32_e32 v44, v40, v45
	v_dual_mul_f32 v45, v49, v73 :: v_dual_lshlrev_b32 v40, 16, v91
	s_waitcnt vmcnt(1)
	v_and_b32_e32 v49, 0xffff0000, v20
	v_lshlrev_b32_e32 v20, 16, v20
	v_add_f32_e32 v44, v50, v44
	v_and_b32_e32 v50, 0xffff0000, v21
	v_dual_add_f32 v54, v62, v54 :: v_dual_lshlrev_b32 v21, 16, v21
	v_dual_fmac_f32 v45, v40, v46 :: v_dual_and_b32 v46, 0xffff0000, v37
	s_delay_alu instid0(VALU_DEP_2) | instskip(SKIP_1) | instid1(VALU_DEP_2)
	v_dual_add_f32 v41, v54, v41 :: v_dual_and_b32 v54, 0xffff0000, v22
	v_lshlrev_b32_e32 v22, 16, v22
	v_dual_add_f32 v44, v44, v45 :: v_dual_add_f32 v41, v41, v42
	v_and_b32_e32 v42, 0xffff0000, v43
	s_delay_alu instid0(VALU_DEP_1) | instskip(NEXT) | instid1(VALU_DEP_1)
	v_dual_mul_f32 v42, v42, v64 :: v_dual_lshlrev_b32 v43, 16, v43
	v_dual_fmac_f32 v42, v43, v47 :: v_dual_and_b32 v43, 0xffff0000, v36
	v_lshlrev_b32_e32 v36, 16, v36
	s_delay_alu instid0(VALU_DEP_2) | instskip(NEXT) | instid1(VALU_DEP_1)
	v_dual_mul_f32 v40, v43, v49 :: v_dual_and_b32 v43, 0xffff0000, v92
	v_fmac_f32_e32 v40, v36, v20
	v_dual_mul_f32 v37, v46, v50 :: v_dual_lshlrev_b32 v36, 16, v37
	s_delay_alu instid0(VALU_DEP_3) | instskip(NEXT) | instid1(VALU_DEP_3)
	v_dual_mul_f32 v43, v43, v64 :: v_dual_and_b32 v46, 0xffff0000, v38
	v_add_f32_e32 v40, v52, v40
	s_delay_alu instid0(VALU_DEP_3) | instskip(NEXT) | instid1(VALU_DEP_3)
	v_dual_fmac_f32 v37, v36, v21 :: v_dual_lshlrev_b32 v36, 16, v38
	v_dual_mul_f32 v38, v46, v54 :: v_dual_fmac_f32 v43, v51, v47
	s_delay_alu instid0(VALU_DEP_2) | instskip(NEXT) | instid1(VALU_DEP_2)
	v_dual_add_f32 v37, v40, v37 :: v_dual_and_b32 v40, 0xffff0000, v32
	v_fmac_f32_e32 v38, v36, v22
	v_lshlrev_b32_e32 v32, 16, v32
	s_delay_alu instid0(VALU_DEP_4) | instskip(NEXT) | instid1(VALU_DEP_3)
	v_dual_add_f32 v36, v41, v42 :: v_dual_add_f32 v41, v44, v43
	v_dual_mul_f32 v40, v40, v49 :: v_dual_add_f32 v37, v37, v38
	v_and_b32_e32 v38, 0xffff0000, v33
	v_and_b32_e32 v43, 0xffff0000, v34
	;; [unrolled: 1-line block ×3, first 2 shown]
	s_delay_alu instid0(VALU_DEP_4) | instskip(NEXT) | instid1(VALU_DEP_4)
	v_fmac_f32_e32 v40, v32, v20
	v_dual_mul_f32 v33, v38, v50 :: v_dual_lshlrev_b32 v32, 16, v33
	v_and_b32_e32 v38, 0xffff0000, v23
	s_delay_alu instid0(VALU_DEP_3) | instskip(SKIP_1) | instid1(VALU_DEP_4)
	v_dual_add_f32 v40, v53, v40 :: v_dual_lshlrev_b32 v39, 16, v39
	v_lshlrev_b32_e32 v23, 16, v23
	v_dual_fmac_f32 v33, v32, v21 :: v_dual_lshlrev_b32 v32, 16, v34
	v_dual_mul_f32 v34, v43, v54 :: v_dual_and_b32 v43, 0xffff0000, v35
	s_delay_alu instid0(VALU_DEP_2) | instskip(SKIP_1) | instid1(VALU_DEP_3)
	v_dual_mul_f32 v42, v42, v38 :: v_dual_add_f32 v33, v40, v33
	v_and_b32_e32 v40, 0xffff0000, v28
	v_fmac_f32_e32 v34, v32, v22
	s_delay_alu instid0(VALU_DEP_4) | instskip(SKIP_1) | instid1(VALU_DEP_4)
	v_dual_mul_f32 v35, v43, v38 :: v_dual_lshlrev_b32 v32, 16, v35
	v_lshlrev_b32_e32 v28, 16, v28
	v_mul_f32_e32 v40, v40, v49
	v_dual_fmac_f32 v42, v39, v23 :: v_dual_and_b32 v39, 0xffff0000, v29
	v_add_f32_e32 v33, v33, v34
	v_dual_fmac_f32 v35, v32, v23 :: v_dual_and_b32 v34, 0xffff0000, v24
	s_delay_alu instid0(VALU_DEP_3) | instskip(SKIP_2) | instid1(VALU_DEP_4)
	v_add_f32_e32 v32, v37, v42
	v_lshlrev_b32_e32 v24, 16, v24
	v_and_b32_e32 v37, 0xffff0000, v25
	v_dual_add_f32 v33, v33, v35 :: v_dual_fmac_f32 v40, v28, v20
	v_dual_mul_f32 v29, v39, v50 :: v_dual_lshlrev_b32 v28, 16, v29
	s_delay_alu instid0(VALU_DEP_2) | instskip(NEXT) | instid1(VALU_DEP_2)
	v_dual_mul_f32 v34, v34, v49 :: v_dual_add_f32 v35, v48, v40
	v_dual_fmac_f32 v29, v28, v21 :: v_dual_and_b32 v28, 0xffff0000, v30
	s_delay_alu instid0(VALU_DEP_2) | instskip(SKIP_1) | instid1(VALU_DEP_3)
	v_fmac_f32_e32 v34, v24, v20
	v_lshlrev_b32_e32 v24, 16, v25
	v_dual_add_f32 v29, v35, v29 :: v_dual_lshlrev_b32 v30, 16, v30
	s_delay_alu instid0(VALU_DEP_4) | instskip(NEXT) | instid1(VALU_DEP_4)
	v_dual_mul_f32 v28, v28, v54 :: v_dual_and_b32 v35, 0xffff0000, v31
	v_add_f32_e32 v34, v36, v34
	s_waitcnt vmcnt(0)
	v_and_b32_e32 v36, 0xffff0000, v2
	v_lshlrev_b32_e32 v2, 16, v2
	v_mul_f32_e32 v35, v35, v38
	v_mul_f32_e32 v25, v37, v50
	s_delay_alu instid0(VALU_DEP_1) | instskip(NEXT) | instid1(VALU_DEP_1)
	v_dual_fmac_f32 v25, v24, v21 :: v_dual_lshlrev_b32 v24, 16, v26
	v_add_f32_e32 v25, v34, v25
	v_fmac_f32_e32 v28, v30, v22
	v_and_b32_e32 v30, 0xffff0000, v26
	v_lshlrev_b32_e32 v34, 16, v89
	s_delay_alu instid0(VALU_DEP_3) | instskip(NEXT) | instid1(VALU_DEP_3)
	v_add_f32_e32 v28, v29, v28
	v_mul_f32_e32 v26, v30, v54
	v_lshlrev_b32_e32 v30, 16, v31
	v_and_b32_e32 v31, 0xffff0000, v113
	s_delay_alu instid0(VALU_DEP_3) | instskip(SKIP_1) | instid1(VALU_DEP_3)
	v_dual_fmac_f32 v26, v24, v22 :: v_dual_and_b32 v29, 0xffff0000, v87
	v_lshlrev_b32_e32 v24, 16, v113
	v_mul_f32_e32 v31, v31, v49
	v_fmac_f32_e32 v35, v30, v23
	s_delay_alu instid0(VALU_DEP_4) | instskip(NEXT) | instid1(VALU_DEP_3)
	v_add_f32_e32 v25, v25, v26
	v_dual_fmac_f32 v31, v24, v20 :: v_dual_mul_f32 v24, v29, v50
	s_delay_alu instid0(VALU_DEP_1) | instskip(SKIP_3) | instid1(VALU_DEP_1)
	v_dual_add_f32 v30, v41, v31 :: v_dual_and_b32 v29, 0xffff0000, v88
	v_and_b32_e32 v31, 0xffff0000, v0
	v_lshlrev_b32_e32 v0, 16, v0
	v_lshlrev_b32_e32 v20, 16, v87
	v_fmac_f32_e32 v24, v20, v21
	v_dual_mul_f32 v21, v29, v54 :: v_dual_lshlrev_b32 v20, 16, v88
	v_and_b32_e32 v29, 0xffff0000, v16
	v_lshlrev_b32_e32 v16, 16, v16
	s_delay_alu instid0(VALU_DEP_4) | instskip(NEXT) | instid1(VALU_DEP_4)
	v_add_f32_e32 v24, v30, v24
	v_dual_fmac_f32 v21, v20, v22 :: v_dual_and_b32 v30, 0xffff0000, v1
	s_delay_alu instid0(VALU_DEP_4) | instskip(SKIP_1) | instid1(VALU_DEP_3)
	v_dual_mul_f32 v20, v29, v31 :: v_dual_and_b32 v29, 0xffff0000, v17
	v_lshlrev_b32_e32 v1, 16, v1
	v_add_f32_e32 v21, v24, v21
	s_delay_alu instid0(VALU_DEP_3) | instskip(NEXT) | instid1(VALU_DEP_4)
	v_fmac_f32_e32 v20, v16, v0
	v_dual_mul_f32 v17, v29, v30 :: v_dual_lshlrev_b32 v16, 16, v17
	v_and_b32_e32 v24, 0xffff0000, v3
	v_and_b32_e32 v22, 0xffff0000, v89
	s_delay_alu instid0(VALU_DEP_4) | instskip(NEXT) | instid1(VALU_DEP_4)
	v_dual_add_f32 v20, v32, v20 :: v_dual_lshlrev_b32 v3, 16, v3
	v_fmac_f32_e32 v17, v16, v1
	v_and_b32_e32 v29, 0xffff0000, v18
	s_delay_alu instid0(VALU_DEP_4) | instskip(NEXT) | instid1(VALU_DEP_3)
	v_mul_f32_e32 v22, v22, v38
	v_dual_add_f32 v17, v20, v17 :: v_dual_lshlrev_b32 v16, 16, v18
	s_delay_alu instid0(VALU_DEP_3) | instskip(NEXT) | instid1(VALU_DEP_3)
	v_mul_f32_e32 v18, v29, v36
	v_fmac_f32_e32 v22, v34, v23
	s_delay_alu instid0(VALU_DEP_2) | instskip(NEXT) | instid1(VALU_DEP_2)
	v_fmac_f32_e32 v18, v16, v2
	v_dual_add_f32 v21, v21, v22 :: v_dual_and_b32 v26, 0xffff0000, v27
	v_lshlrev_b32_e32 v27, 16, v27
	s_delay_alu instid0(VALU_DEP_3) | instskip(NEXT) | instid1(VALU_DEP_3)
	v_dual_add_f32 v17, v17, v18 :: v_dual_and_b32 v18, 0xffff0000, v19
	v_dual_mul_f32 v26, v26, v38 :: v_dual_lshlrev_b32 v19, 16, v19
	s_delay_alu instid0(VALU_DEP_2) | instskip(NEXT) | instid1(VALU_DEP_2)
	v_mul_f32_e32 v18, v18, v24
	v_dual_fmac_f32 v26, v27, v23 :: v_dual_and_b32 v23, 0xffff0000, v12
	v_lshlrev_b32_e32 v12, 16, v12
	s_delay_alu instid0(VALU_DEP_3) | instskip(NEXT) | instid1(VALU_DEP_3)
	v_fmac_f32_e32 v18, v19, v3
	v_add_f32_e32 v20, v25, v26
	s_delay_alu instid0(VALU_DEP_4) | instskip(SKIP_3) | instid1(VALU_DEP_4)
	v_dual_mul_f32 v22, v23, v31 :: v_dual_and_b32 v23, 0xffff0000, v13
	v_and_b32_e32 v25, 0xffff0000, v8
	v_lshlrev_b32_e32 v8, 16, v8
	v_add_f32_e32 v112, v17, v18
	v_fmac_f32_e32 v22, v12, v0
	v_dual_mul_f32 v13, v23, v30 :: v_dual_lshlrev_b32 v12, 16, v13
	v_and_b32_e32 v23, 0xffff0000, v14
	s_delay_alu instid0(VALU_DEP_2) | instskip(SKIP_1) | instid1(VALU_DEP_3)
	v_dual_add_f32 v22, v33, v22 :: v_dual_fmac_f32 v13, v12, v1
	v_lshlrev_b32_e32 v12, 16, v14
	v_dual_mul_f32 v14, v23, v36 :: v_dual_mul_f32 v23, v25, v31
	s_delay_alu instid0(VALU_DEP_3) | instskip(SKIP_1) | instid1(VALU_DEP_3)
	v_add_f32_e32 v13, v22, v13
	v_and_b32_e32 v22, 0xffff0000, v9
	v_fmac_f32_e32 v14, v12, v2
	s_delay_alu instid0(VALU_DEP_4) | instskip(NEXT) | instid1(VALU_DEP_3)
	v_dual_fmac_f32 v23, v8, v0 :: v_dual_lshlrev_b32 v8, 16, v9
	v_mul_f32_e32 v9, v22, v30
	s_delay_alu instid0(VALU_DEP_3) | instskip(SKIP_4) | instid1(VALU_DEP_4)
	v_add_f32_e32 v12, v13, v14
	v_and_b32_e32 v13, 0xffff0000, v10
	v_and_b32_e32 v14, 0xffff0000, v15
	v_add_f32_e32 v16, v28, v35
	v_dual_fmac_f32 v9, v8, v1 :: v_dual_lshlrev_b32 v8, 16, v10
	v_dual_mul_f32 v10, v13, v36 :: v_dual_lshlrev_b32 v13, 16, v15
	v_and_b32_e32 v15, 0xffff0000, v4
	v_mul_f32_e32 v14, v14, v24
	v_lshlrev_b32_e32 v4, 16, v4
	s_delay_alu instid0(VALU_DEP_4) | instskip(SKIP_4) | instid1(VALU_DEP_4)
	v_fmac_f32_e32 v10, v8, v2
	v_add_f32_e32 v16, v16, v23
	v_mul_f32_e32 v8, v15, v31
	v_dual_fmac_f32 v14, v13, v3 :: v_dual_and_b32 v13, 0xffff0000, v5
	v_lshlrev_b32_e32 v15, 16, v94
	v_add_f32_e32 v9, v16, v9
	s_delay_alu instid0(VALU_DEP_4) | instskip(NEXT) | instid1(VALU_DEP_4)
	v_fmac_f32_e32 v8, v4, v0
	v_dual_add_f32 v111, v12, v14 :: v_dual_lshlrev_b32 v4, 16, v5
	v_mul_f32_e32 v5, v13, v30
	s_delay_alu instid0(VALU_DEP_3) | instskip(SKIP_1) | instid1(VALU_DEP_3)
	v_dual_add_f32 v8, v20, v8 :: v_dual_and_b32 v13, 0xffff0000, v94
	v_dual_add_f32 v9, v9, v10 :: v_dual_and_b32 v16, 0xffff0000, v84
	v_dual_fmac_f32 v5, v4, v1 :: v_dual_and_b32 v4, 0xffff0000, v6
	s_delay_alu instid0(VALU_DEP_3) | instskip(NEXT) | instid1(VALU_DEP_2)
	v_dual_mul_f32 v13, v13, v31 :: v_dual_lshlrev_b32 v6, 16, v6
	v_dual_add_f32 v5, v8, v5 :: v_dual_and_b32 v10, 0xffff0000, v11
	s_delay_alu instid0(VALU_DEP_3) | instskip(NEXT) | instid1(VALU_DEP_3)
	v_mul_f32_e32 v4, v4, v36
	v_fmac_f32_e32 v13, v15, v0
	v_and_b32_e32 v15, 0xffff0000, v7
	v_lshlrev_b32_e32 v0, 16, v84
	v_mul_f32_e32 v8, v16, v30
	v_fmac_f32_e32 v4, v6, v2
	v_and_b32_e32 v6, 0xffff0000, v85
	v_add_f32_e32 v13, v21, v13
	s_delay_alu instid0(VALU_DEP_4) | instskip(NEXT) | instid1(VALU_DEP_3)
	v_dual_fmac_f32 v8, v0, v1 :: v_dual_lshlrev_b32 v11, 16, v11
	v_dual_mul_f32 v1, v6, v36 :: v_dual_lshlrev_b32 v0, 16, v85
	v_lshlrev_b32_e32 v6, 16, v7
	v_dual_mul_f32 v10, v10, v24 :: v_dual_and_b32 v7, 0xffff0000, v86
	v_mul_f32_e32 v15, v15, v24
	s_delay_alu instid0(VALU_DEP_4) | instskip(SKIP_1) | instid1(VALU_DEP_4)
	v_dual_add_f32 v8, v13, v8 :: v_dual_fmac_f32 v1, v0, v2
	v_lshlrev_b32_e32 v0, 16, v86
	v_mul_f32_e32 v2, v7, v24
	v_fmac_f32_e32 v10, v11, v3
	v_dual_add_f32 v4, v5, v4 :: v_dual_fmac_f32 v15, v6, v3
	v_add_f32_e32 v1, v8, v1
	s_delay_alu instid0(VALU_DEP_4) | instskip(NEXT) | instid1(VALU_DEP_3)
	v_fmac_f32_e32 v2, v0, v3
	v_dual_add_f32 v110, v9, v10 :: v_dual_add_f32 v109, v4, v15
	s_delay_alu instid0(VALU_DEP_2)
	v_add_f32_e32 v108, v1, v2
.LBB280_13:                             ;   in Loop: Header=BB280_14 Depth=2
	s_or_b32 exec_lo, exec_lo, s2
	s_addk_i32 s38, 0x400
	s_delay_alu instid0(SALU_CYCLE_1)
	s_cmp_ge_u32 s38, s16
	s_cbranch_scc1 .LBB280_28
.LBB280_14:                             ;   Parent Loop BB280_7 Depth=1
                                        ; =>  This Loop Header: Depth=2
                                        ;       Child Loop BB280_19 Depth 3
	s_cmp_eq_u32 s38, 0
	s_cselect_b32 s39, -1, 0
	s_add_i32 s2, s37, s15
	s_delay_alu instid0(SALU_CYCLE_1) | instskip(SKIP_1) | instid1(SALU_CYCLE_1)
	s_cmp_eq_u32 s38, s2
	s_cselect_b32 s40, -1, 0
	s_or_b32 s40, s39, s40
	s_delay_alu instid0(SALU_CYCLE_1)
	s_and_not1_b32 vcc_lo, exec_lo, s40
	s_cbranch_vccz .LBB280_16
; %bb.15:                               ;   in Loop: Header=BB280_14 Depth=2
	s_and_saveexec_b32 s2, s1
	s_cbranch_execz .LBB280_13
	s_branch .LBB280_23
.LBB280_16:                             ;   in Loop: Header=BB280_14 Depth=2
	s_and_b32 s39, s39, exec_lo
	s_cselect_b32 s37, s37, s2
	s_and_not1_b32 vcc_lo, exec_lo, s23
	s_waitcnt vmcnt(0)
	s_waitcnt_vscnt null, 0x0
	s_barrier
	buffer_gl0_inv
	s_cbranch_vccnz .LBB280_22
; %bb.17:                               ;   in Loop: Header=BB280_14 Depth=2
	v_dual_mov_b32 v5, v102 :: v_dual_add_nc_u32 v0, s37, v103
	v_add_nc_u32_e32 v1, s37, v97
	v_add_nc_u32_e32 v2, s37, v98
	;; [unrolled: 1-line block ×4, first 2 shown]
	s_mov_b32 s39, 0
	s_mov_b32 s40, 0
                                        ; implicit-def: $sgpr41
	s_branch .LBB280_19
.LBB280_18:                             ;   in Loop: Header=BB280_19 Depth=3
	s_or_b32 exec_lo, exec_lo, s2
	s_delay_alu instid0(SALU_CYCLE_1) | instskip(NEXT) | instid1(SALU_CYCLE_1)
	s_and_b32 s2, exec_lo, s41
	s_or_b32 s39, s2, s39
	s_delay_alu instid0(SALU_CYCLE_1)
	s_and_not1_b32 exec_lo, exec_lo, s39
	s_cbranch_execz .LBB280_21
.LBB280_19:                             ;   Parent Loop BB280_7 Depth=1
                                        ;     Parent Loop BB280_14 Depth=2
                                        ; =>    This Inner Loop Header: Depth=3
	s_delay_alu instid0(VALU_DEP_1) | instskip(SKIP_2) | instid1(VALU_DEP_2)
	v_add_nc_u32_e32 v94, s40, v4
	v_add_nc_u32_e32 v6, s40, v96
	s_or_b32 s41, s41, exec_lo
	v_cmp_gt_u32_e32 vcc_lo, s18, v94
	s_delay_alu instid0(VALU_DEP_2) | instskip(NEXT) | instid1(VALU_DEP_1)
	v_cmp_gt_u32_e64 s2, s15, v6
	s_and_b32 s42, s2, vcc_lo
	s_delay_alu instid0(SALU_CYCLE_1)
	s_and_saveexec_b32 s2, s42
	s_cbranch_execz .LBB280_18
; %bb.20:                               ;   in Loop: Header=BB280_19 Depth=3
	v_lshlrev_b64 v[6:7], 1, v[94:95]
	v_add_nc_u32_e32 v94, s40, v3
	v_add_nc_u32_e32 v26, s36, v5
	;; [unrolled: 1-line block ×3, first 2 shown]
	s_delay_alu instid0(VALU_DEP_3) | instskip(SKIP_3) | instid1(VALU_DEP_3)
	v_lshlrev_b64 v[8:9], 1, v[94:95]
	v_add_nc_u32_e32 v94, s40, v0
	v_add_co_u32 v6, vcc_lo, s8, v6
	v_add_co_ci_u32_e32 v7, vcc_lo, s9, v7, vcc_lo
	v_lshlrev_b64 v[10:11], 1, v[94:95]
	v_add_nc_u32_e32 v94, s40, v1
	v_add_co_u32 v12, vcc_lo, s8, v8
	v_add_co_ci_u32_e32 v13, vcc_lo, s9, v9, vcc_lo
	s_delay_alu instid0(VALU_DEP_3) | instskip(SKIP_3) | instid1(VALU_DEP_3)
	v_lshlrev_b64 v[18:19], 1, v[94:95]
	v_add_nc_u32_e32 v94, s40, v2
	v_add_co_u32 v14, vcc_lo, s8, v10
	v_add_co_ci_u32_e32 v15, vcc_lo, s9, v11, vcc_lo
	v_lshlrev_b64 v[20:21], 1, v[94:95]
	v_add_co_u32 v18, vcc_lo, s8, v18
	v_add_co_ci_u32_e32 v19, vcc_lo, s9, v19, vcc_lo
	s_clause 0x2
	global_load_b128 v[6:9], v[6:7], off
	global_load_b128 v[10:13], v[12:13], off
	global_load_b128 v[14:17], v[14:15], off
	v_add_co_u32 v22, vcc_lo, s8, v20
	v_add_co_ci_u32_e32 v23, vcc_lo, s9, v21, vcc_lo
	s_clause 0x1
	global_load_b128 v[18:21], v[18:19], off
	global_load_b128 v[22:25], v[22:23], off
	s_add_i32 s40, s40, s24
	s_waitcnt vmcnt(4)
	ds_store_b128 v5, v[6:9]
	s_waitcnt vmcnt(3)
	ds_store_2addr_b64 v26, v[10:11], v[12:13] offset1:1
	s_waitcnt vmcnt(2)
	ds_store_2addr_b32 v27, v14, v15 offset1:1
	ds_store_2addr_b32 v27, v16, v17 offset0:2 offset1:3
	s_cmp_ge_u32 s40, s15
	v_add_nc_u32_e32 v6, s21, v5
	s_cselect_b32 s42, -1, 0
	v_add_nc_u32_e32 v7, s33, v5
	v_add_nc_u32_e32 v5, s20, v5
	s_and_not1_b32 s41, s41, exec_lo
	s_and_b32 s42, s42, exec_lo
	s_waitcnt vmcnt(1)
	ds_store_2addr_b64 v6, v[18:19], v[20:21] offset1:1
	s_or_b32 s41, s41, s42
	s_waitcnt vmcnt(0)
	ds_store_2addr_b64 v7, v[22:23], v[24:25] offset1:1
	s_branch .LBB280_18
.LBB280_21:                             ;   in Loop: Header=BB280_14 Depth=2
	s_or_b32 exec_lo, exec_lo, s39
.LBB280_22:                             ;   in Loop: Header=BB280_14 Depth=2
	s_waitcnt lgkmcnt(0)
	s_barrier
	buffer_gl0_inv
	s_and_saveexec_b32 s2, s1
	s_cbranch_execz .LBB280_13
.LBB280_23:                             ;   in Loop: Header=BB280_14 Depth=2
	v_dual_mov_b32 v85, 0 :: v_dual_add_nc_u32 v118, s38, v101
	s_waitcnt vmcnt(2)
	v_dual_mov_b32 v10, 0 :: v_dual_mov_b32 v15, 0
	v_dual_mov_b32 v8, 0 :: v_dual_mov_b32 v13, 0
	s_delay_alu instid0(VALU_DEP_3) | instskip(SKIP_3) | instid1(VALU_DEP_4)
	v_min_u32_e32 v94, s25, v118
	v_dual_mov_b32 v86, 0 :: v_dual_add_nc_u32 v117, 0x100, v118
	v_add_nc_u32_e32 v116, 0x200, v118
	v_dual_mov_b32 v84, 0 :: v_dual_add_nc_u32 v115, 0x300, v118
	v_lshlrev_b64 v[0:1], 1, v[94:95]
	s_delay_alu instid0(VALU_DEP_4) | instskip(SKIP_2) | instid1(VALU_DEP_3)
	v_min_u32_e32 v94, s25, v117
	v_dual_mov_b32 v14, 0 :: v_dual_mov_b32 v19, 0
	v_dual_mov_b32 v12, 0 :: v_dual_mov_b32 v17, 0
	v_lshlrev_b64 v[2:3], 1, v[94:95]
	v_min_u32_e32 v94, s25, v116
	v_add_co_u32 v0, vcc_lo, v106, v0
	v_add_co_ci_u32_e32 v1, vcc_lo, v107, v1, vcc_lo
	s_waitcnt vmcnt(0)
	s_delay_alu instid0(VALU_DEP_3) | instskip(SKIP_3) | instid1(VALU_DEP_3)
	v_lshlrev_b64 v[4:5], 1, v[94:95]
	v_min_u32_e32 v94, s25, v115
	v_add_co_u32 v2, vcc_lo, v106, v2
	v_add_co_ci_u32_e32 v3, vcc_lo, v107, v3, vcc_lo
	v_lshlrev_b64 v[6:7], 1, v[94:95]
	v_add_co_u32 v4, vcc_lo, v106, v4
	v_add_co_ci_u32_e32 v5, vcc_lo, v107, v5, vcc_lo
	v_mov_b32_e32 v94, 0
	s_delay_alu instid0(VALU_DEP_4)
	v_add_co_u32 v6, vcc_lo, v106, v6
	v_add_co_ci_u32_e32 v7, vcc_lo, v107, v7, vcc_lo
	s_clause 0x3
	global_load_b128 v[64:67], v[0:1], off slc dlc
	global_load_b128 v[44:47], v[2:3], off slc dlc
	;; [unrolled: 1-line block ×4, first 2 shown]
	v_mov_b32_e32 v5, 0
	v_cmp_gt_u32_e32 vcc_lo, s16, v118
	v_dual_mov_b32 v7, 0 :: v_dual_mov_b32 v6, 0
	v_dual_mov_b32 v11, 0 :: v_dual_mov_b32 v4, 0
	;; [unrolled: 1-line block ×5, first 2 shown]
	v_mov_b32_e32 v113, 0
	v_dual_mov_b32 v27, 0 :: v_dual_mov_b32 v26, 0
	v_dual_mov_b32 v25, 0 :: v_dual_mov_b32 v24, 0
	;; [unrolled: 1-line block ×27, first 2 shown]
	v_mov_b32_e32 v82, 0
	v_mov_b32_e32 v80, 0
	s_and_saveexec_b32 s39, vcc_lo
	s_cbranch_execz .LBB280_12
; %bb.24:                               ;   in Loop: Header=BB280_14 Depth=2
	v_subrev_nc_u32_e32 v4, s37, v118
	v_cmp_gt_u32_e32 vcc_lo, s16, v117
	v_dual_mov_b32 v56, 0 :: v_dual_mov_b32 v57, 0
	v_dual_mov_b32 v58, 0 :: v_dual_mov_b32 v59, 0
	s_delay_alu instid0(VALU_DEP_4) | instskip(SKIP_2) | instid1(VALU_DEP_3)
	v_dual_mov_b32 v53, 0 :: v_dual_lshlrev_b32 v118, 1, v4
	v_mov_b32_e32 v52, 0
	v_dual_mov_b32 v54, 0 :: v_dual_mov_b32 v55, 0
	v_dual_mov_b32 v48, 0 :: v_dual_add_nc_u32 v119, s36, v118
	v_dual_mov_b32 v49, 0 :: v_dual_mov_b32 v50, 0
	s_delay_alu instid0(VALU_DEP_2) | instskip(SKIP_2) | instid1(VALU_DEP_3)
	v_dual_mov_b32 v51, 0 :: v_dual_add_nc_u32 v120, s36, v119
	v_dual_mov_b32 v41, 0 :: v_dual_mov_b32 v40, 0
	v_dual_mov_b32 v42, 0 :: v_dual_mov_b32 v43, 0
	v_dual_mov_b32 v90, 0 :: v_dual_add_nc_u32 v121, s36, v120
	v_dual_mov_b32 v114, 0 :: v_dual_mov_b32 v91, 0
	v_dual_mov_b32 v92, 0 :: v_dual_mov_b32 v37, 0
	s_delay_alu instid0(VALU_DEP_3)
	v_add_nc_u32_e32 v117, s36, v121
	ds_load_b128 v[80:83], v118
	ds_load_b128 v[76:79], v119
	;; [unrolled: 1-line block ×5, first 2 shown]
	v_dual_mov_b32 v36, 0 :: v_dual_mov_b32 v39, 0
	v_dual_mov_b32 v38, 0 :: v_dual_mov_b32 v33, 0
	;; [unrolled: 1-line block ×19, first 2 shown]
	v_mov_b32_e32 v86, 0
	s_and_saveexec_b32 s40, vcc_lo
	s_cbranch_execz .LBB280_11
; %bb.25:                               ;   in Loop: Header=BB280_14 Depth=2
	ds_load_b128 v[56:59], v118 offset:512
	ds_load_b128 v[52:55], v119 offset:512
	;; [unrolled: 1-line block ×4, first 2 shown]
	ds_load_b32 v114, v117 offset:512
	ds_load_b96 v[90:92], v117 offset:516
	v_cmp_gt_u32_e32 vcc_lo, s16, v116
	v_dual_mov_b32 v36, 0 :: v_dual_mov_b32 v37, 0
	v_dual_mov_b32 v38, 0 :: v_dual_mov_b32 v39, 0
	;; [unrolled: 1-line block ×20, first 2 shown]
	s_and_saveexec_b32 s41, vcc_lo
	s_cbranch_execz .LBB280_10
; %bb.26:                               ;   in Loop: Header=BB280_14 Depth=2
	ds_load_b128 v[36:39], v118 offset:1024
	ds_load_b128 v[32:35], v119 offset:1024
	;; [unrolled: 1-line block ×4, first 2 shown]
	ds_load_b32 v113, v117 offset:1024
	ds_load_b96 v[87:89], v117 offset:1028
	v_cmp_gt_u32_e32 vcc_lo, s16, v115
	v_dual_mov_b32 v16, 0 :: v_dual_mov_b32 v17, 0
	v_dual_mov_b32 v18, 0 :: v_dual_mov_b32 v19, 0
	;; [unrolled: 1-line block ×9, first 2 shown]
	v_mov_b32_e32 v84, 0
	v_mov_b32_e32 v86, 0
	s_and_saveexec_b32 s42, vcc_lo
	s_cbranch_execz .LBB280_9
; %bb.27:                               ;   in Loop: Header=BB280_14 Depth=2
	ds_load_b128 v[16:19], v118 offset:1536
	ds_load_b128 v[12:15], v119 offset:1536
	;; [unrolled: 1-line block ×4, first 2 shown]
	ds_load_b32 v94, v117 offset:1536
	ds_load_b96 v[84:86], v117 offset:1540
	s_branch .LBB280_9
.LBB280_28:                             ;   in Loop: Header=BB280_7 Depth=1
	s_mov_b32 s1, exec_lo
                                        ; implicit-def: $vgpr0
	v_cmpx_le_u32_e64 s19, v93
	s_xor_b32 s1, exec_lo, s1
; %bb.29:                               ;   in Loop: Header=BB280_7 Depth=1
	v_add_nc_u32_e32 v0, s5, v93
                                        ; implicit-def: $vgpr93
                                        ; implicit-def: $vgpr112
                                        ; implicit-def: $vgpr111
                                        ; implicit-def: $vgpr110
                                        ; implicit-def: $vgpr109
                                        ; implicit-def: $vgpr108
; %bb.30:                               ;   in Loop: Header=BB280_7 Depth=1
	s_and_not1_saveexec_b32 s2, s1
	s_cbranch_execz .LBB280_6
; %bb.31:                               ;   in Loop: Header=BB280_7 Depth=1
	v_xor_b32_e32 v0, 16, v100
	v_cvt_i32_f32_e32 v1, v112
	v_cvt_i32_f32_e32 v2, v111
	;; [unrolled: 1-line block ×3, first 2 shown]
	s_waitcnt vmcnt(0)
	v_cvt_i32_f32_e32 v4, v109
	v_cmp_gt_i32_e32 vcc_lo, 32, v0
	v_cvt_f32_i32_dpp v1, v1 row_shr:8 row_mask:0xf bank_mask:0xf bound_ctrl:1
	v_cvt_f32_i32_dpp v2, v2 row_shr:8 row_mask:0xf bank_mask:0xf bound_ctrl:1
	v_cvt_i32_f32_e32 v5, v108
	v_cndmask_b32_e32 v0, v100, v0, vcc_lo
	s_delay_alu instid0(VALU_DEP_1)
	v_dual_add_f32 v2, v111, v2 :: v_dual_lshlrev_b32 v7, 2, v0
	v_cvt_f32_i32_dpp v0, v3 row_shr:8 row_mask:0xf bank_mask:0xf bound_ctrl:1
	v_cvt_f32_i32_dpp v3, v4 row_shr:8 row_mask:0xf bank_mask:0xf bound_ctrl:1
	v_add_f32_e32 v1, v112, v1
	v_cvt_f32_i32_dpp v4, v5 row_shr:8 row_mask:0xf bank_mask:0xf bound_ctrl:1
	v_cvt_i32_f32_e32 v6, v2
	s_delay_alu instid0(VALU_DEP_4) | instskip(NEXT) | instid1(VALU_DEP_4)
	v_dual_add_f32 v0, v110, v0 :: v_dual_add_f32 v3, v109, v3
	v_cvt_i32_f32_e32 v5, v1
	s_delay_alu instid0(VALU_DEP_3) | instskip(NEXT) | instid1(VALU_DEP_3)
	v_cvt_f32_i32_dpp v6, v6 row_shr:4 row_mask:0xf bank_mask:0xf bound_ctrl:1
	v_cvt_i32_f32_e32 v8, v0
	s_delay_alu instid0(VALU_DEP_4) | instskip(NEXT) | instid1(VALU_DEP_4)
	v_cvt_i32_f32_e32 v9, v3
	v_cvt_f32_i32_dpp v5, v5 row_shr:4 row_mask:0xf bank_mask:0xf bound_ctrl:1
	v_add_f32_e32 v4, v108, v4
	s_delay_alu instid0(VALU_DEP_4) | instskip(NEXT) | instid1(VALU_DEP_4)
	v_cvt_f32_i32_dpp v8, v8 row_shr:4 row_mask:0xf bank_mask:0xf bound_ctrl:1
	v_cvt_f32_i32_dpp v9, v9 row_shr:4 row_mask:0xf bank_mask:0xf bound_ctrl:1
	s_delay_alu instid0(VALU_DEP_4) | instskip(NEXT) | instid1(VALU_DEP_4)
	v_add_f32_e32 v1, v1, v5
	v_cvt_i32_f32_e32 v10, v4
	s_delay_alu instid0(VALU_DEP_3) | instskip(NEXT) | instid1(VALU_DEP_3)
	v_dual_add_f32 v2, v2, v6 :: v_dual_add_f32 v3, v3, v9
	v_cvt_i32_f32_e32 v5, v1
	s_delay_alu instid0(VALU_DEP_3) | instskip(NEXT) | instid1(VALU_DEP_3)
	v_cvt_f32_i32_dpp v10, v10 row_shr:4 row_mask:0xf bank_mask:0xf bound_ctrl:1
	v_cvt_i32_f32_e32 v6, v2
	s_delay_alu instid0(VALU_DEP_4) | instskip(NEXT) | instid1(VALU_DEP_4)
	v_cvt_i32_f32_e32 v9, v3
	v_cvt_f32_i32_dpp v5, v5 row_shr:2 row_mask:0xf bank_mask:0xf bound_ctrl:1
	v_add_f32_e32 v0, v0, v8
	s_delay_alu instid0(VALU_DEP_4) | instskip(NEXT) | instid1(VALU_DEP_4)
	v_cvt_f32_i32_dpp v6, v6 row_shr:2 row_mask:0xf bank_mask:0xf bound_ctrl:1
	v_cvt_f32_i32_dpp v9, v9 row_shr:2 row_mask:0xf bank_mask:0xf bound_ctrl:1
	s_delay_alu instid0(VALU_DEP_4) | instskip(NEXT) | instid1(VALU_DEP_4)
	v_dual_add_f32 v1, v1, v5 :: v_dual_add_f32 v4, v4, v10
	v_cvt_i32_f32_e32 v8, v0
	s_delay_alu instid0(VALU_DEP_3) | instskip(NEXT) | instid1(VALU_DEP_3)
	v_add_f32_e32 v3, v3, v9
	v_cvt_i32_f32_e32 v5, v1
	s_delay_alu instid0(VALU_DEP_4) | instskip(NEXT) | instid1(VALU_DEP_4)
	v_cvt_i32_f32_e32 v10, v4
	v_cvt_f32_i32_dpp v8, v8 row_shr:2 row_mask:0xf bank_mask:0xf bound_ctrl:1
	s_delay_alu instid0(VALU_DEP_4) | instskip(NEXT) | instid1(VALU_DEP_4)
	v_cvt_i32_f32_e32 v9, v3
	v_cvt_f32_i32_dpp v5, v5 row_shr:1 row_mask:0xf bank_mask:0xf bound_ctrl:1
	s_delay_alu instid0(VALU_DEP_4) | instskip(SKIP_3) | instid1(VALU_DEP_4)
	v_cvt_f32_i32_dpp v10, v10 row_shr:2 row_mask:0xf bank_mask:0xf bound_ctrl:1
	v_add_f32_e32 v2, v2, v6
	v_add_f32_e32 v0, v0, v8
	v_cvt_f32_i32_dpp v9, v9 row_shr:1 row_mask:0xf bank_mask:0xf bound_ctrl:1
	v_dual_add_f32 v11, v1, v5 :: v_dual_add_f32 v4, v4, v10
	s_delay_alu instid0(VALU_DEP_4) | instskip(NEXT) | instid1(VALU_DEP_4)
	v_cvt_i32_f32_e32 v6, v2
	v_cvt_i32_f32_e32 v8, v0
	s_delay_alu instid0(VALU_DEP_3) | instskip(NEXT) | instid1(VALU_DEP_3)
	v_cvt_i32_f32_e32 v10, v4
	v_cvt_f32_i32_dpp v6, v6 row_shr:1 row_mask:0xf bank_mask:0xf bound_ctrl:1
	s_delay_alu instid0(VALU_DEP_3) | instskip(NEXT) | instid1(VALU_DEP_3)
	v_cvt_f32_i32_dpp v12, v8 row_shr:1 row_mask:0xf bank_mask:0xf bound_ctrl:1
	v_cvt_f32_i32_dpp v10, v10 row_shr:1 row_mask:0xf bank_mask:0xf bound_ctrl:1
	s_delay_alu instid0(VALU_DEP_2)
	v_dual_add_f32 v8, v2, v6 :: v_dual_add_f32 v5, v0, v12
	v_add_f32_e32 v2, v3, v9
	ds_bpermute_b32 v12, v7, v11
	v_add_f32_e32 v0, v4, v10
	ds_bpermute_b32 v9, v7, v8
	ds_bpermute_b32 v6, v7, v5
	;; [unrolled: 1-line block ×4, first 2 shown]
	s_and_saveexec_b32 s1, s0
	s_cbranch_execz .LBB280_56
; %bb.32:                               ;   in Loop: Header=BB280_7 Depth=1
	v_dual_mov_b32 v14, 0 :: v_dual_mov_b32 v13, 0
	v_dual_mov_b32 v10, 0 :: v_dual_mov_b32 v7, 0
	v_mov_b32_e32 v4, 0
	s_and_not1_b32 vcc_lo, exec_lo, s27
	s_cbranch_vccnz .LBB280_34
; %bb.33:                               ;   in Loop: Header=BB280_7 Depth=1
	v_mul_hi_u32 v4, v93, v105
	v_mov_b32_e32 v18, v95
	s_delay_alu instid0(VALU_DEP_2) | instskip(NEXT) | instid1(VALU_DEP_1)
	v_mul_lo_u32 v4, v4, s4
	v_sub_nc_u32_e32 v4, v93, v4
	s_delay_alu instid0(VALU_DEP_1) | instskip(SKIP_1) | instid1(VALU_DEP_2)
	v_subrev_nc_u32_e32 v7, s4, v4
	v_cmp_le_u32_e32 vcc_lo, s4, v4
	v_cndmask_b32_e32 v4, v4, v7, vcc_lo
	s_delay_alu instid0(VALU_DEP_1) | instskip(SKIP_1) | instid1(VALU_DEP_2)
	v_subrev_nc_u32_e32 v7, s4, v4
	v_cmp_le_u32_e32 vcc_lo, s4, v4
	v_cndmask_b32_e32 v94, v4, v7, vcc_lo
	v_mov_b32_e32 v14, v95
	s_delay_alu instid0(VALU_DEP_2)
	v_dual_mov_b32 v16, v95 :: v_dual_add_nc_u32 v17, s31, v94
	v_add_nc_u32_e32 v13, s29, v94
	v_lshlrev_b64 v[19:20], 1, v[94:95]
	v_add_nc_u32_e32 v15, s30, v94
	v_add_nc_u32_e32 v94, s35, v94
	v_lshlrev_b64 v[17:18], 1, v[17:18]
	v_lshlrev_b64 v[13:14], 1, v[13:14]
	s_delay_alu instid0(VALU_DEP_4) | instskip(SKIP_2) | instid1(VALU_DEP_4)
	v_lshlrev_b64 v[15:16], 1, v[15:16]
	v_add_co_u32 v19, vcc_lo, s10, v19
	v_add_co_ci_u32_e32 v20, vcc_lo, s11, v20, vcc_lo
	v_add_co_u32 v23, vcc_lo, s10, v13
	v_add_co_ci_u32_e32 v24, vcc_lo, s11, v14, vcc_lo
	v_lshlrev_b64 v[21:22], 1, v[94:95]
	v_add_co_u32 v15, vcc_lo, s10, v15
	v_add_co_ci_u32_e32 v16, vcc_lo, s11, v16, vcc_lo
	v_add_co_u32 v17, vcc_lo, s10, v17
	v_add_co_ci_u32_e32 v18, vcc_lo, s11, v18, vcc_lo
	v_add_co_u32 v21, vcc_lo, s10, v21
	v_add_co_ci_u32_e32 v22, vcc_lo, s11, v22, vcc_lo
	s_clause 0x4
	global_load_u16 v14, v[19:20], off
	global_load_u16 v13, v[23:24], off
	;; [unrolled: 1-line block ×5, first 2 shown]
.LBB280_34:                             ;   in Loop: Header=BB280_7 Depth=1
	v_cmp_ne_u32_e32 vcc_lo, 0, v99
	s_and_b32 exec_lo, exec_lo, vcc_lo
	s_cbranch_execz .LBB280_56
; %bb.35:                               ;   in Loop: Header=BB280_7 Depth=1
	s_waitcnt vmcnt(4) lgkmcnt(4)
	v_dual_add_f32 v11, v11, v12 :: v_dual_lshlrev_b32 v12, 16, v14
	s_delay_alu instid0(VALU_DEP_1) | instskip(NEXT) | instid1(VALU_DEP_1)
	v_add_f32_e32 v12, v11, v12
	v_and_b32_e32 v11, 0x7f800000, v12
	s_delay_alu instid0(VALU_DEP_1) | instskip(SKIP_1) | instid1(SALU_CYCLE_1)
	v_cmp_ne_u32_e32 vcc_lo, 0x7f800000, v11
                                        ; implicit-def: $vgpr11
	s_and_saveexec_b32 s37, vcc_lo
	s_xor_b32 s37, exec_lo, s37
; %bb.36:                               ;   in Loop: Header=BB280_7 Depth=1
	v_bfe_u32 v11, v12, 16, 1
	s_delay_alu instid0(VALU_DEP_1)
	v_add3_u32 v11, v12, v11, 0x7fff
                                        ; implicit-def: $vgpr12
; %bb.37:                               ;   in Loop: Header=BB280_7 Depth=1
	s_and_not1_saveexec_b32 s37, s37
; %bb.38:                               ;   in Loop: Header=BB280_7 Depth=1
	v_and_b32_e32 v11, 0xffff, v12
	v_or_b32_e32 v14, 0x10000, v12
	s_delay_alu instid0(VALU_DEP_2) | instskip(NEXT) | instid1(VALU_DEP_2)
	v_cmp_eq_u32_e32 vcc_lo, 0, v11
	v_cndmask_b32_e32 v11, v14, v12, vcc_lo
; %bb.39:                               ;   in Loop: Header=BB280_7 Depth=1
	s_or_b32 exec_lo, exec_lo, s37
	s_waitcnt lgkmcnt(3)
	v_add_f32_e32 v8, v8, v9
	s_waitcnt vmcnt(3)
	v_dual_mov_b32 v94, v95 :: v_dual_lshlrev_b32 v9, 16, v13
	s_delay_alu instid0(VALU_DEP_1) | instskip(NEXT) | instid1(VALU_DEP_2)
	v_add_f32_e32 v9, v8, v9
	v_lshlrev_b64 v[12:13], 1, v[93:94]
	s_delay_alu instid0(VALU_DEP_2) | instskip(NEXT) | instid1(VALU_DEP_2)
	v_and_b32_e32 v8, 0x7f800000, v9
	v_add_co_u32 v12, vcc_lo, s12, v12
	s_delay_alu instid0(VALU_DEP_3) | instskip(NEXT) | instid1(VALU_DEP_3)
	v_add_co_ci_u32_e32 v13, vcc_lo, s13, v13, vcc_lo
	v_cmp_ne_u32_e32 vcc_lo, 0x7f800000, v8
                                        ; implicit-def: $vgpr8
	global_store_d16_hi_b16 v[12:13], v11, off
	s_and_saveexec_b32 s37, vcc_lo
	s_delay_alu instid0(SALU_CYCLE_1)
	s_xor_b32 s37, exec_lo, s37
; %bb.40:                               ;   in Loop: Header=BB280_7 Depth=1
	v_bfe_u32 v8, v9, 16, 1
	s_delay_alu instid0(VALU_DEP_1)
	v_add3_u32 v8, v9, v8, 0x7fff
                                        ; implicit-def: $vgpr9
; %bb.41:                               ;   in Loop: Header=BB280_7 Depth=1
	s_and_not1_saveexec_b32 s37, s37
; %bb.42:                               ;   in Loop: Header=BB280_7 Depth=1
	v_and_b32_e32 v8, 0xffff, v9
	v_or_b32_e32 v11, 0x10000, v9
	s_delay_alu instid0(VALU_DEP_2) | instskip(NEXT) | instid1(VALU_DEP_2)
	v_cmp_eq_u32_e32 vcc_lo, 0, v8
	v_cndmask_b32_e32 v8, v11, v9, vcc_lo
; %bb.43:                               ;   in Loop: Header=BB280_7 Depth=1
	s_or_b32 exec_lo, exec_lo, s37
	s_waitcnt lgkmcnt(2)
	v_dual_add_f32 v5, v5, v6 :: v_dual_add_nc_u32 v94, s19, v93
	s_waitcnt vmcnt(2)
	v_lshlrev_b32_e32 v6, 16, v10
	s_delay_alu instid0(VALU_DEP_2) | instskip(NEXT) | instid1(VALU_DEP_2)
	v_lshlrev_b64 v[9:10], 1, v[94:95]
	v_add_f32_e32 v6, v5, v6
	s_delay_alu instid0(VALU_DEP_1) | instskip(NEXT) | instid1(VALU_DEP_3)
	v_and_b32_e32 v5, 0x7f800000, v6
	v_add_co_u32 v9, vcc_lo, s12, v9
	s_delay_alu instid0(VALU_DEP_4) | instskip(NEXT) | instid1(VALU_DEP_3)
	v_add_co_ci_u32_e32 v10, vcc_lo, s13, v10, vcc_lo
	v_cmp_ne_u32_e32 vcc_lo, 0x7f800000, v5
                                        ; implicit-def: $vgpr5
	global_store_d16_hi_b16 v[9:10], v8, off
	s_and_saveexec_b32 s37, vcc_lo
	s_delay_alu instid0(SALU_CYCLE_1)
	s_xor_b32 s37, exec_lo, s37
; %bb.44:                               ;   in Loop: Header=BB280_7 Depth=1
	v_bfe_u32 v5, v6, 16, 1
	s_delay_alu instid0(VALU_DEP_1)
	v_add3_u32 v5, v6, v5, 0x7fff
                                        ; implicit-def: $vgpr6
; %bb.45:                               ;   in Loop: Header=BB280_7 Depth=1
	s_and_not1_saveexec_b32 s37, s37
; %bb.46:                               ;   in Loop: Header=BB280_7 Depth=1
	v_and_b32_e32 v5, 0xffff, v6
	v_or_b32_e32 v8, 0x10000, v6
	s_delay_alu instid0(VALU_DEP_2) | instskip(NEXT) | instid1(VALU_DEP_2)
	v_cmp_eq_u32_e32 vcc_lo, 0, v5
	v_cndmask_b32_e32 v5, v8, v6, vcc_lo
; %bb.47:                               ;   in Loop: Header=BB280_7 Depth=1
	s_or_b32 exec_lo, exec_lo, s37
	s_waitcnt lgkmcnt(1)
	v_add_f32_e32 v2, v2, v3
	s_waitcnt vmcnt(1)
	v_lshlrev_b32_e32 v3, 16, v7
	s_delay_alu instid0(VALU_DEP_1) | instskip(NEXT) | instid1(VALU_DEP_1)
	v_dual_add_f32 v3, v2, v3 :: v_dual_add_nc_u32 v94, s19, v94
	v_lshlrev_b64 v[6:7], 1, v[94:95]
	s_delay_alu instid0(VALU_DEP_2) | instskip(NEXT) | instid1(VALU_DEP_2)
	v_and_b32_e32 v2, 0x7f800000, v3
	v_add_co_u32 v6, vcc_lo, s12, v6
	s_delay_alu instid0(VALU_DEP_3) | instskip(NEXT) | instid1(VALU_DEP_3)
	v_add_co_ci_u32_e32 v7, vcc_lo, s13, v7, vcc_lo
	v_cmp_ne_u32_e32 vcc_lo, 0x7f800000, v2
                                        ; implicit-def: $vgpr2
	global_store_d16_hi_b16 v[6:7], v5, off
	s_and_saveexec_b32 s37, vcc_lo
	s_delay_alu instid0(SALU_CYCLE_1)
	s_xor_b32 s37, exec_lo, s37
; %bb.48:                               ;   in Loop: Header=BB280_7 Depth=1
	v_bfe_u32 v2, v3, 16, 1
	s_delay_alu instid0(VALU_DEP_1)
	v_add3_u32 v2, v3, v2, 0x7fff
                                        ; implicit-def: $vgpr3
; %bb.49:                               ;   in Loop: Header=BB280_7 Depth=1
	s_and_not1_saveexec_b32 s37, s37
; %bb.50:                               ;   in Loop: Header=BB280_7 Depth=1
	v_and_b32_e32 v2, 0xffff, v3
	v_or_b32_e32 v5, 0x10000, v3
	s_delay_alu instid0(VALU_DEP_2) | instskip(NEXT) | instid1(VALU_DEP_2)
	v_cmp_eq_u32_e32 vcc_lo, 0, v2
	v_cndmask_b32_e32 v2, v5, v3, vcc_lo
; %bb.51:                               ;   in Loop: Header=BB280_7 Depth=1
	s_or_b32 exec_lo, exec_lo, s37
	s_waitcnt vmcnt(0) lgkmcnt(0)
	v_dual_add_f32 v0, v0, v1 :: v_dual_lshlrev_b32 v1, 16, v4
	s_delay_alu instid0(VALU_DEP_1) | instskip(NEXT) | instid1(VALU_DEP_1)
	v_dual_add_f32 v1, v0, v1 :: v_dual_add_nc_u32 v94, s19, v94
	v_lshlrev_b64 v[3:4], 1, v[94:95]
	s_delay_alu instid0(VALU_DEP_2) | instskip(NEXT) | instid1(VALU_DEP_2)
	v_and_b32_e32 v0, 0x7f800000, v1
	v_add_co_u32 v3, vcc_lo, s12, v3
	s_delay_alu instid0(VALU_DEP_3) | instskip(NEXT) | instid1(VALU_DEP_3)
	v_add_co_ci_u32_e32 v4, vcc_lo, s13, v4, vcc_lo
	v_cmp_ne_u32_e32 vcc_lo, 0x7f800000, v0
                                        ; implicit-def: $vgpr0
	global_store_d16_hi_b16 v[3:4], v2, off
	s_and_saveexec_b32 s37, vcc_lo
	s_delay_alu instid0(SALU_CYCLE_1)
	s_xor_b32 s37, exec_lo, s37
; %bb.52:                               ;   in Loop: Header=BB280_7 Depth=1
	v_bfe_u32 v0, v1, 16, 1
	s_delay_alu instid0(VALU_DEP_1)
	v_add3_u32 v0, v1, v0, 0x7fff
                                        ; implicit-def: $vgpr1
; %bb.53:                               ;   in Loop: Header=BB280_7 Depth=1
	s_and_not1_saveexec_b32 s37, s37
; %bb.54:                               ;   in Loop: Header=BB280_7 Depth=1
	v_and_b32_e32 v0, 0xffff, v1
	v_or_b32_e32 v2, 0x10000, v1
	s_delay_alu instid0(VALU_DEP_2) | instskip(NEXT) | instid1(VALU_DEP_2)
	v_cmp_eq_u32_e32 vcc_lo, 0, v0
	v_cndmask_b32_e32 v0, v2, v1, vcc_lo
; %bb.55:                               ;   in Loop: Header=BB280_7 Depth=1
	s_or_b32 exec_lo, exec_lo, s37
	v_add_nc_u32_e32 v94, s19, v94
	s_delay_alu instid0(VALU_DEP_1) | instskip(NEXT) | instid1(VALU_DEP_1)
	v_lshlrev_b64 v[1:2], 1, v[94:95]
	v_add_co_u32 v1, vcc_lo, s12, v1
	s_delay_alu instid0(VALU_DEP_2)
	v_add_co_ci_u32_e32 v2, vcc_lo, s13, v2, vcc_lo
	global_store_d16_hi_b16 v[1:2], v0, off
.LBB280_56:                             ;   in Loop: Header=BB280_7 Depth=1
	s_or_b32 exec_lo, exec_lo, s1
	v_add_nc_u32_e32 v0, s5, v93
	s_waitcnt lgkmcnt(0)
	s_delay_alu instid0(VALU_DEP_1) | instskip(SKIP_1) | instid1(VALU_DEP_2)
	v_add_nc_u32_e32 v1, 1, v0
	v_cmp_gt_u32_e32 vcc_lo, s19, v0
	v_cmp_le_u32_e64 s1, s19, v1
	s_delay_alu instid0(VALU_DEP_1) | instskip(NEXT) | instid1(SALU_CYCLE_1)
	s_and_b32 s37, vcc_lo, s1
	s_and_saveexec_b32 s1, s37
	s_cbranch_execz .LBB280_5
; %bb.57:                               ;   in Loop: Header=BB280_7 Depth=1
	v_add_nc_u32_e32 v0, s28, v93
	s_delay_alu instid0(VALU_DEP_1)
	v_cmp_eq_u32_e32 vcc_lo, 1, v0
	v_dual_mov_b32 v0, s26 :: v_dual_cndmask_b32 v99, 0, v99
	s_branch .LBB280_5
.LBB280_58:
	s_nop 0
	s_sendmsg sendmsg(MSG_DEALLOC_VGPRS)
	s_endpgm
	.section	.rodata,"a",@progbits
	.p2align	6, 0x0
	.amdhsa_kernel _Z16wvSplitK_hf_big_I14__hip_bfloat16Li32ELi1ELi16ELi8ELi4ELi5EEviiiiiiPKT_S3_S3_PS1_ii
		.amdhsa_group_segment_fixed_size 65536
		.amdhsa_private_segment_fixed_size 0
		.amdhsa_kernarg_size 64
		.amdhsa_user_sgpr_count 15
		.amdhsa_user_sgpr_dispatch_ptr 0
		.amdhsa_user_sgpr_queue_ptr 0
		.amdhsa_user_sgpr_kernarg_segment_ptr 1
		.amdhsa_user_sgpr_dispatch_id 0
		.amdhsa_user_sgpr_private_segment_size 0
		.amdhsa_wavefront_size32 1
		.amdhsa_uses_dynamic_stack 0
		.amdhsa_enable_private_segment 0
		.amdhsa_system_sgpr_workgroup_id_x 1
		.amdhsa_system_sgpr_workgroup_id_y 0
		.amdhsa_system_sgpr_workgroup_id_z 0
		.amdhsa_system_sgpr_workgroup_info 0
		.amdhsa_system_vgpr_workitem_id 1
		.amdhsa_next_free_vgpr 122
		.amdhsa_next_free_sgpr 43
		.amdhsa_reserve_vcc 1
		.amdhsa_float_round_mode_32 0
		.amdhsa_float_round_mode_16_64 0
		.amdhsa_float_denorm_mode_32 3
		.amdhsa_float_denorm_mode_16_64 3
		.amdhsa_dx10_clamp 1
		.amdhsa_ieee_mode 1
		.amdhsa_fp16_overflow 0
		.amdhsa_workgroup_processor_mode 1
		.amdhsa_memory_ordered 1
		.amdhsa_forward_progress 0
		.amdhsa_shared_vgpr_count 0
		.amdhsa_exception_fp_ieee_invalid_op 0
		.amdhsa_exception_fp_denorm_src 0
		.amdhsa_exception_fp_ieee_div_zero 0
		.amdhsa_exception_fp_ieee_overflow 0
		.amdhsa_exception_fp_ieee_underflow 0
		.amdhsa_exception_fp_ieee_inexact 0
		.amdhsa_exception_int_div_zero 0
	.end_amdhsa_kernel
	.section	.text._Z16wvSplitK_hf_big_I14__hip_bfloat16Li32ELi1ELi16ELi8ELi4ELi5EEviiiiiiPKT_S3_S3_PS1_ii,"axG",@progbits,_Z16wvSplitK_hf_big_I14__hip_bfloat16Li32ELi1ELi16ELi8ELi4ELi5EEviiiiiiPKT_S3_S3_PS1_ii,comdat
.Lfunc_end280:
	.size	_Z16wvSplitK_hf_big_I14__hip_bfloat16Li32ELi1ELi16ELi8ELi4ELi5EEviiiiiiPKT_S3_S3_PS1_ii, .Lfunc_end280-_Z16wvSplitK_hf_big_I14__hip_bfloat16Li32ELi1ELi16ELi8ELi4ELi5EEviiiiiiPKT_S3_S3_PS1_ii
                                        ; -- End function
	.section	.AMDGPU.csdata,"",@progbits
; Kernel info:
; codeLenInByte = 6748
; NumSgprs: 45
; NumVgprs: 122
; ScratchSize: 0
; MemoryBound: 0
; FloatMode: 240
; IeeeMode: 1
; LDSByteSize: 65536 bytes/workgroup (compile time only)
; SGPRBlocks: 5
; VGPRBlocks: 15
; NumSGPRsForWavesPerEU: 45
; NumVGPRsForWavesPerEU: 122
; Occupancy: 8
; WaveLimiterHint : 0
; COMPUTE_PGM_RSRC2:SCRATCH_EN: 0
; COMPUTE_PGM_RSRC2:USER_SGPR: 15
; COMPUTE_PGM_RSRC2:TRAP_HANDLER: 0
; COMPUTE_PGM_RSRC2:TGID_X_EN: 1
; COMPUTE_PGM_RSRC2:TGID_Y_EN: 0
; COMPUTE_PGM_RSRC2:TGID_Z_EN: 0
; COMPUTE_PGM_RSRC2:TIDIG_COMP_CNT: 1
	.section	.text._Z16wvSplitK_hf_sml_I14__hip_bfloat16Li32ELi2ELi16ELi8ELi2ELi5EEviiiiiiPKT_S3_S3_PS1_ii,"axG",@progbits,_Z16wvSplitK_hf_sml_I14__hip_bfloat16Li32ELi2ELi16ELi8ELi2ELi5EEviiiiiiPKT_S3_S3_PS1_ii,comdat
	.protected	_Z16wvSplitK_hf_sml_I14__hip_bfloat16Li32ELi2ELi16ELi8ELi2ELi5EEviiiiiiPKT_S3_S3_PS1_ii ; -- Begin function _Z16wvSplitK_hf_sml_I14__hip_bfloat16Li32ELi2ELi16ELi8ELi2ELi5EEviiiiiiPKT_S3_S3_PS1_ii
	.globl	_Z16wvSplitK_hf_sml_I14__hip_bfloat16Li32ELi2ELi16ELi8ELi2ELi5EEviiiiiiPKT_S3_S3_PS1_ii
	.p2align	8
	.type	_Z16wvSplitK_hf_sml_I14__hip_bfloat16Li32ELi2ELi16ELi8ELi2ELi5EEviiiiiiPKT_S3_S3_PS1_ii,@function
_Z16wvSplitK_hf_sml_I14__hip_bfloat16Li32ELi2ELi16ELi8ELi2ELi5EEviiiiiiPKT_S3_S3_PS1_ii: ; @_Z16wvSplitK_hf_sml_I14__hip_bfloat16Li32ELi2ELi16ELi8ELi2ELi5EEviiiiiiPKT_S3_S3_PS1_ii
; %bb.0:
	s_load_b128 s[4:7], s[0:1], 0x0
	v_and_b32_e32 v1, 0x3ff, v0
	v_bfe_u32 v0, v0, 10, 10
	s_mov_b32 s8, exec_lo
	s_delay_alu instid0(VALU_DEP_2) | instskip(NEXT) | instid1(VALU_DEP_1)
	v_lshlrev_b32_e32 v63, 3, v1
	v_lshl_add_u32 v3, v0, 8, v63
	s_waitcnt lgkmcnt(0)
	s_mul_i32 s2, s6, 5
	s_delay_alu instid0(SALU_CYCLE_1)
	s_min_u32 s9, s2, 0x8000
	s_delay_alu instid0(VALU_DEP_1) | instid1(SALU_CYCLE_1)
	v_cmpx_gt_u32_e64 s9, v3
	s_cbranch_execz .LBB281_9
; %bb.1:
	s_load_b64 s[2:3], s[0:1], 0x20
	v_lshlrev_b32_e32 v2, 1, v3
	v_add_nc_u32_e32 v8, 0x1000, v3
	s_mov_b32 s10, exec_lo
	s_waitcnt lgkmcnt(0)
	global_load_b128 v[4:7], v2, s[2:3]
	s_waitcnt vmcnt(0)
	ds_store_b128 v2, v[4:7]
	v_cmpx_gt_u32_e64 s9, v8
	s_xor_b32 s10, exec_lo, s10
	s_cbranch_execz .LBB281_9
; %bb.2:
	v_add_co_u32 v4, s2, s2, v2
	s_delay_alu instid0(VALU_DEP_1) | instskip(SKIP_1) | instid1(VALU_DEP_3)
	v_add_co_ci_u32_e64 v5, null, s3, 0, s2
	v_add_nc_u32_e32 v10, 0x2000, v3
	v_add_co_u32 v6, vcc_lo, 0x2000, v4
	s_delay_alu instid0(VALU_DEP_3)
	v_add_co_ci_u32_e32 v7, vcc_lo, 0, v5, vcc_lo
	s_mov_b32 s2, exec_lo
	global_load_b128 v[6:9], v[6:7], off
	s_waitcnt vmcnt(0)
	ds_store_b128 v2, v[6:9] offset:8192
	v_cmpx_gt_u32_e64 s9, v10
	s_xor_b32 s2, exec_lo, s2
	s_cbranch_execz .LBB281_9
; %bb.3:
	v_add_co_u32 v6, vcc_lo, 0x4000, v4
	v_add_co_ci_u32_e32 v7, vcc_lo, 0, v5, vcc_lo
	v_add_nc_u32_e32 v10, 0x3000, v3
	s_mov_b32 s2, exec_lo
	global_load_b128 v[6:9], v[6:7], off
	s_waitcnt vmcnt(0)
	ds_store_b128 v2, v[6:9] offset:16384
	v_cmpx_gt_u32_e64 s9, v10
	s_xor_b32 s2, exec_lo, s2
	s_cbranch_execz .LBB281_9
; %bb.4:
	v_add_co_u32 v6, vcc_lo, 0x6000, v4
	v_add_co_ci_u32_e32 v7, vcc_lo, 0, v5, vcc_lo
	v_add_nc_u32_e32 v10, 0x4000, v3
	;; [unrolled: 11-line block ×5, first 2 shown]
	s_mov_b32 s2, exec_lo
	global_load_b128 v[6:9], v[6:7], off
	s_waitcnt vmcnt(0)
	ds_store_b128 v2, v[6:9] offset:49152
	v_cmpx_gt_u32_e64 s9, v3
	s_xor_b32 s2, exec_lo, s2
	s_cbranch_execz .LBB281_9
; %bb.8:
	v_add_co_u32 v3, vcc_lo, 0xe000, v4
	v_add_co_ci_u32_e32 v4, vcc_lo, 0, v5, vcc_lo
	global_load_b128 v[3:6], v[3:4], off
	s_waitcnt vmcnt(0)
	ds_store_b128 v2, v[3:6] offset:57344
.LBB281_9:
	s_or_b32 exec_lo, exec_lo, s8
	s_load_b64 s[16:17], s[0:1], 0x38
	s_waitcnt lgkmcnt(0)
	s_barrier
	buffer_gl0_inv
	s_mov_b32 s2, exec_lo
	v_cmpx_gt_u32_e64 s16, v0
	s_cbranch_execz .LBB281_64
; %bb.10:
	s_load_b64 s[2:3], s[0:1], 0x10
	s_mul_i32 s15, s15, s16
	s_delay_alu instid0(SALU_CYCLE_1) | instskip(NEXT) | instid1(VALU_DEP_1)
	v_add_lshl_u32 v48, s15, v0, 1
	v_cmp_gt_u32_e32 vcc_lo, s7, v48
	s_and_b32 exec_lo, exec_lo, vcc_lo
	s_cbranch_execz .LBB281_64
; %bb.11:
	s_clause 0x1
	s_load_b128 s[8:11], s[0:1], 0x28
	s_load_b64 s[12:13], s[0:1], 0x18
	s_cmp_lg_u32 s4, 0
	s_mul_i32 s0, s16, s17
	s_cselect_b32 s1, -1, 0
	s_add_i32 s14, s4, -8
	s_add_i32 s15, s7, -1
	s_waitcnt lgkmcnt(0)
	v_cvt_f32_u32_e32 v2, s2
	v_lshlrev_b32_e32 v64, 4, v1
	v_mov_b32_e32 v50, 0
	s_cmp_lg_u64 s[8:9], 0
	s_cselect_b32 s18, -1, 0
	s_abs_i32 s21, s3
	s_lshl_b32 s16, s0, 1
	v_cvt_f32_u32_e32 v0, s21
	s_sub_i32 s19, 0, s21
	s_sub_i32 s20, 0, s2
	s_mov_b32 s3, 0
	s_delay_alu instid0(VALU_DEP_1) | instskip(SKIP_2) | instid1(VALU_DEP_1)
	v_rcp_iflag_f32_e32 v0, v0
	s_waitcnt_depctr 0xfff
	v_mul_f32_e32 v0, 0x4f7ffffe, v0
	v_cvt_u32_f32_e32 v0, v0
	s_delay_alu instid0(VALU_DEP_1) | instskip(SKIP_2) | instid1(VALU_DEP_2)
	v_readfirstlane_b32 s17, v0
	v_rcp_iflag_f32_e32 v0, v2
	v_mbcnt_lo_u32_b32 v2, -1, 0
	s_mul_i32 s19, s19, s17
	s_delay_alu instid0(SALU_CYCLE_1)
	s_mul_hi_u32 s0, s17, s19
	s_sub_i32 s19, 1, s21
	s_add_i32 s22, s17, s0
	s_cmp_lt_u32 s21, 2
	s_waitcnt_depctr 0xfff
	v_mul_f32_e32 v0, 0x4f7ffffe, v0
	s_cselect_b32 s17, s19, 1
	v_cmp_eq_u32_e64 s0, 31, v1
	s_sub_i32 s19, s17, s21
	s_cmp_ge_u32 s17, s21
	v_cvt_u32_f32_e32 v0, v0
	s_cselect_b32 s19, s19, s17
	s_lshr_b32 s17, s22, 31
	v_xor_b32_e32 v3, 16, v2
	s_mul_i32 s17, s17, s21
	v_mul_lo_u32 v1, s20, v0
	s_sub_i32 s17, 2, s17
	s_mul_hi_u32 s20, s22, 3
	s_sub_i32 s23, s17, s21
	s_cmp_ge_u32 s17, s21
	s_mul_i32 s20, s20, s21
	s_cselect_b32 s17, s23, s17
	v_cmp_gt_i32_e32 vcc_lo, 32, v3
	s_sub_i32 s23, s17, s21
	s_cmp_ge_u32 s17, s21
	v_mul_hi_u32 v1, v0, v1
	s_cselect_b32 s23, s23, s17
	s_sub_i32 s20, 3, s20
	v_cndmask_b32_e32 v2, v2, v3, vcc_lo
	s_sub_i32 s24, s20, s21
	s_cmp_ge_u32 s20, s21
	s_mul_i32 s17, s6, 6
	s_cselect_b32 s20, s24, s20
	v_lshlrev_b32_e32 v65, 2, v2
	s_sub_i32 s24, s20, s21
	s_cmp_ge_u32 s20, s21
	v_add_nc_u32_e32 v66, v0, v1
	s_cselect_b32 s24, s24, s20
	s_lshr_b32 s20, s22, 30
	s_mul_i32 s19, s19, s2
	s_mul_i32 s20, s20, s21
	s_delay_alu instid0(SALU_CYCLE_1) | instskip(NEXT) | instid1(SALU_CYCLE_1)
	s_sub_i32 s20, 4, s20
	s_sub_i32 s22, s20, s21
	s_cmp_ge_u32 s20, s21
	s_cselect_b32 s22, s22, s20
	s_mul_i32 s20, s23, s2
	s_sub_i32 s23, s22, s21
	s_cmp_ge_u32 s22, s21
	s_mul_i32 s21, s24, s2
	s_cselect_b32 s24, s23, s22
	s_lshl_b32 s22, s6, 3
	s_lshl_b32 s23, s6, 2
	s_mul_i32 s24, s24, s2
	s_lshl_b32 s6, s6, 1
	s_branch .LBB281_14
.LBB281_12:                             ;   in Loop: Header=BB281_14 Depth=1
	s_or_b32 exec_lo, exec_lo, s26
	global_store_d16_hi_b16 v[0:1], v3, off offset:2
.LBB281_13:                             ;   in Loop: Header=BB281_14 Depth=1
	s_or_b32 exec_lo, exec_lo, s25
	v_add_nc_u32_e32 v48, s16, v48
	s_delay_alu instid0(VALU_DEP_1) | instskip(SKIP_1) | instid1(SALU_CYCLE_1)
	v_cmp_le_u32_e32 vcc_lo, s7, v48
	s_or_b32 s3, vcc_lo, s3
	s_and_not1_b32 exec_lo, exec_lo, s3
	s_cbranch_execz .LBB281_64
.LBB281_14:                             ; =>This Loop Header: Depth=1
                                        ;     Child Loop BB281_18 Depth 2
	v_mov_b32_e32 v68, v50
	v_mov_b32_e32 v69, v50
	;; [unrolled: 1-line block ×10, first 2 shown]
	s_and_not1_b32 vcc_lo, exec_lo, s1
	s_cbranch_vccnz .LBB281_21
; %bb.15:                               ;   in Loop: Header=BB281_14 Depth=1
	v_or_b32_e32 v0, 1, v48
	v_min_u32_e32 v2, s15, v48
	s_waitcnt lgkmcnt(6)
	v_dual_mov_b32 v1, v50 :: v_dual_mov_b32 v76, 0
	v_dual_mov_b32 v67, v64 :: v_dual_mov_b32 v74, 0
	v_min_u32_e32 v0, s15, v0
	v_mul_lo_u32 v49, v2, s5
	v_dual_mov_b32 v77, 0 :: v_dual_mov_b32 v72, 0
	v_dual_mov_b32 v75, 0 :: v_dual_mov_b32 v70, 0
	s_delay_alu instid0(VALU_DEP_4)
	v_mul_lo_u32 v0, v0, s5
	v_dual_mov_b32 v73, 0 :: v_dual_mov_b32 v68, 0
	v_lshlrev_b64 v[51:52], 1, v[49:50]
	v_mov_b32_e32 v71, 0
	v_mov_b32_e32 v69, 0
	s_mov_b32 s25, 0
	v_lshlrev_b64 v[53:54], 1, v[0:1]
	s_branch .LBB281_18
.LBB281_16:                             ;   in Loop: Header=BB281_18 Depth=2
	s_or_b32 exec_lo, exec_lo, s27
.LBB281_17:                             ;   in Loop: Header=BB281_18 Depth=2
	s_delay_alu instid0(SALU_CYCLE_1)
	s_or_b32 exec_lo, exec_lo, s26
	s_waitcnt lgkmcnt(1)
	v_and_b32_e32 v83, 0xffff0000, v46
	s_waitcnt vmcnt(3)
	v_and_b32_e32 v84, 0xffff0000, v42
	v_and_b32_e32 v79, 0xffff0000, v45
	v_lshlrev_b32_e32 v46, 16, v46
	v_lshlrev_b32_e32 v42, 16, v42
	v_add_nc_u32_e32 v67, 0x400, v67
	v_mul_f32_e32 v85, v83, v84
	v_and_b32_e32 v78, 0xffff0000, v40
	v_lshlrev_b32_e32 v40, 16, v40
	v_and_b32_e32 v80, 0xffff0000, v41
	v_lshlrev_b32_e32 v45, 16, v45
	v_lshlrev_b32_e32 v41, 16, v41
	v_fmac_f32_e32 v85, v46, v42
	s_waitcnt vmcnt(2)
	v_dual_mul_f32 v82, v79, v80 :: v_dual_and_b32 v87, 0xffff0000, v34
	v_and_b32_e32 v49, 0xffff0000, v44
	s_addk_i32 s25, 0x200
	s_delay_alu instid0(SALU_CYCLE_1) | instskip(NEXT) | instid1(VALU_DEP_2)
	s_cmp_ge_u32 s25, s4
	v_fmac_f32_e32 v82, v45, v41
	s_delay_alu instid0(VALU_DEP_2) | instskip(NEXT) | instid1(VALU_DEP_1)
	v_dual_mul_f32 v81, v49, v78 :: v_dual_lshlrev_b32 v44, 16, v44
	v_fmac_f32_e32 v81, v44, v40
	s_delay_alu instid0(VALU_DEP_1) | instskip(SKIP_2) | instid1(VALU_DEP_3)
	v_add_f32_e32 v76, v76, v81
	v_lshlrev_b32_e32 v34, 16, v34
	v_and_b32_e32 v86, 0xffff0000, v43
	v_dual_add_f32 v76, v76, v82 :: v_dual_and_b32 v81, 0xffff0000, v32
	v_lshlrev_b32_e32 v32, 16, v32
	s_delay_alu instid0(VALU_DEP_2) | instskip(NEXT) | instid1(VALU_DEP_3)
	v_add_f32_e32 v76, v76, v85
	v_mul_f32_e32 v49, v49, v81
	v_and_b32_e32 v85, 0xffff0000, v33
	s_delay_alu instid0(VALU_DEP_1) | instskip(NEXT) | instid1(VALU_DEP_1)
	v_dual_fmac_f32 v49, v44, v32 :: v_dual_mul_f32 v44, v79, v85
	v_add_f32_e32 v49, v77, v49
	v_and_b32_e32 v77, 0xffff0000, v36
	v_and_b32_e32 v82, 0xffff0000, v47
	v_lshlrev_b32_e32 v47, 16, v47
	v_lshlrev_b32_e32 v33, 16, v33
	;; [unrolled: 1-line block ×4, first 2 shown]
	s_delay_alu instid0(VALU_DEP_3) | instskip(NEXT) | instid1(VALU_DEP_1)
	v_fmac_f32_e32 v44, v45, v33
	v_dual_add_f32 v44, v49, v44 :: v_dual_and_b32 v49, 0xffff0000, v37
	s_delay_alu instid0(VALU_DEP_1) | instskip(NEXT) | instid1(VALU_DEP_1)
	v_dual_mul_f32 v88, v49, v80 :: v_dual_lshlrev_b32 v37, 16, v37
	v_dual_fmac_f32 v88, v37, v41 :: v_dual_mul_f32 v45, v83, v87
	s_delay_alu instid0(VALU_DEP_1) | instskip(NEXT) | instid1(VALU_DEP_1)
	v_fmac_f32_e32 v45, v46, v34
	v_dual_add_f32 v44, v44, v45 :: v_dual_mul_f32 v83, v77, v78
	v_dual_mul_f32 v79, v82, v86 :: v_dual_and_b32 v46, 0xffff0000, v35
	v_lshlrev_b32_e32 v35, 16, v35
	s_delay_alu instid0(VALU_DEP_2) | instskip(NEXT) | instid1(VALU_DEP_3)
	v_dual_fmac_f32 v83, v36, v40 :: v_dual_mul_f32 v82, v82, v46
	v_fmac_f32_e32 v79, v47, v43
	s_delay_alu instid0(VALU_DEP_2) | instskip(NEXT) | instid1(VALU_DEP_3)
	v_add_f32_e32 v75, v75, v83
	v_dual_fmac_f32 v82, v47, v35 :: v_dual_mul_f32 v47, v77, v81
	v_and_b32_e32 v77, 0xffff0000, v61
	v_lshlrev_b32_e32 v61, 16, v61
	s_delay_alu instid0(VALU_DEP_3) | instskip(NEXT) | instid1(VALU_DEP_4)
	v_dual_add_f32 v45, v75, v88 :: v_dual_add_f32 v44, v44, v82
	v_dual_fmac_f32 v47, v36, v32 :: v_dual_mul_f32 v36, v49, v85
	v_and_b32_e32 v89, 0xffff0000, v38
	s_delay_alu instid0(VALU_DEP_2) | instskip(NEXT) | instid1(VALU_DEP_3)
	v_add_f32_e32 v47, v73, v47
	v_fmac_f32_e32 v36, v37, v33
	s_delay_alu instid0(VALU_DEP_3) | instskip(SKIP_1) | instid1(VALU_DEP_3)
	v_dual_mul_f32 v83, v89, v84 :: v_dual_lshlrev_b32 v38, 16, v38
	v_mul_f32_e32 v37, v89, v87
	v_dual_mul_f32 v73, v77, v78 :: v_dual_add_f32 v36, v47, v36
	s_delay_alu instid0(VALU_DEP_3) | instskip(NEXT) | instid1(VALU_DEP_3)
	v_fmac_f32_e32 v83, v38, v42
	v_fmac_f32_e32 v37, v38, v34
	s_delay_alu instid0(VALU_DEP_3)
	v_dual_fmac_f32 v73, v61, v40 :: v_dual_lshlrev_b32 v38, 16, v62
	v_add_f32_e32 v75, v76, v79
	v_and_b32_e32 v76, 0xffff0000, v39
	v_and_b32_e32 v79, 0xffff0000, v62
	v_dual_add_f32 v45, v45, v83 :: v_dual_add_f32 v36, v36, v37
	v_add_f32_e32 v37, v74, v73
	s_delay_alu instid0(VALU_DEP_4) | instskip(NEXT) | instid1(VALU_DEP_4)
	v_mul_f32_e32 v49, v76, v86
	v_mul_f32_e32 v47, v79, v80
	v_and_b32_e32 v74, 0xffff0000, v60
	v_lshlrev_b32_e32 v39, 16, v39
	v_dual_mul_f32 v73, v76, v46 :: v_dual_lshlrev_b32 v60, 16, v60
	s_delay_alu instid0(VALU_DEP_4) | instskip(NEXT) | instid1(VALU_DEP_3)
	v_fmac_f32_e32 v47, v38, v41
	v_dual_mul_f32 v76, v74, v86 :: v_dual_fmac_f32 v49, v39, v43
	s_delay_alu instid0(VALU_DEP_3) | instskip(SKIP_1) | instid1(VALU_DEP_4)
	v_fmac_f32_e32 v73, v39, v35
	v_mul_f32_e32 v39, v79, v85
	v_add_f32_e32 v37, v37, v47
	s_delay_alu instid0(VALU_DEP_4) | instskip(SKIP_2) | instid1(VALU_DEP_2)
	v_dual_fmac_f32 v76, v60, v43 :: v_dual_add_f32 v45, v45, v49
	v_and_b32_e32 v49, 0xffff0000, v59
	v_mul_f32_e32 v47, v77, v81
	v_dual_fmac_f32 v39, v38, v33 :: v_dual_mul_f32 v38, v49, v87
	s_delay_alu instid0(VALU_DEP_2) | instskip(SKIP_2) | instid1(VALU_DEP_3)
	v_fmac_f32_e32 v47, v61, v32
	v_and_b32_e32 v61, 0xffff0000, v28
	v_mul_f32_e32 v62, v49, v84
	v_dual_add_f32 v47, v72, v47 :: v_dual_lshlrev_b32 v28, 16, v28
	s_delay_alu instid0(VALU_DEP_3) | instskip(SKIP_1) | instid1(VALU_DEP_3)
	v_mul_f32_e32 v49, v61, v78
	v_mul_f32_e32 v61, v61, v81
	v_add_f32_e32 v39, v47, v39
	v_and_b32_e32 v47, 0xffff0000, v29
	s_delay_alu instid0(VALU_DEP_3) | instskip(SKIP_4) | instid1(VALU_DEP_4)
	v_fmac_f32_e32 v61, v28, v32
	v_lshlrev_b32_e32 v59, 16, v59
	v_fmac_f32_e32 v49, v28, v40
	v_lshlrev_b32_e32 v29, 16, v29
	v_lshlrev_b32_e32 v28, 16, v31
	v_fmac_f32_e32 v62, v59, v42
	v_fmac_f32_e32 v38, v59, v34
	v_mul_f32_e32 v59, v74, v46
	v_add_f32_e32 v49, v71, v49
	s_delay_alu instid0(VALU_DEP_4) | instskip(NEXT) | instid1(VALU_DEP_4)
	v_dual_add_f32 v37, v37, v62 :: v_dual_mul_f32 v62, v47, v80
	v_add_f32_e32 v38, v39, v38
	v_and_b32_e32 v39, 0xffff0000, v30
	v_dual_fmac_f32 v59, v60, v35 :: v_dual_lshlrev_b32 v30, 16, v30
	s_delay_alu instid0(VALU_DEP_4) | instskip(NEXT) | instid1(VALU_DEP_3)
	v_fmac_f32_e32 v62, v29, v41
	v_mul_f32_e32 v60, v39, v84
	s_delay_alu instid0(VALU_DEP_3) | instskip(SKIP_1) | instid1(VALU_DEP_4)
	v_add_f32_e32 v38, v38, v59
	v_and_b32_e32 v59, 0xffff0000, v31
	v_add_f32_e32 v49, v49, v62
	s_delay_alu instid0(VALU_DEP_4) | instskip(NEXT) | instid1(VALU_DEP_1)
	v_dual_mul_f32 v31, v47, v85 :: v_dual_fmac_f32 v60, v30, v42
	v_fmac_f32_e32 v31, v29, v33
	s_delay_alu instid0(VALU_DEP_2) | instskip(SKIP_3) | instid1(VALU_DEP_3)
	v_dual_add_f32 v49, v49, v60 :: v_dual_add_f32 v60, v70, v61
	s_waitcnt lgkmcnt(0)
	v_and_b32_e32 v61, 0xffff0000, v24
	v_dual_mul_f32 v29, v39, v87 :: v_dual_lshlrev_b32 v24, 16, v24
	v_add_f32_e32 v31, v60, v31
	s_delay_alu instid0(VALU_DEP_3) | instskip(NEXT) | instid1(VALU_DEP_3)
	v_dual_mul_f32 v39, v61, v78 :: v_dual_and_b32 v60, 0xffff0000, v25
	v_fmac_f32_e32 v29, v30, v34
	v_lshlrev_b32_e32 v25, 16, v25
	s_delay_alu instid0(VALU_DEP_3) | instskip(NEXT) | instid1(VALU_DEP_3)
	v_fmac_f32_e32 v39, v24, v40
	v_dual_mul_f32 v40, v60, v80 :: v_dual_add_f32 v29, v31, v29
	v_mul_f32_e32 v31, v59, v46
	s_delay_alu instid0(VALU_DEP_3) | instskip(NEXT) | instid1(VALU_DEP_3)
	v_add_f32_e32 v39, v69, v39
	v_fmac_f32_e32 v40, v25, v41
	v_mul_f32_e32 v41, v61, v81
	s_delay_alu instid0(VALU_DEP_4) | instskip(SKIP_1) | instid1(VALU_DEP_3)
	v_fmac_f32_e32 v31, v28, v35
	v_add_f32_e32 v36, v36, v73
	v_fmac_f32_e32 v41, v24, v32
	s_delay_alu instid0(VALU_DEP_3) | instskip(SKIP_1) | instid1(VALU_DEP_3)
	v_dual_mul_f32 v24, v60, v85 :: v_dual_add_f32 v29, v29, v31
	v_and_b32_e32 v31, 0xffff0000, v27
	v_dual_add_f32 v32, v68, v41 :: v_dual_lshlrev_b32 v27, 16, v27
	s_delay_alu instid0(VALU_DEP_2) | instskip(SKIP_2) | instid1(VALU_DEP_3)
	v_dual_fmac_f32 v24, v25, v33 :: v_dual_mul_f32 v33, v31, v86
	v_mul_f32_e32 v31, v31, v46
	v_and_b32_e32 v46, 0xffff0000, v14
	v_add_f32_e32 v24, v32, v24
	v_and_b32_e32 v32, 0xffff0000, v20
	s_delay_alu instid0(VALU_DEP_4) | instskip(SKIP_1) | instid1(VALU_DEP_1)
	v_dual_fmac_f32 v31, v27, v35 :: v_dual_lshlrev_b32 v20, 16, v20
	v_mul_f32_e32 v47, v59, v86
	v_dual_fmac_f32 v47, v28, v43 :: v_dual_lshlrev_b32 v14, 16, v14
	v_add_f32_e32 v28, v39, v40
	s_delay_alu instid0(VALU_DEP_2) | instskip(NEXT) | instid1(VALU_DEP_1)
	v_dual_add_f32 v30, v49, v47 :: v_dual_and_b32 v47, 0xffff0000, v26
	v_dual_mul_f32 v49, v47, v84 :: v_dual_lshlrev_b32 v26, 16, v26
	s_waitcnt vmcnt(1)
	s_delay_alu instid0(VALU_DEP_1) | instskip(SKIP_2) | instid1(VALU_DEP_3)
	v_dual_fmac_f32 v49, v26, v42 :: v_dual_and_b32 v42, 0xffff0000, v19
	v_fmac_f32_e32 v33, v27, v43
	v_and_b32_e32 v27, 0xffff0000, v22
	v_dual_add_f32 v25, v28, v49 :: v_dual_lshlrev_b32 v22, 16, v22
	v_dual_mul_f32 v28, v47, v87 :: v_dual_add_f32 v37, v37, v76
	s_waitcnt vmcnt(0)
	v_and_b32_e32 v47, 0xffff0000, v11
	v_lshlrev_b32_e32 v11, 16, v11
	s_delay_alu instid0(VALU_DEP_3) | instskip(SKIP_2) | instid1(VALU_DEP_3)
	v_dual_fmac_f32 v28, v26, v34 :: v_dual_and_b32 v39, 0xffff0000, v16
	v_lshlrev_b32_e32 v16, 16, v16
	v_and_b32_e32 v34, 0xffff0000, v17
	v_dual_mul_f32 v26, v32, v39 :: v_dual_lshlrev_b32 v17, 16, v17
	s_delay_alu instid0(VALU_DEP_4) | instskip(SKIP_2) | instid1(VALU_DEP_4)
	v_add_f32_e32 v24, v24, v28
	v_and_b32_e32 v28, 0xffff0000, v21
	v_and_b32_e32 v35, 0xffff0000, v18
	v_dual_add_f32 v25, v25, v33 :: v_dual_fmac_f32 v26, v20, v16
	s_delay_alu instid0(VALU_DEP_3) | instskip(SKIP_1) | instid1(VALU_DEP_3)
	v_dual_mul_f32 v40, v28, v34 :: v_dual_and_b32 v33, 0xffff0000, v8
	v_lshlrev_b32_e32 v19, 16, v19
	v_dual_add_f32 v26, v75, v26 :: v_dual_lshlrev_b32 v21, 16, v21
	v_dual_mul_f32 v41, v27, v35 :: v_dual_lshlrev_b32 v18, 16, v18
	v_add_f32_e32 v24, v24, v31
	s_delay_alu instid0(VALU_DEP_3) | instskip(SKIP_1) | instid1(VALU_DEP_4)
	v_fmac_f32_e32 v40, v21, v17
	v_dual_mul_f32 v31, v32, v33 :: v_dual_lshlrev_b32 v8, 16, v8
	v_dual_fmac_f32 v41, v22, v18 :: v_dual_and_b32 v32, 0xffff0000, v23
	s_delay_alu instid0(VALU_DEP_3)
	v_add_f32_e32 v26, v26, v40
	v_and_b32_e32 v40, 0xffff0000, v9
	v_lshlrev_b32_e32 v23, 16, v23
	v_fmac_f32_e32 v31, v20, v8
	v_lshlrev_b32_e32 v9, 16, v9
	v_and_b32_e32 v43, 0xffff0000, v12
	v_mul_f32_e32 v20, v28, v40
	v_mul_f32_e32 v28, v32, v42
	v_dual_add_f32 v31, v44, v31 :: v_dual_lshlrev_b32 v12, 16, v12
	s_delay_alu instid0(VALU_DEP_3) | instskip(NEXT) | instid1(VALU_DEP_3)
	v_fmac_f32_e32 v20, v21, v9
	v_dual_add_f32 v21, v26, v41 :: v_dual_fmac_f32 v28, v23, v19
	v_and_b32_e32 v41, 0xffff0000, v10
	v_lshlrev_b32_e32 v10, 16, v10
	s_delay_alu instid0(VALU_DEP_4) | instskip(NEXT) | instid1(VALU_DEP_4)
	v_add_f32_e32 v20, v31, v20
	v_dual_add_f32 v76, v21, v28 :: v_dual_mul_f32 v21, v43, v33
	s_delay_alu instid0(VALU_DEP_1) | instskip(NEXT) | instid1(VALU_DEP_1)
	v_fmac_f32_e32 v21, v12, v8
	v_add_f32_e32 v21, v36, v21
	v_mul_f32_e32 v36, v46, v41
	s_delay_alu instid0(VALU_DEP_1) | instskip(NEXT) | instid1(VALU_DEP_1)
	v_dual_mul_f32 v27, v27, v41 :: v_dual_fmac_f32 v36, v14, v10
	v_dual_fmac_f32 v27, v22, v10 :: v_dual_mul_f32 v22, v32, v47
	v_and_b32_e32 v32, 0xffff0000, v58
	v_and_b32_e32 v31, 0xffff0000, v13
	s_delay_alu instid0(VALU_DEP_3) | instskip(NEXT) | instid1(VALU_DEP_4)
	v_dual_add_f32 v20, v20, v27 :: v_dual_lshlrev_b32 v13, 16, v13
	v_fmac_f32_e32 v22, v23, v11
	v_mul_f32_e32 v26, v43, v39
	s_delay_alu instid0(VALU_DEP_4) | instskip(SKIP_1) | instid1(VALU_DEP_3)
	v_dual_mul_f32 v44, v31, v34 :: v_dual_and_b32 v27, 0xffff0000, v57
	v_mul_f32_e32 v43, v32, v34
	v_fmac_f32_e32 v26, v12, v16
	v_mul_f32_e32 v12, v31, v40
	s_delay_alu instid0(VALU_DEP_2) | instskip(NEXT) | instid1(VALU_DEP_2)
	v_add_f32_e32 v26, v45, v26
	v_dual_fmac_f32 v12, v13, v9 :: v_dual_mul_f32 v45, v46, v35
	s_delay_alu instid0(VALU_DEP_1) | instskip(NEXT) | instid1(VALU_DEP_2)
	v_add_f32_e32 v12, v21, v12
	v_dual_fmac_f32 v44, v13, v17 :: v_dual_fmac_f32 v45, v14, v18
	v_and_b32_e32 v14, 0xffff0000, v55
	s_delay_alu instid0(VALU_DEP_3) | instskip(NEXT) | instid1(VALU_DEP_3)
	v_dual_add_f32 v12, v12, v36 :: v_dual_lshlrev_b32 v13, 16, v57
	v_add_f32_e32 v26, v26, v44
	s_delay_alu instid0(VALU_DEP_1) | instskip(NEXT) | instid1(VALU_DEP_1)
	v_dual_add_f32 v23, v26, v45 :: v_dual_and_b32 v26, 0xffff0000, v15
	v_dual_mul_f32 v28, v26, v42 :: v_dual_lshlrev_b32 v15, 16, v15
	v_mul_f32_e32 v26, v26, v47
	v_mul_f32_e32 v44, v14, v35
	s_delay_alu instid0(VALU_DEP_2) | instskip(NEXT) | instid1(VALU_DEP_1)
	v_fmac_f32_e32 v26, v15, v11
	v_dual_add_f32 v73, v12, v26 :: v_dual_mul_f32 v12, v27, v33
	v_mul_f32_e32 v26, v32, v40
	v_dual_fmac_f32 v28, v15, v19 :: v_dual_add_f32 v77, v20, v22
	v_and_b32_e32 v20, 0xffff0000, v56
	s_delay_alu instid0(VALU_DEP_4) | instskip(SKIP_1) | instid1(VALU_DEP_2)
	v_dual_fmac_f32 v12, v13, v8 :: v_dual_lshlrev_b32 v21, 16, v58
	v_lshlrev_b32_e32 v22, 16, v56
	v_add_f32_e32 v12, v38, v12
	s_delay_alu instid0(VALU_DEP_3) | instskip(SKIP_1) | instid1(VALU_DEP_2)
	v_fmac_f32_e32 v26, v21, v9
	v_mul_f32_e32 v14, v14, v41
	v_add_f32_e32 v12, v12, v26
	v_and_b32_e32 v26, 0xffff0000, v6
	v_dual_add_f32 v75, v23, v28 :: v_dual_lshlrev_b32 v6, 16, v6
	v_dual_mul_f32 v31, v27, v39 :: v_dual_and_b32 v28, 0xffff0000, v5
	v_and_b32_e32 v23, 0xffff0000, v4
	v_lshlrev_b32_e32 v4, 16, v4
	v_lshlrev_b32_e32 v5, 16, v5
	s_delay_alu instid0(VALU_DEP_4) | instskip(SKIP_2) | instid1(VALU_DEP_3)
	v_fmac_f32_e32 v31, v13, v16
	v_mul_f32_e32 v13, v20, v42
	v_mul_f32_e32 v20, v20, v47
	v_add_f32_e32 v31, v37, v31
	v_lshlrev_b32_e32 v37, 16, v55
	s_delay_alu instid0(VALU_DEP_1) | instskip(NEXT) | instid1(VALU_DEP_4)
	v_dual_fmac_f32 v13, v22, v19 :: v_dual_fmac_f32 v14, v37, v10
	v_fmac_f32_e32 v20, v22, v11
	v_mul_f32_e32 v22, v28, v40
	s_delay_alu instid0(VALU_DEP_3) | instskip(SKIP_1) | instid1(VALU_DEP_3)
	v_add_f32_e32 v12, v12, v14
	v_mul_f32_e32 v14, v23, v33
	v_fmac_f32_e32 v22, v5, v9
	v_fmac_f32_e32 v43, v21, v17
	v_mul_f32_e32 v21, v28, v34
	v_add_f32_e32 v72, v12, v20
	s_delay_alu instid0(VALU_DEP_2) | instskip(NEXT) | instid1(VALU_DEP_1)
	v_dual_fmac_f32 v14, v4, v8 :: v_dual_fmac_f32 v21, v5, v17
	v_dual_mul_f32 v5, v26, v41 :: v_dual_add_f32 v14, v29, v14
	v_dual_add_f32 v15, v31, v43 :: v_dual_fmac_f32 v44, v37, v18
	s_delay_alu instid0(VALU_DEP_2) | instskip(NEXT) | instid1(VALU_DEP_2)
	v_fmac_f32_e32 v5, v6, v10
	v_dual_add_f32 v14, v14, v22 :: v_dual_add_f32 v15, v15, v44
	s_delay_alu instid0(VALU_DEP_1) | instskip(NEXT) | instid1(VALU_DEP_2)
	v_add_f32_e32 v5, v14, v5
	v_dual_add_f32 v74, v15, v13 :: v_dual_and_b32 v15, 0xffff0000, v7
	v_lshlrev_b32_e32 v7, 16, v7
	s_delay_alu instid0(VALU_DEP_2) | instskip(SKIP_1) | instid1(VALU_DEP_1)
	v_mul_f32_e32 v14, v15, v47
	v_mul_f32_e32 v27, v23, v39
	v_dual_fmac_f32 v14, v7, v11 :: v_dual_fmac_f32 v27, v4, v16
	v_mul_f32_e32 v4, v15, v42
	v_and_b32_e32 v15, 0xffff0000, v2
	v_lshlrev_b32_e32 v2, 16, v2
	s_delay_alu instid0(VALU_DEP_4) | instskip(SKIP_2) | instid1(VALU_DEP_3)
	v_dual_add_f32 v70, v5, v14 :: v_dual_add_f32 v27, v30, v27
	v_mul_f32_e32 v30, v26, v35
	v_fmac_f32_e32 v4, v7, v19
	v_add_f32_e32 v13, v27, v21
	v_and_b32_e32 v21, 0xffff0000, v0
	v_lshlrev_b32_e32 v0, 16, v0
	v_and_b32_e32 v27, 0xffff0000, v1
	v_dual_fmac_f32 v30, v6, v18 :: v_dual_lshlrev_b32 v1, 16, v1
	s_delay_alu instid0(VALU_DEP_4) | instskip(NEXT) | instid1(VALU_DEP_1)
	v_mul_f32_e32 v23, v21, v39
	v_dual_fmac_f32 v23, v0, v16 :: v_dual_mul_f32 v16, v27, v34
	s_delay_alu instid0(VALU_DEP_1) | instskip(NEXT) | instid1(VALU_DEP_2)
	v_add_f32_e32 v6, v25, v23
	v_fmac_f32_e32 v16, v1, v17
	s_delay_alu instid0(VALU_DEP_1) | instskip(NEXT) | instid1(VALU_DEP_1)
	v_dual_mul_f32 v17, v21, v33 :: v_dual_add_f32 v6, v6, v16
	v_dual_fmac_f32 v17, v0, v8 :: v_dual_mul_f32 v8, v15, v35
	v_mul_f32_e32 v0, v27, v40
	v_and_b32_e32 v16, 0xffff0000, v3
	v_lshlrev_b32_e32 v3, 16, v3
	s_delay_alu instid0(VALU_DEP_4) | instskip(NEXT) | instid1(VALU_DEP_4)
	v_dual_add_f32 v17, v24, v17 :: v_dual_fmac_f32 v8, v2, v18
	v_fmac_f32_e32 v0, v1, v9
	v_mul_f32_e32 v1, v15, v41
	s_delay_alu instid0(VALU_DEP_3) | instskip(SKIP_1) | instid1(VALU_DEP_3)
	v_dual_mul_f32 v9, v16, v42 :: v_dual_add_f32 v6, v6, v8
	v_add_f32_e32 v13, v13, v30
	v_dual_add_f32 v0, v17, v0 :: v_dual_fmac_f32 v1, v2, v10
	v_mul_f32_e32 v2, v16, v47
	s_delay_alu instid0(VALU_DEP_4) | instskip(NEXT) | instid1(VALU_DEP_3)
	v_fmac_f32_e32 v9, v3, v19
	v_dual_add_f32 v71, v13, v4 :: v_dual_add_f32 v0, v0, v1
	s_delay_alu instid0(VALU_DEP_2) | instskip(NEXT) | instid1(VALU_DEP_1)
	v_dual_fmac_f32 v2, v3, v11 :: v_dual_add_f32 v69, v6, v9
	v_add_f32_e32 v68, v0, v2
	s_cbranch_scc1 .LBB281_21
.LBB281_18:                             ;   Parent Loop BB281_14 Depth=1
                                        ; =>  This Inner Loop Header: Depth=2
	v_add_nc_u32_e32 v12, s25, v63
	v_dual_mov_b32 v56, 0 :: v_dual_mov_b32 v15, 0
	v_dual_mov_b32 v58, 0 :: v_dual_mov_b32 v13, 0
	s_delay_alu instid0(VALU_DEP_3) | instskip(SKIP_3) | instid1(VALU_DEP_4)
	v_min_u32_e32 v49, s14, v12
	v_add_nc_u32_e32 v78, 0x100, v12
	v_dual_mov_b32 v14, 0 :: v_dual_mov_b32 v23, 0
	v_dual_mov_b32 v22, 0 :: v_dual_mov_b32 v27, 0
	v_lshlrev_b64 v[0:1], 1, v[49:50]
	s_delay_alu instid0(VALU_DEP_4) | instskip(SKIP_2) | instid1(VALU_DEP_4)
	v_min_u32_e32 v49, s14, v78
	v_dual_mov_b32 v20, 0 :: v_dual_mov_b32 v25, 0
	v_dual_mov_b32 v26, 0 :: v_dual_mov_b32 v31, 0
	v_add_co_u32 v4, vcc_lo, s12, v0
	s_waitcnt lgkmcnt(0)
	v_add_co_ci_u32_e32 v5, vcc_lo, s13, v1, vcc_lo
	v_lshlrev_b64 v[0:1], 1, v[49:50]
	s_delay_alu instid0(VALU_DEP_3) | instskip(NEXT) | instid1(VALU_DEP_3)
	v_add_co_u32 v2, vcc_lo, v4, v51
	v_add_co_ci_u32_e32 v3, vcc_lo, v5, v52, vcc_lo
	v_dual_mov_b32 v24, 0 :: v_dual_mov_b32 v29, 0
	s_delay_alu instid0(VALU_DEP_4) | instskip(SKIP_3) | instid1(VALU_DEP_4)
	v_add_co_u32 v6, vcc_lo, s12, v0
	v_add_co_ci_u32_e32 v7, vcc_lo, s13, v1, vcc_lo
	v_add_co_u32 v0, vcc_lo, v4, v53
	v_add_co_ci_u32_e32 v1, vcc_lo, v5, v54, vcc_lo
	v_add_co_u32 v4, vcc_lo, v6, v51
	s_delay_alu instid0(VALU_DEP_4)
	v_add_co_ci_u32_e32 v5, vcc_lo, v7, v52, vcc_lo
	v_add_co_u32 v6, vcc_lo, v6, v53
	v_add_co_ci_u32_e32 v7, vcc_lo, v7, v54, vcc_lo
	s_clause 0x3
	global_load_b128 v[40:43], v[2:3], off slc dlc
	global_load_b128 v[32:35], v[0:1], off slc dlc
	;; [unrolled: 1-line block ×4, first 2 shown]
	v_mov_b32_e32 v3, 0
	v_cmp_gt_u32_e32 vcc_lo, s4, v12
	v_dual_mov_b32 v2, 0 :: v_dual_mov_b32 v7, 0
	v_dual_mov_b32 v1, 0 :: v_dual_mov_b32 v0, 0
	;; [unrolled: 1-line block ×12, first 2 shown]
	v_mov_b32_e32 v44, 0
	s_and_saveexec_b32 s26, vcc_lo
	s_cbranch_execz .LBB281_17
; %bb.19:                               ;   in Loop: Header=BB281_18 Depth=2
	v_dual_mov_b32 v20, 0 :: v_dual_add_nc_u32 v81, s6, v67
	v_dual_mov_b32 v22, 0 :: v_dual_add_nc_u32 v79, s23, v67
	;; [unrolled: 1-line block ×4, first 2 shown]
	ds_load_b128 v[36:39], v81
	ds_load_2addr_b32 v[61:62], v79 offset1:1
	ds_load_2addr_b32 v[59:60], v79 offset0:2 offset1:3
	ds_load_b128 v[28:31], v80
	ds_load_b128 v[44:47], v67
	ds_load_2addr_b64 v[24:27], v49 offset1:1
	v_cmp_gt_u32_e32 vcc_lo, s4, v78
	v_dual_mov_b32 v23, 0 :: v_dual_mov_b32 v14, 0
	v_dual_mov_b32 v13, 0 :: v_dual_mov_b32 v58, 0
	;; [unrolled: 1-line block ×7, first 2 shown]
	v_mov_b32_e32 v1, 0
	v_mov_b32_e32 v3, 0
	s_and_saveexec_b32 s27, vcc_lo
	s_cbranch_execz .LBB281_16
; %bb.20:                               ;   in Loop: Header=BB281_18 Depth=2
	ds_load_b128 v[12:15], v81 offset:512
	ds_load_2addr_b32 v[57:58], v79 offset0:128 offset1:129
	ds_load_2addr_b32 v[55:56], v79 offset0:130 offset1:131
	ds_load_b128 v[4:7], v80 offset:512
	ds_load_b128 v[20:23], v67 offset:512
	ds_load_2addr_b64 v[0:3], v49 offset0:64 offset1:65
	s_branch .LBB281_16
.LBB281_21:                             ;   in Loop: Header=BB281_14 Depth=1
	; sched_barrier mask(0x00000000)
	s_delay_alu instid0(VALU_DEP_1)
	v_cvt_i32_f32_e32 v0, v76
	s_waitcnt lgkmcnt(6)
	v_cvt_i32_f32_e32 v1, v77
	v_cvt_i32_f32_e32 v2, v75
	s_waitcnt lgkmcnt(3)
	v_cvt_i32_f32_e32 v3, v73
	v_cvt_i32_f32_e32 v4, v74
	v_cvt_f32_i32_dpp v0, v0 row_shr:8 row_mask:0xf bank_mask:0xf bound_ctrl:1
	v_cvt_f32_i32_dpp v1, v1 row_shr:8 row_mask:0xf bank_mask:0xf bound_ctrl:1
	;; [unrolled: 1-line block ×5, first 2 shown]
	s_delay_alu instid0(VALU_DEP_4) | instskip(NEXT) | instid1(VALU_DEP_3)
	v_dual_add_f32 v0, v76, v0 :: v_dual_add_f32 v1, v77, v1
	v_dual_add_f32 v2, v75, v2 :: v_dual_add_f32 v3, v73, v3
	s_waitcnt lgkmcnt(0)
	s_delay_alu instid0(VALU_DEP_2) | instskip(NEXT) | instid1(VALU_DEP_3)
	v_cvt_i32_f32_e32 v5, v0
	v_cvt_i32_f32_e32 v6, v1
	s_delay_alu instid0(VALU_DEP_3) | instskip(SKIP_1) | instid1(VALU_DEP_4)
	v_cvt_i32_f32_e32 v7, v2
	v_cvt_i32_f32_e32 v8, v3
	v_cvt_f32_i32_dpp v5, v5 row_shr:4 row_mask:0xf bank_mask:0xf bound_ctrl:1
	s_delay_alu instid0(VALU_DEP_4) | instskip(SKIP_3) | instid1(VALU_DEP_4)
	v_cvt_f32_i32_dpp v6, v6 row_shr:4 row_mask:0xf bank_mask:0xf bound_ctrl:1
	v_add_f32_e32 v4, v74, v4
	v_cvt_f32_i32_dpp v7, v7 row_shr:4 row_mask:0xf bank_mask:0xf bound_ctrl:1
	v_cvt_f32_i32_dpp v8, v8 row_shr:4 row_mask:0xf bank_mask:0xf bound_ctrl:1
	v_dual_add_f32 v0, v0, v5 :: v_dual_add_f32 v1, v1, v6
	s_delay_alu instid0(VALU_DEP_4) | instskip(NEXT) | instid1(VALU_DEP_3)
	v_cvt_i32_f32_e32 v9, v4
	v_add_f32_e32 v3, v3, v8
	s_delay_alu instid0(VALU_DEP_3) | instskip(NEXT) | instid1(VALU_DEP_4)
	v_cvt_i32_f32_e32 v5, v0
	v_cvt_i32_f32_e32 v6, v1
	s_delay_alu instid0(VALU_DEP_4) | instskip(NEXT) | instid1(VALU_DEP_4)
	v_cvt_f32_i32_dpp v9, v9 row_shr:4 row_mask:0xf bank_mask:0xf bound_ctrl:1
	v_cvt_i32_f32_e32 v8, v3
	s_delay_alu instid0(VALU_DEP_4) | instskip(NEXT) | instid1(VALU_DEP_4)
	v_cvt_f32_i32_dpp v5, v5 row_shr:2 row_mask:0xf bank_mask:0xf bound_ctrl:1
	v_cvt_f32_i32_dpp v6, v6 row_shr:2 row_mask:0xf bank_mask:0xf bound_ctrl:1
	v_add_f32_e32 v2, v2, v7
	s_delay_alu instid0(VALU_DEP_4) | instskip(NEXT) | instid1(VALU_DEP_3)
	v_cvt_f32_i32_dpp v8, v8 row_shr:2 row_mask:0xf bank_mask:0xf bound_ctrl:1
	v_dual_add_f32 v4, v4, v9 :: v_dual_add_f32 v1, v1, v6
	s_delay_alu instid0(VALU_DEP_3) | instskip(NEXT) | instid1(VALU_DEP_3)
	v_cvt_i32_f32_e32 v7, v2
	v_add_f32_e32 v3, v3, v8
	s_delay_alu instid0(VALU_DEP_3) | instskip(NEXT) | instid1(VALU_DEP_4)
	v_cvt_i32_f32_e32 v9, v4
	v_cvt_i32_f32_e32 v6, v1
	s_delay_alu instid0(VALU_DEP_4) | instskip(NEXT) | instid1(VALU_DEP_4)
	v_cvt_f32_i32_dpp v7, v7 row_shr:2 row_mask:0xf bank_mask:0xf bound_ctrl:1
	v_cvt_i32_f32_e32 v8, v3
	s_delay_alu instid0(VALU_DEP_4) | instskip(NEXT) | instid1(VALU_DEP_4)
	v_cvt_f32_i32_dpp v9, v9 row_shr:2 row_mask:0xf bank_mask:0xf bound_ctrl:1
	v_cvt_f32_i32_dpp v6, v6 row_shr:1 row_mask:0xf bank_mask:0xf bound_ctrl:1
	s_delay_alu instid0(VALU_DEP_4) | instskip(NEXT) | instid1(VALU_DEP_4)
	v_add_f32_e32 v2, v2, v7
	v_cvt_f32_i32_dpp v8, v8 row_shr:1 row_mask:0xf bank_mask:0xf bound_ctrl:1
	s_delay_alu instid0(VALU_DEP_4) | instskip(NEXT) | instid1(VALU_DEP_3)
	v_add_f32_e32 v4, v4, v9
	v_cvt_i32_f32_e32 v7, v2
	s_delay_alu instid0(VALU_DEP_3) | instskip(SKIP_1) | instid1(VALU_DEP_4)
	v_add_f32_e32 v13, v3, v8
	v_cvt_i32_f32_e32 v3, v71
	v_cvt_i32_f32_e32 v9, v4
	s_delay_alu instid0(VALU_DEP_4)
	v_cvt_f32_i32_dpp v7, v7 row_shr:1 row_mask:0xf bank_mask:0xf bound_ctrl:1
	v_add_f32_e32 v0, v0, v5
	ds_bpermute_b32 v14, v65, v13
	v_cvt_f32_i32_dpp v3, v3 row_shr:8 row_mask:0xf bank_mask:0xf bound_ctrl:1
	v_cvt_f32_i32_dpp v9, v9 row_shr:1 row_mask:0xf bank_mask:0xf bound_ctrl:1
	v_add_f32_e32 v17, v2, v7
	v_cvt_i32_f32_e32 v5, v0
	v_cvt_i32_f32_e32 v2, v72
	v_add_f32_e32 v3, v71, v3
	ds_bpermute_b32 v19, v65, v17
	v_cvt_f32_i32_dpp v5, v5 row_shr:1 row_mask:0xf bank_mask:0xf bound_ctrl:1
	v_cvt_f32_i32_dpp v2, v2 row_shr:8 row_mask:0xf bank_mask:0xf bound_ctrl:1
	v_cvt_i32_f32_e32 v10, v3
	s_delay_alu instid0(VALU_DEP_3)
	v_add_f32_e32 v21, v0, v5
	v_cvt_i32_f32_e32 v5, v69
	v_add_f32_e32 v0, v1, v6
	v_cvt_i32_f32_e32 v6, v68
	v_cvt_f32_i32_dpp v10, v10 row_shr:4 row_mask:0xf bank_mask:0xf bound_ctrl:1
	v_add_f32_e32 v8, v4, v9
	v_cvt_f32_i32_dpp v5, v5 row_shr:8 row_mask:0xf bank_mask:0xf bound_ctrl:1
	v_add_f32_e32 v2, v72, v2
	v_cvt_f32_i32_dpp v6, v6 row_shr:8 row_mask:0xf bank_mask:0xf bound_ctrl:1
	v_cvt_i32_f32_e32 v4, v70
	ds_bpermute_b32 v22, v65, v21
	v_add_f32_e32 v5, v69, v5
	v_cvt_i32_f32_e32 v7, v2
	v_add_f32_e32 v3, v3, v10
	v_cvt_f32_i32_dpp v4, v4 row_shr:8 row_mask:0xf bank_mask:0xf bound_ctrl:1
	ds_bpermute_b32 v1, v65, v0
	v_cvt_i32_f32_e32 v12, v5
	v_cvt_f32_i32_dpp v7, v7 row_shr:4 row_mask:0xf bank_mask:0xf bound_ctrl:1
	v_cvt_i32_f32_e32 v10, v3
	ds_bpermute_b32 v9, v65, v8
	v_cvt_f32_i32_dpp v12, v12 row_shr:4 row_mask:0xf bank_mask:0xf bound_ctrl:1
	v_add_f32_e32 v6, v68, v6
	v_cvt_f32_i32_dpp v10, v10 row_shr:2 row_mask:0xf bank_mask:0xf bound_ctrl:1
	v_add_f32_e32 v4, v70, v4
	s_delay_alu instid0(VALU_DEP_4) | instskip(NEXT) | instid1(VALU_DEP_4)
	v_add_f32_e32 v5, v5, v12
	v_cvt_i32_f32_e32 v15, v6
	s_delay_alu instid0(VALU_DEP_4) | instskip(NEXT) | instid1(VALU_DEP_4)
	v_add_f32_e32 v3, v3, v10
	v_cvt_i32_f32_e32 v11, v4
	s_delay_alu instid0(VALU_DEP_4) | instskip(NEXT) | instid1(VALU_DEP_4)
	v_cvt_i32_f32_e32 v12, v5
	v_cvt_f32_i32_dpp v15, v15 row_shr:4 row_mask:0xf bank_mask:0xf bound_ctrl:1
	s_delay_alu instid0(VALU_DEP_4) | instskip(NEXT) | instid1(VALU_DEP_4)
	v_cvt_i32_f32_e32 v10, v3
	v_cvt_f32_i32_dpp v11, v11 row_shr:4 row_mask:0xf bank_mask:0xf bound_ctrl:1
	s_delay_alu instid0(VALU_DEP_4) | instskip(SKIP_3) | instid1(VALU_DEP_4)
	v_cvt_f32_i32_dpp v12, v12 row_shr:2 row_mask:0xf bank_mask:0xf bound_ctrl:1
	v_add_f32_e32 v2, v2, v7
	v_add_f32_e32 v6, v6, v15
	v_cvt_f32_i32_dpp v10, v10 row_shr:1 row_mask:0xf bank_mask:0xf bound_ctrl:1
	v_add_f32_e32 v5, v5, v12
	s_delay_alu instid0(VALU_DEP_4) | instskip(NEXT) | instid1(VALU_DEP_4)
	v_cvt_i32_f32_e32 v7, v2
	v_cvt_i32_f32_e32 v15, v6
	s_delay_alu instid0(VALU_DEP_4) | instskip(NEXT) | instid1(VALU_DEP_4)
	v_add_f32_e32 v10, v3, v10
	v_cvt_i32_f32_e32 v12, v5
	s_delay_alu instid0(VALU_DEP_4) | instskip(NEXT) | instid1(VALU_DEP_4)
	v_cvt_f32_i32_dpp v7, v7 row_shr:2 row_mask:0xf bank_mask:0xf bound_ctrl:1
	v_cvt_f32_i32_dpp v15, v15 row_shr:2 row_mask:0xf bank_mask:0xf bound_ctrl:1
	s_delay_alu instid0(VALU_DEP_3) | instskip(NEXT) | instid1(VALU_DEP_3)
	v_cvt_f32_i32_dpp v12, v12 row_shr:1 row_mask:0xf bank_mask:0xf bound_ctrl:1
	v_add_f32_e32 v2, v2, v7
	s_delay_alu instid0(VALU_DEP_3) | instskip(NEXT) | instid1(VALU_DEP_2)
	v_add_f32_e32 v7, v6, v15
	v_cvt_i32_f32_e32 v6, v2
	s_delay_alu instid0(VALU_DEP_2) | instskip(NEXT) | instid1(VALU_DEP_2)
	v_cvt_i32_f32_e32 v15, v7
	v_cvt_f32_i32_dpp v6, v6 row_shr:1 row_mask:0xf bank_mask:0xf bound_ctrl:1
	v_add_f32_e32 v4, v4, v11
	s_delay_alu instid0(VALU_DEP_3) | instskip(NEXT) | instid1(VALU_DEP_3)
	v_cvt_f32_i32_dpp v16, v15 row_shr:1 row_mask:0xf bank_mask:0xf bound_ctrl:1
	v_add_f32_e32 v15, v2, v6
	s_delay_alu instid0(VALU_DEP_3) | instskip(NEXT) | instid1(VALU_DEP_3)
	v_cvt_i32_f32_e32 v11, v4
	v_add_f32_e32 v2, v7, v16
	ds_bpermute_b32 v16, v65, v15
	v_cvt_f32_i32_dpp v11, v11 row_shr:2 row_mask:0xf bank_mask:0xf bound_ctrl:1
	ds_bpermute_b32 v3, v65, v2
	v_add_f32_e32 v4, v4, v11
	s_delay_alu instid0(VALU_DEP_1) | instskip(NEXT) | instid1(VALU_DEP_1)
	v_cvt_i32_f32_e32 v11, v4
	v_cvt_f32_i32_dpp v11, v11 row_shr:1 row_mask:0xf bank_mask:0xf bound_ctrl:1
	s_delay_alu instid0(VALU_DEP_1)
	v_add_f32_e32 v6, v4, v11
	v_add_f32_e32 v4, v5, v12
	ds_bpermute_b32 v11, v65, v10
	ds_bpermute_b32 v7, v65, v6
	;; [unrolled: 1-line block ×3, first 2 shown]
	s_and_saveexec_b32 s25, s0
	s_cbranch_execz .LBB281_13
; %bb.22:                               ;   in Loop: Header=BB281_14 Depth=1
	v_dual_mov_b32 v29, 0 :: v_dual_mov_b32 v28, 0
	v_dual_mov_b32 v27, 0 :: v_dual_mov_b32 v26, 0
	;; [unrolled: 1-line block ×4, first 2 shown]
	v_mov_b32_e32 v18, 0
	v_mov_b32_e32 v12, 0
	s_and_not1_b32 vcc_lo, exec_lo, s18
	s_cbranch_vccnz .LBB281_24
; %bb.23:                               ;   in Loop: Header=BB281_14 Depth=1
	v_or_b32_e32 v12, 1, v48
	v_mul_hi_u32 v18, v48, v66
	v_mov_b32_e32 v27, v50
	s_delay_alu instid0(VALU_DEP_3) | instskip(NEXT) | instid1(VALU_DEP_3)
	v_mul_hi_u32 v20, v12, v66
	v_mul_lo_u32 v18, v18, s2
	s_delay_alu instid0(VALU_DEP_2) | instskip(NEXT) | instid1(VALU_DEP_2)
	v_mul_lo_u32 v20, v20, s2
	v_sub_nc_u32_e32 v18, v48, v18
	s_delay_alu instid0(VALU_DEP_2) | instskip(NEXT) | instid1(VALU_DEP_2)
	v_sub_nc_u32_e32 v12, v12, v20
	v_subrev_nc_u32_e32 v20, s2, v18
	v_cmp_le_u32_e32 vcc_lo, s2, v18
	s_delay_alu instid0(VALU_DEP_3) | instskip(NEXT) | instid1(VALU_DEP_3)
	v_subrev_nc_u32_e32 v23, s2, v12
	v_cndmask_b32_e32 v18, v18, v20, vcc_lo
	v_cmp_le_u32_e32 vcc_lo, s2, v12
	s_delay_alu instid0(VALU_DEP_2) | instskip(NEXT) | instid1(VALU_DEP_4)
	v_subrev_nc_u32_e32 v20, s2, v18
	v_cndmask_b32_e32 v12, v12, v23, vcc_lo
	v_cmp_le_u32_e32 vcc_lo, s2, v18
	s_delay_alu instid0(VALU_DEP_2) | instskip(NEXT) | instid1(VALU_DEP_4)
	v_subrev_nc_u32_e32 v23, s2, v12
	v_cndmask_b32_e32 v49, v18, v20, vcc_lo
	v_cmp_le_u32_e32 vcc_lo, s2, v12
	v_mov_b32_e32 v24, v50
	s_delay_alu instid0(VALU_DEP_3) | instskip(SKIP_2) | instid1(VALU_DEP_2)
	v_dual_mov_b32 v26, v50 :: v_dual_add_nc_u32 v31, s21, v49
	v_cndmask_b32_e32 v23, v12, v23, vcc_lo
	v_dual_mov_b32 v30, v50 :: v_dual_add_nc_u32 v25, s19, v49
	v_lshlrev_b64 v[35:36], 1, v[23:24]
	s_delay_alu instid0(VALU_DEP_2) | instskip(SKIP_4) | instid1(VALU_DEP_4)
	v_lshlrev_b64 v[24:25], 1, v[25:26]
	v_add_nc_u32_e32 v26, s19, v23
	v_lshlrev_b64 v[33:34], 1, v[49:50]
	v_dual_mov_b32 v29, v50 :: v_dual_add_nc_u32 v28, s20, v49
	v_dual_mov_b32 v32, v50 :: v_dual_add_nc_u32 v49, s24, v49
	v_lshlrev_b64 v[26:27], 1, v[26:27]
	s_delay_alu instid0(VALU_DEP_4)
	v_add_co_u32 v33, vcc_lo, s8, v33
	v_add_co_ci_u32_e32 v34, vcc_lo, s9, v34, vcc_lo
	v_lshlrev_b64 v[37:38], 1, v[28:29]
	v_add_co_u32 v35, vcc_lo, s8, v35
	v_add_nc_u32_e32 v29, s20, v23
	v_add_co_ci_u32_e32 v36, vcc_lo, s9, v36, vcc_lo
	v_add_co_u32 v24, vcc_lo, s8, v24
	v_add_co_ci_u32_e32 v25, vcc_lo, s9, v25, vcc_lo
	s_delay_alu instid0(VALU_DEP_4)
	v_lshlrev_b64 v[39:40], 1, v[29:30]
	v_add_co_u32 v37, vcc_lo, s8, v37
	v_dual_mov_b32 v29, v50 :: v_dual_add_nc_u32 v28, s21, v23
	v_add_co_ci_u32_e32 v38, vcc_lo, s9, v38, vcc_lo
	v_lshlrev_b64 v[31:32], 1, v[31:32]
	v_add_co_u32 v41, vcc_lo, s8, v26
	v_add_co_ci_u32_e32 v42, vcc_lo, s9, v27, vcc_lo
	v_add_co_u32 v39, vcc_lo, s8, v39
	v_lshlrev_b64 v[26:27], 1, v[28:29]
	v_add_co_ci_u32_e32 v40, vcc_lo, s9, v40, vcc_lo
	v_add_co_u32 v30, vcc_lo, s8, v31
	v_lshlrev_b64 v[28:29], 1, v[49:50]
	v_add_nc_u32_e32 v49, s24, v23
	v_add_co_ci_u32_e32 v31, vcc_lo, s9, v32, vcc_lo
	v_add_co_u32 v43, vcc_lo, s8, v26
	v_add_co_ci_u32_e32 v44, vcc_lo, s9, v27, vcc_lo
	s_delay_alu instid0(VALU_DEP_4) | instskip(SKIP_2) | instid1(VALU_DEP_3)
	v_lshlrev_b64 v[26:27], 1, v[49:50]
	v_add_co_u32 v45, vcc_lo, s8, v28
	v_add_co_ci_u32_e32 v46, vcc_lo, s9, v29, vcc_lo
	v_add_co_u32 v51, vcc_lo, s8, v26
	s_delay_alu instid0(VALU_DEP_4)
	v_add_co_ci_u32_e32 v52, vcc_lo, s9, v27, vcc_lo
	s_clause 0x9
	global_load_u16 v29, v[33:34], off
	global_load_u16 v28, v[35:36], off
	;; [unrolled: 1-line block ×10, first 2 shown]
.LBB281_24:                             ;   in Loop: Header=BB281_14 Depth=1
	s_waitcnt vmcnt(9) lgkmcnt(7)
	v_dual_add_f32 v21, v21, v22 :: v_dual_lshlrev_b32 v22, 16, v29
	s_delay_alu instid0(VALU_DEP_1) | instskip(NEXT) | instid1(VALU_DEP_1)
	v_add_f32_e32 v22, v21, v22
	v_and_b32_e32 v21, 0x7f800000, v22
	s_delay_alu instid0(VALU_DEP_1) | instskip(SKIP_1) | instid1(SALU_CYCLE_1)
	v_cmp_ne_u32_e32 vcc_lo, 0x7f800000, v21
                                        ; implicit-def: $vgpr21
	s_and_saveexec_b32 s26, vcc_lo
	s_xor_b32 s26, exec_lo, s26
; %bb.25:                               ;   in Loop: Header=BB281_14 Depth=1
	v_bfe_u32 v21, v22, 16, 1
	s_delay_alu instid0(VALU_DEP_1)
	v_add3_u32 v21, v22, v21, 0x7fff
                                        ; implicit-def: $vgpr22
; %bb.26:                               ;   in Loop: Header=BB281_14 Depth=1
	s_and_not1_saveexec_b32 s26, s26
; %bb.27:                               ;   in Loop: Header=BB281_14 Depth=1
	v_and_b32_e32 v21, 0xffff, v22
	v_or_b32_e32 v29, 0x10000, v22
	s_delay_alu instid0(VALU_DEP_2) | instskip(NEXT) | instid1(VALU_DEP_2)
	v_cmp_eq_u32_e32 vcc_lo, 0, v21
	v_cndmask_b32_e32 v21, v29, v22, vcc_lo
; %bb.28:                               ;   in Loop: Header=BB281_14 Depth=1
	s_or_b32 exec_lo, exec_lo, s26
	s_waitcnt vmcnt(8) lgkmcnt(6)
	v_dual_add_f32 v0, v0, v1 :: v_dual_lshlrev_b32 v1, 16, v28
	v_mov_b32_e32 v49, v50
	s_mov_b32 s26, exec_lo
	s_delay_alu instid0(VALU_DEP_2) | instskip(NEXT) | instid1(VALU_DEP_2)
	v_add_f32_e32 v22, v0, v1
	v_lshlrev_b64 v[0:1], 1, v[48:49]
	s_delay_alu instid0(VALU_DEP_2) | instskip(NEXT) | instid1(VALU_DEP_2)
	v_and_b32_e32 v28, 0x7f800000, v22
	v_add_co_u32 v0, vcc_lo, s10, v0
	s_delay_alu instid0(VALU_DEP_3)
	v_add_co_ci_u32_e32 v1, vcc_lo, s11, v1, vcc_lo
	global_store_d16_hi_b16 v[0:1], v21, off
                                        ; implicit-def: $vgpr21
	v_cmpx_ne_u32_e32 0x7f800000, v28
	s_xor_b32 s26, exec_lo, s26
; %bb.29:                               ;   in Loop: Header=BB281_14 Depth=1
	v_bfe_u32 v21, v22, 16, 1
	s_delay_alu instid0(VALU_DEP_1)
	v_add3_u32 v21, v22, v21, 0x7fff
                                        ; implicit-def: $vgpr22
; %bb.30:                               ;   in Loop: Header=BB281_14 Depth=1
	s_and_not1_saveexec_b32 s26, s26
; %bb.31:                               ;   in Loop: Header=BB281_14 Depth=1
	v_and_b32_e32 v21, 0xffff, v22
	v_or_b32_e32 v28, 0x10000, v22
	s_delay_alu instid0(VALU_DEP_2) | instskip(NEXT) | instid1(VALU_DEP_2)
	v_cmp_eq_u32_e32 vcc_lo, 0, v21
	v_cndmask_b32_e32 v21, v28, v22, vcc_lo
; %bb.32:                               ;   in Loop: Header=BB281_14 Depth=1
	s_or_b32 exec_lo, exec_lo, s26
	v_add_f32_e32 v17, v17, v19
	s_waitcnt vmcnt(7)
	v_lshlrev_b32_e32 v19, 16, v27
	s_mov_b32 s26, exec_lo
	global_store_d16_hi_b16 v[0:1], v21, off offset:2
                                        ; implicit-def: $vgpr0
	v_add_f32_e32 v17, v17, v19
	s_delay_alu instid0(VALU_DEP_1) | instskip(NEXT) | instid1(VALU_DEP_1)
	v_and_b32_e32 v19, 0x7f800000, v17
	v_cmpx_ne_u32_e32 0x7f800000, v19
	s_xor_b32 s26, exec_lo, s26
; %bb.33:                               ;   in Loop: Header=BB281_14 Depth=1
	v_bfe_u32 v0, v17, 16, 1
	s_delay_alu instid0(VALU_DEP_1)
	v_add3_u32 v0, v17, v0, 0x7fff
                                        ; implicit-def: $vgpr17
; %bb.34:                               ;   in Loop: Header=BB281_14 Depth=1
	s_and_not1_saveexec_b32 s26, s26
; %bb.35:                               ;   in Loop: Header=BB281_14 Depth=1
	v_and_b32_e32 v0, 0xffff, v17
	v_or_b32_e32 v1, 0x10000, v17
	s_delay_alu instid0(VALU_DEP_2) | instskip(NEXT) | instid1(VALU_DEP_2)
	v_cmp_eq_u32_e32 vcc_lo, 0, v0
	v_cndmask_b32_e32 v0, v1, v17, vcc_lo
; %bb.36:                               ;   in Loop: Header=BB281_14 Depth=1
	s_or_b32 exec_lo, exec_lo, s26
	v_add_f32_e32 v1, v13, v14
	s_waitcnt vmcnt(6)
	v_lshlrev_b32_e32 v13, 16, v26
	v_add_nc_u32_e32 v49, s7, v48
	s_mov_b32 s26, exec_lo
	s_delay_alu instid0(VALU_DEP_2) | instskip(NEXT) | instid1(VALU_DEP_2)
	v_add_f32_e32 v1, v1, v13
	v_lshlrev_b64 v[13:14], 1, v[49:50]
	s_delay_alu instid0(VALU_DEP_2) | instskip(NEXT) | instid1(VALU_DEP_2)
	v_and_b32_e32 v17, 0x7f800000, v1
	v_add_co_u32 v13, vcc_lo, s10, v13
	s_delay_alu instid0(VALU_DEP_3)
	v_add_co_ci_u32_e32 v14, vcc_lo, s11, v14, vcc_lo
	global_store_d16_hi_b16 v[13:14], v0, off
                                        ; implicit-def: $vgpr0
	v_cmpx_ne_u32_e32 0x7f800000, v17
	s_xor_b32 s26, exec_lo, s26
; %bb.37:                               ;   in Loop: Header=BB281_14 Depth=1
	v_bfe_u32 v0, v1, 16, 1
	s_delay_alu instid0(VALU_DEP_1)
	v_add3_u32 v0, v1, v0, 0x7fff
                                        ; implicit-def: $vgpr1
; %bb.38:                               ;   in Loop: Header=BB281_14 Depth=1
	s_and_not1_saveexec_b32 s26, s26
; %bb.39:                               ;   in Loop: Header=BB281_14 Depth=1
	v_and_b32_e32 v0, 0xffff, v1
	v_or_b32_e32 v13, 0x10000, v1
	s_delay_alu instid0(VALU_DEP_2) | instskip(NEXT) | instid1(VALU_DEP_2)
	v_cmp_eq_u32_e32 vcc_lo, 0, v0
	v_cndmask_b32_e32 v0, v13, v1, vcc_lo
; %bb.40:                               ;   in Loop: Header=BB281_14 Depth=1
	s_or_b32 exec_lo, exec_lo, s26
	s_waitcnt lgkmcnt(5)
	v_add_f32_e32 v1, v8, v9
	v_dual_mov_b32 v9, v50 :: v_dual_add_nc_u32 v8, 1, v49
	s_waitcnt vmcnt(5)
	v_lshlrev_b32_e32 v13, 16, v25
	s_mov_b32 s26, exec_lo
	s_delay_alu instid0(VALU_DEP_2) | instskip(NEXT) | instid1(VALU_DEP_2)
	v_lshlrev_b64 v[8:9], 1, v[8:9]
	v_add_f32_e32 v1, v1, v13
	s_delay_alu instid0(VALU_DEP_1) | instskip(NEXT) | instid1(VALU_DEP_3)
	v_and_b32_e32 v13, 0x7f800000, v1
	v_add_co_u32 v8, vcc_lo, s10, v8
	s_delay_alu instid0(VALU_DEP_4)
	v_add_co_ci_u32_e32 v9, vcc_lo, s11, v9, vcc_lo
	global_store_d16_hi_b16 v[8:9], v0, off
                                        ; implicit-def: $vgpr8
	v_cmpx_ne_u32_e32 0x7f800000, v13
	s_xor_b32 s26, exec_lo, s26
; %bb.41:                               ;   in Loop: Header=BB281_14 Depth=1
	v_bfe_u32 v0, v1, 16, 1
	s_delay_alu instid0(VALU_DEP_1)
	v_add3_u32 v8, v1, v0, 0x7fff
                                        ; implicit-def: $vgpr1
; %bb.42:                               ;   in Loop: Header=BB281_14 Depth=1
	s_and_not1_saveexec_b32 s26, s26
; %bb.43:                               ;   in Loop: Header=BB281_14 Depth=1
	v_and_b32_e32 v0, 0xffff, v1
	v_or_b32_e32 v8, 0x10000, v1
	s_delay_alu instid0(VALU_DEP_2) | instskip(NEXT) | instid1(VALU_DEP_2)
	v_cmp_eq_u32_e32 vcc_lo, 0, v0
	v_cndmask_b32_e32 v8, v8, v1, vcc_lo
; %bb.44:                               ;   in Loop: Header=BB281_14 Depth=1
	s_or_b32 exec_lo, exec_lo, s26
	s_waitcnt lgkmcnt(4)
	v_dual_add_f32 v0, v15, v16 :: v_dual_add_nc_u32 v49, s7, v49
	s_waitcnt vmcnt(4)
	v_lshlrev_b32_e32 v1, 16, v24
	s_mov_b32 s26, exec_lo
	s_delay_alu instid0(VALU_DEP_1) | instskip(SKIP_1) | instid1(VALU_DEP_2)
	v_add_f32_e32 v9, v0, v1
	v_lshlrev_b64 v[0:1], 1, v[49:50]
	v_and_b32_e32 v13, 0x7f800000, v9
	s_delay_alu instid0(VALU_DEP_2) | instskip(NEXT) | instid1(VALU_DEP_3)
	v_add_co_u32 v0, vcc_lo, s10, v0
	v_add_co_ci_u32_e32 v1, vcc_lo, s11, v1, vcc_lo
	global_store_d16_hi_b16 v[0:1], v8, off
                                        ; implicit-def: $vgpr8
	v_cmpx_ne_u32_e32 0x7f800000, v13
	s_xor_b32 s26, exec_lo, s26
; %bb.45:                               ;   in Loop: Header=BB281_14 Depth=1
	v_bfe_u32 v8, v9, 16, 1
	s_delay_alu instid0(VALU_DEP_1)
	v_add3_u32 v8, v9, v8, 0x7fff
                                        ; implicit-def: $vgpr9
; %bb.46:                               ;   in Loop: Header=BB281_14 Depth=1
	s_and_not1_saveexec_b32 s26, s26
; %bb.47:                               ;   in Loop: Header=BB281_14 Depth=1
	v_and_b32_e32 v8, 0xffff, v9
	v_or_b32_e32 v13, 0x10000, v9
	s_delay_alu instid0(VALU_DEP_2) | instskip(NEXT) | instid1(VALU_DEP_2)
	v_cmp_eq_u32_e32 vcc_lo, 0, v8
	v_cndmask_b32_e32 v8, v13, v9, vcc_lo
; %bb.48:                               ;   in Loop: Header=BB281_14 Depth=1
	s_or_b32 exec_lo, exec_lo, s26
	s_waitcnt lgkmcnt(2)
	v_add_f32_e32 v9, v10, v11
	s_waitcnt vmcnt(3)
	v_lshlrev_b32_e32 v10, 16, v23
	s_mov_b32 s26, exec_lo
	global_store_d16_hi_b16 v[0:1], v8, off offset:2
                                        ; implicit-def: $vgpr0
	v_add_f32_e32 v9, v9, v10
	s_delay_alu instid0(VALU_DEP_1) | instskip(NEXT) | instid1(VALU_DEP_1)
	v_and_b32_e32 v10, 0x7f800000, v9
	v_cmpx_ne_u32_e32 0x7f800000, v10
	s_xor_b32 s26, exec_lo, s26
; %bb.49:                               ;   in Loop: Header=BB281_14 Depth=1
	v_bfe_u32 v0, v9, 16, 1
	s_delay_alu instid0(VALU_DEP_1)
	v_add3_u32 v0, v9, v0, 0x7fff
                                        ; implicit-def: $vgpr9
; %bb.50:                               ;   in Loop: Header=BB281_14 Depth=1
	s_and_not1_saveexec_b32 s26, s26
; %bb.51:                               ;   in Loop: Header=BB281_14 Depth=1
	v_and_b32_e32 v0, 0xffff, v9
	v_or_b32_e32 v1, 0x10000, v9
	s_delay_alu instid0(VALU_DEP_2) | instskip(NEXT) | instid1(VALU_DEP_2)
	v_cmp_eq_u32_e32 vcc_lo, 0, v0
	v_cndmask_b32_e32 v0, v1, v9, vcc_lo
; %bb.52:                               ;   in Loop: Header=BB281_14 Depth=1
	s_or_b32 exec_lo, exec_lo, s26
	s_waitcnt vmcnt(2) lgkmcnt(1)
	v_dual_add_f32 v1, v6, v7 :: v_dual_lshlrev_b32 v6, 16, v20
	v_add_nc_u32_e32 v49, s7, v49
	s_mov_b32 s26, exec_lo
	s_delay_alu instid0(VALU_DEP_2) | instskip(NEXT) | instid1(VALU_DEP_2)
	v_add_f32_e32 v1, v1, v6
	v_lshlrev_b64 v[6:7], 1, v[49:50]
	s_delay_alu instid0(VALU_DEP_2) | instskip(NEXT) | instid1(VALU_DEP_2)
	v_and_b32_e32 v8, 0x7f800000, v1
	v_add_co_u32 v6, vcc_lo, s10, v6
	s_delay_alu instid0(VALU_DEP_3)
	v_add_co_ci_u32_e32 v7, vcc_lo, s11, v7, vcc_lo
	global_store_d16_hi_b16 v[6:7], v0, off
                                        ; implicit-def: $vgpr0
	v_cmpx_ne_u32_e32 0x7f800000, v8
	s_xor_b32 s26, exec_lo, s26
; %bb.53:                               ;   in Loop: Header=BB281_14 Depth=1
	v_bfe_u32 v0, v1, 16, 1
	s_delay_alu instid0(VALU_DEP_1)
	v_add3_u32 v0, v1, v0, 0x7fff
                                        ; implicit-def: $vgpr1
; %bb.54:                               ;   in Loop: Header=BB281_14 Depth=1
	s_and_not1_saveexec_b32 s26, s26
; %bb.55:                               ;   in Loop: Header=BB281_14 Depth=1
	v_and_b32_e32 v0, 0xffff, v1
	v_or_b32_e32 v6, 0x10000, v1
	s_delay_alu instid0(VALU_DEP_2) | instskip(NEXT) | instid1(VALU_DEP_2)
	v_cmp_eq_u32_e32 vcc_lo, 0, v0
	v_cndmask_b32_e32 v0, v6, v1, vcc_lo
; %bb.56:                               ;   in Loop: Header=BB281_14 Depth=1
	s_or_b32 exec_lo, exec_lo, s26
	s_waitcnt vmcnt(1) lgkmcnt(0)
	v_dual_add_f32 v1, v4, v5 :: v_dual_lshlrev_b32 v6, 16, v18
	v_dual_mov_b32 v5, v50 :: v_dual_add_nc_u32 v4, 1, v49
	s_mov_b32 s26, exec_lo
	s_delay_alu instid0(VALU_DEP_2) | instskip(NEXT) | instid1(VALU_DEP_2)
	v_add_f32_e32 v1, v1, v6
	v_lshlrev_b64 v[4:5], 1, v[4:5]
	s_delay_alu instid0(VALU_DEP_2) | instskip(NEXT) | instid1(VALU_DEP_2)
	v_and_b32_e32 v6, 0x7f800000, v1
	v_add_co_u32 v4, vcc_lo, s10, v4
	s_delay_alu instid0(VALU_DEP_3)
	v_add_co_ci_u32_e32 v5, vcc_lo, s11, v5, vcc_lo
	global_store_d16_hi_b16 v[4:5], v0, off
                                        ; implicit-def: $vgpr4
	v_cmpx_ne_u32_e32 0x7f800000, v6
	s_xor_b32 s26, exec_lo, s26
; %bb.57:                               ;   in Loop: Header=BB281_14 Depth=1
	v_bfe_u32 v0, v1, 16, 1
	s_delay_alu instid0(VALU_DEP_1)
	v_add3_u32 v4, v1, v0, 0x7fff
                                        ; implicit-def: $vgpr1
; %bb.58:                               ;   in Loop: Header=BB281_14 Depth=1
	s_and_not1_saveexec_b32 s26, s26
; %bb.59:                               ;   in Loop: Header=BB281_14 Depth=1
	v_and_b32_e32 v0, 0xffff, v1
	v_or_b32_e32 v4, 0x10000, v1
	s_delay_alu instid0(VALU_DEP_2) | instskip(NEXT) | instid1(VALU_DEP_2)
	v_cmp_eq_u32_e32 vcc_lo, 0, v0
	v_cndmask_b32_e32 v4, v4, v1, vcc_lo
; %bb.60:                               ;   in Loop: Header=BB281_14 Depth=1
	s_or_b32 exec_lo, exec_lo, s26
	s_waitcnt vmcnt(0)
	v_dual_add_f32 v0, v2, v3 :: v_dual_lshlrev_b32 v1, 16, v12
	v_add_nc_u32_e32 v49, s7, v49
	s_delay_alu instid0(VALU_DEP_2) | instskip(NEXT) | instid1(VALU_DEP_2)
	v_add_f32_e32 v2, v0, v1
	v_lshlrev_b64 v[0:1], 1, v[49:50]
	s_delay_alu instid0(VALU_DEP_2) | instskip(NEXT) | instid1(VALU_DEP_2)
	v_and_b32_e32 v3, 0x7f800000, v2
	v_add_co_u32 v0, vcc_lo, s10, v0
	s_delay_alu instid0(VALU_DEP_3) | instskip(NEXT) | instid1(VALU_DEP_3)
	v_add_co_ci_u32_e32 v1, vcc_lo, s11, v1, vcc_lo
	v_cmp_ne_u32_e32 vcc_lo, 0x7f800000, v3
                                        ; implicit-def: $vgpr3
	global_store_d16_hi_b16 v[0:1], v4, off
	s_and_saveexec_b32 s26, vcc_lo
	s_delay_alu instid0(SALU_CYCLE_1)
	s_xor_b32 s26, exec_lo, s26
; %bb.61:                               ;   in Loop: Header=BB281_14 Depth=1
	v_bfe_u32 v3, v2, 16, 1
	s_delay_alu instid0(VALU_DEP_1)
	v_add3_u32 v3, v2, v3, 0x7fff
                                        ; implicit-def: $vgpr2
; %bb.62:                               ;   in Loop: Header=BB281_14 Depth=1
	s_and_not1_saveexec_b32 s26, s26
	s_cbranch_execz .LBB281_12
; %bb.63:                               ;   in Loop: Header=BB281_14 Depth=1
	v_and_b32_e32 v3, 0xffff, v2
	v_or_b32_e32 v4, 0x10000, v2
	s_delay_alu instid0(VALU_DEP_2) | instskip(NEXT) | instid1(VALU_DEP_2)
	v_cmp_eq_u32_e32 vcc_lo, 0, v3
	v_cndmask_b32_e32 v3, v4, v2, vcc_lo
	s_branch .LBB281_12
.LBB281_64:
	s_nop 0
	s_sendmsg sendmsg(MSG_DEALLOC_VGPRS)
	s_endpgm
	.section	.rodata,"a",@progbits
	.p2align	6, 0x0
	.amdhsa_kernel _Z16wvSplitK_hf_sml_I14__hip_bfloat16Li32ELi2ELi16ELi8ELi2ELi5EEviiiiiiPKT_S3_S3_PS1_ii
		.amdhsa_group_segment_fixed_size 65536
		.amdhsa_private_segment_fixed_size 0
		.amdhsa_kernarg_size 64
		.amdhsa_user_sgpr_count 15
		.amdhsa_user_sgpr_dispatch_ptr 0
		.amdhsa_user_sgpr_queue_ptr 0
		.amdhsa_user_sgpr_kernarg_segment_ptr 1
		.amdhsa_user_sgpr_dispatch_id 0
		.amdhsa_user_sgpr_private_segment_size 0
		.amdhsa_wavefront_size32 1
		.amdhsa_uses_dynamic_stack 0
		.amdhsa_enable_private_segment 0
		.amdhsa_system_sgpr_workgroup_id_x 1
		.amdhsa_system_sgpr_workgroup_id_y 0
		.amdhsa_system_sgpr_workgroup_id_z 0
		.amdhsa_system_sgpr_workgroup_info 0
		.amdhsa_system_vgpr_workitem_id 1
		.amdhsa_next_free_vgpr 90
		.amdhsa_next_free_sgpr 28
		.amdhsa_reserve_vcc 1
		.amdhsa_float_round_mode_32 0
		.amdhsa_float_round_mode_16_64 0
		.amdhsa_float_denorm_mode_32 3
		.amdhsa_float_denorm_mode_16_64 3
		.amdhsa_dx10_clamp 1
		.amdhsa_ieee_mode 1
		.amdhsa_fp16_overflow 0
		.amdhsa_workgroup_processor_mode 1
		.amdhsa_memory_ordered 1
		.amdhsa_forward_progress 0
		.amdhsa_shared_vgpr_count 0
		.amdhsa_exception_fp_ieee_invalid_op 0
		.amdhsa_exception_fp_denorm_src 0
		.amdhsa_exception_fp_ieee_div_zero 0
		.amdhsa_exception_fp_ieee_overflow 0
		.amdhsa_exception_fp_ieee_underflow 0
		.amdhsa_exception_fp_ieee_inexact 0
		.amdhsa_exception_int_div_zero 0
	.end_amdhsa_kernel
	.section	.text._Z16wvSplitK_hf_sml_I14__hip_bfloat16Li32ELi2ELi16ELi8ELi2ELi5EEviiiiiiPKT_S3_S3_PS1_ii,"axG",@progbits,_Z16wvSplitK_hf_sml_I14__hip_bfloat16Li32ELi2ELi16ELi8ELi2ELi5EEviiiiiiPKT_S3_S3_PS1_ii,comdat
.Lfunc_end281:
	.size	_Z16wvSplitK_hf_sml_I14__hip_bfloat16Li32ELi2ELi16ELi8ELi2ELi5EEviiiiiiPKT_S3_S3_PS1_ii, .Lfunc_end281-_Z16wvSplitK_hf_sml_I14__hip_bfloat16Li32ELi2ELi16ELi8ELi2ELi5EEviiiiiiPKT_S3_S3_PS1_ii
                                        ; -- End function
	.section	.AMDGPU.csdata,"",@progbits
; Kernel info:
; codeLenInByte = 6540
; NumSgprs: 30
; NumVgprs: 90
; ScratchSize: 0
; MemoryBound: 0
; FloatMode: 240
; IeeeMode: 1
; LDSByteSize: 65536 bytes/workgroup (compile time only)
; SGPRBlocks: 3
; VGPRBlocks: 11
; NumSGPRsForWavesPerEU: 30
; NumVGPRsForWavesPerEU: 90
; Occupancy: 8
; WaveLimiterHint : 0
; COMPUTE_PGM_RSRC2:SCRATCH_EN: 0
; COMPUTE_PGM_RSRC2:USER_SGPR: 15
; COMPUTE_PGM_RSRC2:TRAP_HANDLER: 0
; COMPUTE_PGM_RSRC2:TGID_X_EN: 1
; COMPUTE_PGM_RSRC2:TGID_Y_EN: 0
; COMPUTE_PGM_RSRC2:TGID_Z_EN: 0
; COMPUTE_PGM_RSRC2:TIDIG_COMP_CNT: 1
	.section	.text._Z12wvSplitK_hf_I14__hip_bfloat16Li32ELi2ELi16ELi8ELi2ELi5EEviiiiiiPKT_S3_S3_PS1_ii,"axG",@progbits,_Z12wvSplitK_hf_I14__hip_bfloat16Li32ELi2ELi16ELi8ELi2ELi5EEviiiiiiPKT_S3_S3_PS1_ii,comdat
	.protected	_Z12wvSplitK_hf_I14__hip_bfloat16Li32ELi2ELi16ELi8ELi2ELi5EEviiiiiiPKT_S3_S3_PS1_ii ; -- Begin function _Z12wvSplitK_hf_I14__hip_bfloat16Li32ELi2ELi16ELi8ELi2ELi5EEviiiiiiPKT_S3_S3_PS1_ii
	.globl	_Z12wvSplitK_hf_I14__hip_bfloat16Li32ELi2ELi16ELi8ELi2ELi5EEviiiiiiPKT_S3_S3_PS1_ii
	.p2align	8
	.type	_Z12wvSplitK_hf_I14__hip_bfloat16Li32ELi2ELi16ELi8ELi2ELi5EEviiiiiiPKT_S3_S3_PS1_ii,@function
_Z12wvSplitK_hf_I14__hip_bfloat16Li32ELi2ELi16ELi8ELi2ELi5EEviiiiiiPKT_S3_S3_PS1_ii: ; @_Z12wvSplitK_hf_I14__hip_bfloat16Li32ELi2ELi16ELi8ELi2ELi5EEviiiiiiPKT_S3_S3_PS1_ii
; %bb.0:
	s_clause 0x1
	s_load_b64 s[18:19], s[0:1], 0x38
	s_load_b128 s[4:7], s[0:1], 0x0
	v_bfe_u32 v1, v0, 10, 10
	s_clause 0x1
	s_load_b64 s[12:13], s[0:1], 0x20
	s_load_b64 s[16:17], s[0:1], 0x10
	s_mov_b32 s8, 1
	s_delay_alu instid0(SALU_CYCLE_1) | instskip(NEXT) | instid1(SALU_CYCLE_1)
	s_mov_b32 s9, s8
	v_dual_mov_b32 v57, s9 :: v_dual_mov_b32 v56, s8
	s_waitcnt lgkmcnt(0)
	s_mul_i32 s15, s15, s18
	s_delay_alu instid0(SALU_CYCLE_1) | instskip(NEXT) | instid1(VALU_DEP_1)
	v_add_lshl_u32 v58, s15, v1, 1
	v_add_nc_u32_e32 v2, 2, v58
	v_cmp_gt_u32_e32 vcc_lo, s7, v58
	s_delay_alu instid0(VALU_DEP_2) | instskip(NEXT) | instid1(VALU_DEP_1)
	v_cmp_le_u32_e64 s2, s7, v2
	s_and_b32 s2, vcc_lo, s2
	s_delay_alu instid0(SALU_CYCLE_1)
	s_and_saveexec_b32 s10, s2
	s_cbranch_execz .LBB282_6
; %bb.1:
	v_dual_mov_b32 v57, s9 :: v_dual_mov_b32 v56, s8
	s_add_i32 s11, s7, -2
	s_mov_b32 s14, exec_lo
	v_cmpx_ne_u32_e64 s11, v58
	s_cbranch_execz .LBB282_5
; %bb.2:
	v_subrev_nc_u32_e32 v2, s11, v58
	s_mov_b32 s2, 1
	s_mov_b32 s15, 0
	s_mov_b64 s[8:9], 0
	s_mov_b32 s3, s2
	v_cmp_lt_u32_e32 vcc_lo, 1, v2
	v_cndmask_b32_e32 v2, 1, v2, vcc_lo
.LBB282_3:                              ; =>This Inner Loop Header: Depth=1
	s_cmp_lg_u32 s8, 1
	s_cselect_b32 s3, s3, 0
	s_cmp_lg_u32 s8, 0
	s_cselect_b32 s2, s2, 0
	s_add_u32 s8, s8, 1
	v_dual_mov_b32 v57, s3 :: v_dual_mov_b32 v56, s2
	v_cmp_eq_u32_e32 vcc_lo, s8, v2
	s_addc_u32 s9, s9, 0
	s_or_b32 s15, vcc_lo, s15
	s_delay_alu instid0(SALU_CYCLE_1)
	s_and_not1_b32 exec_lo, exec_lo, s15
	s_cbranch_execnz .LBB282_3
; %bb.4:
	s_or_b32 exec_lo, exec_lo, s15
	v_mov_b32_e32 v58, s11
.LBB282_5:
	s_or_b32 exec_lo, exec_lo, s14
.LBB282_6:
	s_delay_alu instid0(SALU_CYCLE_1) | instskip(SKIP_2) | instid1(SALU_CYCLE_1)
	s_or_b32 exec_lo, exec_lo, s10
	v_and_b32_e32 v0, 0x3ff, v0
	s_mul_i32 s2, s6, 5
	s_min_u32 s3, s2, 0x8000
	s_mov_b32 s2, exec_lo
	s_delay_alu instid0(VALU_DEP_1) | instskip(NEXT) | instid1(VALU_DEP_1)
	v_lshlrev_b32_e32 v60, 3, v0
	v_lshl_add_u32 v3, v1, 8, v60
	s_delay_alu instid0(VALU_DEP_1)
	v_cmpx_gt_u32_e64 s3, v3
	s_cbranch_execz .LBB282_15
; %bb.7:
	v_lshlrev_b32_e32 v2, 1, v3
	v_add_nc_u32_e32 v8, 0x1000, v3
	s_mov_b32 s8, exec_lo
	global_load_b128 v[4:7], v2, s[12:13]
	s_waitcnt vmcnt(0)
	ds_store_b128 v2, v[4:7]
	v_cmpx_gt_u32_e64 s3, v8
	s_xor_b32 s8, exec_lo, s8
	s_cbranch_execz .LBB282_15
; %bb.8:
	v_add_co_u32 v4, s8, s12, v2
	s_delay_alu instid0(VALU_DEP_1) | instskip(SKIP_1) | instid1(VALU_DEP_3)
	v_add_co_ci_u32_e64 v5, null, s13, 0, s8
	v_add_nc_u32_e32 v10, 0x2000, v3
	v_add_co_u32 v6, vcc_lo, 0x2000, v4
	s_delay_alu instid0(VALU_DEP_3)
	v_add_co_ci_u32_e32 v7, vcc_lo, 0, v5, vcc_lo
	s_mov_b32 s8, exec_lo
	global_load_b128 v[6:9], v[6:7], off
	s_waitcnt vmcnt(0)
	ds_store_b128 v2, v[6:9] offset:8192
	v_cmpx_gt_u32_e64 s3, v10
	s_xor_b32 s8, exec_lo, s8
	s_cbranch_execz .LBB282_15
; %bb.9:
	v_add_co_u32 v6, vcc_lo, 0x4000, v4
	v_add_co_ci_u32_e32 v7, vcc_lo, 0, v5, vcc_lo
	v_add_nc_u32_e32 v10, 0x3000, v3
	s_mov_b32 s8, exec_lo
	global_load_b128 v[6:9], v[6:7], off
	s_waitcnt vmcnt(0)
	ds_store_b128 v2, v[6:9] offset:16384
	v_cmpx_gt_u32_e64 s3, v10
	s_xor_b32 s8, exec_lo, s8
	s_cbranch_execz .LBB282_15
; %bb.10:
	v_add_co_u32 v6, vcc_lo, 0x6000, v4
	v_add_co_ci_u32_e32 v7, vcc_lo, 0, v5, vcc_lo
	v_add_nc_u32_e32 v10, 0x4000, v3
	s_mov_b32 s8, exec_lo
	global_load_b128 v[6:9], v[6:7], off
	s_waitcnt vmcnt(0)
	ds_store_b128 v2, v[6:9] offset:24576
	v_cmpx_gt_u32_e64 s3, v10
	s_xor_b32 s8, exec_lo, s8
	s_cbranch_execz .LBB282_15
; %bb.11:
	v_add_co_u32 v6, vcc_lo, 0x8000, v4
	v_add_co_ci_u32_e32 v7, vcc_lo, 0, v5, vcc_lo
	v_add_nc_u32_e32 v10, 0x5000, v3
	s_mov_b32 s8, exec_lo
	global_load_b128 v[6:9], v[6:7], off
	s_waitcnt vmcnt(0)
	ds_store_b128 v2, v[6:9] offset:32768
	v_cmpx_gt_u32_e64 s3, v10
	s_xor_b32 s8, exec_lo, s8
	s_cbranch_execz .LBB282_15
; %bb.12:
	v_add_co_u32 v6, vcc_lo, 0xa000, v4
	v_add_co_ci_u32_e32 v7, vcc_lo, 0, v5, vcc_lo
	v_add_nc_u32_e32 v10, 0x6000, v3
	s_mov_b32 s8, exec_lo
	global_load_b128 v[6:9], v[6:7], off
	s_waitcnt vmcnt(0)
	ds_store_b128 v2, v[6:9] offset:40960
	v_cmpx_gt_u32_e64 s3, v10
	s_xor_b32 s8, exec_lo, s8
	s_cbranch_execz .LBB282_15
; %bb.13:
	v_add_co_u32 v6, vcc_lo, 0xc000, v4
	v_add_co_ci_u32_e32 v7, vcc_lo, 0, v5, vcc_lo
	v_add_nc_u32_e32 v3, 0x7000, v3
	global_load_b128 v[6:9], v[6:7], off
	v_cmp_gt_u32_e32 vcc_lo, s3, v3
	s_waitcnt vmcnt(0)
	ds_store_b128 v2, v[6:9] offset:49152
	s_and_saveexec_b32 s3, vcc_lo
	s_delay_alu instid0(SALU_CYCLE_1)
	s_xor_b32 s3, exec_lo, s3
	s_cbranch_execz .LBB282_15
; %bb.14:
	v_add_co_u32 v3, vcc_lo, 0xe000, v4
	v_add_co_ci_u32_e32 v4, vcc_lo, 0, v5, vcc_lo
	global_load_b128 v[3:6], v[3:4], off
	s_waitcnt vmcnt(0)
	ds_store_b128 v2, v[3:6] offset:57344
.LBB282_15:
	s_or_b32 exec_lo, exec_lo, s2
	v_cmp_gt_u32_e32 vcc_lo, s18, v1
	v_cmp_gt_u32_e64 s2, s7, v58
	s_waitcnt lgkmcnt(0)
	s_barrier
	buffer_gl0_inv
	s_and_b32 s2, vcc_lo, s2
	s_delay_alu instid0(SALU_CYCLE_1)
	s_and_saveexec_b32 s3, s2
	s_cbranch_execz .LBB282_134
; %bb.16:
	s_clause 0x1
	s_load_b128 s[8:11], s[0:1], 0x28
	s_load_b64 s[14:15], s[0:1], 0x18
	s_cmp_lg_u32 s4, 0
	s_mul_i32 s0, s18, s19
	s_cselect_b32 s3, -1, 0
	s_add_i32 s20, s4, -8
	s_add_i32 s21, s7, -1
	v_cvt_f32_u32_e32 v3, s16
	v_mbcnt_lo_u32_b32 v2, -1, 0
	v_mad_u64_u32 v[63:64], null, s6, 3, v[60:61]
	s_mul_i32 s31, s6, 6
	v_mov_b32_e32 v62, 0
	v_add_nc_u32_e32 v78, s6, v60
	s_waitcnt lgkmcnt(0)
	s_cmp_lg_u64 s[8:9], 0
	s_cselect_b32 s22, -1, 0
	s_abs_i32 s1, s17
	s_lshl_b32 s23, s0, 1
	v_cvt_f32_u32_e32 v1, s1
	s_sub_i32 s0, 0, s1
	s_add_i32 s24, s7, -2
	s_lshl_b32 s25, s6, 1
	s_sub_i32 s18, 0, s16
	v_rcp_iflag_f32_e32 v1, v1
	s_sub_i32 s19, 1, s1
	v_add_nc_u32_e32 v80, s25, v60
	s_mov_b32 s17, 0
	s_waitcnt_depctr 0xfff
	v_mul_f32_e32 v1, 0x4f7ffffe, v1
	s_delay_alu instid0(VALU_DEP_1) | instskip(NEXT) | instid1(VALU_DEP_1)
	v_cvt_u32_f32_e32 v1, v1
	v_readfirstlane_b32 s2, v1
	v_rcp_iflag_f32_e32 v1, v3
	v_lshlrev_b32_e32 v77, 4, v0
	s_delay_alu instid0(VALU_DEP_2) | instskip(NEXT) | instid1(SALU_CYCLE_1)
	s_mul_i32 s0, s0, s2
	s_mul_hi_u32 s0, s2, s0
	s_delay_alu instid0(SALU_CYCLE_1)
	s_add_i32 s2, s2, s0
	s_cmp_lt_u32 s1, 2
	v_cmp_eq_u32_e64 s0, 31, v0
	s_waitcnt_depctr 0xfff
	v_mul_f32_e32 v0, 0x4f7ffffe, v1
	s_cselect_b32 s19, s19, 1
	v_xor_b32_e32 v1, 16, v2
	s_sub_i32 s26, s19, s1
	s_cmp_ge_u32 s19, s1
	v_cvt_u32_f32_e32 v0, v0
	s_cselect_b32 s26, s26, s19
	s_lshr_b32 s19, s2, 31
	v_cmp_gt_i32_e32 vcc_lo, 32, v1
	s_mul_i32 s19, s19, s1
	v_mul_lo_u32 v3, s18, v0
	s_sub_i32 s19, 2, s19
	s_mul_i32 s26, s26, s16
	s_sub_i32 s27, s19, s1
	s_cmp_ge_u32 s19, s1
	v_cndmask_b32_e32 v1, v2, v1, vcc_lo
	s_cselect_b32 s19, s27, s19
	s_mul_hi_u32 s27, s2, 3
	s_sub_i32 s28, s19, s1
	s_cmp_ge_u32 s19, s1
	s_mul_i32 s27, s27, s1
	s_cselect_b32 s19, s28, s19
	s_sub_i32 s27, 3, s27
	v_mul_hi_u32 v2, v0, v3
	s_sub_i32 s18, s27, s1
	s_cmp_ge_u32 s27, s1
	v_lshlrev_b32_e32 v79, 2, v1
	s_cselect_b32 s18, s18, s27
	s_delay_alu instid0(SALU_CYCLE_1) | instskip(SKIP_1) | instid1(VALU_DEP_2)
	s_sub_i32 s27, s18, s1
	s_cmp_ge_u32 s18, s1
	v_add_nc_u32_e32 v81, v0, v2
	s_cselect_b32 s29, s27, s18
	s_lshr_b32 s2, s2, 30
	s_mul_i32 s27, s19, s16
	s_mul_i32 s2, s2, s1
	s_mul_i32 s29, s29, s16
	s_sub_i32 s2, 4, s2
	s_delay_alu instid0(SALU_CYCLE_1) | instskip(SKIP_2) | instid1(SALU_CYCLE_1)
	s_sub_i32 s18, s2, s1
	s_cmp_ge_u32 s2, s1
	s_cselect_b32 s2, s18, s2
	s_sub_i32 s18, s2, s1
	s_cmp_ge_u32 s2, s1
	s_cselect_b32 s30, s18, s2
	s_lshl_b32 s28, s6, 2
	s_mul_i32 s30, s30, s16
	v_add_nc_u32_e32 v82, s28, v60
	s_lshl_b32 s6, s6, 3
	s_branch .LBB282_19
.LBB282_17:                             ;   in Loop: Header=BB282_19 Depth=1
	s_or_b32 exec_lo, exec_lo, s34
	v_mov_b32_e32 v58, s24
.LBB282_18:                             ;   in Loop: Header=BB282_19 Depth=1
	s_or_b32 exec_lo, exec_lo, s33
	s_delay_alu instid0(VALU_DEP_1) | instskip(SKIP_1) | instid1(SALU_CYCLE_1)
	v_cmp_le_u32_e32 vcc_lo, s7, v58
	s_or_b32 s17, vcc_lo, s17
	s_and_not1_b32 exec_lo, exec_lo, s17
	s_cbranch_execz .LBB282_134
.LBB282_19:                             ; =>This Loop Header: Depth=1
                                        ;     Child Loop BB282_24 Depth 2
                                        ;     Child Loop BB282_132 Depth 2
	v_dual_mov_b32 v59, v62 :: v_dual_add_nc_u32 v64, 1, v58
	v_mov_b32_e32 v83, v62
	v_mov_b32_e32 v84, v62
	;; [unrolled: 1-line block ×9, first 2 shown]
	s_and_not1_b32 vcc_lo, exec_lo, s3
	s_cbranch_vccnz .LBB282_66
; %bb.20:                               ;   in Loop: Header=BB282_19 Depth=1
	v_min_u32_e32 v0, s21, v58
	v_min_u32_e32 v2, s21, v64
	s_waitcnt lgkmcnt(3)
	v_dual_mov_b32 v1, v62 :: v_dual_mov_b32 v92, 0
	v_dual_mov_b32 v89, 0 :: v_dual_mov_b32 v88, 0
	v_mul_lo_u32 v61, v0, s5
	v_mul_lo_u32 v0, v2, s5
	v_dual_mov_b32 v85, v77 :: v_dual_mov_b32 v90, 0
	v_dual_mov_b32 v86, 0 :: v_dual_mov_b32 v91, 0
	;; [unrolled: 1-line block ×3, first 2 shown]
	v_lshlrev_b64 v[65:66], 1, v[61:62]
	v_lshlrev_b64 v[67:68], 1, v[0:1]
	v_mov_b32_e32 v83, 0
	v_mov_b32_e32 v59, 0
	s_mov_b32 s1, 0
	s_branch .LBB282_24
.LBB282_21:                             ;   in Loop: Header=BB282_24 Depth=2
	s_or_b32 exec_lo, exec_lo, s19
.LBB282_22:                             ;   in Loop: Header=BB282_24 Depth=2
	s_delay_alu instid0(SALU_CYCLE_1)
	s_or_b32 exec_lo, exec_lo, s18
.LBB282_23:                             ;   in Loop: Header=BB282_24 Depth=2
	s_delay_alu instid0(SALU_CYCLE_1)
	s_or_b32 exec_lo, exec_lo, s2
	s_waitcnt vmcnt(0) lgkmcnt(0)
	v_and_b32_e32 v71, 0xffff0000, v37
	v_and_b32_e32 v74, 0xffff0000, v38
	v_lshlrev_b32_e32 v38, 16, v38
	v_and_b32_e32 v73, 0xffff0000, v33
	v_and_b32_e32 v61, 0xffff0000, v36
	;; [unrolled: 1-line block ×4, first 2 shown]
	s_delay_alu instid0(VALU_DEP_4)
	v_dual_mul_f32 v76, v71, v73 :: v_dual_lshlrev_b32 v19, 16, v19
	v_and_b32_e32 v75, 0xffff0000, v34
	v_and_b32_e32 v69, 0xffff0000, v32
	;; [unrolled: 1-line block ×3, first 2 shown]
	v_lshlrev_b32_e32 v70, 16, v36
	v_lshlrev_b32_e32 v36, 16, v32
	;; [unrolled: 1-line block ×3, first 2 shown]
	v_mul_f32_e32 v72, v61, v69
	v_mul_f32_e32 v61, v61, v93
	v_and_b32_e32 v98, 0xffff0000, v9
	s_addk_i32 s1, 0x200
	v_and_b32_e32 v97, 0xffff0000, v8
	v_dual_fmac_f32 v72, v70, v36 :: v_dual_lshlrev_b32 v37, 16, v37
	v_lshlrev_b32_e32 v9, 16, v9
	s_cmp_ge_u32 s1, s4
	s_delay_alu instid0(VALU_DEP_2) | instskip(SKIP_1) | instid1(VALU_DEP_1)
	v_dual_add_f32 v34, v89, v72 :: v_dual_add_nc_u32 v85, 0x400, v85
	v_lshlrev_b32_e32 v33, 16, v33
	v_dual_fmac_f32 v76, v37, v33 :: v_dual_and_b32 v89, 0xffff0000, v39
	s_delay_alu instid0(VALU_DEP_1) | instskip(SKIP_2) | instid1(VALU_DEP_2)
	v_add_f32_e32 v34, v34, v76
	v_lshlrev_b32_e32 v76, 16, v20
	v_and_b32_e32 v95, 0xffff0000, v35
	v_dual_fmac_f32 v61, v70, v76 :: v_dual_lshlrev_b32 v20, 16, v21
	v_mul_f32_e32 v70, v71, v94
	s_delay_alu instid0(VALU_DEP_3) | instskip(SKIP_1) | instid1(VALU_DEP_3)
	v_dual_mul_f32 v96, v89, v95 :: v_dual_and_b32 v71, 0xffff0000, v22
	v_lshlrev_b32_e32 v39, 16, v39
	v_dual_add_f32 v61, v92, v61 :: v_dual_fmac_f32 v70, v37, v20
	s_delay_alu instid0(VALU_DEP_3) | instskip(SKIP_1) | instid1(VALU_DEP_3)
	v_dual_mul_f32 v22, v74, v71 :: v_dual_lshlrev_b32 v21, 16, v22
	v_lshlrev_b32_e32 v35, 16, v35
	v_dual_mul_f32 v72, v74, v75 :: v_dual_add_f32 v37, v61, v70
	s_delay_alu instid0(VALU_DEP_3) | instskip(NEXT) | instid1(VALU_DEP_3)
	v_dual_fmac_f32 v22, v38, v21 :: v_dual_and_b32 v61, 0xffff0000, v16
	v_fmac_f32_e32 v96, v39, v35
	v_lshlrev_b32_e32 v16, 16, v16
	v_and_b32_e32 v74, 0xffff0000, v17
	v_lshlrev_b32_e32 v8, 16, v8
	v_dual_add_f32 v22, v37, v22 :: v_dual_and_b32 v37, 0xffff0000, v23
	v_lshlrev_b32_e32 v23, 16, v23
	s_delay_alu instid0(VALU_DEP_2) | instskip(NEXT) | instid1(VALU_DEP_1)
	v_mul_f32_e32 v89, v89, v37
	v_dual_fmac_f32 v89, v39, v23 :: v_dual_fmac_f32 v72, v38, v32
	v_and_b32_e32 v38, 0xffff0000, v52
	v_lshlrev_b32_e32 v52, 16, v52
	v_and_b32_e32 v39, 0xffff0000, v54
	v_lshlrev_b32_e32 v54, 16, v54
	v_add_f32_e32 v34, v34, v72
	v_mul_f32_e32 v70, v38, v61
	v_and_b32_e32 v72, 0xffff0000, v53
	v_lshlrev_b32_e32 v53, 16, v53
	s_delay_alu instid0(VALU_DEP_4) | instskip(NEXT) | instid1(VALU_DEP_4)
	v_dual_add_f32 v34, v34, v96 :: v_dual_lshlrev_b32 v17, 16, v17
	v_fmac_f32_e32 v70, v52, v16
	s_delay_alu instid0(VALU_DEP_4)
	v_mul_f32_e32 v92, v72, v74
	v_and_b32_e32 v96, 0xffff0000, v18
	v_lshlrev_b32_e32 v18, 16, v18
	v_add_f32_e32 v22, v22, v89
	v_add_f32_e32 v34, v34, v70
	v_fmac_f32_e32 v92, v53, v17
	v_mul_f32_e32 v70, v39, v96
	s_delay_alu instid0(VALU_DEP_2) | instskip(SKIP_1) | instid1(VALU_DEP_3)
	v_add_f32_e32 v34, v34, v92
	v_and_b32_e32 v92, 0xffff0000, v55
	v_dual_fmac_f32 v70, v54, v18 :: v_dual_lshlrev_b32 v55, 16, v55
	s_delay_alu instid0(VALU_DEP_1) | instskip(NEXT) | instid1(VALU_DEP_1)
	v_dual_mul_f32 v89, v92, v99 :: v_dual_add_f32 v34, v34, v70
	v_fmac_f32_e32 v89, v55, v19
	s_delay_alu instid0(VALU_DEP_1) | instskip(SKIP_1) | instid1(VALU_DEP_1)
	v_add_f32_e32 v89, v34, v89
	v_mul_f32_e32 v38, v38, v97
	v_fmac_f32_e32 v38, v52, v8
	v_mul_f32_e32 v52, v72, v98
	v_and_b32_e32 v72, 0xffff0000, v10
	v_lshlrev_b32_e32 v10, 16, v10
	s_delay_alu instid0(VALU_DEP_4) | instskip(NEXT) | instid1(VALU_DEP_4)
	v_add_f32_e32 v22, v22, v38
	v_fmac_f32_e32 v52, v53, v9
	s_delay_alu instid0(VALU_DEP_4) | instskip(SKIP_2) | instid1(VALU_DEP_4)
	v_mul_f32_e32 v38, v39, v72
	v_and_b32_e32 v39, 0xffff0000, v24
	v_lshlrev_b32_e32 v24, 16, v24
	v_dual_add_f32 v22, v22, v52 :: v_dual_and_b32 v53, 0xffff0000, v25
	v_lshlrev_b32_e32 v25, 16, v25
	s_delay_alu instid0(VALU_DEP_4) | instskip(SKIP_1) | instid1(VALU_DEP_4)
	v_mul_f32_e32 v52, v39, v69
	v_mul_f32_e32 v39, v39, v93
	;; [unrolled: 1-line block ×3, first 2 shown]
	s_delay_alu instid0(VALU_DEP_3) | instskip(NEXT) | instid1(VALU_DEP_3)
	v_fmac_f32_e32 v52, v24, v36
	v_dual_fmac_f32 v39, v24, v76 :: v_dual_mul_f32 v24, v53, v94
	s_delay_alu instid0(VALU_DEP_3) | instskip(NEXT) | instid1(VALU_DEP_2)
	v_dual_fmac_f32 v34, v25, v33 :: v_dual_and_b32 v53, 0xffff0000, v48
	v_dual_add_f32 v52, v88, v52 :: v_dual_add_f32 v39, v90, v39
	s_delay_alu instid0(VALU_DEP_3) | instskip(NEXT) | instid1(VALU_DEP_3)
	v_fmac_f32_e32 v24, v25, v20
	v_dual_mul_f32 v48, v53, v61 :: v_dual_lshlrev_b32 v25, 16, v48
	s_delay_alu instid0(VALU_DEP_3) | instskip(NEXT) | instid1(VALU_DEP_3)
	v_add_f32_e32 v34, v52, v34
	v_dual_add_f32 v24, v39, v24 :: v_dual_lshlrev_b32 v39, 16, v49
	v_fmac_f32_e32 v38, v54, v10
	v_and_b32_e32 v54, 0xffff0000, v26
	v_lshlrev_b32_e32 v26, 16, v26
	v_fmac_f32_e32 v48, v25, v16
	s_delay_alu instid0(VALU_DEP_4) | instskip(SKIP_3) | instid1(VALU_DEP_3)
	v_add_f32_e32 v22, v22, v38
	v_and_b32_e32 v38, 0xffff0000, v11
	v_mul_f32_e32 v70, v54, v75
	v_mul_f32_e32 v54, v54, v71
	v_dual_mul_f32 v88, v92, v38 :: v_dual_lshlrev_b32 v11, 16, v11
	v_and_b32_e32 v92, 0xffff0000, v27
	s_delay_alu instid0(VALU_DEP_4) | instskip(NEXT) | instid1(VALU_DEP_4)
	v_dual_fmac_f32 v70, v26, v32 :: v_dual_lshlrev_b32 v27, 16, v27
	v_fmac_f32_e32 v54, v26, v21
	v_and_b32_e32 v26, 0xffff0000, v50
	s_delay_alu instid0(VALU_DEP_4) | instskip(NEXT) | instid1(VALU_DEP_4)
	v_mul_f32_e32 v52, v92, v95
	v_add_f32_e32 v34, v34, v70
	v_mul_f32_e32 v70, v92, v37
	v_fmac_f32_e32 v88, v55, v11
	v_add_f32_e32 v24, v24, v54
	v_fmac_f32_e32 v52, v27, v35
	s_delay_alu instid0(VALU_DEP_4) | instskip(NEXT) | instid1(VALU_DEP_2)
	v_fmac_f32_e32 v70, v27, v23
	v_add_f32_e32 v34, v34, v52
	v_and_b32_e32 v52, 0xffff0000, v49
	s_delay_alu instid0(VALU_DEP_1) | instskip(NEXT) | instid1(VALU_DEP_1)
	v_dual_add_f32 v34, v34, v48 :: v_dual_mul_f32 v49, v52, v74
	v_dual_fmac_f32 v49, v39, v17 :: v_dual_lshlrev_b32 v48, 16, v50
	v_mul_f32_e32 v50, v26, v96
	s_delay_alu instid0(VALU_DEP_2) | instskip(SKIP_1) | instid1(VALU_DEP_1)
	v_add_f32_e32 v27, v34, v49
	v_dual_mul_f32 v34, v53, v97 :: v_dual_lshlrev_b32 v49, 16, v51
	v_dual_fmac_f32 v34, v25, v8 :: v_dual_mul_f32 v25, v52, v98
	s_delay_alu instid0(VALU_DEP_1) | instskip(SKIP_2) | instid1(VALU_DEP_3)
	v_dual_fmac_f32 v25, v39, v9 :: v_dual_fmac_f32 v50, v48, v18
	v_dual_add_f32 v92, v22, v88 :: v_dual_and_b32 v39, 0xffff0000, v13
	v_add_f32_e32 v22, v24, v70
	v_dual_add_f32 v27, v27, v50 :: v_dual_and_b32 v24, 0xffff0000, v51
	v_and_b32_e32 v51, 0xffff0000, v12
	v_lshlrev_b32_e32 v12, 16, v12
	s_delay_alu instid0(VALU_DEP_4) | instskip(NEXT) | instid1(VALU_DEP_4)
	v_add_f32_e32 v22, v22, v34
	v_dual_mul_f32 v50, v24, v99 :: v_dual_lshlrev_b32 v13, 16, v13
	s_delay_alu instid0(VALU_DEP_4) | instskip(NEXT) | instid1(VALU_DEP_3)
	v_mul_f32_e32 v34, v51, v69
	v_add_f32_e32 v22, v22, v25
	s_delay_alu instid0(VALU_DEP_3) | instskip(SKIP_1) | instid1(VALU_DEP_4)
	v_dual_fmac_f32 v50, v49, v19 :: v_dual_mul_f32 v25, v39, v73
	v_mul_f32_e32 v26, v26, v72
	v_fmac_f32_e32 v34, v12, v36
	s_delay_alu instid0(VALU_DEP_3) | instskip(SKIP_1) | instid1(VALU_DEP_4)
	v_add_f32_e32 v88, v27, v50
	v_and_b32_e32 v27, 0xffff0000, v14
	v_dual_fmac_f32 v25, v13, v33 :: v_dual_fmac_f32 v26, v48, v10
	v_lshlrev_b32_e32 v14, 16, v14
	v_and_b32_e32 v48, 0xffff0000, v15
	v_dual_mul_f32 v50, v51, v93 :: v_dual_lshlrev_b32 v15, 16, v15
	s_delay_alu instid0(VALU_DEP_4) | instskip(SKIP_2) | instid1(VALU_DEP_4)
	v_add_f32_e32 v22, v22, v26
	v_add_f32_e32 v26, v86, v34
	v_mul_f32_e32 v34, v27, v75
	v_fmac_f32_e32 v50, v12, v76
	v_mul_f32_e32 v12, v39, v94
	v_mul_f32_e32 v27, v27, v71
	v_add_f32_e32 v25, v26, v25
	v_fmac_f32_e32 v34, v14, v32
	v_dual_mul_f32 v26, v48, v95 :: v_dual_add_f32 v39, v91, v50
	v_fmac_f32_e32 v12, v13, v20
	v_lshlrev_b32_e32 v13, 16, v44
	s_delay_alu instid0(VALU_DEP_4) | instskip(NEXT) | instid1(VALU_DEP_4)
	v_dual_add_f32 v25, v25, v34 :: v_dual_and_b32 v34, 0xffff0000, v44
	v_fmac_f32_e32 v26, v15, v35
	v_mul_f32_e32 v24, v24, v38
	v_dual_add_f32 v12, v39, v12 :: v_dual_lshlrev_b32 v39, 16, v45
	s_delay_alu instid0(VALU_DEP_3) | instskip(SKIP_2) | instid1(VALU_DEP_3)
	v_dual_mul_f32 v44, v34, v61 :: v_dual_add_f32 v25, v25, v26
	v_and_b32_e32 v26, 0xffff0000, v45
	v_dual_fmac_f32 v27, v14, v21 :: v_dual_and_b32 v14, 0xffff0000, v46
	v_fmac_f32_e32 v44, v13, v16
	s_delay_alu instid0(VALU_DEP_3) | instskip(SKIP_1) | instid1(VALU_DEP_3)
	v_dual_mul_f32 v48, v48, v37 :: v_dual_mul_f32 v45, v26, v74
	v_fmac_f32_e32 v24, v49, v11
	v_dual_add_f32 v12, v12, v27 :: v_dual_add_f32 v25, v25, v44
	s_delay_alu instid0(VALU_DEP_3) | instskip(SKIP_3) | instid1(VALU_DEP_4)
	v_dual_fmac_f32 v45, v39, v17 :: v_dual_lshlrev_b32 v44, 16, v46
	v_mul_f32_e32 v46, v14, v96
	v_fmac_f32_e32 v48, v15, v23
	v_add_f32_e32 v90, v22, v24
	v_dual_add_f32 v15, v25, v45 :: v_dual_and_b32 v22, 0xffff0000, v47
	s_delay_alu instid0(VALU_DEP_4) | instskip(NEXT) | instid1(VALU_DEP_4)
	v_dual_mul_f32 v25, v34, v97 :: v_dual_fmac_f32 v46, v44, v18
	v_add_f32_e32 v12, v12, v48
	v_lshlrev_b32_e32 v24, 16, v47
	v_and_b32_e32 v27, 0xffff0000, v4
	s_delay_alu instid0(VALU_DEP_4) | instskip(SKIP_3) | instid1(VALU_DEP_4)
	v_fmac_f32_e32 v25, v13, v8
	v_mul_f32_e32 v13, v26, v98
	v_dual_mul_f32 v26, v22, v99 :: v_dual_add_f32 v15, v15, v46
	v_mul_f32_e32 v14, v14, v72
	v_add_f32_e32 v12, v12, v25
	s_delay_alu instid0(VALU_DEP_4) | instskip(NEXT) | instid1(VALU_DEP_4)
	v_dual_fmac_f32 v13, v39, v9 :: v_dual_lshlrev_b32 v4, 16, v4
	v_dual_mul_f32 v25, v27, v69 :: v_dual_fmac_f32 v26, v24, v19
	v_and_b32_e32 v34, 0xffff0000, v5
	s_delay_alu instid0(VALU_DEP_3) | instskip(SKIP_1) | instid1(VALU_DEP_4)
	v_add_f32_e32 v12, v12, v13
	v_fmac_f32_e32 v14, v44, v10
	v_fmac_f32_e32 v25, v4, v36
	v_lshlrev_b32_e32 v5, 16, v5
	v_dual_mul_f32 v13, v34, v73 :: v_dual_add_f32 v86, v15, v26
	v_and_b32_e32 v15, 0xffff0000, v6
	v_add_f32_e32 v12, v12, v14
	v_add_f32_e32 v14, v87, v25
	s_delay_alu instid0(VALU_DEP_4) | instskip(NEXT) | instid1(VALU_DEP_4)
	v_dual_fmac_f32 v13, v5, v33 :: v_dual_lshlrev_b32 v6, 16, v6
	v_mul_f32_e32 v25, v15, v75
	v_mul_f32_e32 v26, v27, v93
	s_delay_alu instid0(VALU_DEP_3) | instskip(NEXT) | instid1(VALU_DEP_3)
	v_dual_add_f32 v13, v14, v13 :: v_dual_and_b32 v14, 0xffff0000, v7
	v_fmac_f32_e32 v25, v6, v32
	s_delay_alu instid0(VALU_DEP_3) | instskip(SKIP_1) | instid1(VALU_DEP_4)
	v_fmac_f32_e32 v26, v4, v76
	v_dual_mul_f32 v7, v34, v94 :: v_dual_lshlrev_b32 v4, 16, v7
	v_mul_f32_e32 v27, v14, v95
	s_delay_alu instid0(VALU_DEP_4) | instskip(NEXT) | instid1(VALU_DEP_4)
	v_add_f32_e32 v13, v13, v25
	v_dual_add_f32 v25, v84, v26 :: v_dual_and_b32 v26, 0xffff0000, v40
	s_delay_alu instid0(VALU_DEP_4) | instskip(NEXT) | instid1(VALU_DEP_4)
	v_fmac_f32_e32 v7, v5, v20
	v_fmac_f32_e32 v27, v4, v35
	v_mul_f32_e32 v5, v15, v71
	s_delay_alu instid0(VALU_DEP_4) | instskip(NEXT) | instid1(VALU_DEP_4)
	v_dual_mul_f32 v34, v26, v61 :: v_dual_lshlrev_b32 v15, 16, v40
	v_add_f32_e32 v7, v25, v7
	v_and_b32_e32 v25, 0xffff0000, v41
	s_delay_alu instid0(VALU_DEP_4) | instskip(NEXT) | instid1(VALU_DEP_4)
	v_dual_fmac_f32 v5, v6, v21 :: v_dual_add_f32 v6, v13, v27
	v_dual_fmac_f32 v34, v15, v16 :: v_dual_lshlrev_b32 v13, 16, v41
	s_delay_alu instid0(VALU_DEP_3) | instskip(NEXT) | instid1(VALU_DEP_3)
	v_mul_f32_e32 v27, v25, v74
	v_add_f32_e32 v5, v7, v5
	v_dual_mul_f32 v14, v14, v37 :: v_dual_and_b32 v7, 0xffff0000, v42
	s_delay_alu instid0(VALU_DEP_3) | instskip(NEXT) | instid1(VALU_DEP_2)
	v_dual_add_f32 v6, v6, v34 :: v_dual_fmac_f32 v27, v13, v17
	v_dual_mul_f32 v39, v7, v96 :: v_dual_lshlrev_b32 v34, 16, v42
	s_delay_alu instid0(VALU_DEP_3) | instskip(SKIP_1) | instid1(VALU_DEP_4)
	v_fmac_f32_e32 v14, v4, v23
	v_mul_f32_e32 v26, v26, v97
	v_add_f32_e32 v4, v6, v27
	s_delay_alu instid0(VALU_DEP_4) | instskip(NEXT) | instid1(VALU_DEP_4)
	v_dual_fmac_f32 v39, v34, v18 :: v_dual_and_b32 v6, 0xffff0000, v43
	v_dual_add_f32 v5, v5, v14 :: v_dual_lshlrev_b32 v14, 16, v43
	s_delay_alu instid0(VALU_DEP_2) | instskip(NEXT) | instid1(VALU_DEP_3)
	v_dual_mul_f32 v27, v6, v99 :: v_dual_and_b32 v40, 0xffff0000, v1
	v_add_f32_e32 v4, v4, v39
	v_dual_fmac_f32 v26, v15, v8 :: v_dual_mul_f32 v15, v25, v98
	v_lshlrev_b32_e32 v1, 16, v1
	s_delay_alu instid0(VALU_DEP_4) | instskip(SKIP_1) | instid1(VALU_DEP_4)
	v_fmac_f32_e32 v27, v14, v19
	v_dual_mul_f32 v22, v22, v38 :: v_dual_mul_f32 v25, v40, v73
	v_add_f32_e32 v5, v5, v26
	s_delay_alu instid0(VALU_DEP_3) | instskip(NEXT) | instid1(VALU_DEP_3)
	v_dual_add_f32 v87, v4, v27 :: v_dual_and_b32 v26, 0xffff0000, v2
	v_fmac_f32_e32 v22, v24, v11
	v_and_b32_e32 v24, 0xffff0000, v0
	v_dual_fmac_f32 v15, v13, v9 :: v_dual_lshlrev_b32 v0, 16, v0
	v_dual_fmac_f32 v25, v1, v33 :: v_dual_lshlrev_b32 v2, 16, v2
	s_delay_alu instid0(VALU_DEP_3) | instskip(SKIP_1) | instid1(VALU_DEP_4)
	v_mul_f32_e32 v39, v24, v69
	v_mul_f32_e32 v33, v26, v75
	v_add_f32_e32 v5, v5, v15
	v_dual_mul_f32 v24, v24, v93 :: v_dual_and_b32 v15, 0xffff0000, v3
	s_delay_alu instid0(VALU_DEP_4) | instskip(NEXT) | instid1(VALU_DEP_4)
	v_fmac_f32_e32 v39, v0, v36
	v_fmac_f32_e32 v33, v2, v32
	v_lshlrev_b32_e32 v3, 16, v3
	v_and_b32_e32 v32, 0xffff0000, v28
	s_delay_alu instid0(VALU_DEP_4) | instskip(SKIP_1) | instid1(VALU_DEP_2)
	v_dual_fmac_f32 v24, v0, v76 :: v_dual_add_f32 v13, v83, v39
	v_dual_mul_f32 v7, v7, v72 :: v_dual_mul_f32 v6, v6, v38
	v_dual_add_f32 v24, v59, v24 :: v_dual_add_f32 v13, v13, v25
	v_mul_f32_e32 v25, v15, v95
	s_delay_alu instid0(VALU_DEP_3) | instskip(NEXT) | instid1(VALU_DEP_4)
	v_fmac_f32_e32 v7, v34, v10
	v_fmac_f32_e32 v6, v14, v11
	s_delay_alu instid0(VALU_DEP_4) | instskip(NEXT) | instid1(VALU_DEP_4)
	v_dual_add_f32 v0, v13, v33 :: v_dual_mul_f32 v13, v40, v94
	v_fmac_f32_e32 v25, v3, v35
	s_delay_alu instid0(VALU_DEP_4) | instskip(NEXT) | instid1(VALU_DEP_3)
	v_add_f32_e32 v5, v5, v7
	v_fmac_f32_e32 v13, v1, v20
	s_delay_alu instid0(VALU_DEP_3) | instskip(SKIP_1) | instid1(VALU_DEP_3)
	v_dual_mul_f32 v1, v26, v71 :: v_dual_add_f32 v0, v0, v25
	v_dual_mul_f32 v25, v32, v61 :: v_dual_lshlrev_b32 v20, 16, v28
	v_add_f32_e32 v13, v24, v13
	v_and_b32_e32 v24, 0xffff0000, v29
	s_delay_alu instid0(VALU_DEP_4) | instskip(NEXT) | instid1(VALU_DEP_4)
	v_fmac_f32_e32 v1, v2, v21
	v_dual_mul_f32 v2, v15, v37 :: v_dual_fmac_f32 v25, v20, v16
	s_delay_alu instid0(VALU_DEP_3) | instskip(NEXT) | instid1(VALU_DEP_2)
	v_dual_mul_f32 v16, v24, v74 :: v_dual_lshlrev_b32 v15, 16, v29
	v_dual_add_f32 v1, v13, v1 :: v_dual_fmac_f32 v2, v3, v23
	v_mul_f32_e32 v3, v32, v97
	s_delay_alu instid0(VALU_DEP_4) | instskip(NEXT) | instid1(VALU_DEP_4)
	v_add_f32_e32 v0, v0, v25
	v_dual_fmac_f32 v16, v15, v17 :: v_dual_mul_f32 v7, v24, v98
	s_delay_alu instid0(VALU_DEP_4) | instskip(NEXT) | instid1(VALU_DEP_4)
	v_add_f32_e32 v1, v1, v2
	v_dual_fmac_f32 v3, v20, v8 :: v_dual_and_b32 v2, 0xffff0000, v30
	s_delay_alu instid0(VALU_DEP_3) | instskip(SKIP_1) | instid1(VALU_DEP_3)
	v_add_f32_e32 v0, v0, v16
	v_lshlrev_b32_e32 v8, 16, v30
	v_dual_mul_f32 v13, v2, v96 :: v_dual_and_b32 v16, 0xffff0000, v31
	s_delay_alu instid0(VALU_DEP_4) | instskip(SKIP_2) | instid1(VALU_DEP_4)
	v_add_f32_e32 v1, v1, v3
	v_dual_fmac_f32 v7, v15, v9 :: v_dual_mul_f32 v2, v2, v72
	v_lshlrev_b32_e32 v3, 16, v31
	v_fmac_f32_e32 v13, v8, v18
	v_mul_f32_e32 v9, v16, v99
	s_delay_alu instid0(VALU_DEP_4) | instskip(SKIP_1) | instid1(VALU_DEP_3)
	v_dual_add_f32 v1, v1, v7 :: v_dual_fmac_f32 v2, v8, v10
	v_mul_f32_e32 v7, v16, v38
	v_dual_add_f32 v0, v0, v13 :: v_dual_fmac_f32 v9, v3, v19
	v_add_f32_e32 v91, v12, v22
	s_delay_alu instid0(VALU_DEP_4) | instskip(NEXT) | instid1(VALU_DEP_4)
	v_add_f32_e32 v1, v1, v2
	v_dual_fmac_f32 v7, v3, v11 :: v_dual_add_f32 v84, v5, v6
	s_delay_alu instid0(VALU_DEP_4) | instskip(NEXT) | instid1(VALU_DEP_2)
	v_add_f32_e32 v83, v0, v9
	v_add_f32_e32 v59, v1, v7
	s_cbranch_scc1 .LBB282_66
.LBB282_24:                             ;   Parent Loop BB282_19 Depth=1
                                        ; =>  This Inner Loop Header: Depth=2
	v_dual_mov_b32 v31, 0 :: v_dual_add_nc_u32 v70, s1, v60
	s_waitcnt vmcnt(8)
	v_dual_mov_b32 v29, 0 :: v_dual_mov_b32 v28, 0
	v_dual_mov_b32 v43, 0 :: v_dual_mov_b32 v42, 0
	s_delay_alu instid0(VALU_DEP_3) | instskip(SKIP_2) | instid1(VALU_DEP_3)
	v_min_u32_e32 v61, s20, v70
	v_dual_mov_b32 v30, 0 :: v_dual_add_nc_u32 v69, 0x100, v70
	v_dual_mov_b32 v41, 0 :: v_dual_mov_b32 v40, 0
	v_lshlrev_b64 v[0:1], 1, v[61:62]
	s_delay_alu instid0(VALU_DEP_3) | instskip(SKIP_2) | instid1(VALU_DEP_4)
	v_min_u32_e32 v61, s20, v69
	v_dual_mov_b32 v47, 0 :: v_dual_mov_b32 v46, 0
	v_dual_mov_b32 v45, 0 :: v_dual_mov_b32 v44, 0
	v_add_co_u32 v4, vcc_lo, s14, v0
	s_waitcnt lgkmcnt(1)
	v_add_co_ci_u32_e32 v5, vcc_lo, s15, v1, vcc_lo
	v_lshlrev_b64 v[0:1], 1, v[61:62]
	s_delay_alu instid0(VALU_DEP_3) | instskip(SKIP_1) | instid1(VALU_DEP_3)
	v_add_co_u32 v2, vcc_lo, v4, v65
	s_waitcnt lgkmcnt(0)
	v_add_co_ci_u32_e32 v3, vcc_lo, v5, v66, vcc_lo
	v_dual_mov_b32 v51, 0 :: v_dual_mov_b32 v50, 0
	s_delay_alu instid0(VALU_DEP_4) | instskip(SKIP_3) | instid1(VALU_DEP_4)
	v_add_co_u32 v6, vcc_lo, s14, v0
	v_add_co_ci_u32_e32 v7, vcc_lo, s15, v1, vcc_lo
	v_add_co_u32 v0, vcc_lo, v4, v67
	v_add_co_ci_u32_e32 v1, vcc_lo, v5, v68, vcc_lo
	v_add_co_u32 v4, vcc_lo, v6, v65
	s_delay_alu instid0(VALU_DEP_4)
	v_add_co_ci_u32_e32 v5, vcc_lo, v7, v66, vcc_lo
	v_add_co_u32 v6, vcc_lo, v6, v67
	v_add_co_ci_u32_e32 v7, vcc_lo, v7, v68, vcc_lo
	s_clause 0x3
	global_load_b128 v[32:35], v[2:3], off slc dlc
	global_load_b128 v[20:23], v[0:1], off slc dlc
	;; [unrolled: 1-line block ×4, first 2 shown]
	v_cmp_gt_u32_e32 vcc_lo, s4, v70
	v_dual_mov_b32 v49, 0 :: v_dual_mov_b32 v48, 0
	v_dual_mov_b32 v55, 0 :: v_dual_mov_b32 v54, 0
	;; [unrolled: 1-line block ×7, first 2 shown]
	s_waitcnt vmcnt(5)
	v_dual_mov_b32 v15, 0 :: v_dual_mov_b32 v14, 0
	v_dual_mov_b32 v13, 0 :: v_dual_mov_b32 v12, 0
	;; [unrolled: 1-line block ×6, first 2 shown]
	s_and_saveexec_b32 s2, vcc_lo
	s_cbranch_execz .LBB282_23
; %bb.25:                               ;   in Loop: Header=BB282_24 Depth=2
	s_mov_b32 s18, exec_lo
                                        ; implicit-def: $vgpr39
	v_cmpx_lt_u32_e32 0x7fff, v70
	s_xor_b32 s18, exec_lo, s18
	s_cbranch_execz .LBB282_27
; %bb.26:                               ;   in Loop: Header=BB282_24 Depth=2
	v_mov_b32_e32 v71, v62
	s_delay_alu instid0(VALU_DEP_1) | instskip(NEXT) | instid1(VALU_DEP_1)
	v_lshlrev_b64 v[0:1], 1, v[70:71]
	v_add_co_u32 v0, vcc_lo, s12, v0
	s_delay_alu instid0(VALU_DEP_2)
	v_add_co_ci_u32_e32 v1, vcc_lo, s13, v1, vcc_lo
	global_load_b128 v[36:39], v[0:1], off
.LBB282_27:                             ;   in Loop: Header=BB282_24 Depth=2
	s_and_not1_saveexec_b32 s18, s18
	s_cbranch_execz .LBB282_29
; %bb.28:                               ;   in Loop: Header=BB282_24 Depth=2
	s_waitcnt vmcnt(0)
	ds_load_b128 v[36:39], v85
.LBB282_29:                             ;   in Loop: Header=BB282_24 Depth=2
	s_or_b32 exec_lo, exec_lo, s18
	v_add_nc_u32_e32 v61, s1, v78
	s_mov_b32 s18, exec_lo
                                        ; implicit-def: $vgpr27
	s_delay_alu instid0(VALU_DEP_1)
	v_cmpx_lt_u32_e32 0x7fff, v61
	s_xor_b32 s18, exec_lo, s18
	s_cbranch_execz .LBB282_31
; %bb.30:                               ;   in Loop: Header=BB282_24 Depth=2
	v_lshlrev_b64 v[0:1], 1, v[61:62]
	s_delay_alu instid0(VALU_DEP_1) | instskip(NEXT) | instid1(VALU_DEP_2)
	v_add_co_u32 v0, vcc_lo, s12, v0
	v_add_co_ci_u32_e32 v1, vcc_lo, s13, v1, vcc_lo
	global_load_b128 v[24:27], v[0:1], off
.LBB282_31:                             ;   in Loop: Header=BB282_24 Depth=2
	s_and_not1_saveexec_b32 s18, s18
	s_cbranch_execz .LBB282_33
; %bb.32:                               ;   in Loop: Header=BB282_24 Depth=2
	v_add_nc_u32_e32 v0, s25, v85
	s_waitcnt vmcnt(0)
	ds_load_b128 v[24:27], v0
.LBB282_33:                             ;   in Loop: Header=BB282_24 Depth=2
	s_or_b32 exec_lo, exec_lo, s18
	v_add_nc_u32_e32 v75, s1, v80
	s_mov_b32 s18, exec_lo
                                        ; implicit-def: $vgpr15
	s_delay_alu instid0(VALU_DEP_1)
	v_cmpx_lt_u32_e32 0x7fff, v75
	s_xor_b32 s18, exec_lo, s18
	s_cbranch_execz .LBB282_35
; %bb.34:                               ;   in Loop: Header=BB282_24 Depth=2
	v_mov_b32_e32 v76, v62
	s_delay_alu instid0(VALU_DEP_1) | instskip(NEXT) | instid1(VALU_DEP_1)
	v_lshlrev_b64 v[0:1], 1, v[75:76]
	v_add_co_u32 v0, vcc_lo, s12, v0
	s_delay_alu instid0(VALU_DEP_2)
	v_add_co_ci_u32_e32 v1, vcc_lo, s13, v1, vcc_lo
	global_load_b128 v[12:15], v[0:1], off
.LBB282_35:                             ;   in Loop: Header=BB282_24 Depth=2
	s_and_not1_saveexec_b32 s18, s18
	s_cbranch_execz .LBB282_37
; %bb.36:                               ;   in Loop: Header=BB282_24 Depth=2
	v_add_nc_u32_e32 v0, s28, v85
	s_waitcnt vmcnt(0)
	ds_load_2addr_b32 v[12:13], v0 offset1:1
	ds_load_2addr_b32 v[14:15], v0 offset0:2 offset1:3
.LBB282_37:                             ;   in Loop: Header=BB282_24 Depth=2
	s_or_b32 exec_lo, exec_lo, s18
	v_add_nc_u32_e32 v73, s1, v63
	s_mov_b32 s18, exec_lo
                                        ; implicit-def: $vgpr7
	s_delay_alu instid0(VALU_DEP_1)
	v_cmpx_lt_u32_e32 0x7fff, v73
	s_xor_b32 s18, exec_lo, s18
	s_cbranch_execz .LBB282_39
; %bb.38:                               ;   in Loop: Header=BB282_24 Depth=2
	v_mov_b32_e32 v74, v62
	s_delay_alu instid0(VALU_DEP_1) | instskip(NEXT) | instid1(VALU_DEP_1)
	v_lshlrev_b64 v[0:1], 1, v[73:74]
	v_add_co_u32 v0, vcc_lo, s12, v0
	s_delay_alu instid0(VALU_DEP_2)
	v_add_co_ci_u32_e32 v1, vcc_lo, s13, v1, vcc_lo
	global_load_b128 v[4:7], v[0:1], off
.LBB282_39:                             ;   in Loop: Header=BB282_24 Depth=2
	s_and_not1_saveexec_b32 s18, s18
	s_cbranch_execz .LBB282_41
; %bb.40:                               ;   in Loop: Header=BB282_24 Depth=2
	v_add_nc_u32_e32 v0, s31, v85
	s_waitcnt vmcnt(0)
	ds_load_b128 v[4:7], v0
.LBB282_41:                             ;   in Loop: Header=BB282_24 Depth=2
	s_or_b32 exec_lo, exec_lo, s18
	v_add_nc_u32_e32 v71, s1, v82
	s_mov_b32 s18, exec_lo
                                        ; implicit-def: $vgpr3
	s_delay_alu instid0(VALU_DEP_1)
	v_cmpx_lt_u32_e32 0x7fff, v71
	s_xor_b32 s18, exec_lo, s18
	s_cbranch_execz .LBB282_43
; %bb.42:                               ;   in Loop: Header=BB282_24 Depth=2
	v_mov_b32_e32 v72, v62
	s_delay_alu instid0(VALU_DEP_1) | instskip(NEXT) | instid1(VALU_DEP_1)
	v_lshlrev_b64 v[0:1], 1, v[71:72]
	v_add_co_u32 v0, vcc_lo, s12, v0
	s_delay_alu instid0(VALU_DEP_2)
	v_add_co_ci_u32_e32 v1, vcc_lo, s13, v1, vcc_lo
	global_load_b128 v[0:3], v[0:1], off
.LBB282_43:                             ;   in Loop: Header=BB282_24 Depth=2
	s_and_not1_saveexec_b32 s18, s18
	s_cbranch_execz .LBB282_45
; %bb.44:                               ;   in Loop: Header=BB282_24 Depth=2
	s_waitcnt vmcnt(0)
	v_add_nc_u32_e32 v0, s6, v85
	ds_load_2addr_b64 v[0:3], v0 offset1:1
.LBB282_45:                             ;   in Loop: Header=BB282_24 Depth=2
	s_or_b32 exec_lo, exec_lo, s18
	v_cmp_gt_u32_e32 vcc_lo, s4, v69
	v_dual_mov_b32 v31, 0 :: v_dual_mov_b32 v30, 0
	v_dual_mov_b32 v29, 0 :: v_dual_mov_b32 v28, 0
	;; [unrolled: 1-line block ×10, first 2 shown]
	s_and_saveexec_b32 s18, vcc_lo
	s_cbranch_execz .LBB282_22
; %bb.46:                               ;   in Loop: Header=BB282_24 Depth=2
	s_mov_b32 s19, exec_lo
                                        ; implicit-def: $vgpr55
	v_cmpx_lt_u32_e32 0x7fff, v69
	s_xor_b32 s19, exec_lo, s19
	s_cbranch_execz .LBB282_48
; %bb.47:                               ;   in Loop: Header=BB282_24 Depth=2
	v_mov_b32_e32 v70, v62
	s_delay_alu instid0(VALU_DEP_1) | instskip(NEXT) | instid1(VALU_DEP_1)
	v_lshlrev_b64 v[28:29], 1, v[69:70]
	v_add_co_u32 v28, vcc_lo, s12, v28
	s_delay_alu instid0(VALU_DEP_2)
	v_add_co_ci_u32_e32 v29, vcc_lo, s13, v29, vcc_lo
	global_load_b128 v[52:55], v[28:29], off
.LBB282_48:                             ;   in Loop: Header=BB282_24 Depth=2
	s_and_not1_saveexec_b32 s19, s19
	s_cbranch_execz .LBB282_50
; %bb.49:                               ;   in Loop: Header=BB282_24 Depth=2
	s_waitcnt vmcnt(0)
	ds_load_b128 v[52:55], v85 offset:512
.LBB282_50:                             ;   in Loop: Header=BB282_24 Depth=2
	s_or_b32 exec_lo, exec_lo, s19
	v_add_nc_u32_e32 v61, 0x100, v61
	s_mov_b32 s19, exec_lo
                                        ; implicit-def: $vgpr51
	s_delay_alu instid0(VALU_DEP_1)
	v_cmpx_lt_u32_e32 0x7fff, v61
	s_xor_b32 s19, exec_lo, s19
	s_cbranch_execz .LBB282_52
; %bb.51:                               ;   in Loop: Header=BB282_24 Depth=2
	v_lshlrev_b64 v[28:29], 1, v[61:62]
	s_delay_alu instid0(VALU_DEP_1) | instskip(NEXT) | instid1(VALU_DEP_2)
	v_add_co_u32 v28, vcc_lo, s12, v28
	v_add_co_ci_u32_e32 v29, vcc_lo, s13, v29, vcc_lo
	global_load_b128 v[48:51], v[28:29], off
.LBB282_52:                             ;   in Loop: Header=BB282_24 Depth=2
	s_and_not1_saveexec_b32 s19, s19
	s_cbranch_execz .LBB282_54
; %bb.53:                               ;   in Loop: Header=BB282_24 Depth=2
	v_add_nc_u32_e32 v28, s25, v85
	s_waitcnt vmcnt(0)
	ds_load_b128 v[48:51], v28 offset:512
.LBB282_54:                             ;   in Loop: Header=BB282_24 Depth=2
	s_or_b32 exec_lo, exec_lo, s19
	v_add_nc_u32_e32 v61, 0x100, v75
	s_mov_b32 s19, exec_lo
                                        ; implicit-def: $vgpr47
	s_delay_alu instid0(VALU_DEP_1)
	v_cmpx_lt_u32_e32 0x7fff, v61
	s_xor_b32 s19, exec_lo, s19
	s_cbranch_execz .LBB282_56
; %bb.55:                               ;   in Loop: Header=BB282_24 Depth=2
	v_lshlrev_b64 v[28:29], 1, v[61:62]
	s_delay_alu instid0(VALU_DEP_1) | instskip(NEXT) | instid1(VALU_DEP_2)
	v_add_co_u32 v28, vcc_lo, s12, v28
	v_add_co_ci_u32_e32 v29, vcc_lo, s13, v29, vcc_lo
	global_load_b128 v[44:47], v[28:29], off
.LBB282_56:                             ;   in Loop: Header=BB282_24 Depth=2
	s_and_not1_saveexec_b32 s19, s19
	s_cbranch_execz .LBB282_58
; %bb.57:                               ;   in Loop: Header=BB282_24 Depth=2
	v_add_nc_u32_e32 v28, s28, v85
	s_waitcnt vmcnt(0)
	ds_load_2addr_b32 v[44:45], v28 offset0:128 offset1:129
	ds_load_2addr_b32 v[46:47], v28 offset0:130 offset1:131
.LBB282_58:                             ;   in Loop: Header=BB282_24 Depth=2
	s_or_b32 exec_lo, exec_lo, s19
	v_add_nc_u32_e32 v61, 0x100, v73
	s_mov_b32 s19, exec_lo
                                        ; implicit-def: $vgpr43
	s_delay_alu instid0(VALU_DEP_1)
	v_cmpx_lt_u32_e32 0x7fff, v61
	s_xor_b32 s19, exec_lo, s19
	s_cbranch_execz .LBB282_60
; %bb.59:                               ;   in Loop: Header=BB282_24 Depth=2
	v_lshlrev_b64 v[28:29], 1, v[61:62]
	s_delay_alu instid0(VALU_DEP_1) | instskip(NEXT) | instid1(VALU_DEP_2)
	v_add_co_u32 v28, vcc_lo, s12, v28
	v_add_co_ci_u32_e32 v29, vcc_lo, s13, v29, vcc_lo
	global_load_b128 v[40:43], v[28:29], off
.LBB282_60:                             ;   in Loop: Header=BB282_24 Depth=2
	s_and_not1_saveexec_b32 s19, s19
	s_cbranch_execz .LBB282_62
; %bb.61:                               ;   in Loop: Header=BB282_24 Depth=2
	v_add_nc_u32_e32 v28, s31, v85
	s_waitcnt vmcnt(0)
	ds_load_b128 v[40:43], v28 offset:512
.LBB282_62:                             ;   in Loop: Header=BB282_24 Depth=2
	s_or_b32 exec_lo, exec_lo, s19
	v_add_nc_u32_e32 v61, 0x100, v71
	s_mov_b32 s19, exec_lo
                                        ; implicit-def: $vgpr31
	s_delay_alu instid0(VALU_DEP_1)
	v_cmpx_lt_u32_e32 0x7fff, v61
	s_xor_b32 s19, exec_lo, s19
	s_cbranch_execz .LBB282_64
; %bb.63:                               ;   in Loop: Header=BB282_24 Depth=2
	v_lshlrev_b64 v[28:29], 1, v[61:62]
	s_delay_alu instid0(VALU_DEP_1) | instskip(NEXT) | instid1(VALU_DEP_2)
	v_add_co_u32 v28, vcc_lo, s12, v28
	v_add_co_ci_u32_e32 v29, vcc_lo, s13, v29, vcc_lo
	global_load_b128 v[28:31], v[28:29], off
.LBB282_64:                             ;   in Loop: Header=BB282_24 Depth=2
	s_and_not1_saveexec_b32 s19, s19
	s_cbranch_execz .LBB282_21
; %bb.65:                               ;   in Loop: Header=BB282_24 Depth=2
	s_waitcnt vmcnt(0)
	v_add_nc_u32_e32 v28, s6, v85
	ds_load_2addr_b64 v[28:31], v28 offset0:64 offset1:65
	s_branch .LBB282_21
.LBB282_66:                             ;   in Loop: Header=BB282_19 Depth=1
	s_delay_alu instid0(VALU_DEP_1)
	v_cvt_i32_f32_e32 v0, v89
	s_waitcnt lgkmcnt(3)
	v_cvt_i32_f32_e32 v1, v92
	v_cvt_i32_f32_e32 v2, v88
	s_waitcnt lgkmcnt(0)
	v_cvt_i32_f32_e32 v3, v90
	v_cvt_i32_f32_e32 v4, v86
	v_cvt_f32_i32_dpp v0, v0 row_shr:8 row_mask:0xf bank_mask:0xf bound_ctrl:1
	v_cvt_f32_i32_dpp v1, v1 row_shr:8 row_mask:0xf bank_mask:0xf bound_ctrl:1
	;; [unrolled: 1-line block ×5, first 2 shown]
	s_delay_alu instid0(VALU_DEP_4) | instskip(NEXT) | instid1(VALU_DEP_3)
	v_dual_add_f32 v0, v89, v0 :: v_dual_add_f32 v1, v92, v1
	v_dual_add_f32 v2, v88, v2 :: v_dual_add_f32 v3, v90, v3
	s_delay_alu instid0(VALU_DEP_2) | instskip(NEXT) | instid1(VALU_DEP_3)
	v_cvt_i32_f32_e32 v5, v0
	v_cvt_i32_f32_e32 v6, v1
	s_delay_alu instid0(VALU_DEP_3) | instskip(NEXT) | instid1(VALU_DEP_4)
	v_cvt_i32_f32_e32 v7, v2
	v_cvt_i32_f32_e32 v8, v3
	s_delay_alu instid0(VALU_DEP_4) | instskip(NEXT) | instid1(VALU_DEP_4)
	v_cvt_f32_i32_dpp v5, v5 row_shr:4 row_mask:0xf bank_mask:0xf bound_ctrl:1
	v_cvt_f32_i32_dpp v6, v6 row_shr:4 row_mask:0xf bank_mask:0xf bound_ctrl:1
	v_add_f32_e32 v4, v86, v4
	s_delay_alu instid0(VALU_DEP_4) | instskip(SKIP_1) | instid1(VALU_DEP_4)
	v_cvt_f32_i32_dpp v8, v8 row_shr:4 row_mask:0xf bank_mask:0xf bound_ctrl:1
	v_cvt_f32_i32_dpp v7, v7 row_shr:4 row_mask:0xf bank_mask:0xf bound_ctrl:1
	v_dual_add_f32 v0, v0, v5 :: v_dual_add_f32 v1, v1, v6
	s_delay_alu instid0(VALU_DEP_4) | instskip(NEXT) | instid1(VALU_DEP_4)
	v_cvt_i32_f32_e32 v9, v4
	v_add_f32_e32 v3, v3, v8
	s_delay_alu instid0(VALU_DEP_3) | instskip(NEXT) | instid1(VALU_DEP_4)
	v_cvt_i32_f32_e32 v5, v0
	v_cvt_i32_f32_e32 v6, v1
	s_delay_alu instid0(VALU_DEP_4) | instskip(NEXT) | instid1(VALU_DEP_4)
	v_cvt_f32_i32_dpp v9, v9 row_shr:4 row_mask:0xf bank_mask:0xf bound_ctrl:1
	v_cvt_i32_f32_e32 v8, v3
	s_delay_alu instid0(VALU_DEP_4) | instskip(NEXT) | instid1(VALU_DEP_4)
	v_cvt_f32_i32_dpp v5, v5 row_shr:2 row_mask:0xf bank_mask:0xf bound_ctrl:1
	v_cvt_f32_i32_dpp v6, v6 row_shr:2 row_mask:0xf bank_mask:0xf bound_ctrl:1
	v_add_f32_e32 v2, v2, v7
	s_delay_alu instid0(VALU_DEP_4) | instskip(NEXT) | instid1(VALU_DEP_3)
	v_cvt_f32_i32_dpp v8, v8 row_shr:2 row_mask:0xf bank_mask:0xf bound_ctrl:1
	v_dual_add_f32 v4, v4, v9 :: v_dual_add_f32 v1, v1, v6
	s_delay_alu instid0(VALU_DEP_3) | instskip(NEXT) | instid1(VALU_DEP_3)
	v_cvt_i32_f32_e32 v7, v2
	v_add_f32_e32 v3, v3, v8
	s_delay_alu instid0(VALU_DEP_3) | instskip(NEXT) | instid1(VALU_DEP_4)
	v_cvt_i32_f32_e32 v9, v4
	v_cvt_i32_f32_e32 v6, v1
	s_delay_alu instid0(VALU_DEP_4) | instskip(NEXT) | instid1(VALU_DEP_4)
	v_cvt_f32_i32_dpp v7, v7 row_shr:2 row_mask:0xf bank_mask:0xf bound_ctrl:1
	v_cvt_i32_f32_e32 v8, v3
	s_delay_alu instid0(VALU_DEP_4) | instskip(NEXT) | instid1(VALU_DEP_4)
	v_cvt_f32_i32_dpp v9, v9 row_shr:2 row_mask:0xf bank_mask:0xf bound_ctrl:1
	v_cvt_f32_i32_dpp v6, v6 row_shr:1 row_mask:0xf bank_mask:0xf bound_ctrl:1
	s_delay_alu instid0(VALU_DEP_3) | instskip(SKIP_1) | instid1(VALU_DEP_3)
	v_cvt_f32_i32_dpp v8, v8 row_shr:1 row_mask:0xf bank_mask:0xf bound_ctrl:1
	v_add_f32_e32 v0, v0, v5
	v_add_f32_e32 v20, v1, v6
	v_cvt_i32_f32_e32 v1, v87
	s_delay_alu instid0(VALU_DEP_4) | instskip(NEXT) | instid1(VALU_DEP_4)
	v_add_f32_e32 v13, v3, v8
	v_cvt_i32_f32_e32 v5, v0
	v_cvt_i32_f32_e32 v3, v83
	s_delay_alu instid0(VALU_DEP_4)
	v_cvt_f32_i32_dpp v1, v1 row_shr:8 row_mask:0xf bank_mask:0xf bound_ctrl:1
	ds_bpermute_b32 v15, v79, v13
	v_cvt_f32_i32_dpp v5, v5 row_shr:1 row_mask:0xf bank_mask:0xf bound_ctrl:1
	v_add_f32_e32 v2, v2, v7
	v_cvt_f32_i32_dpp v3, v3 row_shr:8 row_mask:0xf bank_mask:0xf bound_ctrl:1
	v_add_f32_e32 v1, v87, v1
	v_add_f32_e32 v4, v4, v9
	;; [unrolled: 1-line block ×3, first 2 shown]
	v_cvt_i32_f32_e32 v7, v2
	v_add_f32_e32 v3, v83, v3
	v_cvt_i32_f32_e32 v6, v1
	v_cvt_i32_f32_e32 v9, v4
	;; [unrolled: 1-line block ×3, first 2 shown]
	v_cvt_f32_i32_dpp v7, v7 row_shr:1 row_mask:0xf bank_mask:0xf bound_ctrl:1
	s_waitcnt vmcnt(0)
	v_cvt_i32_f32_e32 v10, v3
	v_cvt_f32_i32_dpp v6, v6 row_shr:4 row_mask:0xf bank_mask:0xf bound_ctrl:1
	v_cvt_f32_i32_dpp v9, v9 row_shr:1 row_mask:0xf bank_mask:0xf bound_ctrl:1
	;; [unrolled: 1-line block ×3, first 2 shown]
	v_add_f32_e32 v16, v2, v7
	v_cvt_f32_i32_dpp v10, v10 row_shr:4 row_mask:0xf bank_mask:0xf bound_ctrl:1
	s_delay_alu instid0(VALU_DEP_4) | instskip(SKIP_2) | instid1(VALU_DEP_4)
	v_dual_add_f32 v1, v1, v6 :: v_dual_add_f32 v8, v4, v9
	v_cvt_i32_f32_e32 v4, v59
	v_cvt_i32_f32_e32 v2, v84
	v_add_f32_e32 v3, v3, v10
	s_delay_alu instid0(VALU_DEP_4)
	v_cvt_i32_f32_e32 v6, v1
	ds_bpermute_b32 v24, v79, v23
	v_cvt_f32_i32_dpp v4, v4 row_shr:8 row_mask:0xf bank_mask:0xf bound_ctrl:1
	v_cvt_f32_i32_dpp v2, v2 row_shr:8 row_mask:0xf bank_mask:0xf bound_ctrl:1
	v_cvt_i32_f32_e32 v10, v3
	v_cvt_f32_i32_dpp v6, v6 row_shr:2 row_mask:0xf bank_mask:0xf bound_ctrl:1
	v_add_f32_e32 v0, v91, v0
	v_add_f32_e32 v4, v59, v4
	;; [unrolled: 1-line block ×3, first 2 shown]
	v_cvt_f32_i32_dpp v10, v10 row_shr:2 row_mask:0xf bank_mask:0xf bound_ctrl:1
	v_add_f32_e32 v1, v1, v6
	v_cvt_i32_f32_e32 v5, v0
	v_cvt_i32_f32_e32 v11, v4
	;; [unrolled: 1-line block ×3, first 2 shown]
	ds_bpermute_b32 v21, v79, v20
	v_cvt_i32_f32_e32 v6, v1
	v_cvt_f32_i32_dpp v5, v5 row_shr:4 row_mask:0xf bank_mask:0xf bound_ctrl:1
	v_cvt_f32_i32_dpp v11, v11 row_shr:4 row_mask:0xf bank_mask:0xf bound_ctrl:1
	v_add_f32_e32 v3, v3, v10
	v_cvt_f32_i32_dpp v7, v7 row_shr:4 row_mask:0xf bank_mask:0xf bound_ctrl:1
	v_cvt_f32_i32_dpp v6, v6 row_shr:1 row_mask:0xf bank_mask:0xf bound_ctrl:1
	v_add_f32_e32 v0, v0, v5
	v_add_f32_e32 v4, v4, v11
	v_cvt_i32_f32_e32 v10, v3
	ds_bpermute_b32 v18, v79, v16
	ds_bpermute_b32 v9, v79, v8
	v_cvt_i32_f32_e32 v5, v0
	v_cvt_i32_f32_e32 v11, v4
	v_cvt_f32_i32_dpp v10, v10 row_shr:1 row_mask:0xf bank_mask:0xf bound_ctrl:1
	v_add_f32_e32 v6, v1, v6
	s_delay_alu instid0(VALU_DEP_4) | instskip(NEXT) | instid1(VALU_DEP_4)
	v_cvt_f32_i32_dpp v5, v5 row_shr:2 row_mask:0xf bank_mask:0xf bound_ctrl:1
	v_cvt_f32_i32_dpp v11, v11 row_shr:2 row_mask:0xf bank_mask:0xf bound_ctrl:1
	s_delay_alu instid0(VALU_DEP_2) | instskip(NEXT) | instid1(VALU_DEP_2)
	v_add_f32_e32 v0, v0, v5
	v_add_f32_e32 v5, v4, v11
	s_delay_alu instid0(VALU_DEP_2) | instskip(NEXT) | instid1(VALU_DEP_2)
	v_cvt_i32_f32_e32 v4, v0
	v_cvt_i32_f32_e32 v11, v5
	s_delay_alu instid0(VALU_DEP_2) | instskip(SKIP_1) | instid1(VALU_DEP_3)
	v_cvt_f32_i32_dpp v4, v4 row_shr:1 row_mask:0xf bank_mask:0xf bound_ctrl:1
	v_add_f32_e32 v2, v2, v7
	v_cvt_f32_i32_dpp v12, v11 row_shr:1 row_mask:0xf bank_mask:0xf bound_ctrl:1
	s_delay_alu instid0(VALU_DEP_3) | instskip(NEXT) | instid1(VALU_DEP_3)
	v_add_f32_e32 v11, v0, v4
	v_cvt_i32_f32_e32 v7, v2
	s_delay_alu instid0(VALU_DEP_3) | instskip(SKIP_4) | instid1(VALU_DEP_1)
	v_add_f32_e32 v0, v5, v12
	ds_bpermute_b32 v12, v79, v11
	v_cvt_f32_i32_dpp v7, v7 row_shr:2 row_mask:0xf bank_mask:0xf bound_ctrl:1
	ds_bpermute_b32 v1, v79, v0
	v_add_f32_e32 v2, v2, v7
	v_cvt_i32_f32_e32 v7, v2
	s_delay_alu instid0(VALU_DEP_1) | instskip(NEXT) | instid1(VALU_DEP_1)
	v_cvt_f32_i32_dpp v7, v7 row_shr:1 row_mask:0xf bank_mask:0xf bound_ctrl:1
	v_add_f32_e32 v4, v2, v7
	v_add_f32_e32 v2, v3, v10
	ds_bpermute_b32 v7, v79, v6
	ds_bpermute_b32 v5, v79, v4
	;; [unrolled: 1-line block ×3, first 2 shown]
	s_and_saveexec_b32 s18, s0
	s_cbranch_execz .LBB282_129
; %bb.67:                               ;   in Loop: Header=BB282_19 Depth=1
	v_dual_mov_b32 v29, 0 :: v_dual_mov_b32 v28, 0
	v_dual_mov_b32 v27, 0 :: v_dual_mov_b32 v26, 0
	;; [unrolled: 1-line block ×5, first 2 shown]
	s_and_not1_b32 vcc_lo, exec_lo, s22
	s_cbranch_vccnz .LBB282_69
; %bb.68:                               ;   in Loop: Header=BB282_19 Depth=1
	v_mul_hi_u32 v10, v58, v81
	v_mul_hi_u32 v14, v64, v81
	s_delay_alu instid0(VALU_DEP_2) | instskip(NEXT) | instid1(VALU_DEP_2)
	v_mul_lo_u32 v10, v10, s16
	v_mul_lo_u32 v14, v14, s16
	s_delay_alu instid0(VALU_DEP_2) | instskip(NEXT) | instid1(VALU_DEP_2)
	v_sub_nc_u32_e32 v10, v58, v10
	v_sub_nc_u32_e32 v14, v64, v14
	s_delay_alu instid0(VALU_DEP_2) | instskip(SKIP_1) | instid1(VALU_DEP_3)
	v_subrev_nc_u32_e32 v17, s16, v10
	v_cmp_le_u32_e32 vcc_lo, s16, v10
	v_subrev_nc_u32_e32 v19, s16, v14
	s_delay_alu instid0(VALU_DEP_3) | instskip(SKIP_1) | instid1(VALU_DEP_2)
	v_cndmask_b32_e32 v10, v10, v17, vcc_lo
	v_cmp_le_u32_e32 vcc_lo, s16, v14
	v_subrev_nc_u32_e32 v17, s16, v10
	s_delay_alu instid0(VALU_DEP_4) | instskip(SKIP_1) | instid1(VALU_DEP_2)
	v_cndmask_b32_e32 v14, v14, v19, vcc_lo
	v_cmp_le_u32_e32 vcc_lo, s16, v10
	v_subrev_nc_u32_e32 v19, s16, v14
	s_delay_alu instid0(VALU_DEP_4) | instskip(SKIP_2) | instid1(VALU_DEP_3)
	v_cndmask_b32_e32 v61, v10, v17, vcc_lo
	v_cmp_le_u32_e32 vcc_lo, s16, v14
	v_mov_b32_e32 v27, v62
	v_dual_mov_b32 v33, v62 :: v_dual_add_nc_u32 v34, s29, v61
	v_dual_cndmask_b32 v25, v14, v19 :: v_dual_add_nc_u32 v30, s27, v61
	v_mov_b32_e32 v26, v62
	v_lshlrev_b64 v[36:37], 1, v[61:62]
	s_delay_alu instid0(VALU_DEP_3) | instskip(SKIP_1) | instid1(VALU_DEP_4)
	v_dual_mov_b32 v29, v62 :: v_dual_add_nc_u32 v28, s26, v25
	v_dual_mov_b32 v31, v62 :: v_dual_add_nc_u32 v32, s27, v25
	v_lshlrev_b64 v[38:39], 1, v[25:26]
	v_add_nc_u32_e32 v26, s26, v61
	v_add_co_u32 v36, vcc_lo, s8, v36
	v_add_co_ci_u32_e32 v37, vcc_lo, s9, v37, vcc_lo
	s_delay_alu instid0(VALU_DEP_3)
	v_lshlrev_b64 v[26:27], 1, v[26:27]
	v_lshlrev_b64 v[28:29], 1, v[28:29]
	v_add_co_u32 v38, vcc_lo, s8, v38
	v_add_co_ci_u32_e32 v39, vcc_lo, s9, v39, vcc_lo
	v_lshlrev_b64 v[30:31], 1, v[30:31]
	v_add_co_u32 v26, vcc_lo, s8, v26
	v_mov_b32_e32 v35, v62
	v_add_co_ci_u32_e32 v27, vcc_lo, s9, v27, vcc_lo
	v_lshlrev_b64 v[32:33], 1, v[32:33]
	v_add_co_u32 v40, vcc_lo, s8, v28
	v_add_co_ci_u32_e32 v41, vcc_lo, s9, v29, vcc_lo
	v_add_co_u32 v30, vcc_lo, s8, v30
	v_lshlrev_b64 v[28:29], 1, v[34:35]
	v_add_nc_u32_e32 v34, s29, v25
	v_add_co_ci_u32_e32 v31, vcc_lo, s9, v31, vcc_lo
	v_add_co_u32 v32, vcc_lo, s8, v32
	v_add_nc_u32_e32 v61, s30, v61
	v_add_co_ci_u32_e32 v33, vcc_lo, s9, v33, vcc_lo
	v_add_co_u32 v42, vcc_lo, s8, v28
	v_lshlrev_b64 v[34:35], 1, v[34:35]
	v_add_co_ci_u32_e32 v43, vcc_lo, s9, v29, vcc_lo
	v_lshlrev_b64 v[28:29], 1, v[61:62]
	v_add_nc_u32_e32 v61, s30, v25
	s_delay_alu instid0(VALU_DEP_4) | instskip(SKIP_1) | instid1(VALU_DEP_3)
	v_add_co_u32 v34, vcc_lo, s8, v34
	v_add_co_ci_u32_e32 v35, vcc_lo, s9, v35, vcc_lo
	v_lshlrev_b64 v[44:45], 1, v[61:62]
	v_add_co_u32 v46, vcc_lo, s8, v28
	v_add_co_ci_u32_e32 v47, vcc_lo, s9, v29, vcc_lo
	s_delay_alu instid0(VALU_DEP_3) | instskip(NEXT) | instid1(VALU_DEP_4)
	v_add_co_u32 v44, vcc_lo, s8, v44
	v_add_co_ci_u32_e32 v45, vcc_lo, s9, v45, vcc_lo
	s_clause 0x9
	global_load_u16 v29, v[36:37], off
	global_load_u16 v28, v[38:39], off
	;; [unrolled: 1-line block ×10, first 2 shown]
.LBB282_69:                             ;   in Loop: Header=BB282_19 Depth=1
	v_cmp_ne_u32_e32 vcc_lo, 0, v56
	s_and_saveexec_b32 s2, vcc_lo
	s_cbranch_execnz .LBB282_79
; %bb.70:                               ;   in Loop: Header=BB282_19 Depth=1
	s_or_b32 exec_lo, exec_lo, s2
	v_cmp_ne_u32_e64 s1, 0, v57
	s_delay_alu instid0(VALU_DEP_1)
	s_and_saveexec_b32 s19, s1
	s_cbranch_execnz .LBB282_84
.LBB282_71:                             ;   in Loop: Header=BB282_19 Depth=1
	s_or_b32 exec_lo, exec_lo, s19
	v_add_nc_u32_e32 v61, s7, v58
	s_and_saveexec_b32 s19, vcc_lo
	s_cbranch_execnz .LBB282_89
.LBB282_72:                             ;   in Loop: Header=BB282_19 Depth=1
	s_or_b32 exec_lo, exec_lo, s19
	s_and_saveexec_b32 s19, s1
	s_cbranch_execnz .LBB282_94
.LBB282_73:                             ;   in Loop: Header=BB282_19 Depth=1
	s_or_b32 exec_lo, exec_lo, s19
	v_add_nc_u32_e32 v61, s7, v61
	s_and_saveexec_b32 s19, vcc_lo
	s_cbranch_execnz .LBB282_99
.LBB282_74:                             ;   in Loop: Header=BB282_19 Depth=1
	s_or_b32 exec_lo, exec_lo, s19
	s_and_saveexec_b32 s19, s1
	s_cbranch_execnz .LBB282_104
.LBB282_75:                             ;   in Loop: Header=BB282_19 Depth=1
	s_or_b32 exec_lo, exec_lo, s19
	v_add_nc_u32_e32 v61, s7, v61
	s_and_saveexec_b32 s19, vcc_lo
	s_cbranch_execnz .LBB282_109
.LBB282_76:                             ;   in Loop: Header=BB282_19 Depth=1
	s_or_b32 exec_lo, exec_lo, s19
	s_and_saveexec_b32 s19, s1
	s_cbranch_execnz .LBB282_114
.LBB282_77:                             ;   in Loop: Header=BB282_19 Depth=1
	s_or_b32 exec_lo, exec_lo, s19
	v_add_nc_u32_e32 v61, s7, v61
	s_and_saveexec_b32 s2, vcc_lo
	s_cbranch_execnz .LBB282_119
.LBB282_78:                             ;   in Loop: Header=BB282_19 Depth=1
	s_or_b32 exec_lo, exec_lo, s2
	s_delay_alu instid0(SALU_CYCLE_1)
	s_and_b32 exec_lo, exec_lo, s1
	s_cbranch_execnz .LBB282_124
	s_branch .LBB282_129
.LBB282_79:                             ;   in Loop: Header=BB282_19 Depth=1
	s_waitcnt vmcnt(9) lgkmcnt(8)
	v_dual_add_f32 v23, v23, v24 :: v_dual_lshlrev_b32 v24, 16, v29
	s_delay_alu instid0(VALU_DEP_1) | instskip(NEXT) | instid1(VALU_DEP_1)
	v_add_f32_e32 v24, v23, v24
	v_and_b32_e32 v23, 0x7f800000, v24
	s_delay_alu instid0(VALU_DEP_1) | instskip(NEXT) | instid1(VALU_DEP_1)
	v_cmp_ne_u32_e64 s1, 0x7f800000, v23
                                        ; implicit-def: $vgpr23
	s_and_saveexec_b32 s19, s1
	s_delay_alu instid0(SALU_CYCLE_1)
	s_xor_b32 s1, exec_lo, s19
; %bb.80:                               ;   in Loop: Header=BB282_19 Depth=1
	v_bfe_u32 v23, v24, 16, 1
	s_delay_alu instid0(VALU_DEP_1)
	v_add3_u32 v23, v24, v23, 0x7fff
                                        ; implicit-def: $vgpr24
; %bb.81:                               ;   in Loop: Header=BB282_19 Depth=1
	s_and_not1_saveexec_b32 s19, s1
; %bb.82:                               ;   in Loop: Header=BB282_19 Depth=1
	v_and_b32_e32 v23, 0xffff, v24
	v_or_b32_e32 v29, 0x10000, v24
	s_delay_alu instid0(VALU_DEP_2) | instskip(NEXT) | instid1(VALU_DEP_1)
	v_cmp_eq_u32_e64 s1, 0, v23
	v_cndmask_b32_e64 v23, v29, v24, s1
; %bb.83:                               ;   in Loop: Header=BB282_19 Depth=1
	s_or_b32 exec_lo, exec_lo, s19
	v_mov_b32_e32 v59, v62
	s_delay_alu instid0(VALU_DEP_1) | instskip(NEXT) | instid1(VALU_DEP_1)
	v_lshlrev_b64 v[29:30], 1, v[58:59]
	v_add_co_u32 v29, s1, s10, v29
	s_delay_alu instid0(VALU_DEP_1) | instskip(SKIP_3) | instid1(VALU_DEP_1)
	v_add_co_ci_u32_e64 v30, s1, s11, v30, s1
	global_store_d16_hi_b16 v[29:30], v23, off
	s_or_b32 exec_lo, exec_lo, s2
	v_cmp_ne_u32_e64 s1, 0, v57
	s_and_saveexec_b32 s19, s1
	s_cbranch_execz .LBB282_71
.LBB282_84:                             ;   in Loop: Header=BB282_19 Depth=1
	s_waitcnt vmcnt(8) lgkmcnt(7)
	v_dual_add_f32 v20, v20, v21 :: v_dual_lshlrev_b32 v21, 16, v28
	s_delay_alu instid0(VALU_DEP_1) | instskip(NEXT) | instid1(VALU_DEP_1)
	v_add_f32_e32 v21, v20, v21
	v_and_b32_e32 v20, 0x7f800000, v21
	s_delay_alu instid0(VALU_DEP_1) | instskip(NEXT) | instid1(VALU_DEP_1)
	v_cmp_ne_u32_e64 s2, 0x7f800000, v20
                                        ; implicit-def: $vgpr20
	s_and_saveexec_b32 s33, s2
	s_delay_alu instid0(SALU_CYCLE_1)
	s_xor_b32 s2, exec_lo, s33
; %bb.85:                               ;   in Loop: Header=BB282_19 Depth=1
	v_bfe_u32 v20, v21, 16, 1
	s_delay_alu instid0(VALU_DEP_1)
	v_add3_u32 v20, v21, v20, 0x7fff
                                        ; implicit-def: $vgpr21
; %bb.86:                               ;   in Loop: Header=BB282_19 Depth=1
	s_and_not1_saveexec_b32 s33, s2
; %bb.87:                               ;   in Loop: Header=BB282_19 Depth=1
	v_and_b32_e32 v20, 0xffff, v21
	v_or_b32_e32 v23, 0x10000, v21
	s_delay_alu instid0(VALU_DEP_2) | instskip(NEXT) | instid1(VALU_DEP_1)
	v_cmp_eq_u32_e64 s2, 0, v20
	v_cndmask_b32_e64 v20, v23, v21, s2
; %bb.88:                               ;   in Loop: Header=BB282_19 Depth=1
	s_or_b32 exec_lo, exec_lo, s33
	v_mov_b32_e32 v65, v62
	s_delay_alu instid0(VALU_DEP_1) | instskip(NEXT) | instid1(VALU_DEP_1)
	v_lshlrev_b64 v[23:24], 1, v[64:65]
	v_add_co_u32 v23, s2, s10, v23
	s_delay_alu instid0(VALU_DEP_1)
	v_add_co_ci_u32_e64 v24, s2, s11, v24, s2
	global_store_d16_hi_b16 v[23:24], v20, off
	s_or_b32 exec_lo, exec_lo, s19
	v_add_nc_u32_e32 v61, s7, v58
	s_and_saveexec_b32 s19, vcc_lo
	s_cbranch_execz .LBB282_72
.LBB282_89:                             ;   in Loop: Header=BB282_19 Depth=1
	s_waitcnt lgkmcnt(6)
	v_add_f32_e32 v16, v16, v18
	s_waitcnt vmcnt(7)
	v_lshlrev_b32_e32 v18, 16, v27
	s_delay_alu instid0(VALU_DEP_1) | instskip(NEXT) | instid1(VALU_DEP_1)
	v_add_f32_e32 v18, v16, v18
	v_and_b32_e32 v16, 0x7f800000, v18
	s_delay_alu instid0(VALU_DEP_1) | instskip(NEXT) | instid1(VALU_DEP_1)
	v_cmp_ne_u32_e64 s2, 0x7f800000, v16
                                        ; implicit-def: $vgpr16
	s_and_saveexec_b32 s33, s2
	s_delay_alu instid0(SALU_CYCLE_1)
	s_xor_b32 s2, exec_lo, s33
; %bb.90:                               ;   in Loop: Header=BB282_19 Depth=1
	v_bfe_u32 v16, v18, 16, 1
	s_delay_alu instid0(VALU_DEP_1)
	v_add3_u32 v16, v18, v16, 0x7fff
                                        ; implicit-def: $vgpr18
; %bb.91:                               ;   in Loop: Header=BB282_19 Depth=1
	s_and_not1_saveexec_b32 s33, s2
; %bb.92:                               ;   in Loop: Header=BB282_19 Depth=1
	v_and_b32_e32 v16, 0xffff, v18
	v_or_b32_e32 v20, 0x10000, v18
	s_delay_alu instid0(VALU_DEP_2) | instskip(NEXT) | instid1(VALU_DEP_1)
	v_cmp_eq_u32_e64 s2, 0, v16
	v_cndmask_b32_e64 v16, v20, v18, s2
; %bb.93:                               ;   in Loop: Header=BB282_19 Depth=1
	s_or_b32 exec_lo, exec_lo, s33
	v_lshlrev_b64 v[20:21], 1, v[61:62]
	s_delay_alu instid0(VALU_DEP_1) | instskip(NEXT) | instid1(VALU_DEP_1)
	v_add_co_u32 v20, s2, s10, v20
	v_add_co_ci_u32_e64 v21, s2, s11, v21, s2
	global_store_d16_hi_b16 v[20:21], v16, off
	s_or_b32 exec_lo, exec_lo, s19
	s_and_saveexec_b32 s19, s1
	s_cbranch_execz .LBB282_73
.LBB282_94:                             ;   in Loop: Header=BB282_19 Depth=1
	s_waitcnt lgkmcnt(9)
	v_add_f32_e32 v13, v13, v15
	s_waitcnt vmcnt(6)
	v_lshlrev_b32_e32 v15, 16, v26
	s_delay_alu instid0(VALU_DEP_1) | instskip(NEXT) | instid1(VALU_DEP_1)
	v_add_f32_e32 v15, v13, v15
	v_and_b32_e32 v13, 0x7f800000, v15
	s_delay_alu instid0(VALU_DEP_1) | instskip(NEXT) | instid1(VALU_DEP_1)
	v_cmp_ne_u32_e64 s2, 0x7f800000, v13
                                        ; implicit-def: $vgpr13
	s_and_saveexec_b32 s33, s2
	s_delay_alu instid0(SALU_CYCLE_1)
	s_xor_b32 s2, exec_lo, s33
; %bb.95:                               ;   in Loop: Header=BB282_19 Depth=1
	v_bfe_u32 v13, v15, 16, 1
	s_delay_alu instid0(VALU_DEP_1)
	v_add3_u32 v13, v15, v13, 0x7fff
                                        ; implicit-def: $vgpr15
; %bb.96:                               ;   in Loop: Header=BB282_19 Depth=1
	s_and_not1_saveexec_b32 s33, s2
; %bb.97:                               ;   in Loop: Header=BB282_19 Depth=1
	v_and_b32_e32 v13, 0xffff, v15
	v_or_b32_e32 v16, 0x10000, v15
	s_delay_alu instid0(VALU_DEP_2) | instskip(NEXT) | instid1(VALU_DEP_1)
	v_cmp_eq_u32_e64 s2, 0, v13
	v_cndmask_b32_e64 v13, v16, v15, s2
; %bb.98:                               ;   in Loop: Header=BB282_19 Depth=1
	s_or_b32 exec_lo, exec_lo, s33
	v_dual_mov_b32 v16, v62 :: v_dual_add_nc_u32 v15, 1, v61
	s_delay_alu instid0(VALU_DEP_1) | instskip(NEXT) | instid1(VALU_DEP_1)
	v_lshlrev_b64 v[15:16], 1, v[15:16]
	v_add_co_u32 v15, s2, s10, v15
	s_delay_alu instid0(VALU_DEP_1)
	v_add_co_ci_u32_e64 v16, s2, s11, v16, s2
	global_store_d16_hi_b16 v[15:16], v13, off
	s_or_b32 exec_lo, exec_lo, s19
	v_add_nc_u32_e32 v61, s7, v61
	s_and_saveexec_b32 s19, vcc_lo
	s_cbranch_execz .LBB282_74
.LBB282_99:                             ;   in Loop: Header=BB282_19 Depth=1
	s_waitcnt lgkmcnt(5)
	v_add_f32_e32 v8, v8, v9
	s_waitcnt vmcnt(5)
	v_lshlrev_b32_e32 v9, 16, v25
	s_delay_alu instid0(VALU_DEP_1) | instskip(NEXT) | instid1(VALU_DEP_1)
	v_add_f32_e32 v9, v8, v9
	v_and_b32_e32 v8, 0x7f800000, v9
	s_delay_alu instid0(VALU_DEP_1) | instskip(NEXT) | instid1(VALU_DEP_1)
	v_cmp_ne_u32_e64 s2, 0x7f800000, v8
                                        ; implicit-def: $vgpr8
	s_and_saveexec_b32 s33, s2
	s_delay_alu instid0(SALU_CYCLE_1)
	s_xor_b32 s2, exec_lo, s33
; %bb.100:                              ;   in Loop: Header=BB282_19 Depth=1
	v_bfe_u32 v8, v9, 16, 1
	s_delay_alu instid0(VALU_DEP_1)
	v_add3_u32 v8, v9, v8, 0x7fff
                                        ; implicit-def: $vgpr9
; %bb.101:                              ;   in Loop: Header=BB282_19 Depth=1
	s_and_not1_saveexec_b32 s33, s2
; %bb.102:                              ;   in Loop: Header=BB282_19 Depth=1
	v_and_b32_e32 v8, 0xffff, v9
	v_or_b32_e32 v13, 0x10000, v9
	s_delay_alu instid0(VALU_DEP_2) | instskip(NEXT) | instid1(VALU_DEP_1)
	v_cmp_eq_u32_e64 s2, 0, v8
	v_cndmask_b32_e64 v8, v13, v9, s2
; %bb.103:                              ;   in Loop: Header=BB282_19 Depth=1
	s_or_b32 exec_lo, exec_lo, s33
	v_lshlrev_b64 v[15:16], 1, v[61:62]
	s_delay_alu instid0(VALU_DEP_1) | instskip(NEXT) | instid1(VALU_DEP_1)
	v_add_co_u32 v15, s2, s10, v15
	v_add_co_ci_u32_e64 v16, s2, s11, v16, s2
	global_store_d16_hi_b16 v[15:16], v8, off
	s_or_b32 exec_lo, exec_lo, s19
	s_and_saveexec_b32 s19, s1
	s_cbranch_execz .LBB282_75
.LBB282_104:                            ;   in Loop: Header=BB282_19 Depth=1
	s_waitcnt vmcnt(4) lgkmcnt(4)
	v_dual_add_f32 v8, v11, v12 :: v_dual_lshlrev_b32 v9, 16, v22
	s_delay_alu instid0(VALU_DEP_1) | instskip(NEXT) | instid1(VALU_DEP_1)
	v_add_f32_e32 v9, v8, v9
	v_and_b32_e32 v8, 0x7f800000, v9
	s_delay_alu instid0(VALU_DEP_1) | instskip(NEXT) | instid1(VALU_DEP_1)
	v_cmp_ne_u32_e64 s2, 0x7f800000, v8
                                        ; implicit-def: $vgpr8
	s_and_saveexec_b32 s33, s2
	s_delay_alu instid0(SALU_CYCLE_1)
	s_xor_b32 s2, exec_lo, s33
; %bb.105:                              ;   in Loop: Header=BB282_19 Depth=1
	v_bfe_u32 v8, v9, 16, 1
	s_delay_alu instid0(VALU_DEP_1)
	v_add3_u32 v8, v9, v8, 0x7fff
                                        ; implicit-def: $vgpr9
; %bb.106:                              ;   in Loop: Header=BB282_19 Depth=1
	s_and_not1_saveexec_b32 s33, s2
; %bb.107:                              ;   in Loop: Header=BB282_19 Depth=1
	v_and_b32_e32 v8, 0xffff, v9
	v_or_b32_e32 v11, 0x10000, v9
	s_delay_alu instid0(VALU_DEP_2) | instskip(NEXT) | instid1(VALU_DEP_1)
	v_cmp_eq_u32_e64 s2, 0, v8
	v_cndmask_b32_e64 v8, v11, v9, s2
; %bb.108:                              ;   in Loop: Header=BB282_19 Depth=1
	s_or_b32 exec_lo, exec_lo, s33
	v_dual_mov_b32 v12, v62 :: v_dual_add_nc_u32 v11, 1, v61
	s_delay_alu instid0(VALU_DEP_1) | instskip(NEXT) | instid1(VALU_DEP_1)
	v_lshlrev_b64 v[11:12], 1, v[11:12]
	v_add_co_u32 v11, s2, s10, v11
	s_delay_alu instid0(VALU_DEP_1)
	v_add_co_ci_u32_e64 v12, s2, s11, v12, s2
	global_store_d16_hi_b16 v[11:12], v8, off
	s_or_b32 exec_lo, exec_lo, s19
	v_add_nc_u32_e32 v61, s7, v61
	s_and_saveexec_b32 s19, vcc_lo
	s_cbranch_execz .LBB282_76
.LBB282_109:                            ;   in Loop: Header=BB282_19 Depth=1
	s_waitcnt lgkmcnt(2)
	v_add_f32_e32 v6, v6, v7
	s_waitcnt vmcnt(3)
	v_lshlrev_b32_e32 v7, 16, v19
	s_delay_alu instid0(VALU_DEP_1) | instskip(NEXT) | instid1(VALU_DEP_1)
	v_add_f32_e32 v7, v6, v7
	v_and_b32_e32 v6, 0x7f800000, v7
	s_delay_alu instid0(VALU_DEP_1) | instskip(NEXT) | instid1(VALU_DEP_1)
	v_cmp_ne_u32_e64 s2, 0x7f800000, v6
                                        ; implicit-def: $vgpr6
	s_and_saveexec_b32 s33, s2
	s_delay_alu instid0(SALU_CYCLE_1)
	s_xor_b32 s2, exec_lo, s33
; %bb.110:                              ;   in Loop: Header=BB282_19 Depth=1
	v_bfe_u32 v6, v7, 16, 1
	s_delay_alu instid0(VALU_DEP_1)
	v_add3_u32 v6, v7, v6, 0x7fff
                                        ; implicit-def: $vgpr7
; %bb.111:                              ;   in Loop: Header=BB282_19 Depth=1
	s_and_not1_saveexec_b32 s33, s2
; %bb.112:                              ;   in Loop: Header=BB282_19 Depth=1
	v_and_b32_e32 v6, 0xffff, v7
	v_or_b32_e32 v8, 0x10000, v7
	s_delay_alu instid0(VALU_DEP_2) | instskip(NEXT) | instid1(VALU_DEP_1)
	v_cmp_eq_u32_e64 s2, 0, v6
	v_cndmask_b32_e64 v6, v8, v7, s2
; %bb.113:                              ;   in Loop: Header=BB282_19 Depth=1
	s_or_b32 exec_lo, exec_lo, s33
	v_lshlrev_b64 v[7:8], 1, v[61:62]
	s_delay_alu instid0(VALU_DEP_1) | instskip(NEXT) | instid1(VALU_DEP_1)
	v_add_co_u32 v7, s2, s10, v7
	v_add_co_ci_u32_e64 v8, s2, s11, v8, s2
	global_store_d16_hi_b16 v[7:8], v6, off
	s_or_b32 exec_lo, exec_lo, s19
	s_and_saveexec_b32 s19, s1
	s_cbranch_execz .LBB282_77
.LBB282_114:                            ;   in Loop: Header=BB282_19 Depth=1
	s_waitcnt lgkmcnt(1)
	v_add_f32_e32 v4, v4, v5
	s_waitcnt vmcnt(2)
	v_lshlrev_b32_e32 v5, 16, v17
	s_delay_alu instid0(VALU_DEP_1) | instskip(NEXT) | instid1(VALU_DEP_1)
	v_add_f32_e32 v5, v4, v5
	v_and_b32_e32 v4, 0x7f800000, v5
	s_delay_alu instid0(VALU_DEP_1) | instskip(NEXT) | instid1(VALU_DEP_1)
	v_cmp_ne_u32_e64 s2, 0x7f800000, v4
                                        ; implicit-def: $vgpr4
	s_and_saveexec_b32 s33, s2
	s_delay_alu instid0(SALU_CYCLE_1)
	s_xor_b32 s2, exec_lo, s33
; %bb.115:                              ;   in Loop: Header=BB282_19 Depth=1
	v_bfe_u32 v4, v5, 16, 1
	s_delay_alu instid0(VALU_DEP_1)
	v_add3_u32 v4, v5, v4, 0x7fff
                                        ; implicit-def: $vgpr5
; %bb.116:                              ;   in Loop: Header=BB282_19 Depth=1
	s_and_not1_saveexec_b32 s33, s2
; %bb.117:                              ;   in Loop: Header=BB282_19 Depth=1
	v_and_b32_e32 v4, 0xffff, v5
	v_or_b32_e32 v6, 0x10000, v5
	s_delay_alu instid0(VALU_DEP_2) | instskip(NEXT) | instid1(VALU_DEP_1)
	v_cmp_eq_u32_e64 s2, 0, v4
	v_cndmask_b32_e64 v4, v6, v5, s2
; %bb.118:                              ;   in Loop: Header=BB282_19 Depth=1
	s_or_b32 exec_lo, exec_lo, s33
	v_dual_mov_b32 v6, v62 :: v_dual_add_nc_u32 v5, 1, v61
	s_delay_alu instid0(VALU_DEP_1) | instskip(NEXT) | instid1(VALU_DEP_1)
	v_lshlrev_b64 v[5:6], 1, v[5:6]
	v_add_co_u32 v5, s2, s10, v5
	s_delay_alu instid0(VALU_DEP_1)
	v_add_co_ci_u32_e64 v6, s2, s11, v6, s2
	global_store_d16_hi_b16 v[5:6], v4, off
	s_or_b32 exec_lo, exec_lo, s19
	v_add_nc_u32_e32 v61, s7, v61
	s_and_saveexec_b32 s2, vcc_lo
	s_cbranch_execz .LBB282_78
.LBB282_119:                            ;   in Loop: Header=BB282_19 Depth=1
	s_waitcnt vmcnt(1) lgkmcnt(0)
	v_dual_add_f32 v2, v2, v3 :: v_dual_lshlrev_b32 v3, 16, v14
	s_delay_alu instid0(VALU_DEP_1) | instskip(NEXT) | instid1(VALU_DEP_1)
	v_add_f32_e32 v3, v2, v3
	v_and_b32_e32 v2, 0x7f800000, v3
	s_delay_alu instid0(VALU_DEP_1) | instskip(SKIP_1) | instid1(SALU_CYCLE_1)
	v_cmp_ne_u32_e32 vcc_lo, 0x7f800000, v2
                                        ; implicit-def: $vgpr2
	s_and_saveexec_b32 s19, vcc_lo
	s_xor_b32 s19, exec_lo, s19
; %bb.120:                              ;   in Loop: Header=BB282_19 Depth=1
	v_bfe_u32 v2, v3, 16, 1
	s_delay_alu instid0(VALU_DEP_1)
	v_add3_u32 v2, v3, v2, 0x7fff
                                        ; implicit-def: $vgpr3
; %bb.121:                              ;   in Loop: Header=BB282_19 Depth=1
	s_and_not1_saveexec_b32 s19, s19
; %bb.122:                              ;   in Loop: Header=BB282_19 Depth=1
	v_and_b32_e32 v2, 0xffff, v3
	v_or_b32_e32 v4, 0x10000, v3
	s_delay_alu instid0(VALU_DEP_2) | instskip(NEXT) | instid1(VALU_DEP_2)
	v_cmp_eq_u32_e32 vcc_lo, 0, v2
	v_cndmask_b32_e32 v2, v4, v3, vcc_lo
; %bb.123:                              ;   in Loop: Header=BB282_19 Depth=1
	s_or_b32 exec_lo, exec_lo, s19
	v_lshlrev_b64 v[3:4], 1, v[61:62]
	s_delay_alu instid0(VALU_DEP_1) | instskip(NEXT) | instid1(VALU_DEP_2)
	v_add_co_u32 v3, vcc_lo, s10, v3
	v_add_co_ci_u32_e32 v4, vcc_lo, s11, v4, vcc_lo
	global_store_d16_hi_b16 v[3:4], v2, off
	s_or_b32 exec_lo, exec_lo, s2
	s_delay_alu instid0(SALU_CYCLE_1)
	s_and_b32 exec_lo, exec_lo, s1
	s_cbranch_execz .LBB282_129
.LBB282_124:                            ;   in Loop: Header=BB282_19 Depth=1
	s_waitcnt vmcnt(0) lgkmcnt(3)
	v_dual_add_f32 v0, v0, v1 :: v_dual_lshlrev_b32 v1, 16, v10
	s_delay_alu instid0(VALU_DEP_1) | instskip(NEXT) | instid1(VALU_DEP_1)
	v_add_f32_e32 v1, v0, v1
	v_and_b32_e32 v0, 0x7f800000, v1
	s_delay_alu instid0(VALU_DEP_1) | instskip(SKIP_1) | instid1(SALU_CYCLE_1)
	v_cmp_ne_u32_e32 vcc_lo, 0x7f800000, v0
                                        ; implicit-def: $vgpr0
	s_and_saveexec_b32 s1, vcc_lo
	s_xor_b32 s1, exec_lo, s1
; %bb.125:                              ;   in Loop: Header=BB282_19 Depth=1
	v_bfe_u32 v0, v1, 16, 1
	s_delay_alu instid0(VALU_DEP_1)
	v_add3_u32 v0, v1, v0, 0x7fff
                                        ; implicit-def: $vgpr1
; %bb.126:                              ;   in Loop: Header=BB282_19 Depth=1
	s_and_not1_saveexec_b32 s1, s1
; %bb.127:                              ;   in Loop: Header=BB282_19 Depth=1
	v_and_b32_e32 v0, 0xffff, v1
	v_or_b32_e32 v2, 0x10000, v1
	s_delay_alu instid0(VALU_DEP_2) | instskip(NEXT) | instid1(VALU_DEP_2)
	v_cmp_eq_u32_e32 vcc_lo, 0, v0
	v_cndmask_b32_e32 v0, v2, v1, vcc_lo
; %bb.128:                              ;   in Loop: Header=BB282_19 Depth=1
	s_or_b32 exec_lo, exec_lo, s1
	v_add_nc_u32_e32 v61, 1, v61
	s_delay_alu instid0(VALU_DEP_1) | instskip(NEXT) | instid1(VALU_DEP_1)
	v_lshlrev_b64 v[1:2], 1, v[61:62]
	v_add_co_u32 v1, vcc_lo, s10, v1
	s_delay_alu instid0(VALU_DEP_2)
	v_add_co_ci_u32_e32 v2, vcc_lo, s11, v2, vcc_lo
	global_store_d16_hi_b16 v[1:2], v0, off
.LBB282_129:                            ;   in Loop: Header=BB282_19 Depth=1
	s_or_b32 exec_lo, exec_lo, s18
	v_add_nc_u32_e32 v58, s23, v58
	s_delay_alu instid0(VALU_DEP_1) | instskip(SKIP_1) | instid1(VALU_DEP_2)
	v_add_nc_u32_e32 v0, 2, v58
	v_cmp_gt_u32_e32 vcc_lo, s7, v58
	v_cmp_le_u32_e64 s1, s7, v0
	s_delay_alu instid0(VALU_DEP_1) | instskip(NEXT) | instid1(SALU_CYCLE_1)
	s_and_b32 s1, vcc_lo, s1
	s_and_saveexec_b32 s33, s1
	s_cbranch_execz .LBB282_18
; %bb.130:                              ;   in Loop: Header=BB282_19 Depth=1
	s_mov_b32 s34, exec_lo
	v_cmpx_ne_u32_e64 s24, v58
	s_cbranch_execz .LBB282_17
; %bb.131:                              ;   in Loop: Header=BB282_19 Depth=1
	v_subrev_nc_u32_e32 v0, s24, v58
	s_mov_b32 s35, 0
	s_mov_b64 s[18:19], 0
	s_delay_alu instid0(VALU_DEP_1)
	v_cmp_lt_u32_e32 vcc_lo, 1, v0
	v_cndmask_b32_e32 v0, 1, v0, vcc_lo
.LBB282_132:                            ;   Parent Loop BB282_19 Depth=1
                                        ; =>  This Inner Loop Header: Depth=2
	s_cmp_lg_u32 s18, 1
	s_cselect_b32 vcc_lo, -1, 0
	s_cmp_lg_u32 s18, 0
	v_cndmask_b32_e32 v57, 0, v57, vcc_lo
	s_cselect_b32 s1, -1, 0
	s_add_u32 s18, s18, 1
	v_cndmask_b32_e64 v56, 0, v56, s1
	v_cmp_eq_u32_e64 s2, s18, v0
	s_addc_u32 s19, s19, 0
	s_delay_alu instid0(VALU_DEP_1) | instskip(NEXT) | instid1(SALU_CYCLE_1)
	s_or_b32 s35, s2, s35
	s_and_not1_b32 exec_lo, exec_lo, s35
	s_cbranch_execnz .LBB282_132
; %bb.133:                              ;   in Loop: Header=BB282_19 Depth=1
	s_or_b32 exec_lo, exec_lo, s35
	s_branch .LBB282_17
.LBB282_134:
	s_nop 0
	s_sendmsg sendmsg(MSG_DEALLOC_VGPRS)
	s_endpgm
	.section	.rodata,"a",@progbits
	.p2align	6, 0x0
	.amdhsa_kernel _Z12wvSplitK_hf_I14__hip_bfloat16Li32ELi2ELi16ELi8ELi2ELi5EEviiiiiiPKT_S3_S3_PS1_ii
		.amdhsa_group_segment_fixed_size 65536
		.amdhsa_private_segment_fixed_size 0
		.amdhsa_kernarg_size 64
		.amdhsa_user_sgpr_count 15
		.amdhsa_user_sgpr_dispatch_ptr 0
		.amdhsa_user_sgpr_queue_ptr 0
		.amdhsa_user_sgpr_kernarg_segment_ptr 1
		.amdhsa_user_sgpr_dispatch_id 0
		.amdhsa_user_sgpr_private_segment_size 0
		.amdhsa_wavefront_size32 1
		.amdhsa_uses_dynamic_stack 0
		.amdhsa_enable_private_segment 0
		.amdhsa_system_sgpr_workgroup_id_x 1
		.amdhsa_system_sgpr_workgroup_id_y 0
		.amdhsa_system_sgpr_workgroup_id_z 0
		.amdhsa_system_sgpr_workgroup_info 0
		.amdhsa_system_vgpr_workitem_id 1
		.amdhsa_next_free_vgpr 100
		.amdhsa_next_free_sgpr 36
		.amdhsa_reserve_vcc 1
		.amdhsa_float_round_mode_32 0
		.amdhsa_float_round_mode_16_64 0
		.amdhsa_float_denorm_mode_32 3
		.amdhsa_float_denorm_mode_16_64 3
		.amdhsa_dx10_clamp 1
		.amdhsa_ieee_mode 1
		.amdhsa_fp16_overflow 0
		.amdhsa_workgroup_processor_mode 1
		.amdhsa_memory_ordered 1
		.amdhsa_forward_progress 0
		.amdhsa_shared_vgpr_count 0
		.amdhsa_exception_fp_ieee_invalid_op 0
		.amdhsa_exception_fp_denorm_src 0
		.amdhsa_exception_fp_ieee_div_zero 0
		.amdhsa_exception_fp_ieee_overflow 0
		.amdhsa_exception_fp_ieee_underflow 0
		.amdhsa_exception_fp_ieee_inexact 0
		.amdhsa_exception_int_div_zero 0
	.end_amdhsa_kernel
	.section	.text._Z12wvSplitK_hf_I14__hip_bfloat16Li32ELi2ELi16ELi8ELi2ELi5EEviiiiiiPKT_S3_S3_PS1_ii,"axG",@progbits,_Z12wvSplitK_hf_I14__hip_bfloat16Li32ELi2ELi16ELi8ELi2ELi5EEviiiiiiPKT_S3_S3_PS1_ii,comdat
.Lfunc_end282:
	.size	_Z12wvSplitK_hf_I14__hip_bfloat16Li32ELi2ELi16ELi8ELi2ELi5EEviiiiiiPKT_S3_S3_PS1_ii, .Lfunc_end282-_Z12wvSplitK_hf_I14__hip_bfloat16Li32ELi2ELi16ELi8ELi2ELi5EEviiiiiiPKT_S3_S3_PS1_ii
                                        ; -- End function
	.section	.AMDGPU.csdata,"",@progbits
; Kernel info:
; codeLenInByte = 8228
; NumSgprs: 38
; NumVgprs: 100
; ScratchSize: 0
; MemoryBound: 0
; FloatMode: 240
; IeeeMode: 1
; LDSByteSize: 65536 bytes/workgroup (compile time only)
; SGPRBlocks: 4
; VGPRBlocks: 12
; NumSGPRsForWavesPerEU: 38
; NumVGPRsForWavesPerEU: 100
; Occupancy: 8
; WaveLimiterHint : 0
; COMPUTE_PGM_RSRC2:SCRATCH_EN: 0
; COMPUTE_PGM_RSRC2:USER_SGPR: 15
; COMPUTE_PGM_RSRC2:TRAP_HANDLER: 0
; COMPUTE_PGM_RSRC2:TGID_X_EN: 1
; COMPUTE_PGM_RSRC2:TGID_Y_EN: 0
; COMPUTE_PGM_RSRC2:TGID_Z_EN: 0
; COMPUTE_PGM_RSRC2:TIDIG_COMP_CNT: 1
	.section	.text._Z16wvSplitK_hf_big_I14__hip_bfloat16Li32ELi2ELi16ELi8ELi2ELi5EEviiiiiiPKT_S3_S3_PS1_ii,"axG",@progbits,_Z16wvSplitK_hf_big_I14__hip_bfloat16Li32ELi2ELi16ELi8ELi2ELi5EEviiiiiiPKT_S3_S3_PS1_ii,comdat
	.protected	_Z16wvSplitK_hf_big_I14__hip_bfloat16Li32ELi2ELi16ELi8ELi2ELi5EEviiiiiiPKT_S3_S3_PS1_ii ; -- Begin function _Z16wvSplitK_hf_big_I14__hip_bfloat16Li32ELi2ELi16ELi8ELi2ELi5EEviiiiiiPKT_S3_S3_PS1_ii
	.globl	_Z16wvSplitK_hf_big_I14__hip_bfloat16Li32ELi2ELi16ELi8ELi2ELi5EEviiiiiiPKT_S3_S3_PS1_ii
	.p2align	8
	.type	_Z16wvSplitK_hf_big_I14__hip_bfloat16Li32ELi2ELi16ELi8ELi2ELi5EEviiiiiiPKT_S3_S3_PS1_ii,@function
_Z16wvSplitK_hf_big_I14__hip_bfloat16Li32ELi2ELi16ELi8ELi2ELi5EEviiiiiiPKT_S3_S3_PS1_ii: ; @_Z16wvSplitK_hf_big_I14__hip_bfloat16Li32ELi2ELi16ELi8ELi2ELi5EEviiiiiiPKT_S3_S3_PS1_ii
; %bb.0:
	s_load_b64 s[20:21], s[0:1], 0x38
	v_bfe_u32 v1, v0, 10, 10
	s_mov_b32 s2, exec_lo
	s_waitcnt lgkmcnt(0)
	s_delay_alu instid0(VALU_DEP_1)
	v_cmpx_gt_u32_e64 s20, v1
	s_cbranch_execz .LBB283_100
; %bb.1:
	s_load_b128 s[16:19], s[0:1], 0x0
	s_mul_i32 s15, s15, s20
	s_mov_b32 s4, 1
	v_add_lshl_u32 v57, s15, v1, 1
	s_mov_b32 s5, s4
	s_delay_alu instid0(SALU_CYCLE_1) | instskip(NEXT) | instid1(VALU_DEP_2)
	v_dual_mov_b32 v56, s5 :: v_dual_mov_b32 v55, s4
	v_add_nc_u32_e32 v2, 2, v57
	s_waitcnt lgkmcnt(0)
	v_cmp_gt_u32_e32 vcc_lo, s19, v57
	s_delay_alu instid0(VALU_DEP_2) | instskip(NEXT) | instid1(VALU_DEP_1)
	v_cmp_le_u32_e64 s2, s19, v2
	s_and_b32 s2, vcc_lo, s2
	s_delay_alu instid0(SALU_CYCLE_1)
	s_and_saveexec_b32 s6, s2
	s_cbranch_execz .LBB283_7
; %bb.2:
	v_dual_mov_b32 v56, s5 :: v_dual_mov_b32 v55, s4
	s_add_i32 s7, s19, -2
	s_mov_b32 s8, exec_lo
	v_cmpx_ne_u32_e64 s7, v57
	s_cbranch_execz .LBB283_6
; %bb.3:
	v_subrev_nc_u32_e32 v2, s7, v57
	s_mov_b32 s2, 1
	s_mov_b32 s9, 0
	s_mov_b64 s[4:5], 0
	s_mov_b32 s3, s2
	v_cmp_lt_u32_e32 vcc_lo, 1, v2
	v_cndmask_b32_e32 v2, 1, v2, vcc_lo
.LBB283_4:                              ; =>This Inner Loop Header: Depth=1
	s_cmp_lg_u32 s4, 1
	s_cselect_b32 s3, s3, 0
	s_cmp_lg_u32 s4, 0
	s_cselect_b32 s2, s2, 0
	s_add_u32 s4, s4, 1
	v_dual_mov_b32 v56, s3 :: v_dual_mov_b32 v55, s2
	v_cmp_eq_u32_e32 vcc_lo, s4, v2
	s_addc_u32 s5, s5, 0
	s_or_b32 s9, vcc_lo, s9
	s_delay_alu instid0(SALU_CYCLE_1)
	s_and_not1_b32 exec_lo, exec_lo, s9
	s_cbranch_execnz .LBB283_4
; %bb.5:
	s_or_b32 exec_lo, exec_lo, s9
	v_mov_b32_e32 v57, s7
.LBB283_6:
	s_or_b32 exec_lo, exec_lo, s8
.LBB283_7:
	s_delay_alu instid0(SALU_CYCLE_1)
	s_or_b32 exec_lo, exec_lo, s6
	s_lshl_b32 s2, s20, 1
	s_abs_i32 s6, s19
	s_abs_i32 s3, s2
	s_mov_b32 s22, 0
	v_cvt_f32_u32_e32 v2, s3
	s_sub_i32 s5, 0, s3
	s_delay_alu instid0(VALU_DEP_1) | instskip(SKIP_2) | instid1(VALU_DEP_1)
	v_rcp_iflag_f32_e32 v2, v2
	s_waitcnt_depctr 0xfff
	v_mul_f32_e32 v2, 0x4f7ffffe, v2
	v_cvt_u32_f32_e32 v2, v2
	s_delay_alu instid0(VALU_DEP_1) | instskip(NEXT) | instid1(VALU_DEP_1)
	v_readfirstlane_b32 s4, v2
	s_mul_i32 s5, s5, s4
	s_delay_alu instid0(SALU_CYCLE_1) | instskip(NEXT) | instid1(SALU_CYCLE_1)
	s_mul_hi_u32 s5, s4, s5
	s_add_i32 s4, s4, s5
	s_ashr_i32 s5, s19, 31
	s_mul_hi_u32 s4, s6, s4
	s_delay_alu instid0(SALU_CYCLE_1) | instskip(NEXT) | instid1(SALU_CYCLE_1)
	s_mul_i32 s4, s4, s3
	s_sub_i32 s4, s6, s4
	s_delay_alu instid0(SALU_CYCLE_1) | instskip(SKIP_2) | instid1(SALU_CYCLE_1)
	s_sub_i32 s6, s4, s3
	s_cmp_ge_u32 s4, s3
	s_cselect_b32 s4, s6, s4
	s_sub_i32 s6, s4, s3
	s_cmp_ge_u32 s4, s3
	s_cselect_b32 s3, s6, s4
	s_add_i32 s2, s2, s19
	s_xor_b32 s3, s3, s5
	s_delay_alu instid0(SALU_CYCLE_1) | instskip(NEXT) | instid1(SALU_CYCLE_1)
	s_sub_i32 s3, s3, s5
	s_sub_i32 s2, s2, s3
	s_cmp_eq_u32 s3, 0
	s_cselect_b32 s3, s19, s2
	s_delay_alu instid0(SALU_CYCLE_1)
	v_cmp_gt_u32_e32 vcc_lo, s3, v57
	s_and_b32 exec_lo, exec_lo, vcc_lo
	s_cbranch_execz .LBB283_100
; %bb.8:
	s_load_b256 s[4:11], s[0:1], 0x10
	s_min_u32 s23, s18, 0x1800
	s_cmp_lg_u32 s16, 0
	s_mul_i32 s2, s21, s20
	s_cselect_b32 s24, -1, 0
	s_cmp_lg_u32 s18, 0
	s_load_b64 s[12:13], s[0:1], 0x30
	s_cselect_b32 s21, -1, 0
	s_lshl_b32 s25, s20, 8
	s_add_i32 s26, s16, -8
	s_add_i32 s27, s19, -1
	s_lshl_b32 s28, s2, 1
	v_and_b32_e32 v0, 0x3ff, v0
	v_mbcnt_lo_u32_b32 v66, -1, 0
	v_mov_b32_e32 v59, 0
	s_waitcnt lgkmcnt(0)
	s_cmp_lg_u64 s[10:11], 0
	s_cselect_b32 s29, -1, 0
	s_abs_i32 s2, s5
	s_add_i32 s30, s19, -2
	v_cvt_f32_u32_e32 v2, s2
	s_sub_i32 s1, 0, s2
	s_sub_i32 s14, 0, s4
	;; [unrolled: 1-line block ×3, first 2 shown]
	s_mul_i32 s5, s23, 6
	v_rcp_iflag_f32_e32 v2, v2
	s_waitcnt_depctr 0xfff
	v_mul_f32_e32 v2, 0x4f7ffffe, v2
	s_delay_alu instid0(VALU_DEP_1) | instskip(NEXT) | instid1(VALU_DEP_1)
	v_cvt_u32_f32_e32 v2, v2
	v_readfirstlane_b32 s0, v2
	v_cvt_f32_u32_e32 v2, s4
	s_delay_alu instid0(VALU_DEP_2) | instskip(NEXT) | instid1(VALU_DEP_1)
	s_mul_i32 s1, s1, s0
	v_rcp_iflag_f32_e32 v2, v2
	s_mul_hi_u32 s1, s0, s1
	v_lshlrev_b32_e32 v67, 3, v0
	s_add_i32 s1, s0, s1
	s_cmp_lt_u32 s2, 2
	v_cmp_eq_u32_e64 s0, 31, v0
	s_cselect_b32 s15, s15, 1
	v_lshlrev_b32_e32 v0, 4, v0
	s_sub_i32 s31, s15, s2
	s_cmp_ge_u32 s15, s2
	s_waitcnt_depctr 0xfff
	v_mul_f32_e32 v2, 0x4f7ffffe, v2
	s_cselect_b32 s31, s31, s15
	s_lshr_b32 s15, s1, 31
	v_lshl_add_u32 v60, v1, 8, v67
	s_mul_i32 s15, s15, s2
	v_cvt_u32_f32_e32 v2, v2
	s_sub_i32 s15, 2, s15
	v_lshl_add_u32 v68, v1, 9, v0
	s_sub_i32 s33, s15, s2
	s_cmp_ge_u32 s15, s2
	v_mul_lo_u32 v3, s14, v2
	s_cselect_b32 s14, s33, s15
	s_mul_hi_u32 s15, s1, 3
	s_sub_i32 s33, s14, s2
	s_cmp_ge_u32 s14, s2
	s_mul_i32 s15, s15, s2
	s_cselect_b32 s33, s33, s14
	s_sub_i32 s14, 3, s15
	v_mul_hi_u32 v0, v2, v3
	s_sub_i32 s15, s14, s2
	s_cmp_ge_u32 s14, s2
	v_mad_u64_u32 v[61:62], null, s18, 3, v[60:61]
	s_cselect_b32 s14, s15, s14
	v_lshl_add_u32 v69, s18, 1, v60
	s_sub_i32 s15, s14, s2
	s_cmp_ge_u32 s14, s2
	v_lshl_add_u32 v70, s18, 2, v60
	s_cselect_b32 s34, s15, s14
	s_lshr_b32 s1, s1, 30
	v_add_nc_u32_e32 v71, s18, v60
	s_mul_i32 s1, s1, s2
	v_add_nc_u32_e32 v72, v2, v0
	s_sub_i32 s1, 4, s1
	s_mul_i32 s31, s31, s4
	s_sub_i32 s14, s1, s2
	s_cmp_ge_u32 s1, s2
	s_mul_i32 s33, s33, s4
	s_cselect_b32 s1, s14, s1
	s_mul_i32 s34, s34, s4
	s_sub_i32 s14, s1, s2
	s_cmp_ge_u32 s1, s2
	s_cselect_b32 s39, s14, s1
	s_add_u32 s35, s12, 2
	s_addc_u32 s36, s13, 0
	s_lshl_b32 s37, s23, 3
	s_lshl_b32 s20, s20, 9
	;; [unrolled: 1-line block ×3, first 2 shown]
	s_mul_i32 s39, s39, s4
	s_lshl_b32 s40, s23, 1
	s_branch .LBB283_12
.LBB283_9:                              ;   in Loop: Header=BB283_12 Depth=1
	s_or_b32 exec_lo, exec_lo, s43
	v_mov_b32_e32 v57, s30
.LBB283_10:                             ;   in Loop: Header=BB283_12 Depth=1
	s_or_b32 exec_lo, exec_lo, s42
.LBB283_11:                             ;   in Loop: Header=BB283_12 Depth=1
	s_delay_alu instid0(SALU_CYCLE_1) | instskip(NEXT) | instid1(VALU_DEP_1)
	s_or_b32 exec_lo, exec_lo, s41
	v_cmp_le_u32_e32 vcc_lo, s3, v57
	s_or_b32 s22, vcc_lo, s22
	s_delay_alu instid0(SALU_CYCLE_1)
	s_and_not1_b32 exec_lo, exec_lo, s22
	s_cbranch_execz .LBB283_100
.LBB283_12:                             ; =>This Loop Header: Depth=1
                                        ;     Child Loop BB283_17 Depth 2
                                        ;       Child Loop BB283_22 Depth 3
                                        ;     Child Loop BB283_98 Depth 2
	v_mov_b32_e32 v73, v59
	v_mov_b32_e32 v74, v59
	;; [unrolled: 1-line block ×10, first 2 shown]
	s_and_not1_b32 vcc_lo, exec_lo, s24
	s_mov_b32 s14, 0
	s_cbranch_vccnz .LBB283_29
; %bb.13:                               ;   in Loop: Header=BB283_12 Depth=1
	s_waitcnt lgkmcnt(3)
	v_dual_mov_b32 v1, v59 :: v_dual_add_nc_u32 v0, 1, v57
	v_min_u32_e32 v2, s27, v57
	v_cmp_gt_u32_e64 s1, s19, v57
	v_dual_mov_b32 v81, 0 :: v_dual_mov_b32 v82, 0
	s_delay_alu instid0(VALU_DEP_4) | instskip(NEXT) | instid1(VALU_DEP_4)
	v_min_u32_e32 v0, s27, v0
	v_mul_lo_u32 v58, v2, s17
	v_dual_mov_b32 v80, 0 :: v_dual_mov_b32 v79, 0
	v_dual_mov_b32 v78, 0 :: v_dual_mov_b32 v77, 0
	s_delay_alu instid0(VALU_DEP_4) | instskip(SKIP_4) | instid1(VALU_DEP_4)
	v_mul_lo_u32 v0, v0, s17
	v_dual_mov_b32 v76, 0 :: v_dual_mov_b32 v75, 0
	v_lshlrev_b64 v[62:63], 1, v[58:59]
	v_dual_mov_b32 v74, 0 :: v_dual_mov_b32 v73, 0
	s_mov_b32 s15, 0
	v_lshlrev_b64 v[64:65], 1, v[0:1]
	s_branch .LBB283_17
.LBB283_14:                             ;   in Loop: Header=BB283_17 Depth=2
	s_or_b32 exec_lo, exec_lo, s42
.LBB283_15:                             ;   in Loop: Header=BB283_17 Depth=2
	s_delay_alu instid0(SALU_CYCLE_1)
	s_or_b32 exec_lo, exec_lo, s41
	s_waitcnt lgkmcnt(4)
	v_and_b32_e32 v89, 0xffff0000, v50
	s_waitcnt vmcnt(3)
	v_and_b32_e32 v90, 0xffff0000, v46
	v_and_b32_e32 v84, 0xffff0000, v44
	;; [unrolled: 1-line block ×3, first 2 shown]
	v_lshlrev_b32_e32 v50, 16, v50
	s_delay_alu instid0(VALU_DEP_4) | instskip(SKIP_2) | instid1(VALU_DEP_2)
	v_dual_mul_f32 v91, v89, v90 :: v_dual_and_b32 v86, 0xffff0000, v45
	v_and_b32_e32 v83, 0xffff0000, v48
	v_lshlrev_b32_e32 v48, 16, v48
	v_dual_mul_f32 v88, v85, v86 :: v_dual_mul_f32 v87, v83, v84
	v_lshlrev_b32_e32 v46, 16, v46
	s_delay_alu instid0(VALU_DEP_1) | instskip(NEXT) | instid1(VALU_DEP_1)
	v_dual_fmac_f32 v91, v50, v46 :: v_dual_lshlrev_b32 v44, 16, v44
	v_fmac_f32_e32 v87, v48, v44
	s_delay_alu instid0(VALU_DEP_1) | instskip(SKIP_2) | instid1(VALU_DEP_1)
	v_add_f32_e32 v81, v81, v87
	s_waitcnt vmcnt(2)
	v_and_b32_e32 v87, 0xffff0000, v36
	v_dual_mul_f32 v83, v83, v87 :: v_dual_lshlrev_b32 v36, 16, v36
	s_delay_alu instid0(VALU_DEP_1) | instskip(NEXT) | instid1(VALU_DEP_1)
	v_dual_fmac_f32 v83, v48, v36 :: v_dual_and_b32 v92, 0xffff0000, v47
	v_dual_add_f32 v82, v82, v83 :: v_dual_lshlrev_b32 v49, 16, v49
	v_lshlrev_b32_e32 v45, 16, v45
	v_and_b32_e32 v93, 0xffff0000, v38
	v_lshlrev_b32_e32 v38, 16, v38
	s_delay_alu instid0(VALU_DEP_3) | instskip(NEXT) | instid1(VALU_DEP_1)
	v_fmac_f32_e32 v88, v49, v45
	v_dual_add_f32 v81, v81, v88 :: v_dual_and_b32 v88, 0xffff0000, v51
	s_delay_alu instid0(VALU_DEP_1) | instskip(SKIP_1) | instid1(VALU_DEP_1)
	v_add_f32_e32 v81, v81, v91
	v_and_b32_e32 v91, 0xffff0000, v37
	v_dual_mul_f32 v48, v85, v91 :: v_dual_lshlrev_b32 v37, 16, v37
	s_delay_alu instid0(VALU_DEP_1) | instskip(NEXT) | instid1(VALU_DEP_1)
	v_fmac_f32_e32 v48, v49, v37
	v_add_f32_e32 v48, v82, v48
	s_waitcnt lgkmcnt(3)
	v_and_b32_e32 v82, 0xffff0000, v41
	v_lshlrev_b32_e32 v51, 16, v51
	s_delay_alu instid0(VALU_DEP_2) | instskip(NEXT) | instid1(VALU_DEP_1)
	v_dual_mul_f32 v94, v82, v86 :: v_dual_lshlrev_b32 v41, 16, v41
	v_fmac_f32_e32 v94, v41, v45
	v_mul_f32_e32 v49, v89, v93
	v_mul_f32_e32 v85, v88, v92
	s_delay_alu instid0(VALU_DEP_2) | instskip(SKIP_2) | instid1(VALU_DEP_2)
	v_fmac_f32_e32 v49, v50, v38
	v_and_b32_e32 v83, 0xffff0000, v40
	v_and_b32_e32 v50, 0xffff0000, v39
	v_dual_add_f32 v48, v48, v49 :: v_dual_mul_f32 v89, v83, v84
	s_delay_alu instid0(VALU_DEP_2) | instskip(SKIP_2) | instid1(VALU_DEP_1)
	v_mul_f32_e32 v88, v88, v50
	v_and_b32_e32 v95, 0xffff0000, v42
	v_lshlrev_b32_e32 v40, 16, v40
	v_dual_fmac_f32 v89, v40, v44 :: v_dual_lshlrev_b32 v42, 16, v42
	s_delay_alu instid0(VALU_DEP_1) | instskip(NEXT) | instid1(VALU_DEP_1)
	v_dual_add_f32 v80, v80, v89 :: v_dual_lshlrev_b32 v47, 16, v47
	v_fmac_f32_e32 v85, v51, v47
	v_lshlrev_b32_e32 v39, 16, v39
	v_mul_f32_e32 v89, v95, v90
	s_delay_alu instid0(VALU_DEP_3) | instskip(NEXT) | instid1(VALU_DEP_3)
	v_dual_add_f32 v49, v80, v94 :: v_dual_add_f32 v80, v81, v85
	v_fmac_f32_e32 v88, v51, v39
	v_mul_f32_e32 v51, v83, v87
	s_waitcnt lgkmcnt(2)
	v_and_b32_e32 v85, 0xffff0000, v33
	v_fmac_f32_e32 v89, v42, v46
	v_dual_add_f32 v48, v48, v88 :: v_dual_lshlrev_b32 v33, 16, v33
	v_dual_fmac_f32 v51, v40, v36 :: v_dual_mul_f32 v40, v82, v91
	s_delay_alu instid0(VALU_DEP_1) | instskip(SKIP_1) | instid1(VALU_DEP_1)
	v_fmac_f32_e32 v40, v41, v37
	v_mul_f32_e32 v41, v95, v93
	v_fmac_f32_e32 v41, v42, v38
	s_delay_alu instid0(VALU_DEP_4) | instskip(SKIP_3) | instid1(VALU_DEP_4)
	v_dual_mul_f32 v42, v85, v86 :: v_dual_add_f32 v51, v78, v51
	v_and_b32_e32 v83, 0xffff0000, v32
	v_and_b32_e32 v81, 0xffff0000, v43
	v_lshlrev_b32_e32 v32, 16, v32
	v_dual_fmac_f32 v42, v33, v45 :: v_dual_lshlrev_b32 v43, 16, v43
	v_add_f32_e32 v40, v51, v40
	s_delay_alu instid0(VALU_DEP_1) | instskip(SKIP_2) | instid1(VALU_DEP_2)
	v_add_f32_e32 v40, v40, v41
	v_mul_f32_e32 v78, v83, v84
	v_mul_f32_e32 v82, v81, v92
	v_dual_add_f32 v49, v49, v89 :: v_dual_fmac_f32 v78, v32, v44
	s_delay_alu instid0(VALU_DEP_2) | instskip(NEXT) | instid1(VALU_DEP_2)
	v_fmac_f32_e32 v82, v43, v47
	v_add_f32_e32 v41, v79, v78
	v_mul_f32_e32 v79, v81, v50
	s_delay_alu instid0(VALU_DEP_1) | instskip(SKIP_3) | instid1(VALU_DEP_3)
	v_fmac_f32_e32 v79, v43, v39
	s_waitcnt lgkmcnt(1)
	v_and_b32_e32 v43, 0xffff0000, v28
	v_lshlrev_b32_e32 v28, 16, v28
	v_dual_add_f32 v40, v40, v79 :: v_dual_add_f32 v41, v41, v42
	v_and_b32_e32 v81, 0xffff0000, v35
	v_and_b32_e32 v51, 0xffff0000, v34
	v_lshlrev_b32_e32 v34, 16, v34
	v_dual_mul_f32 v42, v83, v87 :: v_dual_add_f32 v49, v49, v82
	s_delay_alu instid0(VALU_DEP_4) | instskip(NEXT) | instid1(VALU_DEP_4)
	v_mul_f32_e32 v82, v81, v92
	v_mul_f32_e32 v78, v51, v90
	s_delay_alu instid0(VALU_DEP_3) | instskip(NEXT) | instid1(VALU_DEP_2)
	v_dual_fmac_f32 v42, v32, v36 :: v_dual_lshlrev_b32 v35, 16, v35
	v_fmac_f32_e32 v78, v34, v46
	s_delay_alu instid0(VALU_DEP_2) | instskip(NEXT) | instid1(VALU_DEP_3)
	v_add_f32_e32 v42, v77, v42
	v_fmac_f32_e32 v82, v35, v47
	s_delay_alu instid0(VALU_DEP_3) | instskip(NEXT) | instid1(VALU_DEP_1)
	v_add_f32_e32 v32, v41, v78
	v_dual_mul_f32 v41, v85, v91 :: v_dual_add_f32 v32, v32, v82
	s_delay_alu instid0(VALU_DEP_1) | instskip(SKIP_1) | instid1(VALU_DEP_1)
	v_fmac_f32_e32 v41, v33, v37
	v_mul_f32_e32 v33, v51, v93
	v_fmac_f32_e32 v33, v34, v38
	v_dual_mul_f32 v34, v81, v50 :: v_dual_mul_f32 v51, v43, v84
	v_mul_f32_e32 v43, v43, v87
	s_delay_alu instid0(VALU_DEP_2) | instskip(NEXT) | instid1(VALU_DEP_3)
	v_dual_fmac_f32 v34, v35, v39 :: v_dual_add_f32 v41, v42, v41
	v_dual_fmac_f32 v51, v28, v44 :: v_dual_and_b32 v42, 0xffff0000, v29
	s_delay_alu instid0(VALU_DEP_3) | instskip(NEXT) | instid1(VALU_DEP_3)
	v_dual_fmac_f32 v43, v28, v36 :: v_dual_lshlrev_b32 v28, 16, v31
	v_add_f32_e32 v33, v41, v33
	v_and_b32_e32 v41, 0xffff0000, v30
	s_delay_alu instid0(VALU_DEP_4) | instskip(SKIP_1) | instid1(VALU_DEP_4)
	v_dual_add_f32 v35, v76, v51 :: v_dual_lshlrev_b32 v30, 16, v30
	v_mul_f32_e32 v77, v42, v86
	v_add_f32_e32 v33, v33, v34
	s_delay_alu instid0(VALU_DEP_4) | instskip(SKIP_1) | instid1(VALU_DEP_2)
	v_mul_f32_e32 v51, v41, v90
	v_add_f32_e32 v43, v75, v43
	v_fmac_f32_e32 v51, v30, v46
	v_lshlrev_b32_e32 v29, 16, v29
	s_delay_alu instid0(VALU_DEP_1) | instskip(NEXT) | instid1(VALU_DEP_1)
	v_fmac_f32_e32 v77, v29, v45
	v_dual_add_f32 v34, v35, v77 :: v_dual_and_b32 v35, 0xffff0000, v31
	v_mul_f32_e32 v31, v42, v91
	s_delay_alu instid0(VALU_DEP_2) | instskip(NEXT) | instid1(VALU_DEP_2)
	v_add_f32_e32 v34, v34, v51
	v_dual_mul_f32 v42, v35, v92 :: v_dual_fmac_f32 v31, v29, v37
	s_delay_alu instid0(VALU_DEP_1) | instskip(NEXT) | instid1(VALU_DEP_2)
	v_dual_mul_f32 v29, v41, v93 :: v_dual_fmac_f32 v42, v28, v47
	v_add_f32_e32 v31, v43, v31
	s_delay_alu instid0(VALU_DEP_2) | instskip(NEXT) | instid1(VALU_DEP_1)
	v_fmac_f32_e32 v29, v30, v38
	v_dual_add_f32 v30, v34, v42 :: v_dual_add_f32 v29, v31, v29
	v_mul_f32_e32 v31, v35, v50
	s_waitcnt lgkmcnt(0)
	v_and_b32_e32 v35, 0xffff0000, v26
	v_and_b32_e32 v51, 0xffff0000, v24
	v_lshlrev_b32_e32 v24, 16, v24
	v_lshlrev_b32_e32 v26, 16, v26
	s_delay_alu instid0(VALU_DEP_3) | instskip(SKIP_1) | instid1(VALU_DEP_2)
	v_mul_f32_e32 v42, v51, v87
	v_mul_f32_e32 v41, v51, v84
	v_fmac_f32_e32 v42, v24, v36
	s_waitcnt vmcnt(1)
	v_and_b32_e32 v36, 0xffff0000, v16
	v_and_b32_e32 v43, 0xffff0000, v25
	v_fmac_f32_e32 v41, v24, v44
	v_dual_mul_f32 v44, v35, v90 :: v_dual_lshlrev_b32 v25, 16, v25
	v_lshlrev_b32_e32 v16, 16, v16
	s_delay_alu instid0(VALU_DEP_3) | instskip(SKIP_1) | instid1(VALU_DEP_4)
	v_dual_mul_f32 v34, v43, v86 :: v_dual_add_f32 v41, v74, v41
	v_mul_f32_e32 v24, v43, v91
	v_dual_fmac_f32 v44, v26, v46 :: v_dual_and_b32 v43, 0xffff0000, v12
	s_delay_alu instid0(VALU_DEP_3) | instskip(SKIP_1) | instid1(VALU_DEP_4)
	v_fmac_f32_e32 v34, v25, v45
	v_lshlrev_b32_e32 v12, 16, v12
	v_fmac_f32_e32 v24, v25, v37
	v_and_b32_e32 v37, 0xffff0000, v17
	v_lshlrev_b32_e32 v17, 16, v17
	v_dual_fmac_f32 v31, v28, v39 :: v_dual_add_f32 v28, v41, v34
	v_add_f32_e32 v34, v73, v42
	v_and_b32_e32 v42, 0xffff0000, v19
	v_lshlrev_b32_e32 v19, 16, v19
	v_and_b32_e32 v45, 0xffff0000, v14
	v_dual_add_f32 v25, v28, v44 :: v_dual_mul_f32 v28, v35, v93
	v_add_f32_e32 v24, v34, v24
	v_and_b32_e32 v34, 0xffff0000, v20
	v_lshlrev_b32_e32 v20, 16, v20
	v_lshlrev_b32_e32 v14, 16, v14
	v_fmac_f32_e32 v28, v26, v38
	s_waitcnt vmcnt(0)
	v_and_b32_e32 v46, 0xffff0000, v11
	v_mul_f32_e32 v26, v34, v36
	s_delay_alu instid0(VALU_DEP_3) | instskip(SKIP_1) | instid1(VALU_DEP_3)
	v_add_f32_e32 v24, v24, v28
	v_and_b32_e32 v28, 0xffff0000, v21
	v_dual_fmac_f32 v26, v20, v16 :: v_dual_lshlrev_b32 v21, 16, v21
	s_delay_alu instid0(VALU_DEP_2) | instskip(NEXT) | instid1(VALU_DEP_2)
	v_mul_f32_e32 v38, v28, v37
	v_add_f32_e32 v26, v80, v26
	s_delay_alu instid0(VALU_DEP_2) | instskip(SKIP_1) | instid1(VALU_DEP_2)
	v_fmac_f32_e32 v38, v21, v17
	v_add_f32_e32 v29, v29, v31
	v_dual_add_f32 v26, v26, v38 :: v_dual_and_b32 v31, 0xffff0000, v27
	v_and_b32_e32 v38, 0xffff0000, v9
	v_lshlrev_b32_e32 v27, 16, v27
	s_delay_alu instid0(VALU_DEP_3) | instskip(SKIP_2) | instid1(VALU_DEP_2)
	v_mul_f32_e32 v35, v31, v92
	v_mul_f32_e32 v31, v31, v50
	v_lshlrev_b32_e32 v9, 16, v9
	v_fmac_f32_e32 v31, v27, v39
	v_and_b32_e32 v39, 0xffff0000, v18
	v_lshlrev_b32_e32 v18, 16, v18
	s_delay_alu instid0(VALU_DEP_3) | instskip(SKIP_1) | instid1(VALU_DEP_1)
	v_add_f32_e32 v24, v24, v31
	v_fmac_f32_e32 v35, v27, v47
	v_add_f32_e32 v25, v25, v35
	v_and_b32_e32 v35, 0xffff0000, v8
	s_delay_alu instid0(VALU_DEP_1) | instskip(SKIP_2) | instid1(VALU_DEP_3)
	v_dual_mul_f32 v31, v34, v35 :: v_dual_lshlrev_b32 v8, 16, v8
	v_and_b32_e32 v34, 0xffff0000, v23
	v_lshlrev_b32_e32 v23, 16, v23
	v_fmac_f32_e32 v31, v20, v8
	v_mul_f32_e32 v20, v28, v38
	s_delay_alu instid0(VALU_DEP_2) | instskip(NEXT) | instid1(VALU_DEP_1)
	v_dual_mul_f32 v28, v34, v42 :: v_dual_add_f32 v31, v48, v31
	v_fmac_f32_e32 v28, v23, v19
	s_delay_alu instid0(VALU_DEP_3) | instskip(SKIP_1) | instid1(VALU_DEP_2)
	v_dual_fmac_f32 v20, v21, v9 :: v_dual_and_b32 v27, 0xffff0000, v22
	v_lshlrev_b32_e32 v22, 16, v22
	v_add_f32_e32 v20, v31, v20
	s_delay_alu instid0(VALU_DEP_3) | instskip(NEXT) | instid1(VALU_DEP_1)
	v_mul_f32_e32 v41, v27, v39
	v_fmac_f32_e32 v41, v22, v18
	s_delay_alu instid0(VALU_DEP_1) | instskip(SKIP_3) | instid1(VALU_DEP_4)
	v_add_f32_e32 v21, v26, v41
	v_and_b32_e32 v41, 0xffff0000, v10
	v_lshlrev_b32_e32 v10, 16, v10
	v_lshlrev_b32_e32 v11, 16, v11
	v_add_f32_e32 v81, v21, v28
	s_delay_alu instid0(VALU_DEP_4) | instskip(NEXT) | instid1(VALU_DEP_1)
	v_mul_f32_e32 v27, v27, v41
	v_fmac_f32_e32 v27, v22, v10
	v_dual_mul_f32 v22, v34, v46 :: v_dual_and_b32 v31, 0xffff0000, v13
	s_delay_alu instid0(VALU_DEP_2) | instskip(SKIP_1) | instid1(VALU_DEP_3)
	v_dual_add_f32 v20, v20, v27 :: v_dual_lshlrev_b32 v13, 16, v13
	v_mul_f32_e32 v26, v43, v36
	v_fmac_f32_e32 v22, v23, v11
	s_delay_alu instid0(VALU_DEP_4) | instskip(NEXT) | instid1(VALU_DEP_3)
	v_mul_f32_e32 v44, v31, v37
	v_dual_fmac_f32 v26, v12, v16 :: v_dual_mul_f32 v47, v45, v39
	s_delay_alu instid0(VALU_DEP_2) | instskip(SKIP_1) | instid1(VALU_DEP_3)
	v_dual_fmac_f32 v44, v13, v17 :: v_dual_and_b32 v27, 0xffff0000, v4
	v_lshlrev_b32_e32 v4, 16, v4
	v_dual_add_f32 v26, v49, v26 :: v_dual_mul_f32 v21, v43, v35
	v_add_f32_e32 v82, v20, v22
	v_and_b32_e32 v20, 0xffff0000, v0
	v_lshlrev_b32_e32 v0, 16, v0
	s_delay_alu instid0(VALU_DEP_4) | instskip(SKIP_1) | instid1(VALU_DEP_4)
	v_add_f32_e32 v26, v26, v44
	v_dual_fmac_f32 v21, v12, v8 :: v_dual_mul_f32 v12, v31, v38
	v_mul_f32_e32 v22, v20, v36
	s_delay_alu instid0(VALU_DEP_2) | instskip(NEXT) | instid1(VALU_DEP_2)
	v_add_f32_e32 v21, v40, v21
	v_dual_fmac_f32 v47, v14, v18 :: v_dual_fmac_f32 v22, v0, v16
	s_delay_alu instid0(VALU_DEP_1) | instskip(SKIP_1) | instid1(VALU_DEP_3)
	v_add_f32_e32 v23, v26, v47
	v_and_b32_e32 v26, 0xffff0000, v15
	v_add_f32_e32 v22, v30, v22
	s_delay_alu instid0(VALU_DEP_2) | instskip(SKIP_2) | instid1(VALU_DEP_2)
	v_mul_f32_e32 v28, v26, v42
	v_dual_fmac_f32 v12, v13, v9 :: v_dual_mul_f32 v13, v27, v36
	v_mul_f32_e32 v26, v26, v46
	v_dual_add_f32 v12, v21, v12 :: v_dual_lshlrev_b32 v15, 16, v15
	s_delay_alu instid0(VALU_DEP_1) | instskip(SKIP_1) | instid1(VALU_DEP_1)
	v_dual_fmac_f32 v13, v4, v16 :: v_dual_fmac_f32 v28, v15, v19
	v_mul_f32_e32 v34, v45, v41
	v_dual_add_f32 v13, v32, v13 :: v_dual_fmac_f32 v34, v14, v10
	v_and_b32_e32 v14, 0xffff0000, v6
	v_lshlrev_b32_e32 v6, 16, v6
	v_dual_add_f32 v80, v23, v28 :: v_dual_and_b32 v23, 0xffff0000, v1
	s_delay_alu instid0(VALU_DEP_4) | instskip(NEXT) | instid1(VALU_DEP_4)
	v_add_f32_e32 v12, v12, v34
	v_dual_mul_f32 v32, v14, v39 :: v_dual_and_b32 v31, 0xffff0000, v5
	v_dual_fmac_f32 v26, v15, v11 :: v_dual_lshlrev_b32 v5, 16, v5
	s_delay_alu instid0(VALU_DEP_2) | instskip(NEXT) | instid1(VALU_DEP_2)
	v_dual_fmac_f32 v32, v6, v18 :: v_dual_and_b32 v15, 0xffff0000, v7
	v_dual_mul_f32 v21, v31, v37 :: v_dual_add_f32 v78, v12, v26
	s_delay_alu instid0(VALU_DEP_1) | instskip(NEXT) | instid1(VALU_DEP_1)
	v_dual_mul_f32 v12, v27, v35 :: v_dual_fmac_f32 v21, v5, v17
	v_dual_fmac_f32 v12, v4, v8 :: v_dual_lshlrev_b32 v7, 16, v7
	s_delay_alu instid0(VALU_DEP_2) | instskip(NEXT) | instid1(VALU_DEP_2)
	v_dual_add_f32 v13, v13, v21 :: v_dual_mul_f32 v4, v15, v42
	v_dual_mul_f32 v21, v31, v38 :: v_dual_add_f32 v12, v33, v12
	s_delay_alu instid0(VALU_DEP_2) | instskip(NEXT) | instid1(VALU_DEP_2)
	v_dual_add_f32 v13, v13, v32 :: v_dual_fmac_f32 v4, v7, v19
	v_fmac_f32_e32 v21, v5, v9
	v_mul_f32_e32 v5, v23, v37
	s_delay_alu instid0(VALU_DEP_3) | instskip(NEXT) | instid1(VALU_DEP_3)
	v_dual_mul_f32 v14, v14, v41 :: v_dual_add_f32 v79, v13, v4
	v_dual_add_f32 v12, v12, v21 :: v_dual_and_b32 v21, 0xffff0000, v2
	v_lshlrev_b32_e32 v1, 16, v1
	v_lshlrev_b32_e32 v2, 16, v2
	s_delay_alu instid0(VALU_DEP_4) | instskip(SKIP_4) | instid1(VALU_DEP_4)
	v_fmac_f32_e32 v14, v6, v10
	v_mul_f32_e32 v6, v15, v46
	v_mul_f32_e32 v26, v21, v39
	v_fmac_f32_e32 v5, v1, v17
	v_and_b32_e32 v13, 0xffff0000, v58
	v_dual_fmac_f32 v6, v7, v11 :: v_dual_lshlrev_b32 v15, 16, v58
	s_delay_alu instid0(VALU_DEP_3) | instskip(SKIP_2) | instid1(VALU_DEP_3)
	v_dual_mul_f32 v7, v20, v35 :: v_dual_add_f32 v4, v22, v5
	v_add_f32_e32 v5, v12, v14
	v_fmac_f32_e32 v26, v2, v18
	v_dual_fmac_f32 v7, v0, v8 :: v_dual_and_b32 v12, 0xffff0000, v3
	v_dual_mul_f32 v20, v13, v36 :: v_dual_lshlrev_b32 v3, 16, v3
	s_delay_alu instid0(VALU_DEP_3) | instskip(NEXT) | instid1(VALU_DEP_3)
	v_add_f32_e32 v4, v4, v26
	v_dual_mul_f32 v0, v12, v42 :: v_dual_add_f32 v7, v29, v7
	v_and_b32_e32 v22, 0xffff0000, v52
	v_dual_mul_f32 v14, v23, v38 :: v_dual_mul_f32 v13, v13, v35
	v_add_f32_e32 v77, v5, v6
	s_delay_alu instid0(VALU_DEP_2) | instskip(SKIP_1) | instid1(VALU_DEP_4)
	v_fmac_f32_e32 v14, v1, v9
	v_dual_mul_f32 v1, v21, v41 :: v_dual_fmac_f32 v0, v3, v19
	v_fmac_f32_e32 v13, v15, v8
	s_delay_alu instid0(VALU_DEP_2) | instskip(NEXT) | instid1(VALU_DEP_4)
	v_fmac_f32_e32 v1, v2, v10
	v_add_f32_e32 v7, v7, v14
	v_dual_mul_f32 v21, v22, v37 :: v_dual_fmac_f32 v20, v15, v16
	v_lshlrev_b32_e32 v16, 16, v52
	v_dual_mul_f32 v8, v22, v38 :: v_dual_add_f32 v13, v24, v13
	s_delay_alu instid0(VALU_DEP_4) | instskip(SKIP_1) | instid1(VALU_DEP_4)
	v_add_f32_e32 v1, v7, v1
	v_mul_f32_e32 v7, v12, v46
	v_dual_fmac_f32 v21, v16, v17 :: v_dual_add_f32 v2, v25, v20
	v_and_b32_e32 v12, 0xffff0000, v53
	s_delay_alu instid0(VALU_DEP_3) | instskip(SKIP_1) | instid1(VALU_DEP_3)
	v_dual_fmac_f32 v7, v3, v11 :: v_dual_lshlrev_b32 v14, 16, v53
	v_dual_fmac_f32 v8, v16, v9 :: v_dual_and_b32 v17, 0xffff0000, v54
	v_dual_add_f32 v2, v2, v21 :: v_dual_mul_f32 v15, v12, v39
	v_dual_mul_f32 v9, v12, v41 :: v_dual_lshlrev_b32 v12, 16, v54
	s_delay_alu instid0(VALU_DEP_3) | instskip(SKIP_1) | instid1(VALU_DEP_4)
	v_add_f32_e32 v8, v13, v8
	v_dual_add_f32 v76, v4, v0 :: v_dual_add_f32 v75, v1, v7
	v_fmac_f32_e32 v15, v14, v18
	s_delay_alu instid0(VALU_DEP_4) | instskip(SKIP_2) | instid1(VALU_DEP_3)
	v_fmac_f32_e32 v9, v14, v10
	v_mul_f32_e32 v16, v17, v42
	v_mul_f32_e32 v10, v17, v46
	v_dual_add_f32 v2, v2, v15 :: v_dual_add_f32 v3, v8, v9
	s_delay_alu instid0(VALU_DEP_3) | instskip(NEXT) | instid1(VALU_DEP_3)
	v_fmac_f32_e32 v16, v12, v19
	v_fmac_f32_e32 v10, v12, v11
	s_delay_alu instid0(VALU_DEP_1)
	v_dual_add_f32 v74, v2, v16 :: v_dual_add_f32 v73, v3, v10
.LBB283_16:                             ;   in Loop: Header=BB283_17 Depth=2
	s_or_b32 exec_lo, exec_lo, s2
	s_addk_i32 s15, 0x200
	s_delay_alu instid0(SALU_CYCLE_1)
	s_cmp_ge_u32 s15, s16
	s_cbranch_scc1 .LBB283_29
.LBB283_17:                             ;   Parent Loop BB283_12 Depth=1
                                        ; =>  This Loop Header: Depth=2
                                        ;       Child Loop BB283_22 Depth 3
	s_cmp_eq_u32 s15, 0
	s_cselect_b32 s41, -1, 0
	s_add_i32 s2, s14, s23
	s_delay_alu instid0(SALU_CYCLE_1) | instskip(SKIP_1) | instid1(SALU_CYCLE_1)
	s_cmp_eq_u32 s15, s2
	s_cselect_b32 s42, -1, 0
	s_or_b32 s42, s41, s42
	s_delay_alu instid0(SALU_CYCLE_1)
	s_and_not1_b32 vcc_lo, exec_lo, s42
	s_cbranch_vccz .LBB283_19
; %bb.18:                               ;   in Loop: Header=BB283_17 Depth=2
	s_and_saveexec_b32 s2, s1
	s_cbranch_execz .LBB283_16
	s_branch .LBB283_26
.LBB283_19:                             ;   in Loop: Header=BB283_17 Depth=2
	s_and_b32 s41, s41, exec_lo
	s_cselect_b32 s14, s14, s2
	s_and_not1_b32 vcc_lo, exec_lo, s21
	s_waitcnt vmcnt(0) lgkmcnt(0)
	s_waitcnt_vscnt null, 0x0
	s_barrier
	buffer_gl0_inv
	s_cbranch_vccnz .LBB283_25
; %bb.20:                               ;   in Loop: Header=BB283_17 Depth=2
	v_dual_mov_b32 v5, v68 :: v_dual_add_nc_u32 v0, s14, v69
	v_add_nc_u32_e32 v1, s14, v61
	v_add_nc_u32_e32 v2, s14, v70
	;; [unrolled: 1-line block ×4, first 2 shown]
	s_mov_b32 s41, 0
	s_mov_b32 s42, 0
                                        ; implicit-def: $sgpr43
	s_branch .LBB283_22
.LBB283_21:                             ;   in Loop: Header=BB283_22 Depth=3
	s_or_b32 exec_lo, exec_lo, s2
	s_delay_alu instid0(SALU_CYCLE_1) | instskip(NEXT) | instid1(SALU_CYCLE_1)
	s_and_b32 s2, exec_lo, s43
	s_or_b32 s41, s2, s41
	s_delay_alu instid0(SALU_CYCLE_1)
	s_and_not1_b32 exec_lo, exec_lo, s41
	s_cbranch_execz .LBB283_24
.LBB283_22:                             ;   Parent Loop BB283_12 Depth=1
                                        ;     Parent Loop BB283_17 Depth=2
                                        ; =>    This Inner Loop Header: Depth=3
	s_delay_alu instid0(VALU_DEP_1) | instskip(SKIP_2) | instid1(VALU_DEP_2)
	v_add_nc_u32_e32 v58, s42, v4
	v_add_nc_u32_e32 v6, s42, v60
	s_or_b32 s43, s43, exec_lo
	v_cmp_gt_u32_e32 vcc_lo, s18, v58
	s_delay_alu instid0(VALU_DEP_2) | instskip(NEXT) | instid1(VALU_DEP_1)
	v_cmp_gt_u32_e64 s2, s23, v6
	s_and_b32 s44, s2, vcc_lo
	s_delay_alu instid0(SALU_CYCLE_1)
	s_and_saveexec_b32 s2, s44
	s_cbranch_execz .LBB283_21
; %bb.23:                               ;   in Loop: Header=BB283_22 Depth=3
	v_lshlrev_b64 v[6:7], 1, v[58:59]
	v_add_nc_u32_e32 v58, s42, v3
	v_add_nc_u32_e32 v26, s40, v5
	;; [unrolled: 1-line block ×3, first 2 shown]
	s_delay_alu instid0(VALU_DEP_3) | instskip(SKIP_3) | instid1(VALU_DEP_3)
	v_lshlrev_b64 v[8:9], 1, v[58:59]
	v_add_nc_u32_e32 v58, s42, v0
	v_add_co_u32 v6, vcc_lo, s8, v6
	v_add_co_ci_u32_e32 v7, vcc_lo, s9, v7, vcc_lo
	v_lshlrev_b64 v[10:11], 1, v[58:59]
	v_add_nc_u32_e32 v58, s42, v1
	v_add_co_u32 v12, vcc_lo, s8, v8
	v_add_co_ci_u32_e32 v13, vcc_lo, s9, v9, vcc_lo
	s_delay_alu instid0(VALU_DEP_3) | instskip(SKIP_3) | instid1(VALU_DEP_3)
	v_lshlrev_b64 v[18:19], 1, v[58:59]
	v_add_nc_u32_e32 v58, s42, v2
	v_add_co_u32 v14, vcc_lo, s8, v10
	v_add_co_ci_u32_e32 v15, vcc_lo, s9, v11, vcc_lo
	v_lshlrev_b64 v[20:21], 1, v[58:59]
	v_add_co_u32 v18, vcc_lo, s8, v18
	v_add_co_ci_u32_e32 v19, vcc_lo, s9, v19, vcc_lo
	s_clause 0x2
	global_load_b128 v[6:9], v[6:7], off
	global_load_b128 v[10:13], v[12:13], off
	;; [unrolled: 1-line block ×3, first 2 shown]
	v_add_co_u32 v22, vcc_lo, s8, v20
	v_add_co_ci_u32_e32 v23, vcc_lo, s9, v21, vcc_lo
	s_clause 0x1
	global_load_b128 v[18:21], v[18:19], off
	global_load_b128 v[22:25], v[22:23], off
	s_add_i32 s42, s42, s25
	s_waitcnt vmcnt(4)
	ds_store_b128 v5, v[6:9]
	s_waitcnt vmcnt(3)
	ds_store_2addr_b64 v26, v[10:11], v[12:13] offset1:1
	s_waitcnt vmcnt(2)
	ds_store_2addr_b32 v27, v14, v15 offset1:1
	ds_store_2addr_b32 v27, v16, v17 offset0:2 offset1:3
	s_cmp_ge_u32 s42, s23
	v_add_nc_u32_e32 v6, s5, v5
	s_cselect_b32 s44, -1, 0
	v_add_nc_u32_e32 v7, s37, v5
	v_add_nc_u32_e32 v5, s20, v5
	s_and_not1_b32 s43, s43, exec_lo
	s_and_b32 s44, s44, exec_lo
	s_waitcnt vmcnt(1)
	ds_store_2addr_b64 v6, v[18:19], v[20:21] offset1:1
	s_or_b32 s43, s43, s44
	s_waitcnt vmcnt(0)
	ds_store_2addr_b64 v7, v[22:23], v[24:25] offset1:1
	s_branch .LBB283_21
.LBB283_24:                             ;   in Loop: Header=BB283_17 Depth=2
	s_or_b32 exec_lo, exec_lo, s41
.LBB283_25:                             ;   in Loop: Header=BB283_17 Depth=2
	s_waitcnt lgkmcnt(0)
	s_barrier
	buffer_gl0_inv
	s_and_saveexec_b32 s2, s1
	s_cbranch_execz .LBB283_16
.LBB283_26:                             ;   in Loop: Header=BB283_17 Depth=2
	v_dual_mov_b32 v54, 0 :: v_dual_add_nc_u32 v83, s15, v67
	v_mov_b32_e32 v52, 0
	s_waitcnt vmcnt(1)
	v_dual_mov_b32 v14, 0 :: v_dual_mov_b32 v23, 0
	s_delay_alu instid0(VALU_DEP_3) | instskip(SKIP_2) | instid1(VALU_DEP_3)
	v_min_u32_e32 v58, s26, v83
	v_dual_mov_b32 v53, 0 :: v_dual_add_nc_u32 v84, 0x100, v83
	v_dual_mov_b32 v12, 0 :: v_dual_mov_b32 v21, 0
	v_lshlrev_b64 v[0:1], 1, v[58:59]
	s_delay_alu instid0(VALU_DEP_3) | instskip(SKIP_2) | instid1(VALU_DEP_4)
	v_min_u32_e32 v58, s26, v84
	v_dual_mov_b32 v22, 0 :: v_dual_mov_b32 v27, 0
	v_dual_mov_b32 v20, 0 :: v_dual_mov_b32 v25, 0
	v_add_co_u32 v4, vcc_lo, s6, v0
	s_waitcnt lgkmcnt(1)
	v_add_co_ci_u32_e32 v5, vcc_lo, s7, v1, vcc_lo
	v_lshlrev_b64 v[0:1], 1, v[58:59]
	s_delay_alu instid0(VALU_DEP_3) | instskip(SKIP_1) | instid1(VALU_DEP_3)
	v_add_co_u32 v2, vcc_lo, v4, v62
	s_waitcnt lgkmcnt(0)
	v_add_co_ci_u32_e32 v3, vcc_lo, v5, v63, vcc_lo
	v_mov_b32_e32 v58, 0
	s_delay_alu instid0(VALU_DEP_4) | instskip(SKIP_3) | instid1(VALU_DEP_4)
	v_add_co_u32 v6, vcc_lo, s6, v0
	v_add_co_ci_u32_e32 v7, vcc_lo, s7, v1, vcc_lo
	v_add_co_u32 v0, vcc_lo, v4, v64
	v_add_co_ci_u32_e32 v1, vcc_lo, v5, v65, vcc_lo
	v_add_co_u32 v4, vcc_lo, v6, v62
	s_delay_alu instid0(VALU_DEP_4)
	v_add_co_ci_u32_e32 v5, vcc_lo, v7, v63, vcc_lo
	v_add_co_u32 v6, vcc_lo, v6, v64
	v_add_co_ci_u32_e32 v7, vcc_lo, v7, v65, vcc_lo
	s_clause 0x3
	global_load_b128 v[44:47], v[2:3], off slc dlc
	global_load_b128 v[36:39], v[0:1], off slc dlc
	global_load_b128 v[16:19], v[4:5], off slc dlc
	global_load_b128 v[8:11], v[6:7], off slc dlc
	v_mov_b32_e32 v1, 0
	v_cmp_gt_u32_e32 vcc_lo, s16, v83
	v_dual_mov_b32 v3, 0 :: v_dual_mov_b32 v2, 0
	v_dual_mov_b32 v7, 0 :: v_dual_mov_b32 v0, 0
	;; [unrolled: 1-line block ×13, first 2 shown]
	v_mov_b32_e32 v48, 0
	s_and_saveexec_b32 s41, vcc_lo
	s_cbranch_execz .LBB283_15
; %bb.27:                               ;   in Loop: Header=BB283_17 Depth=2
	v_subrev_nc_u32_e32 v0, s14, v83
	v_cmp_gt_u32_e32 vcc_lo, s16, v84
	v_dual_mov_b32 v13, 0 :: v_dual_mov_b32 v14, 0
	v_dual_mov_b32 v15, 0 :: v_dual_mov_b32 v4, 0
	s_delay_alu instid0(VALU_DEP_4) | instskip(SKIP_1) | instid1(VALU_DEP_2)
	v_dual_mov_b32 v20, 0 :: v_dual_lshlrev_b32 v87, 1, v0
	v_dual_mov_b32 v5, 0 :: v_dual_mov_b32 v6, 0
	v_dual_mov_b32 v21, 0 :: v_dual_add_nc_u32 v86, s40, v87
	v_dual_mov_b32 v7, 0 :: v_dual_mov_b32 v0, 0
	v_dual_mov_b32 v1, 0 :: v_dual_mov_b32 v2, 0
	s_delay_alu instid0(VALU_DEP_3) | instskip(SKIP_1) | instid1(VALU_DEP_2)
	v_dual_mov_b32 v22, 0 :: v_dual_add_nc_u32 v83, s40, v86
	v_dual_mov_b32 v3, 0 :: v_dual_mov_b32 v58, 0
	v_dual_mov_b32 v23, 0 :: v_dual_add_nc_u32 v84, s40, v83
	v_dual_mov_b32 v52, 0 :: v_dual_mov_b32 v53, 0
	v_mov_b32_e32 v54, 0
	s_delay_alu instid0(VALU_DEP_3)
	v_dual_mov_b32 v12, 0 :: v_dual_add_nc_u32 v85, s40, v84
	ds_load_b128 v[48:51], v87
	ds_load_b128 v[40:43], v86
	ds_load_b128 v[32:35], v83
	ds_load_b128 v[28:31], v84
	ds_load_b128 v[24:27], v85
	s_and_saveexec_b32 s42, vcc_lo
	s_cbranch_execz .LBB283_14
; %bb.28:                               ;   in Loop: Header=BB283_17 Depth=2
	ds_load_b128 v[20:23], v87 offset:512
	ds_load_b128 v[12:15], v86 offset:512
	;; [unrolled: 1-line block ×4, first 2 shown]
	ds_load_b32 v58, v85 offset:512
	ds_load_b96 v[52:54], v85 offset:516
	s_branch .LBB283_14
.LBB283_29:                             ;   in Loop: Header=BB283_12 Depth=1
	s_mov_b32 s1, exec_lo
	v_cmpx_le_u32_e64 s19, v57
	s_xor_b32 s1, exec_lo, s1
; %bb.30:                               ;   in Loop: Header=BB283_12 Depth=1
	v_add_nc_u32_e32 v57, s28, v57
                                        ; implicit-def: $vgpr73
                                        ; implicit-def: $vgpr74
                                        ; implicit-def: $vgpr75
                                        ; implicit-def: $vgpr76
                                        ; implicit-def: $vgpr77
                                        ; implicit-def: $vgpr79
                                        ; implicit-def: $vgpr78
                                        ; implicit-def: $vgpr80
                                        ; implicit-def: $vgpr82
                                        ; implicit-def: $vgpr81
; %bb.31:                               ;   in Loop: Header=BB283_12 Depth=1
	s_and_not1_saveexec_b32 s41, s1
	s_cbranch_execz .LBB283_11
; %bb.32:                               ;   in Loop: Header=BB283_12 Depth=1
	v_xor_b32_e32 v0, 16, v66
	s_waitcnt lgkmcnt(3)
	v_cvt_i32_f32_e32 v1, v81
	s_waitcnt lgkmcnt(0)
	v_cvt_i32_f32_e32 v3, v80
	v_cvt_i32_f32_e32 v4, v78
	;; [unrolled: 1-line block ×3, first 2 shown]
	v_cmp_gt_i32_e32 vcc_lo, 32, v0
	v_cvt_f32_i32_dpp v1, v1 row_shr:8 row_mask:0xf bank_mask:0xf bound_ctrl:1
	v_cvt_i32_f32_e32 v2, v82
	s_delay_alu instid0(VALU_DEP_2) | instskip(NEXT) | instid1(VALU_DEP_2)
	v_dual_cndmask_b32 v0, v66, v0 :: v_dual_add_f32 v1, v81, v1
	v_cvt_f32_i32_dpp v2, v2 row_shr:8 row_mask:0xf bank_mask:0xf bound_ctrl:1
	s_waitcnt vmcnt(0)
	s_delay_alu instid0(VALU_DEP_2) | instskip(SKIP_4) | instid1(VALU_DEP_3)
	v_lshlrev_b32_e32 v10, 2, v0
	v_cvt_f32_i32_dpp v0, v3 row_shr:8 row_mask:0xf bank_mask:0xf bound_ctrl:1
	v_cvt_f32_i32_dpp v3, v4 row_shr:8 row_mask:0xf bank_mask:0xf bound_ctrl:1
	;; [unrolled: 1-line block ×3, first 2 shown]
	v_cvt_i32_f32_e32 v5, v1
	v_add_f32_e32 v3, v78, v3
	s_delay_alu instid0(VALU_DEP_2) | instskip(SKIP_1) | instid1(VALU_DEP_3)
	v_cvt_f32_i32_dpp v5, v5 row_shr:4 row_mask:0xf bank_mask:0xf bound_ctrl:1
	v_add_f32_e32 v2, v82, v2
	v_cvt_i32_f32_e32 v8, v3
	s_delay_alu instid0(VALU_DEP_3) | instskip(NEXT) | instid1(VALU_DEP_3)
	v_add_f32_e32 v1, v1, v5
	v_cvt_i32_f32_e32 v6, v2
	s_delay_alu instid0(VALU_DEP_3) | instskip(NEXT) | instid1(VALU_DEP_3)
	v_cvt_f32_i32_dpp v8, v8 row_shr:4 row_mask:0xf bank_mask:0xf bound_ctrl:1
	v_cvt_i32_f32_e32 v5, v1
	s_delay_alu instid0(VALU_DEP_3) | instskip(NEXT) | instid1(VALU_DEP_3)
	v_cvt_f32_i32_dpp v6, v6 row_shr:4 row_mask:0xf bank_mask:0xf bound_ctrl:1
	v_add_f32_e32 v3, v3, v8
	s_delay_alu instid0(VALU_DEP_3) | instskip(SKIP_1) | instid1(VALU_DEP_4)
	v_cvt_f32_i32_dpp v5, v5 row_shr:2 row_mask:0xf bank_mask:0xf bound_ctrl:1
	v_add_f32_e32 v0, v80, v0
	v_add_f32_e32 v2, v2, v6
	s_delay_alu instid0(VALU_DEP_4) | instskip(NEXT) | instid1(VALU_DEP_4)
	v_cvt_i32_f32_e32 v8, v3
	v_add_f32_e32 v1, v1, v5
	s_delay_alu instid0(VALU_DEP_4) | instskip(NEXT) | instid1(VALU_DEP_4)
	v_cvt_i32_f32_e32 v7, v0
	v_cvt_i32_f32_e32 v6, v2
	s_delay_alu instid0(VALU_DEP_4) | instskip(NEXT) | instid1(VALU_DEP_4)
	v_cvt_f32_i32_dpp v8, v8 row_shr:2 row_mask:0xf bank_mask:0xf bound_ctrl:1
	v_cvt_i32_f32_e32 v5, v1
	s_delay_alu instid0(VALU_DEP_4) | instskip(NEXT) | instid1(VALU_DEP_4)
	v_cvt_f32_i32_dpp v7, v7 row_shr:4 row_mask:0xf bank_mask:0xf bound_ctrl:1
	v_cvt_f32_i32_dpp v6, v6 row_shr:2 row_mask:0xf bank_mask:0xf bound_ctrl:1
	s_delay_alu instid0(VALU_DEP_4) | instskip(NEXT) | instid1(VALU_DEP_4)
	v_add_f32_e32 v3, v3, v8
	v_cvt_f32_i32_dpp v5, v5 row_shr:1 row_mask:0xf bank_mask:0xf bound_ctrl:1
	s_delay_alu instid0(VALU_DEP_4) | instskip(NEXT) | instid1(VALU_DEP_3)
	v_add_f32_e32 v0, v0, v7
	v_cvt_i32_f32_e32 v8, v3
	s_delay_alu instid0(VALU_DEP_3) | instskip(SKIP_1) | instid1(VALU_DEP_4)
	v_add_f32_e32 v22, v1, v5
	v_cvt_i32_f32_e32 v1, v76
	v_cvt_i32_f32_e32 v7, v0
	s_delay_alu instid0(VALU_DEP_4) | instskip(NEXT) | instid1(VALU_DEP_3)
	v_cvt_f32_i32_dpp v8, v8 row_shr:1 row_mask:0xf bank_mask:0xf bound_ctrl:1
	v_cvt_f32_i32_dpp v1, v1 row_shr:8 row_mask:0xf bank_mask:0xf bound_ctrl:1
	v_add_f32_e32 v2, v2, v6
	s_delay_alu instid0(VALU_DEP_4) | instskip(NEXT) | instid1(VALU_DEP_4)
	v_cvt_f32_i32_dpp v7, v7 row_shr:2 row_mask:0xf bank_mask:0xf bound_ctrl:1
	v_add_f32_e32 v13, v3, v8
	v_cvt_i32_f32_e32 v3, v74
	v_add_f32_e32 v1, v76, v1
	v_cvt_i32_f32_e32 v6, v2
	ds_bpermute_b32 v15, v10, v13
	v_cvt_f32_i32_dpp v3, v3 row_shr:8 row_mask:0xf bank_mask:0xf bound_ctrl:1
	v_cvt_f32_i32_dpp v6, v6 row_shr:1 row_mask:0xf bank_mask:0xf bound_ctrl:1
	s_delay_alu instid0(VALU_DEP_2) | instskip(NEXT) | instid1(VALU_DEP_2)
	v_dual_add_f32 v4, v79, v4 :: v_dual_add_f32 v3, v74, v3
	v_add_f32_e32 v19, v2, v6
	s_delay_alu instid0(VALU_DEP_2)
	v_cvt_i32_f32_e32 v9, v4
	v_cvt_i32_f32_e32 v6, v1
	;; [unrolled: 1-line block ×4, first 2 shown]
	ds_bpermute_b32 v21, v10, v19
	v_cvt_f32_i32_dpp v9, v9 row_shr:4 row_mask:0xf bank_mask:0xf bound_ctrl:1
	v_cvt_f32_i32_dpp v6, v6 row_shr:4 row_mask:0xf bank_mask:0xf bound_ctrl:1
	v_add_f32_e32 v0, v0, v7
	v_cvt_f32_i32_dpp v2, v2 row_shr:8 row_mask:0xf bank_mask:0xf bound_ctrl:1
	v_cvt_f32_i32_dpp v11, v11 row_shr:4 row_mask:0xf bank_mask:0xf bound_ctrl:1
	s_delay_alu instid0(VALU_DEP_4) | instskip(NEXT) | instid1(VALU_DEP_4)
	v_dual_add_f32 v4, v4, v9 :: v_dual_add_f32 v1, v1, v6
	v_cvt_i32_f32_e32 v7, v0
	s_delay_alu instid0(VALU_DEP_3) | instskip(NEXT) | instid1(VALU_DEP_3)
	v_add_f32_e32 v3, v3, v11
	v_cvt_i32_f32_e32 v9, v4
	s_delay_alu instid0(VALU_DEP_4) | instskip(NEXT) | instid1(VALU_DEP_4)
	v_cvt_i32_f32_e32 v6, v1
	v_cvt_f32_i32_dpp v7, v7 row_shr:1 row_mask:0xf bank_mask:0xf bound_ctrl:1
	ds_bpermute_b32 v24, v10, v22
	v_cvt_i32_f32_e32 v11, v3
	v_cvt_f32_i32_dpp v9, v9 row_shr:2 row_mask:0xf bank_mask:0xf bound_ctrl:1
	v_cvt_f32_i32_dpp v6, v6 row_shr:2 row_mask:0xf bank_mask:0xf bound_ctrl:1
	v_add_f32_e32 v16, v0, v7
	v_cvt_i32_f32_e32 v0, v77
	v_cvt_f32_i32_dpp v11, v11 row_shr:2 row_mask:0xf bank_mask:0xf bound_ctrl:1
	s_delay_alu instid0(VALU_DEP_4)
	v_dual_add_f32 v4, v4, v9 :: v_dual_add_f32 v1, v1, v6
	ds_bpermute_b32 v18, v10, v16
	v_cvt_f32_i32_dpp v0, v0 row_shr:8 row_mask:0xf bank_mask:0xf bound_ctrl:1
	v_add_f32_e32 v3, v3, v11
	v_cvt_i32_f32_e32 v9, v4
	v_cvt_i32_f32_e32 v6, v1
	s_delay_alu instid0(VALU_DEP_4) | instskip(NEXT) | instid1(VALU_DEP_4)
	v_add_f32_e32 v0, v77, v0
	v_cvt_i32_f32_e32 v11, v3
	s_delay_alu instid0(VALU_DEP_4) | instskip(NEXT) | instid1(VALU_DEP_4)
	v_cvt_f32_i32_dpp v9, v9 row_shr:1 row_mask:0xf bank_mask:0xf bound_ctrl:1
	v_cvt_f32_i32_dpp v6, v6 row_shr:1 row_mask:0xf bank_mask:0xf bound_ctrl:1
	s_delay_alu instid0(VALU_DEP_4) | instskip(NEXT) | instid1(VALU_DEP_4)
	v_cvt_i32_f32_e32 v5, v0
	v_cvt_f32_i32_dpp v14, v11 row_shr:1 row_mask:0xf bank_mask:0xf bound_ctrl:1
	s_delay_alu instid0(VALU_DEP_4)
	v_add_f32_e32 v8, v4, v9
	v_cvt_i32_f32_e32 v4, v73
	v_add_f32_e32 v6, v1, v6
	v_cvt_f32_i32_dpp v5, v5 row_shr:4 row_mask:0xf bank_mask:0xf bound_ctrl:1
	ds_bpermute_b32 v9, v10, v8
	v_cvt_f32_i32_dpp v4, v4 row_shr:8 row_mask:0xf bank_mask:0xf bound_ctrl:1
	v_add_f32_e32 v0, v0, v5
	s_delay_alu instid0(VALU_DEP_2) | instskip(NEXT) | instid1(VALU_DEP_2)
	v_add_f32_e32 v4, v73, v4
	v_cvt_i32_f32_e32 v5, v0
	s_delay_alu instid0(VALU_DEP_2) | instskip(NEXT) | instid1(VALU_DEP_2)
	v_cvt_i32_f32_e32 v12, v4
	v_cvt_f32_i32_dpp v5, v5 row_shr:2 row_mask:0xf bank_mask:0xf bound_ctrl:1
	s_delay_alu instid0(VALU_DEP_2) | instskip(NEXT) | instid1(VALU_DEP_2)
	v_cvt_f32_i32_dpp v12, v12 row_shr:4 row_mask:0xf bank_mask:0xf bound_ctrl:1
	v_add_f32_e32 v0, v0, v5
	s_delay_alu instid0(VALU_DEP_2) | instskip(NEXT) | instid1(VALU_DEP_1)
	v_add_f32_e32 v4, v4, v12
	v_cvt_i32_f32_e32 v12, v4
	s_delay_alu instid0(VALU_DEP_1) | instskip(NEXT) | instid1(VALU_DEP_1)
	v_cvt_f32_i32_dpp v12, v12 row_shr:2 row_mask:0xf bank_mask:0xf bound_ctrl:1
	v_dual_add_f32 v2, v75, v2 :: v_dual_add_f32 v5, v4, v12
	s_delay_alu instid0(VALU_DEP_1) | instskip(SKIP_1) | instid1(VALU_DEP_3)
	v_cvt_i32_f32_e32 v7, v2
	v_cvt_i32_f32_e32 v4, v0
	;; [unrolled: 1-line block ×3, first 2 shown]
	s_delay_alu instid0(VALU_DEP_3) | instskip(NEXT) | instid1(VALU_DEP_3)
	v_cvt_f32_i32_dpp v7, v7 row_shr:4 row_mask:0xf bank_mask:0xf bound_ctrl:1
	v_cvt_f32_i32_dpp v4, v4 row_shr:1 row_mask:0xf bank_mask:0xf bound_ctrl:1
	s_delay_alu instid0(VALU_DEP_3) | instskip(NEXT) | instid1(VALU_DEP_2)
	v_cvt_f32_i32_dpp v12, v12 row_shr:1 row_mask:0xf bank_mask:0xf bound_ctrl:1
	v_dual_add_f32 v2, v2, v7 :: v_dual_add_f32 v11, v0, v4
	s_delay_alu instid0(VALU_DEP_2) | instskip(NEXT) | instid1(VALU_DEP_2)
	v_add_f32_e32 v0, v5, v12
	v_cvt_i32_f32_e32 v7, v2
	ds_bpermute_b32 v12, v10, v11
	ds_bpermute_b32 v1, v10, v0
	v_cvt_f32_i32_dpp v7, v7 row_shr:2 row_mask:0xf bank_mask:0xf bound_ctrl:1
	s_delay_alu instid0(VALU_DEP_1) | instskip(NEXT) | instid1(VALU_DEP_1)
	v_add_f32_e32 v2, v2, v7
	v_cvt_i32_f32_e32 v7, v2
	s_delay_alu instid0(VALU_DEP_1) | instskip(NEXT) | instid1(VALU_DEP_1)
	v_cvt_f32_i32_dpp v7, v7 row_shr:1 row_mask:0xf bank_mask:0xf bound_ctrl:1
	v_add_f32_e32 v4, v2, v7
	v_add_f32_e32 v2, v3, v14
	ds_bpermute_b32 v7, v10, v6
	ds_bpermute_b32 v5, v10, v4
	;; [unrolled: 1-line block ×3, first 2 shown]
	s_and_saveexec_b32 s14, s0
	s_cbranch_execz .LBB283_95
; %bb.33:                               ;   in Loop: Header=BB283_12 Depth=1
	v_dual_mov_b32 v29, 0 :: v_dual_mov_b32 v28, 0
	v_dual_mov_b32 v27, 0 :: v_dual_mov_b32 v26, 0
	;; [unrolled: 1-line block ×5, first 2 shown]
	s_and_not1_b32 vcc_lo, exec_lo, s29
	s_cbranch_vccnz .LBB283_35
; %bb.34:                               ;   in Loop: Header=BB283_12 Depth=1
	v_dual_mov_b32 v29, v59 :: v_dual_add_nc_u32 v10, 1, v57
	v_mul_hi_u32 v14, v57, v72
	v_mov_b32_e32 v34, v59
	v_mov_b32_e32 v31, v59
	s_delay_alu instid0(VALU_DEP_4) | instskip(NEXT) | instid1(VALU_DEP_4)
	v_mul_hi_u32 v17, v10, v72
	v_mul_lo_u32 v14, v14, s4
	s_delay_alu instid0(VALU_DEP_2) | instskip(NEXT) | instid1(VALU_DEP_2)
	v_mul_lo_u32 v17, v17, s4
	v_sub_nc_u32_e32 v14, v57, v14
	s_delay_alu instid0(VALU_DEP_2) | instskip(NEXT) | instid1(VALU_DEP_2)
	v_sub_nc_u32_e32 v10, v10, v17
	v_subrev_nc_u32_e32 v17, s4, v14
	v_cmp_le_u32_e32 vcc_lo, s4, v14
	s_delay_alu instid0(VALU_DEP_3) | instskip(NEXT) | instid1(VALU_DEP_3)
	v_subrev_nc_u32_e32 v20, s4, v10
	v_cndmask_b32_e32 v14, v14, v17, vcc_lo
	v_cmp_le_u32_e32 vcc_lo, s4, v10
	s_delay_alu instid0(VALU_DEP_2) | instskip(NEXT) | instid1(VALU_DEP_4)
	v_subrev_nc_u32_e32 v17, s4, v14
	v_cndmask_b32_e32 v10, v10, v20, vcc_lo
	v_cmp_le_u32_e32 vcc_lo, s4, v14
	s_delay_alu instid0(VALU_DEP_3) | instskip(NEXT) | instid1(VALU_DEP_1)
	v_cndmask_b32_e32 v58, v14, v17, vcc_lo
	v_add_nc_u32_e32 v27, s31, v58
	s_delay_alu instid0(VALU_DEP_4) | instskip(SKIP_2) | instid1(VALU_DEP_3)
	v_subrev_nc_u32_e32 v20, s4, v10
	v_cmp_le_u32_e32 vcc_lo, s4, v10
	v_mov_b32_e32 v26, v59
	v_dual_cndmask_b32 v25, v10, v20 :: v_dual_add_nc_u32 v30, s33, v58
	v_mov_b32_e32 v32, v59
	s_delay_alu instid0(VALU_DEP_2) | instskip(NEXT) | instid1(VALU_DEP_3)
	v_lshlrev_b64 v[39:40], 1, v[30:31]
	v_add_nc_u32_e32 v31, s33, v25
	v_lshlrev_b64 v[37:38], 1, v[25:26]
	v_add_nc_u32_e32 v30, s34, v25
	s_delay_alu instid0(VALU_DEP_3) | instskip(SKIP_4) | instid1(VALU_DEP_2)
	v_lshlrev_b64 v[41:42], 1, v[31:32]
	v_mov_b32_e32 v31, v59
	v_lshlrev_b64 v[35:36], 1, v[58:59]
	v_dual_mov_b32 v28, v59 :: v_dual_add_nc_u32 v33, s34, v58
	v_add_nc_u32_e32 v58, s39, v58
	v_lshlrev_b64 v[26:27], 1, v[27:28]
	s_delay_alu instid0(VALU_DEP_4) | instskip(SKIP_4) | instid1(VALU_DEP_4)
	v_add_co_u32 v35, vcc_lo, s10, v35
	v_add_nc_u32_e32 v28, s31, v25
	v_add_co_ci_u32_e32 v36, vcc_lo, s11, v36, vcc_lo
	v_add_co_u32 v37, vcc_lo, s10, v37
	v_add_co_ci_u32_e32 v38, vcc_lo, s11, v38, vcc_lo
	v_lshlrev_b64 v[28:29], 1, v[28:29]
	v_add_co_u32 v26, vcc_lo, s10, v26
	v_add_co_ci_u32_e32 v27, vcc_lo, s11, v27, vcc_lo
	v_add_co_u32 v39, vcc_lo, s10, v39
	v_add_co_ci_u32_e32 v40, vcc_lo, s11, v40, vcc_lo
	v_lshlrev_b64 v[33:34], 1, v[33:34]
	v_add_co_u32 v43, vcc_lo, s10, v28
	v_add_co_ci_u32_e32 v44, vcc_lo, s11, v29, vcc_lo
	v_add_co_u32 v41, vcc_lo, s10, v41
	v_lshlrev_b64 v[28:29], 1, v[30:31]
	v_add_co_ci_u32_e32 v42, vcc_lo, s11, v42, vcc_lo
	v_add_co_u32 v30, vcc_lo, s10, v33
	v_lshlrev_b64 v[32:33], 1, v[58:59]
	v_add_nc_u32_e32 v58, s39, v25
	v_add_co_ci_u32_e32 v31, vcc_lo, s11, v34, vcc_lo
	v_add_co_u32 v45, vcc_lo, s10, v28
	v_add_co_ci_u32_e32 v46, vcc_lo, s11, v29, vcc_lo
	s_delay_alu instid0(VALU_DEP_4) | instskip(SKIP_2) | instid1(VALU_DEP_3)
	v_lshlrev_b64 v[28:29], 1, v[58:59]
	v_add_co_u32 v32, vcc_lo, s10, v32
	v_add_co_ci_u32_e32 v33, vcc_lo, s11, v33, vcc_lo
	v_add_co_u32 v47, vcc_lo, s10, v28
	s_delay_alu instid0(VALU_DEP_4)
	v_add_co_ci_u32_e32 v48, vcc_lo, s11, v29, vcc_lo
	s_clause 0x9
	global_load_u16 v29, v[35:36], off
	global_load_u16 v28, v[37:38], off
	;; [unrolled: 1-line block ×10, first 2 shown]
.LBB283_35:                             ;   in Loop: Header=BB283_12 Depth=1
	v_cmp_ne_u32_e32 vcc_lo, 0, v55
	s_and_saveexec_b32 s2, vcc_lo
	s_cbranch_execnz .LBB283_45
; %bb.36:                               ;   in Loop: Header=BB283_12 Depth=1
	s_or_b32 exec_lo, exec_lo, s2
	v_cmp_ne_u32_e64 s1, 0, v56
	s_delay_alu instid0(VALU_DEP_1)
	s_and_saveexec_b32 s15, s1
	s_cbranch_execnz .LBB283_50
.LBB283_37:                             ;   in Loop: Header=BB283_12 Depth=1
	s_or_b32 exec_lo, exec_lo, s15
	v_add_nc_u32_e32 v58, s19, v57
	s_and_saveexec_b32 s15, vcc_lo
	s_cbranch_execnz .LBB283_55
.LBB283_38:                             ;   in Loop: Header=BB283_12 Depth=1
	s_or_b32 exec_lo, exec_lo, s15
	s_and_saveexec_b32 s15, s1
	s_cbranch_execnz .LBB283_60
.LBB283_39:                             ;   in Loop: Header=BB283_12 Depth=1
	s_or_b32 exec_lo, exec_lo, s15
	v_add_nc_u32_e32 v58, s19, v58
	s_and_saveexec_b32 s15, vcc_lo
	s_cbranch_execnz .LBB283_65
.LBB283_40:                             ;   in Loop: Header=BB283_12 Depth=1
	s_or_b32 exec_lo, exec_lo, s15
	s_and_saveexec_b32 s15, s1
	s_cbranch_execnz .LBB283_70
.LBB283_41:                             ;   in Loop: Header=BB283_12 Depth=1
	s_or_b32 exec_lo, exec_lo, s15
	v_add_nc_u32_e32 v58, s19, v58
	s_and_saveexec_b32 s15, vcc_lo
	s_cbranch_execnz .LBB283_75
.LBB283_42:                             ;   in Loop: Header=BB283_12 Depth=1
	s_or_b32 exec_lo, exec_lo, s15
	s_and_saveexec_b32 s15, s1
	s_cbranch_execnz .LBB283_80
.LBB283_43:                             ;   in Loop: Header=BB283_12 Depth=1
	s_or_b32 exec_lo, exec_lo, s15
	v_add_nc_u32_e32 v58, s19, v58
	s_and_saveexec_b32 s2, vcc_lo
	s_cbranch_execnz .LBB283_85
.LBB283_44:                             ;   in Loop: Header=BB283_12 Depth=1
	s_or_b32 exec_lo, exec_lo, s2
	s_delay_alu instid0(SALU_CYCLE_1)
	s_and_b32 exec_lo, exec_lo, s1
	s_cbranch_execnz .LBB283_90
	s_branch .LBB283_95
.LBB283_45:                             ;   in Loop: Header=BB283_12 Depth=1
	s_waitcnt lgkmcnt(7)
	v_add_f32_e32 v22, v22, v24
	s_waitcnt vmcnt(9)
	v_lshlrev_b32_e32 v24, 16, v29
	s_delay_alu instid0(VALU_DEP_1) | instskip(NEXT) | instid1(VALU_DEP_1)
	v_add_f32_e32 v24, v22, v24
	v_and_b32_e32 v22, 0x7f800000, v24
	s_delay_alu instid0(VALU_DEP_1) | instskip(NEXT) | instid1(VALU_DEP_1)
	v_cmp_ne_u32_e64 s1, 0x7f800000, v22
                                        ; implicit-def: $vgpr22
	s_and_saveexec_b32 s15, s1
	s_delay_alu instid0(SALU_CYCLE_1)
	s_xor_b32 s1, exec_lo, s15
; %bb.46:                               ;   in Loop: Header=BB283_12 Depth=1
	v_bfe_u32 v22, v24, 16, 1
	s_delay_alu instid0(VALU_DEP_1)
	v_add3_u32 v22, v24, v22, 0x7fff
                                        ; implicit-def: $vgpr24
; %bb.47:                               ;   in Loop: Header=BB283_12 Depth=1
	s_and_not1_saveexec_b32 s15, s1
; %bb.48:                               ;   in Loop: Header=BB283_12 Depth=1
	v_and_b32_e32 v22, 0xffff, v24
	v_or_b32_e32 v29, 0x10000, v24
	s_delay_alu instid0(VALU_DEP_2) | instskip(NEXT) | instid1(VALU_DEP_1)
	v_cmp_eq_u32_e64 s1, 0, v22
	v_cndmask_b32_e64 v22, v29, v24, s1
; %bb.49:                               ;   in Loop: Header=BB283_12 Depth=1
	s_or_b32 exec_lo, exec_lo, s15
	v_mov_b32_e32 v58, v59
	s_delay_alu instid0(VALU_DEP_1) | instskip(NEXT) | instid1(VALU_DEP_1)
	v_lshlrev_b64 v[29:30], 1, v[57:58]
	v_add_co_u32 v29, s1, s12, v29
	s_delay_alu instid0(VALU_DEP_1) | instskip(SKIP_3) | instid1(VALU_DEP_1)
	v_add_co_ci_u32_e64 v30, s1, s13, v30, s1
	global_store_d16_hi_b16 v[29:30], v22, off
	s_or_b32 exec_lo, exec_lo, s2
	v_cmp_ne_u32_e64 s1, 0, v56
	s_and_saveexec_b32 s15, s1
	s_cbranch_execz .LBB283_37
.LBB283_50:                             ;   in Loop: Header=BB283_12 Depth=1
	s_waitcnt lgkmcnt(8)
	v_add_f32_e32 v19, v19, v21
	s_waitcnt vmcnt(8)
	v_lshlrev_b32_e32 v21, 16, v28
	s_delay_alu instid0(VALU_DEP_1) | instskip(NEXT) | instid1(VALU_DEP_1)
	v_add_f32_e32 v21, v19, v21
	v_and_b32_e32 v19, 0x7f800000, v21
	s_delay_alu instid0(VALU_DEP_1) | instskip(NEXT) | instid1(VALU_DEP_1)
	v_cmp_ne_u32_e64 s2, 0x7f800000, v19
                                        ; implicit-def: $vgpr19
	s_and_saveexec_b32 s42, s2
	s_delay_alu instid0(SALU_CYCLE_1)
	s_xor_b32 s2, exec_lo, s42
; %bb.51:                               ;   in Loop: Header=BB283_12 Depth=1
	v_bfe_u32 v19, v21, 16, 1
	s_delay_alu instid0(VALU_DEP_1)
	v_add3_u32 v19, v21, v19, 0x7fff
                                        ; implicit-def: $vgpr21
; %bb.52:                               ;   in Loop: Header=BB283_12 Depth=1
	s_and_not1_saveexec_b32 s42, s2
; %bb.53:                               ;   in Loop: Header=BB283_12 Depth=1
	v_and_b32_e32 v19, 0xffff, v21
	v_or_b32_e32 v22, 0x10000, v21
	s_delay_alu instid0(VALU_DEP_2) | instskip(NEXT) | instid1(VALU_DEP_1)
	v_cmp_eq_u32_e64 s2, 0, v19
	v_cndmask_b32_e64 v19, v22, v21, s2
; %bb.54:                               ;   in Loop: Header=BB283_12 Depth=1
	s_or_b32 exec_lo, exec_lo, s42
	v_mov_b32_e32 v58, v59
	s_delay_alu instid0(VALU_DEP_1) | instskip(NEXT) | instid1(VALU_DEP_1)
	v_lshlrev_b64 v[21:22], 1, v[57:58]
	v_add_co_u32 v21, s2, s35, v21
	s_delay_alu instid0(VALU_DEP_1)
	v_add_co_ci_u32_e64 v22, s2, s36, v22, s2
	global_store_d16_hi_b16 v[21:22], v19, off
	s_or_b32 exec_lo, exec_lo, s15
	v_add_nc_u32_e32 v58, s19, v57
	s_and_saveexec_b32 s15, vcc_lo
	s_cbranch_execz .LBB283_38
.LBB283_55:                             ;   in Loop: Header=BB283_12 Depth=1
	s_waitcnt lgkmcnt(6)
	v_add_f32_e32 v16, v16, v18
	s_waitcnt vmcnt(7)
	v_lshlrev_b32_e32 v18, 16, v27
	s_delay_alu instid0(VALU_DEP_1) | instskip(NEXT) | instid1(VALU_DEP_1)
	v_add_f32_e32 v18, v16, v18
	v_and_b32_e32 v16, 0x7f800000, v18
	s_delay_alu instid0(VALU_DEP_1) | instskip(NEXT) | instid1(VALU_DEP_1)
	v_cmp_ne_u32_e64 s2, 0x7f800000, v16
                                        ; implicit-def: $vgpr16
	s_and_saveexec_b32 s42, s2
	s_delay_alu instid0(SALU_CYCLE_1)
	s_xor_b32 s2, exec_lo, s42
; %bb.56:                               ;   in Loop: Header=BB283_12 Depth=1
	v_bfe_u32 v16, v18, 16, 1
	s_delay_alu instid0(VALU_DEP_1)
	v_add3_u32 v16, v18, v16, 0x7fff
                                        ; implicit-def: $vgpr18
; %bb.57:                               ;   in Loop: Header=BB283_12 Depth=1
	s_and_not1_saveexec_b32 s42, s2
; %bb.58:                               ;   in Loop: Header=BB283_12 Depth=1
	v_and_b32_e32 v16, 0xffff, v18
	v_or_b32_e32 v19, 0x10000, v18
	s_delay_alu instid0(VALU_DEP_2) | instskip(NEXT) | instid1(VALU_DEP_1)
	v_cmp_eq_u32_e64 s2, 0, v16
	v_cndmask_b32_e64 v16, v19, v18, s2
; %bb.59:                               ;   in Loop: Header=BB283_12 Depth=1
	s_or_b32 exec_lo, exec_lo, s42
	v_lshlrev_b64 v[18:19], 1, v[58:59]
	s_delay_alu instid0(VALU_DEP_1) | instskip(NEXT) | instid1(VALU_DEP_1)
	v_add_co_u32 v18, s2, s12, v18
	v_add_co_ci_u32_e64 v19, s2, s13, v19, s2
	global_store_d16_hi_b16 v[18:19], v16, off
	s_or_b32 exec_lo, exec_lo, s15
	s_and_saveexec_b32 s15, s1
	s_cbranch_execz .LBB283_39
.LBB283_60:                             ;   in Loop: Header=BB283_12 Depth=1
	s_waitcnt lgkmcnt(9)
	v_add_f32_e32 v13, v13, v15
	s_waitcnt vmcnt(6)
	v_lshlrev_b32_e32 v15, 16, v26
	s_delay_alu instid0(VALU_DEP_1) | instskip(NEXT) | instid1(VALU_DEP_1)
	v_add_f32_e32 v15, v13, v15
	v_and_b32_e32 v13, 0x7f800000, v15
	s_delay_alu instid0(VALU_DEP_1) | instskip(NEXT) | instid1(VALU_DEP_1)
	v_cmp_ne_u32_e64 s2, 0x7f800000, v13
                                        ; implicit-def: $vgpr13
	s_and_saveexec_b32 s42, s2
	s_delay_alu instid0(SALU_CYCLE_1)
	s_xor_b32 s2, exec_lo, s42
; %bb.61:                               ;   in Loop: Header=BB283_12 Depth=1
	v_bfe_u32 v13, v15, 16, 1
	s_delay_alu instid0(VALU_DEP_1)
	v_add3_u32 v13, v15, v13, 0x7fff
                                        ; implicit-def: $vgpr15
; %bb.62:                               ;   in Loop: Header=BB283_12 Depth=1
	s_and_not1_saveexec_b32 s42, s2
; %bb.63:                               ;   in Loop: Header=BB283_12 Depth=1
	v_and_b32_e32 v13, 0xffff, v15
	v_or_b32_e32 v16, 0x10000, v15
	s_delay_alu instid0(VALU_DEP_2) | instskip(NEXT) | instid1(VALU_DEP_1)
	v_cmp_eq_u32_e64 s2, 0, v13
	v_cndmask_b32_e64 v13, v16, v15, s2
; %bb.64:                               ;   in Loop: Header=BB283_12 Depth=1
	s_or_b32 exec_lo, exec_lo, s42
	v_dual_mov_b32 v16, v59 :: v_dual_add_nc_u32 v15, 1, v58
	s_delay_alu instid0(VALU_DEP_1) | instskip(NEXT) | instid1(VALU_DEP_1)
	v_lshlrev_b64 v[15:16], 1, v[15:16]
	v_add_co_u32 v15, s2, s12, v15
	s_delay_alu instid0(VALU_DEP_1)
	v_add_co_ci_u32_e64 v16, s2, s13, v16, s2
	global_store_d16_hi_b16 v[15:16], v13, off
	s_or_b32 exec_lo, exec_lo, s15
	v_add_nc_u32_e32 v58, s19, v58
	s_and_saveexec_b32 s15, vcc_lo
	s_cbranch_execz .LBB283_40
.LBB283_65:                             ;   in Loop: Header=BB283_12 Depth=1
	s_waitcnt lgkmcnt(5)
	v_add_f32_e32 v8, v8, v9
	s_waitcnt vmcnt(5)
	v_lshlrev_b32_e32 v9, 16, v25
	s_delay_alu instid0(VALU_DEP_1) | instskip(NEXT) | instid1(VALU_DEP_1)
	v_add_f32_e32 v9, v8, v9
	v_and_b32_e32 v8, 0x7f800000, v9
	s_delay_alu instid0(VALU_DEP_1) | instskip(NEXT) | instid1(VALU_DEP_1)
	v_cmp_ne_u32_e64 s2, 0x7f800000, v8
                                        ; implicit-def: $vgpr8
	s_and_saveexec_b32 s42, s2
	s_delay_alu instid0(SALU_CYCLE_1)
	s_xor_b32 s2, exec_lo, s42
; %bb.66:                               ;   in Loop: Header=BB283_12 Depth=1
	v_bfe_u32 v8, v9, 16, 1
	s_delay_alu instid0(VALU_DEP_1)
	v_add3_u32 v8, v9, v8, 0x7fff
                                        ; implicit-def: $vgpr9
; %bb.67:                               ;   in Loop: Header=BB283_12 Depth=1
	s_and_not1_saveexec_b32 s42, s2
; %bb.68:                               ;   in Loop: Header=BB283_12 Depth=1
	v_and_b32_e32 v8, 0xffff, v9
	v_or_b32_e32 v13, 0x10000, v9
	s_delay_alu instid0(VALU_DEP_2) | instskip(NEXT) | instid1(VALU_DEP_1)
	v_cmp_eq_u32_e64 s2, 0, v8
	v_cndmask_b32_e64 v8, v13, v9, s2
; %bb.69:                               ;   in Loop: Header=BB283_12 Depth=1
	s_or_b32 exec_lo, exec_lo, s42
	v_lshlrev_b64 v[15:16], 1, v[58:59]
	s_delay_alu instid0(VALU_DEP_1) | instskip(NEXT) | instid1(VALU_DEP_1)
	v_add_co_u32 v15, s2, s12, v15
	v_add_co_ci_u32_e64 v16, s2, s13, v16, s2
	global_store_d16_hi_b16 v[15:16], v8, off
	s_or_b32 exec_lo, exec_lo, s15
	s_and_saveexec_b32 s15, s1
	s_cbranch_execz .LBB283_41
.LBB283_70:                             ;   in Loop: Header=BB283_12 Depth=1
	s_waitcnt vmcnt(4) lgkmcnt(4)
	v_dual_add_f32 v8, v11, v12 :: v_dual_lshlrev_b32 v9, 16, v23
	s_delay_alu instid0(VALU_DEP_1) | instskip(NEXT) | instid1(VALU_DEP_1)
	v_add_f32_e32 v9, v8, v9
	v_and_b32_e32 v8, 0x7f800000, v9
	s_delay_alu instid0(VALU_DEP_1) | instskip(NEXT) | instid1(VALU_DEP_1)
	v_cmp_ne_u32_e64 s2, 0x7f800000, v8
                                        ; implicit-def: $vgpr8
	s_and_saveexec_b32 s42, s2
	s_delay_alu instid0(SALU_CYCLE_1)
	s_xor_b32 s2, exec_lo, s42
; %bb.71:                               ;   in Loop: Header=BB283_12 Depth=1
	v_bfe_u32 v8, v9, 16, 1
	s_delay_alu instid0(VALU_DEP_1)
	v_add3_u32 v8, v9, v8, 0x7fff
                                        ; implicit-def: $vgpr9
; %bb.72:                               ;   in Loop: Header=BB283_12 Depth=1
	s_and_not1_saveexec_b32 s42, s2
; %bb.73:                               ;   in Loop: Header=BB283_12 Depth=1
	v_and_b32_e32 v8, 0xffff, v9
	v_or_b32_e32 v11, 0x10000, v9
	s_delay_alu instid0(VALU_DEP_2) | instskip(NEXT) | instid1(VALU_DEP_1)
	v_cmp_eq_u32_e64 s2, 0, v8
	v_cndmask_b32_e64 v8, v11, v9, s2
; %bb.74:                               ;   in Loop: Header=BB283_12 Depth=1
	s_or_b32 exec_lo, exec_lo, s42
	v_dual_mov_b32 v12, v59 :: v_dual_add_nc_u32 v11, 1, v58
	s_delay_alu instid0(VALU_DEP_1) | instskip(NEXT) | instid1(VALU_DEP_1)
	v_lshlrev_b64 v[11:12], 1, v[11:12]
	v_add_co_u32 v11, s2, s12, v11
	s_delay_alu instid0(VALU_DEP_1)
	v_add_co_ci_u32_e64 v12, s2, s13, v12, s2
	global_store_d16_hi_b16 v[11:12], v8, off
	s_or_b32 exec_lo, exec_lo, s15
	v_add_nc_u32_e32 v58, s19, v58
	s_and_saveexec_b32 s15, vcc_lo
	s_cbranch_execz .LBB283_42
.LBB283_75:                             ;   in Loop: Header=BB283_12 Depth=1
	s_waitcnt vmcnt(3) lgkmcnt(2)
	v_dual_add_f32 v6, v6, v7 :: v_dual_lshlrev_b32 v7, 16, v20
	s_delay_alu instid0(VALU_DEP_1) | instskip(NEXT) | instid1(VALU_DEP_1)
	v_add_f32_e32 v7, v6, v7
	v_and_b32_e32 v6, 0x7f800000, v7
	s_delay_alu instid0(VALU_DEP_1) | instskip(NEXT) | instid1(VALU_DEP_1)
	v_cmp_ne_u32_e64 s2, 0x7f800000, v6
                                        ; implicit-def: $vgpr6
	s_and_saveexec_b32 s42, s2
	s_delay_alu instid0(SALU_CYCLE_1)
	s_xor_b32 s2, exec_lo, s42
; %bb.76:                               ;   in Loop: Header=BB283_12 Depth=1
	v_bfe_u32 v6, v7, 16, 1
	s_delay_alu instid0(VALU_DEP_1)
	v_add3_u32 v6, v7, v6, 0x7fff
                                        ; implicit-def: $vgpr7
; %bb.77:                               ;   in Loop: Header=BB283_12 Depth=1
	s_and_not1_saveexec_b32 s42, s2
; %bb.78:                               ;   in Loop: Header=BB283_12 Depth=1
	v_and_b32_e32 v6, 0xffff, v7
	v_or_b32_e32 v8, 0x10000, v7
	s_delay_alu instid0(VALU_DEP_2) | instskip(NEXT) | instid1(VALU_DEP_1)
	v_cmp_eq_u32_e64 s2, 0, v6
	v_cndmask_b32_e64 v6, v8, v7, s2
; %bb.79:                               ;   in Loop: Header=BB283_12 Depth=1
	s_or_b32 exec_lo, exec_lo, s42
	v_lshlrev_b64 v[7:8], 1, v[58:59]
	s_delay_alu instid0(VALU_DEP_1) | instskip(NEXT) | instid1(VALU_DEP_1)
	v_add_co_u32 v7, s2, s12, v7
	v_add_co_ci_u32_e64 v8, s2, s13, v8, s2
	global_store_d16_hi_b16 v[7:8], v6, off
	s_or_b32 exec_lo, exec_lo, s15
	s_and_saveexec_b32 s15, s1
	s_cbranch_execz .LBB283_43
.LBB283_80:                             ;   in Loop: Header=BB283_12 Depth=1
	s_waitcnt lgkmcnt(1)
	v_add_f32_e32 v4, v4, v5
	s_waitcnt vmcnt(2)
	v_lshlrev_b32_e32 v5, 16, v17
	s_delay_alu instid0(VALU_DEP_1) | instskip(NEXT) | instid1(VALU_DEP_1)
	v_add_f32_e32 v5, v4, v5
	v_and_b32_e32 v4, 0x7f800000, v5
	s_delay_alu instid0(VALU_DEP_1) | instskip(NEXT) | instid1(VALU_DEP_1)
	v_cmp_ne_u32_e64 s2, 0x7f800000, v4
                                        ; implicit-def: $vgpr4
	s_and_saveexec_b32 s42, s2
	s_delay_alu instid0(SALU_CYCLE_1)
	s_xor_b32 s2, exec_lo, s42
; %bb.81:                               ;   in Loop: Header=BB283_12 Depth=1
	v_bfe_u32 v4, v5, 16, 1
	s_delay_alu instid0(VALU_DEP_1)
	v_add3_u32 v4, v5, v4, 0x7fff
                                        ; implicit-def: $vgpr5
; %bb.82:                               ;   in Loop: Header=BB283_12 Depth=1
	s_and_not1_saveexec_b32 s42, s2
; %bb.83:                               ;   in Loop: Header=BB283_12 Depth=1
	v_and_b32_e32 v4, 0xffff, v5
	v_or_b32_e32 v6, 0x10000, v5
	s_delay_alu instid0(VALU_DEP_2) | instskip(NEXT) | instid1(VALU_DEP_1)
	v_cmp_eq_u32_e64 s2, 0, v4
	v_cndmask_b32_e64 v4, v6, v5, s2
; %bb.84:                               ;   in Loop: Header=BB283_12 Depth=1
	s_or_b32 exec_lo, exec_lo, s42
	v_dual_mov_b32 v6, v59 :: v_dual_add_nc_u32 v5, 1, v58
	s_delay_alu instid0(VALU_DEP_1) | instskip(NEXT) | instid1(VALU_DEP_1)
	v_lshlrev_b64 v[5:6], 1, v[5:6]
	v_add_co_u32 v5, s2, s12, v5
	s_delay_alu instid0(VALU_DEP_1)
	v_add_co_ci_u32_e64 v6, s2, s13, v6, s2
	global_store_d16_hi_b16 v[5:6], v4, off
	s_or_b32 exec_lo, exec_lo, s15
	v_add_nc_u32_e32 v58, s19, v58
	s_and_saveexec_b32 s2, vcc_lo
	s_cbranch_execz .LBB283_44
.LBB283_85:                             ;   in Loop: Header=BB283_12 Depth=1
	s_waitcnt vmcnt(1) lgkmcnt(0)
	v_dual_add_f32 v2, v2, v3 :: v_dual_lshlrev_b32 v3, 16, v14
	s_delay_alu instid0(VALU_DEP_1) | instskip(NEXT) | instid1(VALU_DEP_1)
	v_add_f32_e32 v3, v2, v3
	v_and_b32_e32 v2, 0x7f800000, v3
	s_delay_alu instid0(VALU_DEP_1) | instskip(SKIP_1) | instid1(SALU_CYCLE_1)
	v_cmp_ne_u32_e32 vcc_lo, 0x7f800000, v2
                                        ; implicit-def: $vgpr2
	s_and_saveexec_b32 s15, vcc_lo
	s_xor_b32 s15, exec_lo, s15
; %bb.86:                               ;   in Loop: Header=BB283_12 Depth=1
	v_bfe_u32 v2, v3, 16, 1
	s_delay_alu instid0(VALU_DEP_1)
	v_add3_u32 v2, v3, v2, 0x7fff
                                        ; implicit-def: $vgpr3
; %bb.87:                               ;   in Loop: Header=BB283_12 Depth=1
	s_and_not1_saveexec_b32 s15, s15
; %bb.88:                               ;   in Loop: Header=BB283_12 Depth=1
	v_and_b32_e32 v2, 0xffff, v3
	v_or_b32_e32 v4, 0x10000, v3
	s_delay_alu instid0(VALU_DEP_2) | instskip(NEXT) | instid1(VALU_DEP_2)
	v_cmp_eq_u32_e32 vcc_lo, 0, v2
	v_cndmask_b32_e32 v2, v4, v3, vcc_lo
; %bb.89:                               ;   in Loop: Header=BB283_12 Depth=1
	s_or_b32 exec_lo, exec_lo, s15
	v_lshlrev_b64 v[3:4], 1, v[58:59]
	s_delay_alu instid0(VALU_DEP_1) | instskip(NEXT) | instid1(VALU_DEP_2)
	v_add_co_u32 v3, vcc_lo, s12, v3
	v_add_co_ci_u32_e32 v4, vcc_lo, s13, v4, vcc_lo
	global_store_d16_hi_b16 v[3:4], v2, off
	s_or_b32 exec_lo, exec_lo, s2
	s_delay_alu instid0(SALU_CYCLE_1)
	s_and_b32 exec_lo, exec_lo, s1
	s_cbranch_execz .LBB283_95
.LBB283_90:                             ;   in Loop: Header=BB283_12 Depth=1
	s_waitcnt vmcnt(0) lgkmcnt(3)
	v_dual_add_f32 v0, v0, v1 :: v_dual_lshlrev_b32 v1, 16, v10
	s_delay_alu instid0(VALU_DEP_1) | instskip(NEXT) | instid1(VALU_DEP_1)
	v_add_f32_e32 v1, v0, v1
	v_and_b32_e32 v0, 0x7f800000, v1
	s_delay_alu instid0(VALU_DEP_1) | instskip(SKIP_1) | instid1(SALU_CYCLE_1)
	v_cmp_ne_u32_e32 vcc_lo, 0x7f800000, v0
                                        ; implicit-def: $vgpr0
	s_and_saveexec_b32 s1, vcc_lo
	s_xor_b32 s1, exec_lo, s1
; %bb.91:                               ;   in Loop: Header=BB283_12 Depth=1
	v_bfe_u32 v0, v1, 16, 1
	s_delay_alu instid0(VALU_DEP_1)
	v_add3_u32 v0, v1, v0, 0x7fff
                                        ; implicit-def: $vgpr1
; %bb.92:                               ;   in Loop: Header=BB283_12 Depth=1
	s_and_not1_saveexec_b32 s1, s1
; %bb.93:                               ;   in Loop: Header=BB283_12 Depth=1
	v_and_b32_e32 v0, 0xffff, v1
	v_or_b32_e32 v2, 0x10000, v1
	s_delay_alu instid0(VALU_DEP_2) | instskip(NEXT) | instid1(VALU_DEP_2)
	v_cmp_eq_u32_e32 vcc_lo, 0, v0
	v_cndmask_b32_e32 v0, v2, v1, vcc_lo
; %bb.94:                               ;   in Loop: Header=BB283_12 Depth=1
	s_or_b32 exec_lo, exec_lo, s1
	v_add_nc_u32_e32 v58, 1, v58
	s_delay_alu instid0(VALU_DEP_1) | instskip(NEXT) | instid1(VALU_DEP_1)
	v_lshlrev_b64 v[1:2], 1, v[58:59]
	v_add_co_u32 v1, vcc_lo, s12, v1
	s_delay_alu instid0(VALU_DEP_2)
	v_add_co_ci_u32_e32 v2, vcc_lo, s13, v2, vcc_lo
	global_store_d16_hi_b16 v[1:2], v0, off
.LBB283_95:                             ;   in Loop: Header=BB283_12 Depth=1
	s_or_b32 exec_lo, exec_lo, s14
	v_add_nc_u32_e32 v57, s28, v57
	s_delay_alu instid0(VALU_DEP_1) | instskip(SKIP_1) | instid1(VALU_DEP_2)
	v_add_nc_u32_e32 v0, 2, v57
	v_cmp_gt_u32_e32 vcc_lo, s19, v57
	v_cmp_le_u32_e64 s1, s19, v0
	s_delay_alu instid0(VALU_DEP_1) | instskip(NEXT) | instid1(SALU_CYCLE_1)
	s_and_b32 s1, vcc_lo, s1
	s_and_saveexec_b32 s42, s1
	s_cbranch_execz .LBB283_10
; %bb.96:                               ;   in Loop: Header=BB283_12 Depth=1
	s_mov_b32 s43, exec_lo
	v_cmpx_ne_u32_e64 s30, v57
	s_cbranch_execz .LBB283_9
; %bb.97:                               ;   in Loop: Header=BB283_12 Depth=1
	v_subrev_nc_u32_e32 v0, s30, v57
	s_mov_b32 s44, 0
	s_mov_b64 s[14:15], 0
	s_delay_alu instid0(VALU_DEP_1)
	v_cmp_lt_u32_e32 vcc_lo, 1, v0
	v_cndmask_b32_e32 v0, 1, v0, vcc_lo
.LBB283_98:                             ;   Parent Loop BB283_12 Depth=1
                                        ; =>  This Inner Loop Header: Depth=2
	s_cmp_lg_u32 s14, 1
	s_cselect_b32 vcc_lo, -1, 0
	s_cmp_lg_u32 s14, 0
	v_cndmask_b32_e32 v56, 0, v56, vcc_lo
	s_cselect_b32 s1, -1, 0
	s_add_u32 s14, s14, 1
	v_cndmask_b32_e64 v55, 0, v55, s1
	v_cmp_eq_u32_e64 s2, s14, v0
	s_addc_u32 s15, s15, 0
	s_delay_alu instid0(VALU_DEP_1) | instskip(NEXT) | instid1(SALU_CYCLE_1)
	s_or_b32 s44, s2, s44
	s_and_not1_b32 exec_lo, exec_lo, s44
	s_cbranch_execnz .LBB283_98
; %bb.99:                               ;   in Loop: Header=BB283_12 Depth=1
	s_or_b32 exec_lo, exec_lo, s44
	s_branch .LBB283_9
.LBB283_100:
	s_nop 0
	s_sendmsg sendmsg(MSG_DEALLOC_VGPRS)
	s_endpgm
	.section	.rodata,"a",@progbits
	.p2align	6, 0x0
	.amdhsa_kernel _Z16wvSplitK_hf_big_I14__hip_bfloat16Li32ELi2ELi16ELi8ELi2ELi5EEviiiiiiPKT_S3_S3_PS1_ii
		.amdhsa_group_segment_fixed_size 65536
		.amdhsa_private_segment_fixed_size 0
		.amdhsa_kernarg_size 64
		.amdhsa_user_sgpr_count 15
		.amdhsa_user_sgpr_dispatch_ptr 0
		.amdhsa_user_sgpr_queue_ptr 0
		.amdhsa_user_sgpr_kernarg_segment_ptr 1
		.amdhsa_user_sgpr_dispatch_id 0
		.amdhsa_user_sgpr_private_segment_size 0
		.amdhsa_wavefront_size32 1
		.amdhsa_uses_dynamic_stack 0
		.amdhsa_enable_private_segment 0
		.amdhsa_system_sgpr_workgroup_id_x 1
		.amdhsa_system_sgpr_workgroup_id_y 0
		.amdhsa_system_sgpr_workgroup_id_z 0
		.amdhsa_system_sgpr_workgroup_info 0
		.amdhsa_system_vgpr_workitem_id 1
		.amdhsa_next_free_vgpr 96
		.amdhsa_next_free_sgpr 45
		.amdhsa_reserve_vcc 1
		.amdhsa_float_round_mode_32 0
		.amdhsa_float_round_mode_16_64 0
		.amdhsa_float_denorm_mode_32 3
		.amdhsa_float_denorm_mode_16_64 3
		.amdhsa_dx10_clamp 1
		.amdhsa_ieee_mode 1
		.amdhsa_fp16_overflow 0
		.amdhsa_workgroup_processor_mode 1
		.amdhsa_memory_ordered 1
		.amdhsa_forward_progress 0
		.amdhsa_shared_vgpr_count 0
		.amdhsa_exception_fp_ieee_invalid_op 0
		.amdhsa_exception_fp_denorm_src 0
		.amdhsa_exception_fp_ieee_div_zero 0
		.amdhsa_exception_fp_ieee_overflow 0
		.amdhsa_exception_fp_ieee_underflow 0
		.amdhsa_exception_fp_ieee_inexact 0
		.amdhsa_exception_int_div_zero 0
	.end_amdhsa_kernel
	.section	.text._Z16wvSplitK_hf_big_I14__hip_bfloat16Li32ELi2ELi16ELi8ELi2ELi5EEviiiiiiPKT_S3_S3_PS1_ii,"axG",@progbits,_Z16wvSplitK_hf_big_I14__hip_bfloat16Li32ELi2ELi16ELi8ELi2ELi5EEviiiiiiPKT_S3_S3_PS1_ii,comdat
.Lfunc_end283:
	.size	_Z16wvSplitK_hf_big_I14__hip_bfloat16Li32ELi2ELi16ELi8ELi2ELi5EEviiiiiiPKT_S3_S3_PS1_ii, .Lfunc_end283-_Z16wvSplitK_hf_big_I14__hip_bfloat16Li32ELi2ELi16ELi8ELi2ELi5EEviiiiiiPKT_S3_S3_PS1_ii
                                        ; -- End function
	.section	.AMDGPU.csdata,"",@progbits
; Kernel info:
; codeLenInByte = 7684
; NumSgprs: 47
; NumVgprs: 96
; ScratchSize: 0
; MemoryBound: 0
; FloatMode: 240
; IeeeMode: 1
; LDSByteSize: 65536 bytes/workgroup (compile time only)
; SGPRBlocks: 5
; VGPRBlocks: 11
; NumSGPRsForWavesPerEU: 47
; NumVGPRsForWavesPerEU: 96
; Occupancy: 8
; WaveLimiterHint : 0
; COMPUTE_PGM_RSRC2:SCRATCH_EN: 0
; COMPUTE_PGM_RSRC2:USER_SGPR: 15
; COMPUTE_PGM_RSRC2:TRAP_HANDLER: 0
; COMPUTE_PGM_RSRC2:TGID_X_EN: 1
; COMPUTE_PGM_RSRC2:TGID_Y_EN: 0
; COMPUTE_PGM_RSRC2:TGID_Z_EN: 0
; COMPUTE_PGM_RSRC2:TIDIG_COMP_CNT: 1
	.section	.text._Z16wvSplitK_hf_sml_I14__hip_bfloat16Li32ELi3ELi16ELi8ELi2ELi5EEviiiiiiPKT_S3_S3_PS1_ii,"axG",@progbits,_Z16wvSplitK_hf_sml_I14__hip_bfloat16Li32ELi3ELi16ELi8ELi2ELi5EEviiiiiiPKT_S3_S3_PS1_ii,comdat
	.protected	_Z16wvSplitK_hf_sml_I14__hip_bfloat16Li32ELi3ELi16ELi8ELi2ELi5EEviiiiiiPKT_S3_S3_PS1_ii ; -- Begin function _Z16wvSplitK_hf_sml_I14__hip_bfloat16Li32ELi3ELi16ELi8ELi2ELi5EEviiiiiiPKT_S3_S3_PS1_ii
	.globl	_Z16wvSplitK_hf_sml_I14__hip_bfloat16Li32ELi3ELi16ELi8ELi2ELi5EEviiiiiiPKT_S3_S3_PS1_ii
	.p2align	8
	.type	_Z16wvSplitK_hf_sml_I14__hip_bfloat16Li32ELi3ELi16ELi8ELi2ELi5EEviiiiiiPKT_S3_S3_PS1_ii,@function
_Z16wvSplitK_hf_sml_I14__hip_bfloat16Li32ELi3ELi16ELi8ELi2ELi5EEviiiiiiPKT_S3_S3_PS1_ii: ; @_Z16wvSplitK_hf_sml_I14__hip_bfloat16Li32ELi3ELi16ELi8ELi2ELi5EEviiiiiiPKT_S3_S3_PS1_ii
; %bb.0:
	s_load_b128 s[4:7], s[0:1], 0x0
	v_and_b32_e32 v1, 0x3ff, v0
	v_bfe_u32 v0, v0, 10, 10
	s_mov_b32 s8, exec_lo
	s_delay_alu instid0(VALU_DEP_2) | instskip(NEXT) | instid1(VALU_DEP_1)
	v_lshlrev_b32_e32 v74, 3, v1
	v_lshl_add_u32 v3, v0, 8, v74
	s_waitcnt lgkmcnt(0)
	s_mul_i32 s2, s6, 5
	s_delay_alu instid0(SALU_CYCLE_1)
	s_min_u32 s9, s2, 0x8000
	s_delay_alu instid0(VALU_DEP_1) | instid1(SALU_CYCLE_1)
	v_cmpx_gt_u32_e64 s9, v3
	s_cbranch_execz .LBB284_9
; %bb.1:
	s_load_b64 s[2:3], s[0:1], 0x20
	v_lshlrev_b32_e32 v2, 1, v3
	v_add_nc_u32_e32 v8, 0x1000, v3
	s_mov_b32 s10, exec_lo
	s_waitcnt lgkmcnt(0)
	global_load_b128 v[4:7], v2, s[2:3]
	s_waitcnt vmcnt(0)
	ds_store_b128 v2, v[4:7]
	v_cmpx_gt_u32_e64 s9, v8
	s_xor_b32 s10, exec_lo, s10
	s_cbranch_execz .LBB284_9
; %bb.2:
	v_add_co_u32 v4, s2, s2, v2
	s_delay_alu instid0(VALU_DEP_1) | instskip(SKIP_1) | instid1(VALU_DEP_3)
	v_add_co_ci_u32_e64 v5, null, s3, 0, s2
	v_add_nc_u32_e32 v10, 0x2000, v3
	v_add_co_u32 v6, vcc_lo, 0x2000, v4
	s_delay_alu instid0(VALU_DEP_3)
	v_add_co_ci_u32_e32 v7, vcc_lo, 0, v5, vcc_lo
	s_mov_b32 s2, exec_lo
	global_load_b128 v[6:9], v[6:7], off
	s_waitcnt vmcnt(0)
	ds_store_b128 v2, v[6:9] offset:8192
	v_cmpx_gt_u32_e64 s9, v10
	s_xor_b32 s2, exec_lo, s2
	s_cbranch_execz .LBB284_9
; %bb.3:
	v_add_co_u32 v6, vcc_lo, 0x4000, v4
	v_add_co_ci_u32_e32 v7, vcc_lo, 0, v5, vcc_lo
	v_add_nc_u32_e32 v10, 0x3000, v3
	s_mov_b32 s2, exec_lo
	global_load_b128 v[6:9], v[6:7], off
	s_waitcnt vmcnt(0)
	ds_store_b128 v2, v[6:9] offset:16384
	v_cmpx_gt_u32_e64 s9, v10
	s_xor_b32 s2, exec_lo, s2
	s_cbranch_execz .LBB284_9
; %bb.4:
	v_add_co_u32 v6, vcc_lo, 0x6000, v4
	v_add_co_ci_u32_e32 v7, vcc_lo, 0, v5, vcc_lo
	v_add_nc_u32_e32 v10, 0x4000, v3
	;; [unrolled: 11-line block ×5, first 2 shown]
	s_mov_b32 s2, exec_lo
	global_load_b128 v[6:9], v[6:7], off
	s_waitcnt vmcnt(0)
	ds_store_b128 v2, v[6:9] offset:49152
	v_cmpx_gt_u32_e64 s9, v3
	s_xor_b32 s2, exec_lo, s2
	s_cbranch_execz .LBB284_9
; %bb.8:
	v_add_co_u32 v3, vcc_lo, 0xe000, v4
	v_add_co_ci_u32_e32 v4, vcc_lo, 0, v5, vcc_lo
	global_load_b128 v[3:6], v[3:4], off
	s_waitcnt vmcnt(0)
	ds_store_b128 v2, v[3:6] offset:57344
.LBB284_9:
	s_or_b32 exec_lo, exec_lo, s8
	s_load_b64 s[16:17], s[0:1], 0x38
	s_waitcnt lgkmcnt(0)
	s_barrier
	buffer_gl0_inv
	s_mov_b32 s2, exec_lo
	v_cmpx_gt_u32_e64 s16, v0
	s_cbranch_execz .LBB284_84
; %bb.10:
	s_load_b64 s[2:3], s[0:1], 0x10
	v_mad_u64_u32 v[2:3], null, s15, s16, v[0:1]
	s_delay_alu instid0(VALU_DEP_1) | instskip(NEXT) | instid1(VALU_DEP_1)
	v_lshl_add_u32 v56, v2, 1, v2
	v_cmp_gt_u32_e32 vcc_lo, s7, v56
	s_and_b32 exec_lo, exec_lo, vcc_lo
	s_cbranch_execz .LBB284_84
; %bb.11:
	s_clause 0x1
	s_load_b128 s[8:11], s[0:1], 0x28
	s_load_b64 s[12:13], s[0:1], 0x18
	s_cmp_lg_u32 s4, 0
	s_waitcnt lgkmcnt(0)
	v_cvt_f32_u32_e32 v2, s2
	s_cselect_b32 s1, -1, 0
	s_add_i32 s14, s4, -8
	s_add_i32 s15, s7, -1
	s_mul_i32 s17, s16, s17
	v_rcp_iflag_f32_e32 v2, v2
	s_mul_i32 s17, s17, 3
	s_waitcnt_depctr 0xfff
	v_dual_mul_f32 v2, 0x4f7ffffe, v2 :: v_dual_lshlrev_b32 v75, 4, v1
	s_cmp_lg_u64 s[8:9], 0
	s_cselect_b32 s18, -1, 0
	s_abs_i32 s21, s3
	s_sub_i32 s19, 0, s2
	v_cvt_f32_u32_e32 v0, s21
	s_sub_i32 s16, 0, s21
	s_sub_i32 s20, 1, s21
	s_mov_b32 s3, 0
	s_delay_alu instid0(VALU_DEP_1) | instskip(SKIP_2) | instid1(VALU_DEP_1)
	v_rcp_iflag_f32_e32 v0, v0
	s_waitcnt_depctr 0xfff
	v_mul_f32_e32 v0, 0x4f7ffffe, v0
	v_cvt_u32_f32_e32 v0, v0
	s_delay_alu instid0(VALU_DEP_1) | instskip(SKIP_1) | instid1(VALU_DEP_2)
	v_readfirstlane_b32 s0, v0
	v_mbcnt_lo_u32_b32 v0, -1, 0
	s_mul_i32 s16, s16, s0
	s_delay_alu instid0(VALU_DEP_1) | instskip(SKIP_1) | instid1(SALU_CYCLE_1)
	v_xor_b32_e32 v3, 16, v0
	s_mul_hi_u32 s16, s0, s16
	s_add_i32 s22, s0, s16
	s_cmp_lt_u32 s21, 2
	v_cmp_eq_u32_e64 s0, 31, v1
	s_cselect_b32 s16, s20, 1
	v_cvt_u32_f32_e32 v1, v2
	s_sub_i32 s20, s16, s21
	s_cmp_ge_u32 s16, s21
	v_cmp_gt_i32_e32 vcc_lo, 32, v3
	s_cselect_b32 s20, s20, s16
	s_lshr_b32 s16, s22, 31
	v_mul_lo_u32 v2, s19, v1
	s_mul_i32 s16, s16, s21
	v_cndmask_b32_e32 v0, v0, v3, vcc_lo
	s_sub_i32 s23, 2, s16
	s_mul_i32 s16, s6, 6
	s_sub_i32 s24, s23, s21
	s_cmp_ge_u32 s23, s21
	v_lshlrev_b32_e32 v76, 2, v0
	s_cselect_b32 s19, s24, s23
	s_mul_hi_u32 s23, s22, 3
	s_sub_i32 s24, s19, s21
	s_cmp_ge_u32 s19, s21
	s_mul_i32 s23, s23, s21
	s_cselect_b32 s24, s24, s19
	s_sub_i32 s19, 3, s23
	v_mul_hi_u32 v2, v1, v2
	s_sub_i32 s23, s19, s21
	s_cmp_ge_u32 s19, s21
	v_mov_b32_e32 v58, 0
	s_cselect_b32 s19, s23, s19
	s_delay_alu instid0(SALU_CYCLE_1) | instskip(SKIP_1) | instid1(VALU_DEP_2)
	s_sub_i32 s23, s19, s21
	s_cmp_ge_u32 s19, s21
	v_add_nc_u32_e32 v77, v1, v2
	s_cselect_b32 s23, s23, s19
	s_lshr_b32 s19, s22, 30
	s_delay_alu instid0(SALU_CYCLE_1) | instskip(NEXT) | instid1(SALU_CYCLE_1)
	s_mul_i32 s19, s19, s21
	s_sub_i32 s22, 4, s19
	s_mul_i32 s19, s20, s2
	s_sub_i32 s25, s22, s21
	s_cmp_ge_u32 s22, s21
	s_mul_i32 s20, s24, s2
	s_cselect_b32 s22, s25, s22
	s_delay_alu instid0(SALU_CYCLE_1)
	s_sub_i32 s24, s22, s21
	s_cmp_ge_u32 s22, s21
	s_mul_i32 s21, s23, s2
	s_cselect_b32 s24, s24, s22
	s_lshl_b32 s22, s6, 3
	s_lshl_b32 s23, s6, 2
	s_mul_i32 s24, s24, s2
	s_lshl_b32 s6, s6, 1
	s_branch .LBB284_14
.LBB284_12:                             ;   in Loop: Header=BB284_14 Depth=1
	s_or_b32 exec_lo, exec_lo, s26
	v_add_nc_u32_e32 v57, 2, v57
	s_delay_alu instid0(VALU_DEP_1) | instskip(NEXT) | instid1(VALU_DEP_1)
	v_lshlrev_b64 v[1:2], 1, v[57:58]
	v_add_co_u32 v1, vcc_lo, s10, v1
	s_delay_alu instid0(VALU_DEP_2)
	v_add_co_ci_u32_e32 v2, vcc_lo, s11, v2, vcc_lo
	global_store_d16_hi_b16 v[1:2], v0, off
.LBB284_13:                             ;   in Loop: Header=BB284_14 Depth=1
	s_or_b32 exec_lo, exec_lo, s25
	v_add_nc_u32_e32 v56, s17, v56
	s_delay_alu instid0(VALU_DEP_1) | instskip(SKIP_1) | instid1(SALU_CYCLE_1)
	v_cmp_le_u32_e32 vcc_lo, s7, v56
	s_or_b32 s3, vcc_lo, s3
	s_and_not1_b32 exec_lo, exec_lo, s3
	s_cbranch_execz .LBB284_84
.LBB284_14:                             ; =>This Loop Header: Depth=1
                                        ;     Child Loop BB284_18 Depth 2
	v_dual_mov_b32 v80, v58 :: v_dual_add_nc_u32 v59, 2, v56
	v_mov_b32_e32 v79, v58
	v_mov_b32_e32 v81, v58
	;; [unrolled: 1-line block ×14, first 2 shown]
	s_and_not1_b32 vcc_lo, exec_lo, s1
	s_cbranch_vccnz .LBB284_21
; %bb.15:                               ;   in Loop: Header=BB284_14 Depth=1
	s_waitcnt lgkmcnt(11)
	v_dual_mov_b32 v1, v58 :: v_dual_add_nc_u32 v0, 1, v56
	v_min_u32_e32 v2, s15, v56
	v_min_u32_e32 v4, s15, v59
	s_waitcnt lgkmcnt(0)
	v_dual_mov_b32 v3, v58 :: v_dual_mov_b32 v78, v75
	v_min_u32_e32 v0, s15, v0
	v_mul_lo_u32 v57, v2, s5
	v_mul_lo_u32 v2, v4, s5
	v_dual_mov_b32 v89, 0 :: v_dual_mov_b32 v92, 0
	s_delay_alu instid0(VALU_DEP_4)
	v_mul_lo_u32 v0, v0, s5
	v_dual_mov_b32 v93, 0 :: v_dual_mov_b32 v90, 0
	v_dual_mov_b32 v91, 0 :: v_dual_mov_b32 v88, 0
	v_lshlrev_b64 v[60:61], 1, v[57:58]
	v_lshlrev_b64 v[62:63], 1, v[2:3]
	v_dual_mov_b32 v84, 0 :: v_dual_mov_b32 v85, 0
	v_lshlrev_b64 v[64:65], 1, v[0:1]
	v_dual_mov_b32 v87, 0 :: v_dual_mov_b32 v86, 0
	v_dual_mov_b32 v83, 0 :: v_dual_mov_b32 v82, 0
	v_dual_mov_b32 v81, 0 :: v_dual_mov_b32 v80, 0
	v_mov_b32_e32 v79, 0
	s_mov_b32 s25, 0
	s_branch .LBB284_18
.LBB284_16:                             ;   in Loop: Header=BB284_18 Depth=2
	s_or_b32 exec_lo, exec_lo, s27
.LBB284_17:                             ;   in Loop: Header=BB284_18 Depth=2
	s_delay_alu instid0(SALU_CYCLE_1)
	s_or_b32 exec_lo, exec_lo, s26
	s_waitcnt lgkmcnt(1)
	v_and_b32_e32 v95, 0xffff0000, v53
	v_and_b32_e32 v98, 0xffff0000, v54
	s_waitcnt vmcnt(5)
	v_and_b32_e32 v99, 0xffff0000, v50
	v_and_b32_e32 v97, 0xffff0000, v49
	;; [unrolled: 1-line block ×5, first 2 shown]
	v_lshlrev_b32_e32 v50, 16, v50
	v_mul_f32_e32 v100, v95, v97
	s_waitcnt vmcnt(4)
	v_and_b32_e32 v103, 0xffff0000, v45
	v_and_b32_e32 v94, 0xffff0000, v48
	v_lshlrev_b32_e32 v51, 16, v51
	v_dual_mul_f32 v107, v102, v104 :: v_dual_and_b32 v106, 0xffff0000, v46
	v_lshlrev_b32_e32 v46, 16, v46
	v_lshlrev_b32_e32 v55, 16, v55
	v_dual_mul_f32 v105, v95, v103 :: v_dual_lshlrev_b32 v48, 16, v48
	v_dual_mul_f32 v96, v57, v94 :: v_dual_lshlrev_b32 v45, 16, v45
	s_delay_alu instid0(VALU_DEP_3)
	v_fmac_f32_e32 v107, v55, v51
	v_lshlrev_b32_e32 v53, 16, v53
	v_lshlrev_b32_e32 v52, 16, v52
	s_addk_i32 s25, 0x200
	v_add_nc_u32_e32 v78, 0x400, v78
	s_cmp_ge_u32 s25, s4
	s_delay_alu instid0(VALU_DEP_2) | instskip(NEXT) | instid1(VALU_DEP_1)
	v_dual_fmac_f32 v105, v53, v45 :: v_dual_fmac_f32 v96, v52, v48
	v_dual_add_f32 v89, v89, v96 :: v_dual_lshlrev_b32 v54, 16, v54
	v_dual_mul_f32 v96, v98, v99 :: v_dual_lshlrev_b32 v49, 16, v49
	s_delay_alu instid0(VALU_DEP_1) | instskip(NEXT) | instid1(VALU_DEP_2)
	v_fmac_f32_e32 v96, v54, v50
	v_fmac_f32_e32 v100, v53, v49
	s_delay_alu instid0(VALU_DEP_1) | instskip(NEXT) | instid1(VALU_DEP_1)
	v_add_f32_e32 v89, v89, v100
	v_add_f32_e32 v89, v89, v96
	s_delay_alu instid0(VALU_DEP_1)
	v_add_f32_e32 v89, v89, v107
	v_and_b32_e32 v101, 0xffff0000, v44
	v_lshlrev_b32_e32 v44, 16, v44
	s_waitcnt vmcnt(3)
	v_and_b32_e32 v107, 0xffff0000, v38
	v_lshlrev_b32_e32 v38, 16, v38
	v_mul_f32_e32 v100, v57, v101
	s_delay_alu instid0(VALU_DEP_1) | instskip(NEXT) | instid1(VALU_DEP_1)
	v_fmac_f32_e32 v100, v52, v44
	v_dual_add_f32 v93, v93, v100 :: v_dual_mul_f32 v100, v98, v106
	s_delay_alu instid0(VALU_DEP_1) | instskip(SKIP_3) | instid1(VALU_DEP_2)
	v_add_f32_e32 v93, v93, v105
	v_and_b32_e32 v105, 0xffff0000, v47
	v_and_b32_e32 v96, 0xffff0000, v36
	v_lshlrev_b32_e32 v36, 16, v36
	v_dual_mul_f32 v57, v57, v96 :: v_dual_fmac_f32 v100, v54, v46
	s_delay_alu instid0(VALU_DEP_1) | instskip(NEXT) | instid1(VALU_DEP_2)
	v_fmac_f32_e32 v57, v52, v36
	v_dual_add_f32 v93, v93, v100 :: v_dual_and_b32 v100, 0xffff0000, v37
	s_delay_alu instid0(VALU_DEP_2) | instskip(NEXT) | instid1(VALU_DEP_2)
	v_add_f32_e32 v57, v91, v57
	v_dual_mul_f32 v52, v95, v100 :: v_dual_lshlrev_b32 v37, 16, v37
	v_mul_f32_e32 v95, v102, v105
	s_delay_alu instid0(VALU_DEP_2) | instskip(NEXT) | instid1(VALU_DEP_1)
	v_dual_fmac_f32 v52, v53, v37 :: v_dual_mul_f32 v53, v98, v107
	v_dual_add_f32 v52, v57, v52 :: v_dual_and_b32 v57, 0xffff0000, v41
	v_and_b32_e32 v91, 0xffff0000, v40
	s_delay_alu instid0(VALU_DEP_3) | instskip(SKIP_1) | instid1(VALU_DEP_2)
	v_dual_fmac_f32 v53, v54, v38 :: v_dual_lshlrev_b32 v40, 16, v40
	v_and_b32_e32 v54, 0xffff0000, v39
	v_dual_add_f32 v52, v52, v53 :: v_dual_and_b32 v109, 0xffff0000, v42
	s_delay_alu instid0(VALU_DEP_2) | instskip(SKIP_2) | instid1(VALU_DEP_2)
	v_mul_f32_e32 v102, v102, v54
	v_dual_mul_f32 v108, v57, v97 :: v_dual_lshlrev_b32 v47, 16, v47
	v_mul_f32_e32 v98, v91, v94
	v_dual_fmac_f32 v95, v55, v47 :: v_dual_lshlrev_b32 v42, 16, v42
	s_delay_alu instid0(VALU_DEP_2) | instskip(NEXT) | instid1(VALU_DEP_1)
	v_dual_fmac_f32 v98, v40, v48 :: v_dual_lshlrev_b32 v41, 16, v41
	v_dual_add_f32 v92, v92, v98 :: v_dual_lshlrev_b32 v39, 16, v39
	s_delay_alu instid0(VALU_DEP_2) | instskip(NEXT) | instid1(VALU_DEP_1)
	v_fmac_f32_e32 v108, v41, v49
	v_dual_mul_f32 v98, v109, v99 :: v_dual_add_f32 v53, v92, v108
	s_delay_alu instid0(VALU_DEP_1) | instskip(NEXT) | instid1(VALU_DEP_4)
	v_fmac_f32_e32 v98, v42, v50
	v_fmac_f32_e32 v102, v55, v39
	v_dual_mul_f32 v55, v91, v101 :: v_dual_add_f32 v92, v93, v95
	v_and_b32_e32 v93, 0xffff0000, v43
	s_delay_alu instid0(VALU_DEP_4) | instskip(NEXT) | instid1(VALU_DEP_4)
	v_add_f32_e32 v53, v53, v98
	v_add_f32_e32 v52, v52, v102
	s_delay_alu instid0(VALU_DEP_4) | instskip(SKIP_2) | instid1(VALU_DEP_3)
	v_fmac_f32_e32 v55, v40, v44
	v_mul_f32_e32 v91, v91, v96
	v_dual_mul_f32 v98, v93, v104 :: v_dual_lshlrev_b32 v43, 16, v43
	v_dual_add_f32 v55, v90, v55 :: v_dual_mul_f32 v90, v109, v106
	v_mul_f32_e32 v95, v57, v103
	s_delay_alu instid0(VALU_DEP_3) | instskip(SKIP_1) | instid1(VALU_DEP_3)
	v_dual_fmac_f32 v98, v43, v51 :: v_dual_fmac_f32 v91, v40, v36
	v_mul_f32_e32 v40, v57, v100
	v_dual_fmac_f32 v90, v42, v46 :: v_dual_fmac_f32 v95, v41, v45
	s_delay_alu instid0(VALU_DEP_3) | instskip(NEXT) | instid1(VALU_DEP_3)
	v_add_f32_e32 v53, v53, v98
	v_dual_fmac_f32 v40, v41, v37 :: v_dual_add_f32 v57, v88, v91
	s_delay_alu instid0(VALU_DEP_3) | instskip(SKIP_1) | instid1(VALU_DEP_2)
	v_dual_add_f32 v55, v55, v95 :: v_dual_and_b32 v88, 0xffff0000, v72
	v_mul_f32_e32 v41, v109, v107
	v_dual_add_f32 v55, v55, v90 :: v_dual_mul_f32 v90, v93, v105
	s_delay_alu instid0(VALU_DEP_2) | instskip(NEXT) | instid1(VALU_DEP_4)
	v_dual_add_f32 v40, v57, v40 :: v_dual_fmac_f32 v41, v42, v38
	v_dual_mul_f32 v57, v88, v94 :: v_dual_lshlrev_b32 v42, 16, v72
	s_delay_alu instid0(VALU_DEP_3) | instskip(NEXT) | instid1(VALU_DEP_3)
	v_dual_fmac_f32 v90, v43, v47 :: v_dual_mul_f32 v91, v93, v54
	v_add_f32_e32 v40, v40, v41
	s_delay_alu instid0(VALU_DEP_2) | instskip(NEXT) | instid1(VALU_DEP_4)
	v_dual_fmac_f32 v91, v43, v39 :: v_dual_and_b32 v72, 0xffff0000, v73
	v_fmac_f32_e32 v57, v42, v48
	s_delay_alu instid0(VALU_DEP_2) | instskip(NEXT) | instid1(VALU_DEP_2)
	v_dual_add_f32 v43, v55, v90 :: v_dual_add_f32 v40, v40, v91
	v_add_f32_e32 v55, v84, v57
	v_dual_mul_f32 v84, v88, v101 :: v_dual_and_b32 v57, 0xffff0000, v70
	v_dual_mul_f32 v88, v88, v96 :: v_dual_lshlrev_b32 v41, 16, v73
	v_dual_mul_f32 v73, v72, v97 :: v_dual_lshlrev_b32 v70, 16, v70
	s_delay_alu instid0(VALU_DEP_3) | instskip(NEXT) | instid1(VALU_DEP_4)
	v_dual_fmac_f32 v84, v42, v44 :: v_dual_mul_f32 v91, v72, v103
	v_mul_f32_e32 v90, v57, v99
	s_delay_alu instid0(VALU_DEP_4)
	v_fmac_f32_e32 v88, v42, v36
	v_mul_f32_e32 v42, v72, v100
	v_and_b32_e32 v72, 0xffff0000, v32
	v_add_f32_e32 v84, v85, v84
	v_dual_fmac_f32 v91, v41, v45 :: v_dual_lshlrev_b32 v32, 16, v32
	v_fmac_f32_e32 v73, v41, v49
	v_mul_f32_e32 v85, v57, v106
	v_fmac_f32_e32 v90, v70, v50
	s_delay_alu instid0(VALU_DEP_4)
	v_add_f32_e32 v84, v84, v91
	v_fmac_f32_e32 v42, v41, v37
	v_add_f32_e32 v55, v55, v73
	v_and_b32_e32 v73, 0xffff0000, v71
	v_fmac_f32_e32 v85, v70, v46
	v_lshlrev_b32_e32 v71, 16, v71
	v_mul_f32_e32 v57, v57, v107
	v_add_f32_e32 v55, v55, v90
	s_delay_alu instid0(VALU_DEP_4) | instskip(SKIP_1) | instid1(VALU_DEP_4)
	v_dual_mul_f32 v93, v73, v104 :: v_dual_add_f32 v84, v84, v85
	v_dual_add_f32 v85, v87, v88 :: v_dual_and_b32 v88, 0xffff0000, v33
	v_fmac_f32_e32 v57, v70, v38
	s_delay_alu instid0(VALU_DEP_3) | instskip(NEXT) | instid1(VALU_DEP_3)
	v_fmac_f32_e32 v93, v71, v51
	v_dual_add_f32 v42, v85, v42 :: v_dual_lshlrev_b32 v33, 16, v33
	v_mul_f32_e32 v41, v72, v94
	s_delay_alu instid0(VALU_DEP_3) | instskip(SKIP_1) | instid1(VALU_DEP_4)
	v_dual_add_f32 v55, v55, v93 :: v_dual_and_b32 v70, 0xffff0000, v34
	v_lshlrev_b32_e32 v34, 16, v34
	v_add_f32_e32 v42, v42, v57
	v_mul_f32_e32 v57, v72, v101
	v_mul_f32_e32 v72, v72, v96
	v_fmac_f32_e32 v41, v32, v48
	s_delay_alu instid0(VALU_DEP_3) | instskip(NEXT) | instid1(VALU_DEP_2)
	v_fmac_f32_e32 v57, v32, v44
	v_dual_fmac_f32 v72, v32, v36 :: v_dual_add_f32 v41, v86, v41
	v_dual_mul_f32 v86, v70, v99 :: v_dual_mul_f32 v87, v73, v105
	s_delay_alu instid0(VALU_DEP_2) | instskip(SKIP_1) | instid1(VALU_DEP_3)
	v_dual_mul_f32 v85, v88, v97 :: v_dual_add_f32 v72, v82, v72
	v_dual_mul_f32 v73, v73, v54 :: v_dual_mul_f32 v32, v88, v100
	v_dual_fmac_f32 v86, v34, v50 :: v_dual_fmac_f32 v87, v71, v47
	v_add_f32_e32 v57, v83, v57
	s_delay_alu instid0(VALU_DEP_3) | instskip(SKIP_1) | instid1(VALU_DEP_4)
	v_dual_fmac_f32 v73, v71, v39 :: v_dual_fmac_f32 v32, v33, v37
	v_fmac_f32_e32 v85, v33, v49
	v_add_f32_e32 v71, v84, v87
	v_dual_mul_f32 v84, v88, v103 :: v_dual_mul_f32 v83, v70, v106
	s_delay_alu instid0(VALU_DEP_4)
	v_add_f32_e32 v32, v72, v32
	s_waitcnt lgkmcnt(0)
	v_and_b32_e32 v72, 0xffff0000, v29
	v_lshlrev_b32_e32 v29, 16, v29
	v_dual_fmac_f32 v84, v33, v45 :: v_dual_mul_f32 v33, v70, v107
	v_dual_add_f32 v41, v41, v85 :: v_dual_and_b32 v70, 0xffff0000, v28
	v_dual_fmac_f32 v83, v34, v46 :: v_dual_lshlrev_b32 v28, 16, v28
	s_delay_alu instid0(VALU_DEP_3) | instskip(NEXT) | instid1(VALU_DEP_3)
	v_fmac_f32_e32 v33, v34, v38
	v_mul_f32_e32 v34, v70, v94
	s_delay_alu instid0(VALU_DEP_4) | instskip(NEXT) | instid1(VALU_DEP_3)
	v_dual_add_f32 v41, v41, v86 :: v_dual_add_f32 v42, v42, v73
	v_dual_add_f32 v32, v32, v33 :: v_dual_and_b32 v73, 0xffff0000, v35
	v_mul_f32_e32 v33, v72, v97
	s_delay_alu instid0(VALU_DEP_4) | instskip(NEXT) | instid1(VALU_DEP_3)
	v_dual_fmac_f32 v34, v28, v48 :: v_dual_lshlrev_b32 v35, 16, v35
	v_dual_mul_f32 v85, v73, v104 :: v_dual_and_b32 v48, 0xffff0000, v30
	s_delay_alu instid0(VALU_DEP_3) | instskip(SKIP_4) | instid1(VALU_DEP_4)
	v_fmac_f32_e32 v33, v29, v49
	v_mul_f32_e32 v49, v70, v101
	v_mul_f32_e32 v82, v73, v105
	v_add_f32_e32 v34, v81, v34
	v_dual_add_f32 v57, v57, v84 :: v_dual_lshlrev_b32 v30, 16, v30
	v_fmac_f32_e32 v49, v28, v44
	v_mul_f32_e32 v44, v72, v103
	v_dual_fmac_f32 v82, v35, v47 :: v_dual_mul_f32 v73, v73, v54
	v_mul_f32_e32 v70, v70, v96
	s_delay_alu instid0(VALU_DEP_3) | instskip(NEXT) | instid1(VALU_DEP_2)
	v_dual_fmac_f32 v44, v29, v45 :: v_dual_mul_f32 v45, v48, v106
	v_fmac_f32_e32 v70, v28, v36
	s_delay_alu instid0(VALU_DEP_2)
	v_dual_mul_f32 v28, v72, v100 :: v_dual_fmac_f32 v45, v30, v46
	s_waitcnt vmcnt(2)
	v_dual_add_f32 v33, v34, v33 :: v_dual_and_b32 v46, 0xffff0000, v20
	v_and_b32_e32 v34, 0xffff0000, v31
	v_add_f32_e32 v57, v57, v83
	v_add_f32_e32 v49, v80, v49
	v_fmac_f32_e32 v85, v35, v51
	s_delay_alu instid0(VALU_DEP_4) | instskip(SKIP_1) | instid1(VALU_DEP_4)
	v_dual_fmac_f32 v73, v35, v39 :: v_dual_mul_f32 v36, v34, v105
	v_lshlrev_b32_e32 v20, 16, v20
	v_add_f32_e32 v44, v49, v44
	v_add_f32_e32 v35, v57, v82
	v_dual_mul_f32 v57, v48, v99 :: v_dual_fmac_f32 v28, v29, v37
	v_mul_f32_e32 v29, v48, v107
	s_delay_alu instid0(VALU_DEP_4) | instskip(NEXT) | instid1(VALU_DEP_3)
	v_dual_add_f32 v44, v44, v45 :: v_dual_lshlrev_b32 v31, 16, v31
	v_fmac_f32_e32 v57, v30, v50
	v_dual_mul_f32 v50, v34, v104 :: v_dual_add_f32 v41, v41, v85
	v_add_f32_e32 v45, v79, v70
	s_delay_alu instid0(VALU_DEP_4)
	v_fmac_f32_e32 v36, v31, v47
	v_mul_f32_e32 v34, v34, v54
	s_waitcnt vmcnt(1)
	v_and_b32_e32 v54, 0xffff0000, v19
	v_add_f32_e32 v32, v32, v73
	v_add_f32_e32 v28, v45, v28
	v_dual_add_f32 v36, v44, v36 :: v_dual_fmac_f32 v29, v30, v38
	v_fmac_f32_e32 v34, v31, v39
	v_and_b32_e32 v38, 0xffff0000, v25
	v_and_b32_e32 v47, 0xffff0000, v22
	v_and_b32_e32 v39, 0xffff0000, v16
	v_lshlrev_b32_e32 v16, 16, v16
	v_and_b32_e32 v45, 0xffff0000, v26
	v_and_b32_e32 v37, 0xffff0000, v24
	v_lshlrev_b32_e32 v24, 16, v24
	v_fmac_f32_e32 v50, v31, v51
	v_and_b32_e32 v44, 0xffff0000, v21
	v_mul_f32_e32 v48, v45, v47
	v_mul_f32_e32 v30, v37, v46
	v_add_f32_e32 v33, v33, v57
	v_add_f32_e32 v28, v28, v29
	v_lshlrev_b32_e32 v21, 16, v21
	v_dual_mul_f32 v29, v38, v44 :: v_dual_lshlrev_b32 v26, 16, v26
	s_delay_alu instid0(VALU_DEP_4) | instskip(SKIP_2) | instid1(VALU_DEP_3)
	v_dual_fmac_f32 v30, v24, v20 :: v_dual_add_f32 v33, v33, v50
	v_mul_f32_e32 v50, v37, v39
	v_add_f32_e32 v28, v28, v34
	v_add_f32_e32 v30, v89, v30
	v_lshlrev_b32_e32 v22, 16, v22
	s_delay_alu instid0(VALU_DEP_1) | instskip(NEXT) | instid1(VALU_DEP_1)
	v_dual_fmac_f32 v48, v26, v22 :: v_dual_lshlrev_b32 v25, 16, v25
	v_fmac_f32_e32 v29, v25, v21
	s_delay_alu instid0(VALU_DEP_1) | instskip(SKIP_1) | instid1(VALU_DEP_2)
	v_dual_add_f32 v29, v30, v29 :: v_dual_and_b32 v30, 0xffff0000, v27
	v_lshlrev_b32_e32 v27, 16, v27
	v_dual_add_f32 v29, v29, v48 :: v_dual_and_b32 v48, 0xffff0000, v17
	s_delay_alu instid0(VALU_DEP_1) | instskip(SKIP_1) | instid1(VALU_DEP_2)
	v_dual_mul_f32 v34, v38, v48 :: v_dual_lshlrev_b32 v17, 16, v17
	v_and_b32_e32 v31, 0xffff0000, v23
	v_dual_fmac_f32 v34, v25, v17 :: v_dual_lshlrev_b32 v23, 16, v23
	s_delay_alu instid0(VALU_DEP_2) | instskip(NEXT) | instid1(VALU_DEP_1)
	v_mul_f32_e32 v49, v30, v31
	v_dual_fmac_f32 v49, v27, v23 :: v_dual_fmac_f32 v50, v24, v16
	s_delay_alu instid0(VALU_DEP_1) | instskip(SKIP_1) | instid1(VALU_DEP_2)
	v_add_f32_e32 v89, v29, v49
	s_waitcnt vmcnt(0)
	v_dual_add_f32 v49, v92, v50 :: v_dual_and_b32 v50, 0xffff0000, v8
	v_lshlrev_b32_e32 v8, 16, v8
	s_delay_alu instid0(VALU_DEP_2) | instskip(NEXT) | instid1(VALU_DEP_3)
	v_add_f32_e32 v34, v49, v34
	v_mul_f32_e32 v37, v37, v50
	v_and_b32_e32 v49, 0xffff0000, v9
	s_delay_alu instid0(VALU_DEP_1) | instskip(SKIP_2) | instid1(VALU_DEP_3)
	v_dual_fmac_f32 v37, v24, v8 :: v_dual_mul_f32 v24, v38, v49
	v_and_b32_e32 v38, 0xffff0000, v10
	v_lshlrev_b32_e32 v9, 16, v9
	v_dual_add_f32 v37, v52, v37 :: v_dual_lshlrev_b32 v10, 16, v10
	s_delay_alu instid0(VALU_DEP_2) | instskip(SKIP_2) | instid1(VALU_DEP_3)
	v_dual_fmac_f32 v24, v25, v9 :: v_dual_and_b32 v29, 0xffff0000, v18
	v_lshlrev_b32_e32 v18, 16, v18
	v_mul_f32_e32 v25, v45, v38
	v_add_f32_e32 v24, v37, v24
	s_delay_alu instid0(VALU_DEP_4) | instskip(SKIP_1) | instid1(VALU_DEP_4)
	v_mul_f32_e32 v51, v45, v29
	v_and_b32_e32 v45, 0xffff0000, v12
	v_dual_fmac_f32 v25, v26, v10 :: v_dual_lshlrev_b32 v12, 16, v12
	v_mul_f32_e32 v57, v30, v54
	s_delay_alu instid0(VALU_DEP_4) | instskip(SKIP_1) | instid1(VALU_DEP_4)
	v_dual_fmac_f32 v51, v26, v18 :: v_dual_and_b32 v26, 0xffff0000, v11
	v_lshlrev_b32_e32 v11, 16, v11
	v_dual_add_f32 v24, v24, v25 :: v_dual_lshlrev_b32 v19, 16, v19
	s_delay_alu instid0(VALU_DEP_3) | instskip(NEXT) | instid1(VALU_DEP_4)
	v_add_f32_e32 v34, v34, v51
	v_dual_mul_f32 v30, v30, v26 :: v_dual_and_b32 v51, 0xffff0000, v13
	s_delay_alu instid0(VALU_DEP_1) | instskip(NEXT) | instid1(VALU_DEP_2)
	v_dual_fmac_f32 v30, v27, v11 :: v_dual_lshlrev_b32 v13, 16, v13
	v_mul_f32_e32 v25, v51, v44
	s_delay_alu instid0(VALU_DEP_2) | instskip(NEXT) | instid1(VALU_DEP_1)
	v_dual_add_f32 v91, v24, v30 :: v_dual_mul_f32 v24, v45, v39
	v_dual_fmac_f32 v57, v27, v19 :: v_dual_fmac_f32 v24, v12, v16
	s_delay_alu instid0(VALU_DEP_1) | instskip(NEXT) | instid1(VALU_DEP_4)
	v_dual_add_f32 v93, v34, v57 :: v_dual_and_b32 v34, 0xffff0000, v14
	v_dual_fmac_f32 v25, v13, v21 :: v_dual_lshlrev_b32 v14, 16, v14
	s_delay_alu instid0(VALU_DEP_3) | instskip(NEXT) | instid1(VALU_DEP_3)
	v_add_f32_e32 v24, v43, v24
	v_mul_f32_e32 v30, v34, v47
	v_mul_f32_e32 v43, v34, v29
	s_delay_alu instid0(VALU_DEP_2) | instskip(SKIP_1) | instid1(VALU_DEP_3)
	v_fmac_f32_e32 v30, v14, v22
	v_mul_f32_e32 v37, v45, v46
	v_fmac_f32_e32 v43, v14, v18
	s_delay_alu instid0(VALU_DEP_2) | instskip(NEXT) | instid1(VALU_DEP_1)
	v_fmac_f32_e32 v37, v12, v20
	v_add_f32_e32 v27, v53, v37
	s_delay_alu instid0(VALU_DEP_1) | instskip(SKIP_2) | instid1(VALU_DEP_2)
	v_add_f32_e32 v25, v27, v25
	v_and_b32_e32 v27, 0xffff0000, v15
	v_lshlrev_b32_e32 v15, 16, v15
	v_dual_add_f32 v25, v25, v30 :: v_dual_mul_f32 v52, v27, v31
	v_mul_f32_e32 v30, v45, v50
	s_delay_alu instid0(VALU_DEP_2) | instskip(NEXT) | instid1(VALU_DEP_2)
	v_fmac_f32_e32 v52, v15, v23
	v_fmac_f32_e32 v30, v12, v8
	v_mul_f32_e32 v12, v51, v49
	s_delay_alu instid0(VALU_DEP_3) | instskip(NEXT) | instid1(VALU_DEP_2)
	v_add_f32_e32 v92, v25, v52
	v_dual_mul_f32 v37, v51, v48 :: v_dual_fmac_f32 v12, v13, v9
	s_delay_alu instid0(VALU_DEP_4) | instskip(NEXT) | instid1(VALU_DEP_2)
	v_dual_add_f32 v30, v40, v30 :: v_dual_lshlrev_b32 v51, 16, v67
	v_fmac_f32_e32 v37, v13, v17
	v_mul_f32_e32 v13, v34, v38
	s_delay_alu instid0(VALU_DEP_3) | instskip(SKIP_1) | instid1(VALU_DEP_3)
	v_add_f32_e32 v12, v30, v12
	v_lshlrev_b32_e32 v34, 16, v68
	v_dual_add_f32 v24, v24, v37 :: v_dual_fmac_f32 v13, v14, v10
	v_and_b32_e32 v25, 0xffff0000, v68
	v_lshlrev_b32_e32 v14, 16, v69
	s_delay_alu instid0(VALU_DEP_3) | instskip(NEXT) | instid1(VALU_DEP_4)
	v_add_f32_e32 v24, v24, v43
	v_add_f32_e32 v12, v12, v13
	s_delay_alu instid0(VALU_DEP_4) | instskip(NEXT) | instid1(VALU_DEP_1)
	v_mul_f32_e32 v40, v25, v46
	v_dual_mul_f32 v37, v27, v54 :: v_dual_fmac_f32 v40, v34, v20
	s_delay_alu instid0(VALU_DEP_1) | instskip(NEXT) | instid1(VALU_DEP_2)
	v_fmac_f32_e32 v37, v15, v19
	v_dual_add_f32 v13, v55, v40 :: v_dual_lshlrev_b32 v40, 16, v66
	s_delay_alu instid0(VALU_DEP_2) | instskip(SKIP_1) | instid1(VALU_DEP_1)
	v_add_f32_e32 v90, v24, v37
	v_and_b32_e32 v24, 0xffff0000, v69
	v_dual_mul_f32 v30, v24, v44 :: v_dual_mul_f32 v27, v27, v26
	s_delay_alu instid0(VALU_DEP_1) | instskip(NEXT) | instid1(VALU_DEP_1)
	v_fmac_f32_e32 v30, v14, v21
	v_dual_add_f32 v13, v13, v30 :: v_dual_and_b32 v30, 0xffff0000, v67
	s_delay_alu instid0(VALU_DEP_1) | instskip(NEXT) | instid1(VALU_DEP_1)
	v_dual_mul_f32 v52, v30, v31 :: v_dual_and_b32 v37, 0xffff0000, v66
	v_mul_f32_e32 v43, v37, v47
	s_delay_alu instid0(VALU_DEP_1) | instskip(NEXT) | instid1(VALU_DEP_1)
	v_dual_fmac_f32 v52, v51, v23 :: v_dual_fmac_f32 v43, v40, v22
	v_add_f32_e32 v13, v13, v43
	v_fmac_f32_e32 v27, v15, v11
	v_mul_f32_e32 v15, v25, v39
	v_mul_f32_e32 v25, v25, v50
	s_delay_alu instid0(VALU_DEP_4) | instskip(NEXT) | instid1(VALU_DEP_4)
	v_add_f32_e32 v84, v13, v52
	v_add_f32_e32 v88, v12, v27
	v_mul_f32_e32 v12, v24, v49
	v_mul_f32_e32 v45, v24, v48
	v_fmac_f32_e32 v25, v34, v8
	v_fmac_f32_e32 v15, v34, v16
	v_and_b32_e32 v24, 0xffff0000, v4
	v_fmac_f32_e32 v12, v14, v9
	v_fmac_f32_e32 v45, v14, v17
	v_dual_add_f32 v25, v42, v25 :: v_dual_mul_f32 v14, v37, v38
	v_dual_add_f32 v15, v71, v15 :: v_dual_and_b32 v34, 0xffff0000, v5
	v_lshlrev_b32_e32 v4, 16, v4
	s_delay_alu instid0(VALU_DEP_3) | instskip(NEXT) | instid1(VALU_DEP_4)
	v_add_f32_e32 v12, v25, v12
	v_dual_fmac_f32 v14, v40, v10 :: v_dual_mul_f32 v53, v37, v29
	s_delay_alu instid0(VALU_DEP_4) | instskip(SKIP_1) | instid1(VALU_DEP_3)
	v_add_f32_e32 v15, v15, v45
	v_mul_f32_e32 v27, v24, v46
	v_add_f32_e32 v12, v12, v14
	s_delay_alu instid0(VALU_DEP_4) | instskip(SKIP_1) | instid1(VALU_DEP_4)
	v_fmac_f32_e32 v53, v40, v18
	v_and_b32_e32 v14, 0xffff0000, v6
	v_dual_fmac_f32 v27, v4, v20 :: v_dual_lshlrev_b32 v6, 16, v6
	s_delay_alu instid0(VALU_DEP_3) | instskip(SKIP_1) | instid1(VALU_DEP_1)
	v_add_f32_e32 v13, v15, v53
	v_mul_f32_e32 v15, v30, v54
	v_fmac_f32_e32 v15, v51, v19
	s_delay_alu instid0(VALU_DEP_1)
	v_add_f32_e32 v85, v13, v15
	v_mul_f32_e32 v15, v30, v26
	v_add_f32_e32 v13, v41, v27
	v_mul_f32_e32 v27, v24, v39
	v_mul_f32_e32 v24, v24, v50
	;; [unrolled: 1-line block ×3, first 2 shown]
	v_fmac_f32_e32 v15, v51, v11
	s_delay_alu instid0(VALU_DEP_4) | instskip(NEXT) | instid1(VALU_DEP_4)
	v_fmac_f32_e32 v27, v4, v16
	v_fmac_f32_e32 v24, v4, v8
	s_delay_alu instid0(VALU_DEP_3) | instskip(SKIP_4) | instid1(VALU_DEP_4)
	v_dual_fmac_f32 v30, v6, v22 :: v_dual_add_f32 v87, v12, v15
	v_and_b32_e32 v12, 0xffff0000, v0
	v_lshlrev_b32_e32 v5, 16, v5
	v_lshlrev_b32_e32 v0, 16, v0
	v_add_f32_e32 v24, v32, v24
	v_dual_mul_f32 v4, v12, v46 :: v_dual_mul_f32 v25, v34, v44
	s_delay_alu instid0(VALU_DEP_1) | instskip(NEXT) | instid1(VALU_DEP_1)
	v_dual_fmac_f32 v4, v0, v20 :: v_dual_fmac_f32 v25, v5, v21
	v_add_f32_e32 v4, v33, v4
	s_delay_alu instid0(VALU_DEP_2) | instskip(SKIP_2) | instid1(VALU_DEP_3)
	v_add_f32_e32 v13, v13, v25
	v_and_b32_e32 v25, 0xffff0000, v7
	v_add_f32_e32 v27, v35, v27
	v_dual_add_f32 v13, v13, v30 :: v_dual_mul_f32 v30, v34, v49
	s_delay_alu instid0(VALU_DEP_3) | instskip(SKIP_1) | instid1(VALU_DEP_3)
	v_mul_f32_e32 v40, v25, v31
	v_mul_f32_e32 v15, v25, v54
	v_dual_fmac_f32 v30, v5, v9 :: v_dual_mul_f32 v37, v34, v48
	s_delay_alu instid0(VALU_DEP_1) | instskip(SKIP_1) | instid1(VALU_DEP_1)
	v_dual_add_f32 v24, v24, v30 :: v_dual_mul_f32 v35, v14, v29
	v_dual_mul_f32 v14, v14, v38 :: v_dual_lshlrev_b32 v7, 16, v7
	v_dual_fmac_f32 v37, v5, v17 :: v_dual_fmac_f32 v14, v6, v10
	s_delay_alu instid0(VALU_DEP_2) | instskip(NEXT) | instid1(VALU_DEP_2)
	v_fmac_f32_e32 v40, v7, v23
	v_dual_fmac_f32 v15, v7, v19 :: v_dual_add_f32 v14, v24, v14
	v_fmac_f32_e32 v35, v6, v18
	s_delay_alu instid0(VALU_DEP_4) | instskip(NEXT) | instid1(VALU_DEP_1)
	v_dual_mul_f32 v6, v25, v26 :: v_dual_add_f32 v27, v27, v37
	v_fmac_f32_e32 v6, v7, v11
	s_delay_alu instid0(VALU_DEP_2) | instskip(SKIP_2) | instid1(VALU_DEP_2)
	v_dual_add_f32 v86, v13, v40 :: v_dual_add_f32 v13, v27, v35
	v_mul_f32_e32 v7, v12, v39
	v_mul_f32_e32 v12, v12, v50
	v_dual_add_f32 v82, v14, v6 :: v_dual_fmac_f32 v7, v0, v16
	s_delay_alu instid0(VALU_DEP_2) | instskip(NEXT) | instid1(VALU_DEP_1)
	v_dual_fmac_f32 v12, v0, v8 :: v_dual_and_b32 v27, 0xffff0000, v1
	v_add_f32_e32 v12, v28, v12
	s_delay_alu instid0(VALU_DEP_2) | instskip(SKIP_3) | instid1(VALU_DEP_4)
	v_dual_mul_f32 v16, v27, v48 :: v_dual_and_b32 v5, 0xffff0000, v2
	v_mul_f32_e32 v20, v27, v44
	v_lshlrev_b32_e32 v2, 16, v2
	v_mul_f32_e32 v0, v27, v49
	v_mul_f32_e32 v8, v5, v29
	v_lshlrev_b32_e32 v1, 16, v1
	s_delay_alu instid0(VALU_DEP_2) | instskip(NEXT) | instid1(VALU_DEP_2)
	v_dual_add_f32 v83, v13, v15 :: v_dual_fmac_f32 v8, v2, v18
	v_fmac_f32_e32 v20, v1, v21
	v_fmac_f32_e32 v16, v1, v17
	v_fmac_f32_e32 v0, v1, v9
	v_mul_f32_e32 v21, v5, v47
	s_delay_alu instid0(VALU_DEP_4) | instskip(SKIP_1) | instid1(VALU_DEP_4)
	v_dual_mul_f32 v1, v5, v38 :: v_dual_add_f32 v4, v4, v20
	v_and_b32_e32 v20, 0xffff0000, v3
	v_dual_add_f32 v0, v12, v0 :: v_dual_lshlrev_b32 v3, 16, v3
	s_delay_alu instid0(VALU_DEP_3) | instskip(SKIP_1) | instid1(VALU_DEP_4)
	v_fmac_f32_e32 v1, v2, v10
	v_fmac_f32_e32 v21, v2, v22
	v_mul_f32_e32 v2, v20, v26
	s_delay_alu instid0(VALU_DEP_1) | instskip(SKIP_1) | instid1(VALU_DEP_1)
	v_fmac_f32_e32 v2, v3, v11
	v_add_f32_e32 v7, v36, v7
	v_add_f32_e32 v5, v7, v16
	v_mul_f32_e32 v7, v20, v54
	s_delay_alu instid0(VALU_DEP_2) | instskip(NEXT) | instid1(VALU_DEP_2)
	v_add_f32_e32 v5, v5, v8
	v_fmac_f32_e32 v7, v3, v19
	s_delay_alu instid0(VALU_DEP_1) | instskip(SKIP_3) | instid1(VALU_DEP_3)
	v_add_f32_e32 v80, v5, v7
	v_add_f32_e32 v0, v0, v1
	;; [unrolled: 1-line block ×3, first 2 shown]
	v_mul_f32_e32 v21, v20, v31
	v_add_f32_e32 v79, v0, v2
	s_delay_alu instid0(VALU_DEP_2) | instskip(NEXT) | instid1(VALU_DEP_1)
	v_fmac_f32_e32 v21, v3, v23
	v_add_f32_e32 v81, v4, v21
	s_cbranch_scc1 .LBB284_21
.LBB284_18:                             ;   Parent Loop BB284_14 Depth=1
                                        ; =>  This Inner Loop Header: Depth=2
	v_add_nc_u32_e32 v12, s25, v74
	v_dual_mov_b32 v66, 0 :: v_dual_mov_b32 v15, 0
	v_dual_mov_b32 v68, 0 :: v_dual_mov_b32 v13, 0
	s_delay_alu instid0(VALU_DEP_3) | instskip(SKIP_3) | instid1(VALU_DEP_4)
	v_min_u32_e32 v57, s14, v12
	v_add_nc_u32_e32 v94, 0x100, v12
	v_dual_mov_b32 v14, 0 :: v_dual_mov_b32 v27, 0
	v_dual_mov_b32 v26, 0 :: v_dual_mov_b32 v31, 0
	v_lshlrev_b64 v[0:1], 1, v[57:58]
	s_delay_alu instid0(VALU_DEP_4) | instskip(SKIP_2) | instid1(VALU_DEP_4)
	v_min_u32_e32 v57, s14, v94
	v_dual_mov_b32 v24, 0 :: v_dual_mov_b32 v29, 0
	v_dual_mov_b32 v30, 0 :: v_dual_mov_b32 v35, 0
	v_add_co_u32 v6, vcc_lo, s12, v0
	v_add_co_ci_u32_e32 v7, vcc_lo, s13, v1, vcc_lo
	v_lshlrev_b64 v[0:1], 1, v[57:58]
	s_delay_alu instid0(VALU_DEP_3) | instskip(NEXT) | instid1(VALU_DEP_3)
	v_add_co_u32 v2, vcc_lo, v6, v60
	v_add_co_ci_u32_e32 v3, vcc_lo, v7, v61, vcc_lo
	v_add_co_u32 v4, vcc_lo, v6, v64
	v_add_co_ci_u32_e32 v5, vcc_lo, v7, v65, vcc_lo
	;; [unrolled: 2-line block ×4, first 2 shown]
	s_delay_alu instid0(VALU_DEP_4) | instskip(NEXT) | instid1(VALU_DEP_4)
	v_add_co_u32 v6, vcc_lo, v10, v60
	v_add_co_ci_u32_e32 v7, vcc_lo, v11, v61, vcc_lo
	v_add_co_u32 v8, vcc_lo, v10, v64
	v_add_co_ci_u32_e32 v9, vcc_lo, v11, v65, vcc_lo
	;; [unrolled: 2-line block ×3, first 2 shown]
	s_clause 0x5
	global_load_b128 v[48:51], v[2:3], off slc dlc
	global_load_b128 v[44:47], v[4:5], off slc dlc
	;; [unrolled: 1-line block ×6, first 2 shown]
	v_mov_b32_e32 v3, 0
	v_cmp_gt_u32_e32 vcc_lo, s4, v12
	v_dual_mov_b32 v2, 0 :: v_dual_mov_b32 v7, 0
	v_dual_mov_b32 v1, 0 :: v_dual_mov_b32 v0, 0
	;; [unrolled: 1-line block ×13, first 2 shown]
	v_mov_b32_e32 v52, 0
	s_and_saveexec_b32 s26, vcc_lo
	s_cbranch_execz .LBB284_17
; %bb.19:                               ;   in Loop: Header=BB284_18 Depth=2
	v_dual_mov_b32 v24, 0 :: v_dual_add_nc_u32 v97, s6, v78
	v_dual_mov_b32 v26, 0 :: v_dual_add_nc_u32 v95, s23, v78
	;; [unrolled: 1-line block ×4, first 2 shown]
	ds_load_b128 v[40:43], v97
	ds_load_2addr_b32 v[72:73], v95 offset1:1
	ds_load_2addr_b32 v[70:71], v95 offset0:2 offset1:3
	ds_load_b128 v[32:35], v96
	ds_load_b128 v[52:55], v78
	ds_load_2addr_b64 v[28:31], v57 offset1:1
	v_cmp_gt_u32_e32 vcc_lo, s4, v94
	v_dual_mov_b32 v27, 0 :: v_dual_mov_b32 v14, 0
	v_dual_mov_b32 v13, 0 :: v_dual_mov_b32 v68, 0
	;; [unrolled: 1-line block ×7, first 2 shown]
	v_mov_b32_e32 v1, 0
	v_mov_b32_e32 v3, 0
	s_and_saveexec_b32 s27, vcc_lo
	s_cbranch_execz .LBB284_16
; %bb.20:                               ;   in Loop: Header=BB284_18 Depth=2
	ds_load_b128 v[12:15], v97 offset:512
	ds_load_2addr_b32 v[68:69], v95 offset0:128 offset1:129
	ds_load_2addr_b32 v[66:67], v95 offset0:130 offset1:131
	ds_load_b128 v[4:7], v96 offset:512
	ds_load_b128 v[24:27], v78 offset:512
	ds_load_2addr_b64 v[0:3], v57 offset0:64 offset1:65
	s_branch .LBB284_16
.LBB284_21:                             ;   in Loop: Header=BB284_14 Depth=1
	; sched_barrier mask(0x00000000)
	s_delay_alu instid0(VALU_DEP_1)
	v_cvt_i32_f32_e32 v0, v89
	s_waitcnt lgkmcnt(0)
	v_cvt_i32_f32_e32 v3, v92
	v_cvt_i32_f32_e32 v1, v93
	;; [unrolled: 1-line block ×4, first 2 shown]
	v_cvt_f32_i32_dpp v0, v0 row_shr:8 row_mask:0xf bank_mask:0xf bound_ctrl:1
	v_cvt_f32_i32_dpp v3, v3 row_shr:8 row_mask:0xf bank_mask:0xf bound_ctrl:1
	;; [unrolled: 1-line block ×5, first 2 shown]
	s_delay_alu instid0(VALU_DEP_4) | instskip(NEXT) | instid1(VALU_DEP_3)
	v_dual_add_f32 v0, v89, v0 :: v_dual_add_f32 v3, v92, v3
	v_dual_add_f32 v1, v93, v1 :: v_dual_add_f32 v2, v91, v2
	s_delay_alu instid0(VALU_DEP_2) | instskip(NEXT) | instid1(VALU_DEP_3)
	v_cvt_i32_f32_e32 v5, v0
	v_cvt_i32_f32_e32 v8, v3
	s_delay_alu instid0(VALU_DEP_3) | instskip(NEXT) | instid1(VALU_DEP_4)
	v_cvt_i32_f32_e32 v6, v1
	v_cvt_i32_f32_e32 v7, v2
	s_delay_alu instid0(VALU_DEP_4) | instskip(NEXT) | instid1(VALU_DEP_4)
	v_cvt_f32_i32_dpp v5, v5 row_shr:4 row_mask:0xf bank_mask:0xf bound_ctrl:1
	v_cvt_f32_i32_dpp v8, v8 row_shr:4 row_mask:0xf bank_mask:0xf bound_ctrl:1
	s_delay_alu instid0(VALU_DEP_4) | instskip(SKIP_2) | instid1(VALU_DEP_4)
	v_cvt_f32_i32_dpp v6, v6 row_shr:4 row_mask:0xf bank_mask:0xf bound_ctrl:1
	v_add_f32_e32 v4, v90, v4
	v_cvt_f32_i32_dpp v7, v7 row_shr:4 row_mask:0xf bank_mask:0xf bound_ctrl:1
	v_dual_add_f32 v0, v0, v5 :: v_dual_add_f32 v3, v3, v8
	s_delay_alu instid0(VALU_DEP_4) | instskip(NEXT) | instid1(VALU_DEP_4)
	v_add_f32_e32 v1, v1, v6
	v_cvt_i32_f32_e32 v9, v4
	s_delay_alu instid0(VALU_DEP_3) | instskip(NEXT) | instid1(VALU_DEP_4)
	v_cvt_i32_f32_e32 v5, v0
	v_cvt_i32_f32_e32 v8, v3
	s_delay_alu instid0(VALU_DEP_4) | instskip(NEXT) | instid1(VALU_DEP_4)
	v_cvt_i32_f32_e32 v6, v1
	v_cvt_f32_i32_dpp v9, v9 row_shr:4 row_mask:0xf bank_mask:0xf bound_ctrl:1
	s_delay_alu instid0(VALU_DEP_4) | instskip(NEXT) | instid1(VALU_DEP_4)
	v_cvt_f32_i32_dpp v5, v5 row_shr:2 row_mask:0xf bank_mask:0xf bound_ctrl:1
	v_cvt_f32_i32_dpp v8, v8 row_shr:2 row_mask:0xf bank_mask:0xf bound_ctrl:1
	s_delay_alu instid0(VALU_DEP_4) | instskip(NEXT) | instid1(VALU_DEP_4)
	v_cvt_f32_i32_dpp v6, v6 row_shr:2 row_mask:0xf bank_mask:0xf bound_ctrl:1
	v_add_f32_e32 v4, v4, v9
	s_delay_alu instid0(VALU_DEP_3) | instskip(NEXT) | instid1(VALU_DEP_3)
	v_dual_add_f32 v2, v2, v7 :: v_dual_add_f32 v3, v3, v8
	v_add_f32_e32 v1, v1, v6
	s_delay_alu instid0(VALU_DEP_3) | instskip(NEXT) | instid1(VALU_DEP_3)
	v_cvt_i32_f32_e32 v9, v4
	v_cvt_i32_f32_e32 v7, v2
	s_delay_alu instid0(VALU_DEP_4) | instskip(NEXT) | instid1(VALU_DEP_4)
	v_cvt_i32_f32_e32 v8, v3
	v_cvt_i32_f32_e32 v6, v1
	s_delay_alu instid0(VALU_DEP_4) | instskip(NEXT) | instid1(VALU_DEP_4)
	v_cvt_f32_i32_dpp v9, v9 row_shr:2 row_mask:0xf bank_mask:0xf bound_ctrl:1
	v_cvt_f32_i32_dpp v7, v7 row_shr:2 row_mask:0xf bank_mask:0xf bound_ctrl:1
	s_delay_alu instid0(VALU_DEP_4) | instskip(NEXT) | instid1(VALU_DEP_4)
	v_cvt_f32_i32_dpp v8, v8 row_shr:1 row_mask:0xf bank_mask:0xf bound_ctrl:1
	v_cvt_f32_i32_dpp v6, v6 row_shr:1 row_mask:0xf bank_mask:0xf bound_ctrl:1
	s_delay_alu instid0(VALU_DEP_3) | instskip(NEXT) | instid1(VALU_DEP_3)
	v_add_f32_e32 v2, v2, v7
	v_add_f32_e32 v24, v3, v8
	v_cvt_i32_f32_e32 v3, v84
	s_delay_alu instid0(VALU_DEP_3) | instskip(NEXT) | instid1(VALU_DEP_2)
	v_cvt_i32_f32_e32 v7, v2
	v_cvt_f32_i32_dpp v3, v3 row_shr:8 row_mask:0xf bank_mask:0xf bound_ctrl:1
	s_delay_alu instid0(VALU_DEP_2) | instskip(SKIP_1) | instid1(VALU_DEP_3)
	v_cvt_f32_i32_dpp v7, v7 row_shr:1 row_mask:0xf bank_mask:0xf bound_ctrl:1
	v_add_f32_e32 v0, v0, v5
	v_add_f32_e32 v3, v84, v3
	ds_bpermute_b32 v25, v76, v24
	v_add_f32_e32 v29, v2, v7
	v_cvt_i32_f32_e32 v5, v0
	v_cvt_i32_f32_e32 v2, v88
	v_cvt_i32_f32_e32 v8, v3
	ds_bpermute_b32 v30, v76, v29
	v_cvt_f32_i32_dpp v5, v5 row_shr:1 row_mask:0xf bank_mask:0xf bound_ctrl:1
	v_cvt_f32_i32_dpp v2, v2 row_shr:8 row_mask:0xf bank_mask:0xf bound_ctrl:1
	;; [unrolled: 1-line block ×3, first 2 shown]
	v_add_f32_e32 v4, v4, v9
	s_delay_alu instid0(VALU_DEP_4) | instskip(SKIP_1) | instid1(VALU_DEP_4)
	v_add_f32_e32 v33, v0, v5
	v_cvt_i32_f32_e32 v5, v87
	v_add_f32_e32 v3, v3, v8
	s_delay_alu instid0(VALU_DEP_4)
	v_cvt_i32_f32_e32 v9, v4
	ds_bpermute_b32 v34, v76, v33
	v_cvt_f32_i32_dpp v5, v5 row_shr:8 row_mask:0xf bank_mask:0xf bound_ctrl:1
	v_cvt_i32_f32_e32 v8, v3
	v_cvt_f32_i32_dpp v9, v9 row_shr:1 row_mask:0xf bank_mask:0xf bound_ctrl:1
	v_add_f32_e32 v0, v1, v6
	v_cvt_i32_f32_e32 v6, v86
	v_dual_add_f32 v2, v88, v2 :: v_dual_add_f32 v5, v87, v5
	v_cvt_f32_i32_dpp v8, v8 row_shr:2 row_mask:0xf bank_mask:0xf bound_ctrl:1
	v_add_f32_e32 v19, v4, v9
	s_delay_alu instid0(VALU_DEP_4)
	v_cvt_f32_i32_dpp v6, v6 row_shr:8 row_mask:0xf bank_mask:0xf bound_ctrl:1
	v_cvt_i32_f32_e32 v4, v85
	v_cvt_i32_f32_e32 v7, v2
	v_add_f32_e32 v3, v3, v8
	v_cvt_i32_f32_e32 v10, v5
	v_add_f32_e32 v6, v86, v6
	v_cvt_f32_i32_dpp v4, v4 row_shr:8 row_mask:0xf bank_mask:0xf bound_ctrl:1
	v_cvt_f32_i32_dpp v7, v7 row_shr:4 row_mask:0xf bank_mask:0xf bound_ctrl:1
	v_cvt_i32_f32_e32 v8, v3
	v_cvt_f32_i32_dpp v10, v10 row_shr:4 row_mask:0xf bank_mask:0xf bound_ctrl:1
	v_cvt_i32_f32_e32 v11, v6
	ds_bpermute_b32 v1, v76, v0
	v_add_f32_e32 v2, v2, v7
	v_cvt_f32_i32_dpp v8, v8 row_shr:1 row_mask:0xf bank_mask:0xf bound_ctrl:1
	v_add_f32_e32 v5, v5, v10
	v_cvt_f32_i32_dpp v11, v11 row_shr:4 row_mask:0xf bank_mask:0xf bound_ctrl:1
	ds_bpermute_b32 v20, v76, v19
	v_cvt_i32_f32_e32 v7, v2
	v_add_f32_e32 v21, v3, v8
	v_cvt_i32_f32_e32 v3, v82
	v_add_f32_e32 v6, v6, v11
	v_cvt_i32_f32_e32 v10, v5
	v_cvt_f32_i32_dpp v7, v7 row_shr:2 row_mask:0xf bank_mask:0xf bound_ctrl:1
	ds_bpermute_b32 v22, v76, v21
	v_cvt_f32_i32_dpp v3, v3 row_shr:8 row_mask:0xf bank_mask:0xf bound_ctrl:1
	v_add_f32_e32 v4, v85, v4
	v_cvt_f32_i32_dpp v10, v10 row_shr:2 row_mask:0xf bank_mask:0xf bound_ctrl:1
	v_cvt_i32_f32_e32 v11, v6
	s_delay_alu instid0(VALU_DEP_4) | instskip(NEXT) | instid1(VALU_DEP_4)
	v_add_f32_e32 v3, v82, v3
	v_cvt_i32_f32_e32 v9, v4
	s_delay_alu instid0(VALU_DEP_4) | instskip(NEXT) | instid1(VALU_DEP_4)
	v_add_f32_e32 v5, v5, v10
	v_cvt_f32_i32_dpp v11, v11 row_shr:2 row_mask:0xf bank_mask:0xf bound_ctrl:1
	s_delay_alu instid0(VALU_DEP_3) | instskip(NEXT) | instid1(VALU_DEP_3)
	v_cvt_f32_i32_dpp v9, v9 row_shr:4 row_mask:0xf bank_mask:0xf bound_ctrl:1
	v_cvt_i32_f32_e32 v10, v5
	s_delay_alu instid0(VALU_DEP_2) | instskip(NEXT) | instid1(VALU_DEP_2)
	v_add_f32_e32 v4, v4, v9
	v_cvt_f32_i32_dpp v10, v10 row_shr:1 row_mask:0xf bank_mask:0xf bound_ctrl:1
	s_delay_alu instid0(VALU_DEP_2) | instskip(NEXT) | instid1(VALU_DEP_2)
	v_cvt_i32_f32_e32 v9, v4
	v_add_f32_e32 v12, v5, v10
	v_cvt_i32_f32_e32 v5, v80
	v_cvt_i32_f32_e32 v10, v3
	s_delay_alu instid0(VALU_DEP_4) | instskip(NEXT) | instid1(VALU_DEP_3)
	v_cvt_f32_i32_dpp v9, v9 row_shr:2 row_mask:0xf bank_mask:0xf bound_ctrl:1
	v_cvt_f32_i32_dpp v5, v5 row_shr:8 row_mask:0xf bank_mask:0xf bound_ctrl:1
	v_add_f32_e32 v2, v2, v7
	s_delay_alu instid0(VALU_DEP_4) | instskip(NEXT) | instid1(VALU_DEP_4)
	v_cvt_f32_i32_dpp v10, v10 row_shr:4 row_mask:0xf bank_mask:0xf bound_ctrl:1
	v_add_f32_e32 v4, v4, v9
	s_delay_alu instid0(VALU_DEP_4) | instskip(NEXT) | instid1(VALU_DEP_4)
	v_add_f32_e32 v5, v80, v5
	v_cvt_i32_f32_e32 v7, v2
	s_delay_alu instid0(VALU_DEP_4) | instskip(NEXT) | instid1(VALU_DEP_4)
	v_add_f32_e32 v3, v3, v10
	v_cvt_i32_f32_e32 v9, v4
	s_delay_alu instid0(VALU_DEP_4) | instskip(NEXT) | instid1(VALU_DEP_4)
	v_cvt_i32_f32_e32 v14, v5
	v_cvt_f32_i32_dpp v7, v7 row_shr:1 row_mask:0xf bank_mask:0xf bound_ctrl:1
	s_delay_alu instid0(VALU_DEP_4) | instskip(NEXT) | instid1(VALU_DEP_4)
	v_cvt_i32_f32_e32 v10, v3
	v_cvt_f32_i32_dpp v9, v9 row_shr:1 row_mask:0xf bank_mask:0xf bound_ctrl:1
	s_delay_alu instid0(VALU_DEP_4) | instskip(SKIP_1) | instid1(VALU_DEP_4)
	v_cvt_f32_i32_dpp v14, v14 row_shr:4 row_mask:0xf bank_mask:0xf bound_ctrl:1
	v_add_f32_e32 v6, v6, v11
	v_cvt_f32_i32_dpp v10, v10 row_shr:2 row_mask:0xf bank_mask:0xf bound_ctrl:1
	v_add_f32_e32 v26, v2, v7
	v_cvt_i32_f32_e32 v2, v83
	v_add_f32_e32 v5, v5, v14
	v_cvt_i32_f32_e32 v11, v6
	v_add_f32_e32 v3, v3, v10
	ds_bpermute_b32 v27, v76, v26
	v_cvt_f32_i32_dpp v2, v2 row_shr:8 row_mask:0xf bank_mask:0xf bound_ctrl:1
	v_cvt_i32_f32_e32 v14, v5
	v_cvt_f32_i32_dpp v11, v11 row_shr:1 row_mask:0xf bank_mask:0xf bound_ctrl:1
	v_cvt_i32_f32_e32 v10, v3
	s_delay_alu instid0(VALU_DEP_4) | instskip(NEXT) | instid1(VALU_DEP_4)
	v_add_f32_e32 v2, v83, v2
	v_cvt_f32_i32_dpp v14, v14 row_shr:2 row_mask:0xf bank_mask:0xf bound_ctrl:1
	v_add_f32_e32 v16, v4, v9
	v_add_f32_e32 v8, v6, v11
	v_cvt_i32_f32_e32 v4, v81
	v_cvt_i32_f32_e32 v6, v79
	v_add_f32_e32 v5, v5, v14
	v_cvt_i32_f32_e32 v7, v2
	v_cvt_f32_i32_dpp v10, v10 row_shr:1 row_mask:0xf bank_mask:0xf bound_ctrl:1
	v_cvt_f32_i32_dpp v4, v4 row_shr:8 row_mask:0xf bank_mask:0xf bound_ctrl:1
	;; [unrolled: 1-line block ×3, first 2 shown]
	ds_bpermute_b32 v17, v76, v16
	v_cvt_f32_i32_dpp v7, v7 row_shr:4 row_mask:0xf bank_mask:0xf bound_ctrl:1
	v_add_f32_e32 v10, v3, v10
	v_add_f32_e32 v4, v81, v4
	;; [unrolled: 1-line block ×3, first 2 shown]
	v_cvt_i32_f32_e32 v14, v5
	v_add_f32_e32 v2, v2, v7
	ds_bpermute_b32 v9, v76, v8
	v_cvt_i32_f32_e32 v11, v4
	v_cvt_i32_f32_e32 v15, v6
	v_cvt_f32_i32_dpp v18, v14 row_shr:1 row_mask:0xf bank_mask:0xf bound_ctrl:1
	v_cvt_i32_f32_e32 v7, v2
	s_delay_alu instid0(VALU_DEP_4) | instskip(NEXT) | instid1(VALU_DEP_4)
	v_cvt_f32_i32_dpp v11, v11 row_shr:4 row_mask:0xf bank_mask:0xf bound_ctrl:1
	v_cvt_f32_i32_dpp v15, v15 row_shr:4 row_mask:0xf bank_mask:0xf bound_ctrl:1
	s_delay_alu instid0(VALU_DEP_3) | instskip(NEXT) | instid1(VALU_DEP_3)
	v_cvt_f32_i32_dpp v7, v7 row_shr:2 row_mask:0xf bank_mask:0xf bound_ctrl:1
	v_add_f32_e32 v4, v4, v11
	s_delay_alu instid0(VALU_DEP_3) | instskip(NEXT) | instid1(VALU_DEP_3)
	v_add_f32_e32 v6, v6, v15
	v_add_f32_e32 v2, v2, v7
	s_delay_alu instid0(VALU_DEP_3) | instskip(NEXT) | instid1(VALU_DEP_3)
	v_cvt_i32_f32_e32 v11, v4
	v_cvt_i32_f32_e32 v15, v6
	s_delay_alu instid0(VALU_DEP_2) | instskip(NEXT) | instid1(VALU_DEP_2)
	v_cvt_f32_i32_dpp v11, v11 row_shr:2 row_mask:0xf bank_mask:0xf bound_ctrl:1
	v_cvt_f32_i32_dpp v15, v15 row_shr:2 row_mask:0xf bank_mask:0xf bound_ctrl:1
	s_delay_alu instid0(VALU_DEP_2) | instskip(NEXT) | instid1(VALU_DEP_2)
	v_add_f32_e32 v4, v4, v11
	v_add_f32_e32 v7, v6, v15
	v_cvt_i32_f32_e32 v6, v2
	ds_bpermute_b32 v13, v76, v12
	v_cvt_i32_f32_e32 v11, v4
	v_cvt_i32_f32_e32 v15, v7
	v_cvt_f32_i32_dpp v6, v6 row_shr:1 row_mask:0xf bank_mask:0xf bound_ctrl:1
	s_delay_alu instid0(VALU_DEP_3) | instskip(NEXT) | instid1(VALU_DEP_3)
	v_cvt_f32_i32_dpp v11, v11 row_shr:1 row_mask:0xf bank_mask:0xf bound_ctrl:1
	v_cvt_f32_i32_dpp v15, v15 row_shr:1 row_mask:0xf bank_mask:0xf bound_ctrl:1
	s_delay_alu instid0(VALU_DEP_3) | instskip(NEXT) | instid1(VALU_DEP_3)
	v_add_f32_e32 v14, v2, v6
	v_add_f32_e32 v6, v4, v11
	v_add_f32_e32 v4, v5, v18
	s_delay_alu instid0(VALU_DEP_4)
	v_add_f32_e32 v2, v7, v15
	ds_bpermute_b32 v15, v76, v14
	ds_bpermute_b32 v11, v76, v10
	ds_bpermute_b32 v7, v76, v6
	ds_bpermute_b32 v5, v76, v4
	ds_bpermute_b32 v3, v76, v2
	s_and_saveexec_b32 s25, s0
	s_cbranch_execz .LBB284_13
; %bb.22:                               ;   in Loop: Header=BB284_14 Depth=1
	v_dual_mov_b32 v44, 0 :: v_dual_mov_b32 v43, 0
	v_dual_mov_b32 v42, 0 :: v_dual_mov_b32 v41, 0
	;; [unrolled: 1-line block ×7, first 2 shown]
	v_mov_b32_e32 v18, 0
	s_and_not1_b32 vcc_lo, exec_lo, s18
	s_cbranch_vccnz .LBB284_24
; %bb.23:                               ;   in Loop: Header=BB284_14 Depth=1
	v_mul_hi_u32 v23, v56, v77
	v_mul_hi_u32 v28, v59, v77
	v_mov_b32_e32 v39, v58
	v_mov_b32_e32 v53, v58
	;; [unrolled: 1-line block ×4, first 2 shown]
	v_mul_lo_u32 v23, v23, s2
	v_mul_lo_u32 v28, v28, s2
	s_delay_alu instid0(VALU_DEP_2) | instskip(NEXT) | instid1(VALU_DEP_2)
	v_sub_nc_u32_e32 v23, v56, v23
	v_sub_nc_u32_e32 v28, v59, v28
	s_delay_alu instid0(VALU_DEP_2) | instskip(SKIP_1) | instid1(VALU_DEP_3)
	v_cmp_le_u32_e32 vcc_lo, s2, v23
	v_add_nc_u32_e32 v18, 1, v56
	v_subrev_nc_u32_e32 v35, s2, v28
	s_delay_alu instid0(VALU_DEP_2) | instskip(NEXT) | instid1(VALU_DEP_1)
	v_mul_hi_u32 v31, v18, v77
	v_mul_lo_u32 v31, v31, s2
	s_delay_alu instid0(VALU_DEP_1) | instskip(SKIP_1) | instid1(VALU_DEP_2)
	v_sub_nc_u32_e32 v18, v18, v31
	v_subrev_nc_u32_e32 v31, s2, v23
	v_subrev_nc_u32_e32 v37, s2, v18
	s_delay_alu instid0(VALU_DEP_2) | instskip(SKIP_1) | instid1(VALU_DEP_2)
	v_cndmask_b32_e32 v23, v23, v31, vcc_lo
	v_cmp_le_u32_e32 vcc_lo, s2, v28
	v_subrev_nc_u32_e32 v31, s2, v23
	v_cndmask_b32_e32 v28, v28, v35, vcc_lo
	v_cmp_le_u32_e32 vcc_lo, s2, v18
	s_delay_alu instid0(VALU_DEP_2) | instskip(SKIP_3) | instid1(VALU_DEP_3)
	v_subrev_nc_u32_e32 v35, s2, v28
	v_cndmask_b32_e32 v18, v18, v37, vcc_lo
	v_cmp_le_u32_e32 vcc_lo, s2, v23
	v_mov_b32_e32 v32, v58
	v_subrev_nc_u32_e32 v37, s2, v18
	v_cndmask_b32_e32 v57, v23, v31, vcc_lo
	v_cmp_le_u32_e32 vcc_lo, s2, v28
	v_mov_b32_e32 v36, v58
	v_mov_b32_e32 v38, v58
	s_delay_alu instid0(VALU_DEP_4) | instskip(SKIP_4) | instid1(VALU_DEP_4)
	v_lshlrev_b64 v[42:43], 1, v[57:58]
	v_cndmask_b32_e32 v35, v28, v35, vcc_lo
	v_cmp_le_u32_e32 vcc_lo, s2, v18
	v_dual_mov_b32 v41, v58 :: v_dual_add_nc_u32 v50, s20, v57
	v_add_nc_u32_e32 v62, s21, v57
	v_lshlrev_b64 v[44:45], 1, v[35:36]
	v_cndmask_b32_e32 v31, v18, v37, vcc_lo
	v_add_nc_u32_e32 v37, s19, v57
	v_add_co_u32 v42, vcc_lo, s8, v42
	v_add_co_ci_u32_e32 v43, vcc_lo, s9, v43, vcc_lo
	s_delay_alu instid0(VALU_DEP_4) | instskip(NEXT) | instid1(VALU_DEP_4)
	v_lshlrev_b64 v[46:47], 1, v[31:32]
	v_lshlrev_b64 v[36:37], 1, v[37:38]
	v_add_nc_u32_e32 v38, s19, v31
	v_add_co_u32 v48, vcc_lo, s8, v44
	v_add_nc_u32_e32 v40, s19, v35
	v_add_co_ci_u32_e32 v49, vcc_lo, s9, v45, vcc_lo
	s_delay_alu instid0(VALU_DEP_4)
	v_lshlrev_b64 v[38:39], 1, v[38:39]
	v_add_co_u32 v45, vcc_lo, s8, v46
	v_add_co_ci_u32_e32 v46, vcc_lo, s9, v47, vcc_lo
	v_add_co_u32 v36, vcc_lo, s8, v36
	v_lshlrev_b64 v[40:41], 1, v[40:41]
	v_add_co_ci_u32_e32 v37, vcc_lo, s9, v37, vcc_lo
	v_add_co_u32 v38, vcc_lo, s8, v38
	v_add_nc_u32_e32 v52, s20, v31
	v_add_co_ci_u32_e32 v39, vcc_lo, s9, v39, vcc_lo
	v_lshlrev_b64 v[50:51], 1, v[50:51]
	v_add_co_u32 v54, vcc_lo, s8, v40
	v_add_co_ci_u32_e32 v55, vcc_lo, s9, v41, vcc_lo
	v_lshlrev_b64 v[40:41], 1, v[52:53]
	v_add_nc_u32_e32 v52, s20, v35
	v_add_co_u32 v50, vcc_lo, s8, v50
	v_add_co_ci_u32_e32 v51, vcc_lo, s9, v51, vcc_lo
	s_delay_alu instid0(VALU_DEP_3)
	v_lshlrev_b64 v[52:53], 1, v[52:53]
	v_add_co_u32 v60, vcc_lo, s8, v40
	v_add_co_ci_u32_e32 v61, vcc_lo, s9, v41, vcc_lo
	s_clause 0x7
	global_load_u16 v44, v[42:43], off
	global_load_u16 v43, v[45:46], off
	;; [unrolled: 1-line block ×8, first 2 shown]
	v_dual_mov_b32 v48, v58 :: v_dual_add_nc_u32 v47, s21, v31
	v_add_nc_u32_e32 v51, s21, v35
	v_lshlrev_b64 v[45:46], 1, v[62:63]
	v_add_co_u32 v49, vcc_lo, s8, v52
	v_dual_mov_b32 v52, v58 :: v_dual_add_nc_u32 v57, s24, v57
	v_lshlrev_b64 v[47:48], 1, v[47:48]
	v_add_co_ci_u32_e32 v50, vcc_lo, s9, v53, vcc_lo
	v_add_co_u32 v45, vcc_lo, s8, v45
	s_delay_alu instid0(VALU_DEP_4) | instskip(SKIP_4) | instid1(VALU_DEP_4)
	v_lshlrev_b64 v[53:54], 1, v[57:58]
	v_add_nc_u32_e32 v57, s24, v31
	v_lshlrev_b64 v[51:52], 1, v[51:52]
	v_add_co_ci_u32_e32 v46, vcc_lo, s9, v46, vcc_lo
	v_add_co_u32 v47, vcc_lo, s8, v47
	v_lshlrev_b64 v[31:32], 1, v[57:58]
	v_add_nc_u32_e32 v57, s24, v35
	v_add_co_ci_u32_e32 v48, vcc_lo, s9, v48, vcc_lo
	v_add_co_u32 v51, vcc_lo, s8, v51
	v_add_co_ci_u32_e32 v52, vcc_lo, s9, v52, vcc_lo
	v_add_co_u32 v53, vcc_lo, s8, v53
	v_lshlrev_b64 v[60:61], 1, v[57:58]
	v_add_co_ci_u32_e32 v54, vcc_lo, s9, v54, vcc_lo
	v_add_co_u32 v62, vcc_lo, s8, v31
	v_add_co_ci_u32_e32 v63, vcc_lo, s9, v32, vcc_lo
	s_delay_alu instid0(VALU_DEP_4)
	v_add_co_u32 v60, vcc_lo, s8, v60
	v_add_co_ci_u32_e32 v61, vcc_lo, s9, v61, vcc_lo
	s_clause 0x6
	global_load_u16 v37, v[49:50], off
	global_load_u16 v35, v[45:46], off
	;; [unrolled: 1-line block ×7, first 2 shown]
.LBB284_24:                             ;   in Loop: Header=BB284_14 Depth=1
	s_waitcnt vmcnt(14) lgkmcnt(12)
	v_dual_add_f32 v33, v33, v34 :: v_dual_lshlrev_b32 v34, 16, v44
	s_delay_alu instid0(VALU_DEP_1) | instskip(NEXT) | instid1(VALU_DEP_1)
	v_add_f32_e32 v34, v33, v34
	v_and_b32_e32 v33, 0x7f800000, v34
	s_delay_alu instid0(VALU_DEP_1) | instskip(SKIP_1) | instid1(SALU_CYCLE_1)
	v_cmp_ne_u32_e32 vcc_lo, 0x7f800000, v33
                                        ; implicit-def: $vgpr33
	s_and_saveexec_b32 s26, vcc_lo
	s_xor_b32 s26, exec_lo, s26
; %bb.25:                               ;   in Loop: Header=BB284_14 Depth=1
	v_bfe_u32 v33, v34, 16, 1
	s_delay_alu instid0(VALU_DEP_1)
	v_add3_u32 v33, v34, v33, 0x7fff
                                        ; implicit-def: $vgpr34
; %bb.26:                               ;   in Loop: Header=BB284_14 Depth=1
	s_and_not1_saveexec_b32 s26, s26
; %bb.27:                               ;   in Loop: Header=BB284_14 Depth=1
	v_and_b32_e32 v33, 0xffff, v34
	v_or_b32_e32 v44, 0x10000, v34
	s_delay_alu instid0(VALU_DEP_2) | instskip(NEXT) | instid1(VALU_DEP_2)
	v_cmp_eq_u32_e32 vcc_lo, 0, v33
	v_cndmask_b32_e32 v33, v44, v34, vcc_lo
; %bb.28:                               ;   in Loop: Header=BB284_14 Depth=1
	s_or_b32 exec_lo, exec_lo, s26
	s_waitcnt vmcnt(13) lgkmcnt(11)
	v_dual_add_f32 v0, v0, v1 :: v_dual_lshlrev_b32 v1, 16, v43
	v_mov_b32_e32 v57, v58
	s_mov_b32 s26, exec_lo
	s_delay_alu instid0(VALU_DEP_2) | instskip(NEXT) | instid1(VALU_DEP_2)
	v_add_f32_e32 v34, v0, v1
	v_lshlrev_b64 v[0:1], 1, v[56:57]
	s_delay_alu instid0(VALU_DEP_2) | instskip(NEXT) | instid1(VALU_DEP_2)
	v_and_b32_e32 v43, 0x7f800000, v34
	v_add_co_u32 v0, vcc_lo, s10, v0
	s_delay_alu instid0(VALU_DEP_3)
	v_add_co_ci_u32_e32 v1, vcc_lo, s11, v1, vcc_lo
	global_store_d16_hi_b16 v[0:1], v33, off
                                        ; implicit-def: $vgpr33
	v_cmpx_ne_u32_e32 0x7f800000, v43
	s_xor_b32 s26, exec_lo, s26
; %bb.29:                               ;   in Loop: Header=BB284_14 Depth=1
	v_bfe_u32 v33, v34, 16, 1
	s_delay_alu instid0(VALU_DEP_1)
	v_add3_u32 v33, v34, v33, 0x7fff
                                        ; implicit-def: $vgpr34
; %bb.30:                               ;   in Loop: Header=BB284_14 Depth=1
	s_and_not1_saveexec_b32 s26, s26
; %bb.31:                               ;   in Loop: Header=BB284_14 Depth=1
	v_and_b32_e32 v33, 0xffff, v34
	v_or_b32_e32 v43, 0x10000, v34
	s_delay_alu instid0(VALU_DEP_2) | instskip(NEXT) | instid1(VALU_DEP_2)
	v_cmp_eq_u32_e32 vcc_lo, 0, v33
	v_cndmask_b32_e32 v33, v43, v34, vcc_lo
; %bb.32:                               ;   in Loop: Header=BB284_14 Depth=1
	s_or_b32 exec_lo, exec_lo, s26
	v_add_f32_e32 v29, v29, v30
	s_waitcnt vmcnt(12)
	v_lshlrev_b32_e32 v30, 16, v42
	s_mov_b32 s26, exec_lo
	global_store_d16_hi_b16 v[0:1], v33, off offset:2
                                        ; implicit-def: $vgpr0
	v_add_f32_e32 v29, v29, v30
	s_delay_alu instid0(VALU_DEP_1) | instskip(NEXT) | instid1(VALU_DEP_1)
	v_and_b32_e32 v30, 0x7f800000, v29
	v_cmpx_ne_u32_e32 0x7f800000, v30
	s_xor_b32 s26, exec_lo, s26
; %bb.33:                               ;   in Loop: Header=BB284_14 Depth=1
	v_bfe_u32 v0, v29, 16, 1
	s_delay_alu instid0(VALU_DEP_1)
	v_add3_u32 v0, v29, v0, 0x7fff
                                        ; implicit-def: $vgpr29
; %bb.34:                               ;   in Loop: Header=BB284_14 Depth=1
	s_and_not1_saveexec_b32 s26, s26
; %bb.35:                               ;   in Loop: Header=BB284_14 Depth=1
	v_and_b32_e32 v0, 0xffff, v29
	v_or_b32_e32 v1, 0x10000, v29
	s_delay_alu instid0(VALU_DEP_2) | instskip(NEXT) | instid1(VALU_DEP_2)
	v_cmp_eq_u32_e32 vcc_lo, 0, v0
	v_cndmask_b32_e32 v0, v1, v29, vcc_lo
; %bb.36:                               ;   in Loop: Header=BB284_14 Depth=1
	s_or_b32 exec_lo, exec_lo, s26
	v_dual_add_f32 v1, v24, v25 :: v_dual_mov_b32 v60, v58
	s_waitcnt vmcnt(11)
	v_lshlrev_b32_e32 v24, 16, v41
	s_mov_b32 s26, exec_lo
	s_delay_alu instid0(VALU_DEP_1) | instskip(SKIP_1) | instid1(VALU_DEP_2)
	v_add_f32_e32 v1, v1, v24
	v_lshlrev_b64 v[24:25], 1, v[59:60]
	v_and_b32_e32 v29, 0x7f800000, v1
	s_delay_alu instid0(VALU_DEP_2) | instskip(NEXT) | instid1(VALU_DEP_3)
	v_add_co_u32 v24, vcc_lo, s10, v24
	v_add_co_ci_u32_e32 v25, vcc_lo, s11, v25, vcc_lo
	global_store_d16_hi_b16 v[24:25], v0, off
                                        ; implicit-def: $vgpr0
	v_cmpx_ne_u32_e32 0x7f800000, v29
	s_xor_b32 s26, exec_lo, s26
; %bb.37:                               ;   in Loop: Header=BB284_14 Depth=1
	v_bfe_u32 v0, v1, 16, 1
	s_delay_alu instid0(VALU_DEP_1)
	v_add3_u32 v0, v1, v0, 0x7fff
                                        ; implicit-def: $vgpr1
; %bb.38:                               ;   in Loop: Header=BB284_14 Depth=1
	s_and_not1_saveexec_b32 s26, s26
; %bb.39:                               ;   in Loop: Header=BB284_14 Depth=1
	v_and_b32_e32 v0, 0xffff, v1
	v_or_b32_e32 v24, 0x10000, v1
	s_delay_alu instid0(VALU_DEP_2) | instskip(NEXT) | instid1(VALU_DEP_2)
	v_cmp_eq_u32_e32 vcc_lo, 0, v0
	v_cndmask_b32_e32 v0, v24, v1, vcc_lo
; %bb.40:                               ;   in Loop: Header=BB284_14 Depth=1
	s_or_b32 exec_lo, exec_lo, s26
	s_waitcnt lgkmcnt(10)
	v_add_f32_e32 v1, v19, v20
	s_waitcnt vmcnt(10)
	v_lshlrev_b32_e32 v19, 16, v40
	v_add_nc_u32_e32 v57, s7, v56
	s_mov_b32 s26, exec_lo
	s_delay_alu instid0(VALU_DEP_2) | instskip(NEXT) | instid1(VALU_DEP_2)
	v_add_f32_e32 v1, v1, v19
	v_lshlrev_b64 v[19:20], 1, v[57:58]
	s_delay_alu instid0(VALU_DEP_2) | instskip(NEXT) | instid1(VALU_DEP_2)
	v_and_b32_e32 v24, 0x7f800000, v1
	v_add_co_u32 v19, vcc_lo, s10, v19
	s_delay_alu instid0(VALU_DEP_3)
	v_add_co_ci_u32_e32 v20, vcc_lo, s11, v20, vcc_lo
	global_store_d16_hi_b16 v[19:20], v0, off
                                        ; implicit-def: $vgpr0
	v_cmpx_ne_u32_e32 0x7f800000, v24
	s_xor_b32 s26, exec_lo, s26
; %bb.41:                               ;   in Loop: Header=BB284_14 Depth=1
	v_bfe_u32 v0, v1, 16, 1
	s_delay_alu instid0(VALU_DEP_1)
	v_add3_u32 v0, v1, v0, 0x7fff
                                        ; implicit-def: $vgpr1
; %bb.42:                               ;   in Loop: Header=BB284_14 Depth=1
	s_and_not1_saveexec_b32 s26, s26
; %bb.43:                               ;   in Loop: Header=BB284_14 Depth=1
	v_and_b32_e32 v0, 0xffff, v1
	v_or_b32_e32 v19, 0x10000, v1
	s_delay_alu instid0(VALU_DEP_2) | instskip(NEXT) | instid1(VALU_DEP_2)
	v_cmp_eq_u32_e32 vcc_lo, 0, v0
	v_cndmask_b32_e32 v0, v19, v1, vcc_lo
; %bb.44:                               ;   in Loop: Header=BB284_14 Depth=1
	s_or_b32 exec_lo, exec_lo, s26
	v_dual_mov_b32 v20, v58 :: v_dual_add_nc_u32 v19, 1, v57
	s_waitcnt lgkmcnt(8)
	v_add_f32_e32 v1, v26, v27
	s_waitcnt vmcnt(9)
	v_lshlrev_b32_e32 v24, 16, v39
	s_mov_b32 s26, exec_lo
	v_lshlrev_b64 v[19:20], 1, v[19:20]
	s_delay_alu instid0(VALU_DEP_2) | instskip(NEXT) | instid1(VALU_DEP_2)
	v_add_f32_e32 v1, v1, v24
	v_add_co_u32 v19, vcc_lo, s10, v19
	s_delay_alu instid0(VALU_DEP_2) | instskip(NEXT) | instid1(VALU_DEP_4)
	v_and_b32_e32 v24, 0x7f800000, v1
	v_add_co_ci_u32_e32 v20, vcc_lo, s11, v20, vcc_lo
	global_store_d16_hi_b16 v[19:20], v0, off
                                        ; implicit-def: $vgpr0
	v_cmpx_ne_u32_e32 0x7f800000, v24
	s_xor_b32 s26, exec_lo, s26
; %bb.45:                               ;   in Loop: Header=BB284_14 Depth=1
	v_bfe_u32 v0, v1, 16, 1
	s_delay_alu instid0(VALU_DEP_1)
	v_add3_u32 v0, v1, v0, 0x7fff
                                        ; implicit-def: $vgpr1
; %bb.46:                               ;   in Loop: Header=BB284_14 Depth=1
	s_and_not1_saveexec_b32 s26, s26
; %bb.47:                               ;   in Loop: Header=BB284_14 Depth=1
	v_and_b32_e32 v0, 0xffff, v1
	v_or_b32_e32 v19, 0x10000, v1
	s_delay_alu instid0(VALU_DEP_2) | instskip(NEXT) | instid1(VALU_DEP_2)
	v_cmp_eq_u32_e32 vcc_lo, 0, v0
	v_cndmask_b32_e32 v0, v19, v1, vcc_lo
; %bb.48:                               ;   in Loop: Header=BB284_14 Depth=1
	s_or_b32 exec_lo, exec_lo, s26
	v_dual_add_f32 v1, v21, v22 :: v_dual_mov_b32 v20, v58
	v_add_nc_u32_e32 v19, 2, v57
	s_waitcnt vmcnt(8)
	v_lshlrev_b32_e32 v21, 16, v38
	s_mov_b32 s26, exec_lo
	s_delay_alu instid0(VALU_DEP_2) | instskip(NEXT) | instid1(VALU_DEP_2)
	v_lshlrev_b64 v[19:20], 1, v[19:20]
	v_add_f32_e32 v1, v1, v21
	s_delay_alu instid0(VALU_DEP_1) | instskip(NEXT) | instid1(VALU_DEP_3)
	v_and_b32_e32 v21, 0x7f800000, v1
	v_add_co_u32 v19, vcc_lo, s10, v19
	s_delay_alu instid0(VALU_DEP_4)
	v_add_co_ci_u32_e32 v20, vcc_lo, s11, v20, vcc_lo
	global_store_d16_hi_b16 v[19:20], v0, off
                                        ; implicit-def: $vgpr0
	v_cmpx_ne_u32_e32 0x7f800000, v21
	s_xor_b32 s26, exec_lo, s26
; %bb.49:                               ;   in Loop: Header=BB284_14 Depth=1
	v_bfe_u32 v0, v1, 16, 1
	s_delay_alu instid0(VALU_DEP_1)
	v_add3_u32 v0, v1, v0, 0x7fff
                                        ; implicit-def: $vgpr1
; %bb.50:                               ;   in Loop: Header=BB284_14 Depth=1
	s_and_not1_saveexec_b32 s26, s26
; %bb.51:                               ;   in Loop: Header=BB284_14 Depth=1
	v_and_b32_e32 v0, 0xffff, v1
	v_or_b32_e32 v19, 0x10000, v1
	s_delay_alu instid0(VALU_DEP_2) | instskip(NEXT) | instid1(VALU_DEP_2)
	v_cmp_eq_u32_e32 vcc_lo, 0, v0
	v_cndmask_b32_e32 v0, v19, v1, vcc_lo
; %bb.52:                               ;   in Loop: Header=BB284_14 Depth=1
	s_or_b32 exec_lo, exec_lo, s26
	s_waitcnt vmcnt(7) lgkmcnt(7)
	v_dual_add_f32 v1, v16, v17 :: v_dual_lshlrev_b32 v16, 16, v36
	v_add_nc_u32_e32 v57, s7, v57
	s_mov_b32 s26, exec_lo
	s_delay_alu instid0(VALU_DEP_2) | instskip(NEXT) | instid1(VALU_DEP_2)
	v_add_f32_e32 v1, v1, v16
	v_lshlrev_b64 v[16:17], 1, v[57:58]
	s_delay_alu instid0(VALU_DEP_2) | instskip(NEXT) | instid1(VALU_DEP_2)
	v_and_b32_e32 v19, 0x7f800000, v1
	v_add_co_u32 v16, vcc_lo, s10, v16
	s_delay_alu instid0(VALU_DEP_3)
	v_add_co_ci_u32_e32 v17, vcc_lo, s11, v17, vcc_lo
	global_store_d16_hi_b16 v[16:17], v0, off
                                        ; implicit-def: $vgpr0
	v_cmpx_ne_u32_e32 0x7f800000, v19
	s_xor_b32 s26, exec_lo, s26
; %bb.53:                               ;   in Loop: Header=BB284_14 Depth=1
	v_bfe_u32 v0, v1, 16, 1
	s_delay_alu instid0(VALU_DEP_1)
	v_add3_u32 v0, v1, v0, 0x7fff
                                        ; implicit-def: $vgpr1
; %bb.54:                               ;   in Loop: Header=BB284_14 Depth=1
	s_and_not1_saveexec_b32 s26, s26
; %bb.55:                               ;   in Loop: Header=BB284_14 Depth=1
	v_and_b32_e32 v0, 0xffff, v1
	v_or_b32_e32 v16, 0x10000, v1
	s_delay_alu instid0(VALU_DEP_2) | instskip(NEXT) | instid1(VALU_DEP_2)
	v_cmp_eq_u32_e32 vcc_lo, 0, v0
	v_cndmask_b32_e32 v0, v16, v1, vcc_lo
; %bb.56:                               ;   in Loop: Header=BB284_14 Depth=1
	s_or_b32 exec_lo, exec_lo, s26
	s_waitcnt lgkmcnt(5)
	v_add_f32_e32 v1, v12, v13
	v_dual_mov_b32 v13, v58 :: v_dual_add_nc_u32 v12, 1, v57
	s_waitcnt vmcnt(6)
	v_lshlrev_b32_e32 v16, 16, v37
	s_mov_b32 s26, exec_lo
	s_delay_alu instid0(VALU_DEP_2) | instskip(NEXT) | instid1(VALU_DEP_2)
	v_lshlrev_b64 v[12:13], 1, v[12:13]
	v_add_f32_e32 v1, v1, v16
	s_delay_alu instid0(VALU_DEP_1) | instskip(NEXT) | instid1(VALU_DEP_3)
	v_and_b32_e32 v16, 0x7f800000, v1
	v_add_co_u32 v12, vcc_lo, s10, v12
	s_delay_alu instid0(VALU_DEP_4)
	v_add_co_ci_u32_e32 v13, vcc_lo, s11, v13, vcc_lo
	global_store_d16_hi_b16 v[12:13], v0, off
                                        ; implicit-def: $vgpr0
	v_cmpx_ne_u32_e32 0x7f800000, v16
	s_xor_b32 s26, exec_lo, s26
; %bb.57:                               ;   in Loop: Header=BB284_14 Depth=1
	v_bfe_u32 v0, v1, 16, 1
	s_delay_alu instid0(VALU_DEP_1)
	v_add3_u32 v0, v1, v0, 0x7fff
                                        ; implicit-def: $vgpr1
; %bb.58:                               ;   in Loop: Header=BB284_14 Depth=1
	s_and_not1_saveexec_b32 s26, s26
; %bb.59:                               ;   in Loop: Header=BB284_14 Depth=1
	v_and_b32_e32 v0, 0xffff, v1
	v_or_b32_e32 v12, 0x10000, v1
	s_delay_alu instid0(VALU_DEP_2) | instskip(NEXT) | instid1(VALU_DEP_2)
	v_cmp_eq_u32_e32 vcc_lo, 0, v0
	v_cndmask_b32_e32 v0, v12, v1, vcc_lo
; %bb.60:                               ;   in Loop: Header=BB284_14 Depth=1
	s_or_b32 exec_lo, exec_lo, s26
	s_waitcnt vmcnt(5)
	v_dual_add_f32 v1, v8, v9 :: v_dual_lshlrev_b32 v12, 16, v35
	v_dual_mov_b32 v9, v58 :: v_dual_add_nc_u32 v8, 2, v57
	s_mov_b32 s26, exec_lo
	s_delay_alu instid0(VALU_DEP_2) | instskip(NEXT) | instid1(VALU_DEP_2)
	v_add_f32_e32 v1, v1, v12
	v_lshlrev_b64 v[8:9], 1, v[8:9]
	s_delay_alu instid0(VALU_DEP_2) | instskip(NEXT) | instid1(VALU_DEP_2)
	v_and_b32_e32 v12, 0x7f800000, v1
	v_add_co_u32 v8, vcc_lo, s10, v8
	s_delay_alu instid0(VALU_DEP_3)
	v_add_co_ci_u32_e32 v9, vcc_lo, s11, v9, vcc_lo
	global_store_d16_hi_b16 v[8:9], v0, off
                                        ; implicit-def: $vgpr0
	v_cmpx_ne_u32_e32 0x7f800000, v12
	s_xor_b32 s26, exec_lo, s26
; %bb.61:                               ;   in Loop: Header=BB284_14 Depth=1
	v_bfe_u32 v0, v1, 16, 1
	s_delay_alu instid0(VALU_DEP_1)
	v_add3_u32 v0, v1, v0, 0x7fff
                                        ; implicit-def: $vgpr1
; %bb.62:                               ;   in Loop: Header=BB284_14 Depth=1
	s_and_not1_saveexec_b32 s26, s26
; %bb.63:                               ;   in Loop: Header=BB284_14 Depth=1
	v_and_b32_e32 v0, 0xffff, v1
	v_or_b32_e32 v8, 0x10000, v1
	s_delay_alu instid0(VALU_DEP_2) | instskip(NEXT) | instid1(VALU_DEP_2)
	v_cmp_eq_u32_e32 vcc_lo, 0, v0
	v_cndmask_b32_e32 v0, v8, v1, vcc_lo
; %bb.64:                               ;   in Loop: Header=BB284_14 Depth=1
	s_or_b32 exec_lo, exec_lo, s26
	s_waitcnt vmcnt(4) lgkmcnt(4)
	v_dual_add_f32 v1, v14, v15 :: v_dual_lshlrev_b32 v8, 16, v32
	v_add_nc_u32_e32 v57, s7, v57
	s_mov_b32 s26, exec_lo
	s_delay_alu instid0(VALU_DEP_2) | instskip(NEXT) | instid1(VALU_DEP_2)
	v_add_f32_e32 v1, v1, v8
	v_lshlrev_b64 v[8:9], 1, v[57:58]
	s_delay_alu instid0(VALU_DEP_2) | instskip(NEXT) | instid1(VALU_DEP_2)
	v_and_b32_e32 v12, 0x7f800000, v1
	v_add_co_u32 v8, vcc_lo, s10, v8
	s_delay_alu instid0(VALU_DEP_3)
	v_add_co_ci_u32_e32 v9, vcc_lo, s11, v9, vcc_lo
	global_store_d16_hi_b16 v[8:9], v0, off
                                        ; implicit-def: $vgpr0
	v_cmpx_ne_u32_e32 0x7f800000, v12
	s_xor_b32 s26, exec_lo, s26
; %bb.65:                               ;   in Loop: Header=BB284_14 Depth=1
	v_bfe_u32 v0, v1, 16, 1
	s_delay_alu instid0(VALU_DEP_1)
	v_add3_u32 v0, v1, v0, 0x7fff
                                        ; implicit-def: $vgpr1
; %bb.66:                               ;   in Loop: Header=BB284_14 Depth=1
	s_and_not1_saveexec_b32 s26, s26
; %bb.67:                               ;   in Loop: Header=BB284_14 Depth=1
	v_and_b32_e32 v0, 0xffff, v1
	v_or_b32_e32 v8, 0x10000, v1
	s_delay_alu instid0(VALU_DEP_2) | instskip(NEXT) | instid1(VALU_DEP_2)
	v_cmp_eq_u32_e32 vcc_lo, 0, v0
	v_cndmask_b32_e32 v0, v8, v1, vcc_lo
; %bb.68:                               ;   in Loop: Header=BB284_14 Depth=1
	s_or_b32 exec_lo, exec_lo, s26
	s_waitcnt lgkmcnt(3)
	v_dual_add_f32 v1, v10, v11 :: v_dual_add_nc_u32 v8, 1, v57
	s_waitcnt vmcnt(3)
	v_dual_mov_b32 v9, v58 :: v_dual_lshlrev_b32 v10, 16, v31
	s_mov_b32 s26, exec_lo
	s_delay_alu instid0(VALU_DEP_1) | instskip(NEXT) | instid1(VALU_DEP_2)
	v_add_f32_e32 v1, v1, v10
	v_lshlrev_b64 v[8:9], 1, v[8:9]
	s_delay_alu instid0(VALU_DEP_2) | instskip(NEXT) | instid1(VALU_DEP_2)
	v_and_b32_e32 v10, 0x7f800000, v1
	v_add_co_u32 v8, vcc_lo, s10, v8
	s_delay_alu instid0(VALU_DEP_3)
	v_add_co_ci_u32_e32 v9, vcc_lo, s11, v9, vcc_lo
	global_store_d16_hi_b16 v[8:9], v0, off
                                        ; implicit-def: $vgpr0
	v_cmpx_ne_u32_e32 0x7f800000, v10
	s_xor_b32 s26, exec_lo, s26
; %bb.69:                               ;   in Loop: Header=BB284_14 Depth=1
	v_bfe_u32 v0, v1, 16, 1
	s_delay_alu instid0(VALU_DEP_1)
	v_add3_u32 v0, v1, v0, 0x7fff
                                        ; implicit-def: $vgpr1
; %bb.70:                               ;   in Loop: Header=BB284_14 Depth=1
	s_and_not1_saveexec_b32 s26, s26
; %bb.71:                               ;   in Loop: Header=BB284_14 Depth=1
	v_and_b32_e32 v0, 0xffff, v1
	v_or_b32_e32 v8, 0x10000, v1
	s_delay_alu instid0(VALU_DEP_2) | instskip(NEXT) | instid1(VALU_DEP_2)
	v_cmp_eq_u32_e32 vcc_lo, 0, v0
	v_cndmask_b32_e32 v0, v8, v1, vcc_lo
; %bb.72:                               ;   in Loop: Header=BB284_14 Depth=1
	s_or_b32 exec_lo, exec_lo, s26
	s_waitcnt lgkmcnt(2)
	v_dual_add_f32 v1, v6, v7 :: v_dual_add_nc_u32 v6, 2, v57
	s_waitcnt vmcnt(2)
	v_dual_mov_b32 v7, v58 :: v_dual_lshlrev_b32 v8, 16, v28
	s_mov_b32 s26, exec_lo
	s_delay_alu instid0(VALU_DEP_1) | instskip(NEXT) | instid1(VALU_DEP_2)
	v_add_f32_e32 v1, v1, v8
	v_lshlrev_b64 v[6:7], 1, v[6:7]
	s_delay_alu instid0(VALU_DEP_2) | instskip(NEXT) | instid1(VALU_DEP_2)
	v_and_b32_e32 v8, 0x7f800000, v1
	v_add_co_u32 v6, vcc_lo, s10, v6
	s_delay_alu instid0(VALU_DEP_3)
	v_add_co_ci_u32_e32 v7, vcc_lo, s11, v7, vcc_lo
	global_store_d16_hi_b16 v[6:7], v0, off
                                        ; implicit-def: $vgpr0
	v_cmpx_ne_u32_e32 0x7f800000, v8
	s_xor_b32 s26, exec_lo, s26
; %bb.73:                               ;   in Loop: Header=BB284_14 Depth=1
	v_bfe_u32 v0, v1, 16, 1
	s_delay_alu instid0(VALU_DEP_1)
	v_add3_u32 v0, v1, v0, 0x7fff
                                        ; implicit-def: $vgpr1
; %bb.74:                               ;   in Loop: Header=BB284_14 Depth=1
	s_and_not1_saveexec_b32 s26, s26
; %bb.75:                               ;   in Loop: Header=BB284_14 Depth=1
	v_and_b32_e32 v0, 0xffff, v1
	v_or_b32_e32 v6, 0x10000, v1
	s_delay_alu instid0(VALU_DEP_2) | instskip(NEXT) | instid1(VALU_DEP_2)
	v_cmp_eq_u32_e32 vcc_lo, 0, v0
	v_cndmask_b32_e32 v0, v6, v1, vcc_lo
; %bb.76:                               ;   in Loop: Header=BB284_14 Depth=1
	s_or_b32 exec_lo, exec_lo, s26
	s_waitcnt vmcnt(1) lgkmcnt(1)
	v_dual_add_f32 v1, v4, v5 :: v_dual_lshlrev_b32 v4, 16, v23
	v_add_nc_u32_e32 v57, s7, v57
	s_mov_b32 s26, exec_lo
	s_delay_alu instid0(VALU_DEP_2) | instskip(NEXT) | instid1(VALU_DEP_2)
	v_add_f32_e32 v1, v1, v4
	v_lshlrev_b64 v[4:5], 1, v[57:58]
	s_delay_alu instid0(VALU_DEP_2) | instskip(NEXT) | instid1(VALU_DEP_2)
	v_and_b32_e32 v6, 0x7f800000, v1
	v_add_co_u32 v4, vcc_lo, s10, v4
	s_delay_alu instid0(VALU_DEP_3)
	v_add_co_ci_u32_e32 v5, vcc_lo, s11, v5, vcc_lo
	global_store_d16_hi_b16 v[4:5], v0, off
                                        ; implicit-def: $vgpr0
	v_cmpx_ne_u32_e32 0x7f800000, v6
	s_xor_b32 s26, exec_lo, s26
; %bb.77:                               ;   in Loop: Header=BB284_14 Depth=1
	v_bfe_u32 v0, v1, 16, 1
	s_delay_alu instid0(VALU_DEP_1)
	v_add3_u32 v0, v1, v0, 0x7fff
                                        ; implicit-def: $vgpr1
; %bb.78:                               ;   in Loop: Header=BB284_14 Depth=1
	s_and_not1_saveexec_b32 s26, s26
; %bb.79:                               ;   in Loop: Header=BB284_14 Depth=1
	v_and_b32_e32 v0, 0xffff, v1
	v_or_b32_e32 v4, 0x10000, v1
	s_delay_alu instid0(VALU_DEP_2) | instskip(NEXT) | instid1(VALU_DEP_2)
	v_cmp_eq_u32_e32 vcc_lo, 0, v0
	v_cndmask_b32_e32 v0, v4, v1, vcc_lo
; %bb.80:                               ;   in Loop: Header=BB284_14 Depth=1
	s_or_b32 exec_lo, exec_lo, s26
	s_waitcnt lgkmcnt(0)
	v_dual_add_f32 v1, v2, v3 :: v_dual_add_nc_u32 v2, 1, v57
	s_waitcnt vmcnt(0)
	v_dual_mov_b32 v3, v58 :: v_dual_lshlrev_b32 v4, 16, v18
	s_mov_b32 s26, exec_lo
	s_delay_alu instid0(VALU_DEP_1) | instskip(NEXT) | instid1(VALU_DEP_2)
	v_add_f32_e32 v1, v1, v4
	v_lshlrev_b64 v[2:3], 1, v[2:3]
	s_delay_alu instid0(VALU_DEP_2) | instskip(NEXT) | instid1(VALU_DEP_2)
	v_and_b32_e32 v4, 0x7f800000, v1
	v_add_co_u32 v2, vcc_lo, s10, v2
	s_delay_alu instid0(VALU_DEP_3)
	v_add_co_ci_u32_e32 v3, vcc_lo, s11, v3, vcc_lo
	global_store_d16_hi_b16 v[2:3], v0, off
                                        ; implicit-def: $vgpr0
	v_cmpx_ne_u32_e32 0x7f800000, v4
	s_xor_b32 s26, exec_lo, s26
; %bb.81:                               ;   in Loop: Header=BB284_14 Depth=1
	v_bfe_u32 v0, v1, 16, 1
	s_delay_alu instid0(VALU_DEP_1)
	v_add3_u32 v0, v1, v0, 0x7fff
                                        ; implicit-def: $vgpr1
; %bb.82:                               ;   in Loop: Header=BB284_14 Depth=1
	s_and_not1_saveexec_b32 s26, s26
	s_cbranch_execz .LBB284_12
; %bb.83:                               ;   in Loop: Header=BB284_14 Depth=1
	v_and_b32_e32 v0, 0xffff, v1
	v_or_b32_e32 v2, 0x10000, v1
	s_delay_alu instid0(VALU_DEP_2) | instskip(NEXT) | instid1(VALU_DEP_2)
	v_cmp_eq_u32_e32 vcc_lo, 0, v0
	v_cndmask_b32_e32 v0, v2, v1, vcc_lo
	s_branch .LBB284_12
.LBB284_84:
	s_nop 0
	s_sendmsg sendmsg(MSG_DEALLOC_VGPRS)
	s_endpgm
	.section	.rodata,"a",@progbits
	.p2align	6, 0x0
	.amdhsa_kernel _Z16wvSplitK_hf_sml_I14__hip_bfloat16Li32ELi3ELi16ELi8ELi2ELi5EEviiiiiiPKT_S3_S3_PS1_ii
		.amdhsa_group_segment_fixed_size 65536
		.amdhsa_private_segment_fixed_size 0
		.amdhsa_kernarg_size 64
		.amdhsa_user_sgpr_count 15
		.amdhsa_user_sgpr_dispatch_ptr 0
		.amdhsa_user_sgpr_queue_ptr 0
		.amdhsa_user_sgpr_kernarg_segment_ptr 1
		.amdhsa_user_sgpr_dispatch_id 0
		.amdhsa_user_sgpr_private_segment_size 0
		.amdhsa_wavefront_size32 1
		.amdhsa_uses_dynamic_stack 0
		.amdhsa_enable_private_segment 0
		.amdhsa_system_sgpr_workgroup_id_x 1
		.amdhsa_system_sgpr_workgroup_id_y 0
		.amdhsa_system_sgpr_workgroup_id_z 0
		.amdhsa_system_sgpr_workgroup_info 0
		.amdhsa_system_vgpr_workitem_id 1
		.amdhsa_next_free_vgpr 110
		.amdhsa_next_free_sgpr 28
		.amdhsa_reserve_vcc 1
		.amdhsa_float_round_mode_32 0
		.amdhsa_float_round_mode_16_64 0
		.amdhsa_float_denorm_mode_32 3
		.amdhsa_float_denorm_mode_16_64 3
		.amdhsa_dx10_clamp 1
		.amdhsa_ieee_mode 1
		.amdhsa_fp16_overflow 0
		.amdhsa_workgroup_processor_mode 1
		.amdhsa_memory_ordered 1
		.amdhsa_forward_progress 0
		.amdhsa_shared_vgpr_count 0
		.amdhsa_exception_fp_ieee_invalid_op 0
		.amdhsa_exception_fp_denorm_src 0
		.amdhsa_exception_fp_ieee_div_zero 0
		.amdhsa_exception_fp_ieee_overflow 0
		.amdhsa_exception_fp_ieee_underflow 0
		.amdhsa_exception_fp_ieee_inexact 0
		.amdhsa_exception_int_div_zero 0
	.end_amdhsa_kernel
	.section	.text._Z16wvSplitK_hf_sml_I14__hip_bfloat16Li32ELi3ELi16ELi8ELi2ELi5EEviiiiiiPKT_S3_S3_PS1_ii,"axG",@progbits,_Z16wvSplitK_hf_sml_I14__hip_bfloat16Li32ELi3ELi16ELi8ELi2ELi5EEviiiiiiPKT_S3_S3_PS1_ii,comdat
.Lfunc_end284:
	.size	_Z16wvSplitK_hf_sml_I14__hip_bfloat16Li32ELi3ELi16ELi8ELi2ELi5EEviiiiiiPKT_S3_S3_PS1_ii, .Lfunc_end284-_Z16wvSplitK_hf_sml_I14__hip_bfloat16Li32ELi3ELi16ELi8ELi2ELi5EEviiiiiiPKT_S3_S3_PS1_ii
                                        ; -- End function
	.section	.AMDGPU.csdata,"",@progbits
; Kernel info:
; codeLenInByte = 8788
; NumSgprs: 30
; NumVgprs: 110
; ScratchSize: 0
; MemoryBound: 0
; FloatMode: 240
; IeeeMode: 1
; LDSByteSize: 65536 bytes/workgroup (compile time only)
; SGPRBlocks: 3
; VGPRBlocks: 13
; NumSGPRsForWavesPerEU: 30
; NumVGPRsForWavesPerEU: 110
; Occupancy: 8
; WaveLimiterHint : 0
; COMPUTE_PGM_RSRC2:SCRATCH_EN: 0
; COMPUTE_PGM_RSRC2:USER_SGPR: 15
; COMPUTE_PGM_RSRC2:TRAP_HANDLER: 0
; COMPUTE_PGM_RSRC2:TGID_X_EN: 1
; COMPUTE_PGM_RSRC2:TGID_Y_EN: 0
; COMPUTE_PGM_RSRC2:TGID_Z_EN: 0
; COMPUTE_PGM_RSRC2:TIDIG_COMP_CNT: 1
	.section	.text._Z12wvSplitK_hf_I14__hip_bfloat16Li32ELi3ELi16ELi8ELi2ELi5EEviiiiiiPKT_S3_S3_PS1_ii,"axG",@progbits,_Z12wvSplitK_hf_I14__hip_bfloat16Li32ELi3ELi16ELi8ELi2ELi5EEviiiiiiPKT_S3_S3_PS1_ii,comdat
	.protected	_Z12wvSplitK_hf_I14__hip_bfloat16Li32ELi3ELi16ELi8ELi2ELi5EEviiiiiiPKT_S3_S3_PS1_ii ; -- Begin function _Z12wvSplitK_hf_I14__hip_bfloat16Li32ELi3ELi16ELi8ELi2ELi5EEviiiiiiPKT_S3_S3_PS1_ii
	.globl	_Z12wvSplitK_hf_I14__hip_bfloat16Li32ELi3ELi16ELi8ELi2ELi5EEviiiiiiPKT_S3_S3_PS1_ii
	.p2align	8
	.type	_Z12wvSplitK_hf_I14__hip_bfloat16Li32ELi3ELi16ELi8ELi2ELi5EEviiiiiiPKT_S3_S3_PS1_ii,@function
_Z12wvSplitK_hf_I14__hip_bfloat16Li32ELi3ELi16ELi8ELi2ELi5EEviiiiiiPKT_S3_S3_PS1_ii: ; @_Z12wvSplitK_hf_I14__hip_bfloat16Li32ELi3ELi16ELi8ELi2ELi5EEviiiiiiPKT_S3_S3_PS1_ii
; %bb.0:
	s_clause 0x1
	s_load_b64 s[18:19], s[0:1], 0x38
	s_load_b128 s[4:7], s[0:1], 0x0
	v_bfe_u32 v1, v0, 10, 10
	s_mov_b32 s8, 1
	s_delay_alu instid0(SALU_CYCLE_1) | instskip(SKIP_1) | instid1(SALU_CYCLE_1)
	s_mov_b32 s9, s8
	s_mov_b32 s10, s8
	v_mov_b32_e32 v66, s10
	v_dual_mov_b32 v64, s8 :: v_dual_mov_b32 v65, s9
	s_waitcnt lgkmcnt(0)
	v_mad_u64_u32 v[2:3], null, s15, s18, v[1:2]
	s_clause 0x1
	s_load_b64 s[12:13], s[0:1], 0x20
	s_load_b64 s[14:15], s[0:1], 0x10
	s_delay_alu instid0(VALU_DEP_1) | instskip(NEXT) | instid1(VALU_DEP_1)
	v_lshl_add_u32 v68, v2, 1, v2
	v_add_nc_u32_e32 v2, 3, v68
	v_cmp_gt_u32_e32 vcc_lo, s7, v68
	s_delay_alu instid0(VALU_DEP_2) | instskip(NEXT) | instid1(VALU_DEP_1)
	v_cmp_le_u32_e64 s2, s7, v2
	s_and_b32 s2, vcc_lo, s2
	s_delay_alu instid0(SALU_CYCLE_1)
	s_and_saveexec_b32 s11, s2
	s_cbranch_execz .LBB285_6
; %bb.1:
	v_dual_mov_b32 v66, s10 :: v_dual_mov_b32 v65, s9
	v_mov_b32_e32 v64, s8
	s_add_i32 s16, s7, -3
	s_mov_b32 s17, exec_lo
	v_cmpx_ne_u32_e64 s16, v68
	s_cbranch_execz .LBB285_5
; %bb.2:
	v_subrev_nc_u32_e32 v2, s16, v68
	s_mov_b32 s20, 0
	s_mov_b64 s[2:3], 0
	s_mov_b32 s9, s8
	s_mov_b32 s10, s8
	v_cmp_lt_u32_e32 vcc_lo, 1, v2
	v_cndmask_b32_e32 v2, 1, v2, vcc_lo
.LBB285_3:                              ; =>This Inner Loop Header: Depth=1
	s_cmp_lg_u32 s2, 2
	s_cselect_b32 s10, s10, 0
	s_cmp_lg_u32 s2, 1
	s_cselect_b32 s9, s9, 0
	;; [unrolled: 2-line block ×3, first 2 shown]
	s_add_u32 s2, s2, 1
	v_dual_mov_b32 v66, s10 :: v_dual_mov_b32 v65, s9
	v_cmp_eq_u32_e32 vcc_lo, s2, v2
	v_mov_b32_e32 v64, s8
	s_addc_u32 s3, s3, 0
	s_or_b32 s20, vcc_lo, s20
	s_delay_alu instid0(SALU_CYCLE_1)
	s_and_not1_b32 exec_lo, exec_lo, s20
	s_cbranch_execnz .LBB285_3
; %bb.4:
	s_or_b32 exec_lo, exec_lo, s20
	v_mov_b32_e32 v68, s16
.LBB285_5:
	s_or_b32 exec_lo, exec_lo, s17
.LBB285_6:
	s_delay_alu instid0(SALU_CYCLE_1) | instskip(SKIP_2) | instid1(SALU_CYCLE_1)
	s_or_b32 exec_lo, exec_lo, s11
	v_and_b32_e32 v0, 0x3ff, v0
	s_mul_i32 s2, s6, 5
	s_min_u32 s3, s2, 0x8000
	s_mov_b32 s2, exec_lo
	s_delay_alu instid0(VALU_DEP_1) | instskip(NEXT) | instid1(VALU_DEP_1)
	v_lshlrev_b32_e32 v67, 3, v0
	v_lshl_add_u32 v3, v1, 8, v67
	s_delay_alu instid0(VALU_DEP_1)
	v_cmpx_gt_u32_e64 s3, v3
	s_cbranch_execz .LBB285_15
; %bb.7:
	v_lshlrev_b32_e32 v2, 1, v3
	v_add_nc_u32_e32 v8, 0x1000, v3
	s_mov_b32 s8, exec_lo
	s_waitcnt lgkmcnt(0)
	global_load_b128 v[4:7], v2, s[12:13]
	s_waitcnt vmcnt(0)
	ds_store_b128 v2, v[4:7]
	v_cmpx_gt_u32_e64 s3, v8
	s_xor_b32 s8, exec_lo, s8
	s_cbranch_execz .LBB285_15
; %bb.8:
	v_add_co_u32 v4, s8, s12, v2
	s_delay_alu instid0(VALU_DEP_1) | instskip(SKIP_1) | instid1(VALU_DEP_3)
	v_add_co_ci_u32_e64 v5, null, s13, 0, s8
	v_add_nc_u32_e32 v10, 0x2000, v3
	v_add_co_u32 v6, vcc_lo, 0x2000, v4
	s_delay_alu instid0(VALU_DEP_3)
	v_add_co_ci_u32_e32 v7, vcc_lo, 0, v5, vcc_lo
	s_mov_b32 s8, exec_lo
	global_load_b128 v[6:9], v[6:7], off
	s_waitcnt vmcnt(0)
	ds_store_b128 v2, v[6:9] offset:8192
	v_cmpx_gt_u32_e64 s3, v10
	s_xor_b32 s8, exec_lo, s8
	s_cbranch_execz .LBB285_15
; %bb.9:
	v_add_co_u32 v6, vcc_lo, 0x4000, v4
	v_add_co_ci_u32_e32 v7, vcc_lo, 0, v5, vcc_lo
	v_add_nc_u32_e32 v10, 0x3000, v3
	s_mov_b32 s8, exec_lo
	global_load_b128 v[6:9], v[6:7], off
	s_waitcnt vmcnt(0)
	ds_store_b128 v2, v[6:9] offset:16384
	v_cmpx_gt_u32_e64 s3, v10
	s_xor_b32 s8, exec_lo, s8
	s_cbranch_execz .LBB285_15
; %bb.10:
	v_add_co_u32 v6, vcc_lo, 0x6000, v4
	v_add_co_ci_u32_e32 v7, vcc_lo, 0, v5, vcc_lo
	v_add_nc_u32_e32 v10, 0x4000, v3
	s_mov_b32 s8, exec_lo
	global_load_b128 v[6:9], v[6:7], off
	s_waitcnt vmcnt(0)
	ds_store_b128 v2, v[6:9] offset:24576
	v_cmpx_gt_u32_e64 s3, v10
	s_xor_b32 s8, exec_lo, s8
	s_cbranch_execz .LBB285_15
; %bb.11:
	v_add_co_u32 v6, vcc_lo, 0x8000, v4
	v_add_co_ci_u32_e32 v7, vcc_lo, 0, v5, vcc_lo
	v_add_nc_u32_e32 v10, 0x5000, v3
	s_mov_b32 s8, exec_lo
	global_load_b128 v[6:9], v[6:7], off
	s_waitcnt vmcnt(0)
	ds_store_b128 v2, v[6:9] offset:32768
	v_cmpx_gt_u32_e64 s3, v10
	s_xor_b32 s8, exec_lo, s8
	s_cbranch_execz .LBB285_15
; %bb.12:
	v_add_co_u32 v6, vcc_lo, 0xa000, v4
	v_add_co_ci_u32_e32 v7, vcc_lo, 0, v5, vcc_lo
	v_add_nc_u32_e32 v10, 0x6000, v3
	s_mov_b32 s8, exec_lo
	global_load_b128 v[6:9], v[6:7], off
	s_waitcnt vmcnt(0)
	ds_store_b128 v2, v[6:9] offset:40960
	v_cmpx_gt_u32_e64 s3, v10
	s_xor_b32 s8, exec_lo, s8
	s_cbranch_execz .LBB285_15
; %bb.13:
	v_add_co_u32 v6, vcc_lo, 0xc000, v4
	v_add_co_ci_u32_e32 v7, vcc_lo, 0, v5, vcc_lo
	v_add_nc_u32_e32 v3, 0x7000, v3
	global_load_b128 v[6:9], v[6:7], off
	v_cmp_gt_u32_e32 vcc_lo, s3, v3
	s_waitcnt vmcnt(0)
	ds_store_b128 v2, v[6:9] offset:49152
	s_and_saveexec_b32 s3, vcc_lo
	s_delay_alu instid0(SALU_CYCLE_1)
	s_xor_b32 s3, exec_lo, s3
	s_cbranch_execz .LBB285_15
; %bb.14:
	v_add_co_u32 v3, vcc_lo, 0xe000, v4
	v_add_co_ci_u32_e32 v4, vcc_lo, 0, v5, vcc_lo
	global_load_b128 v[3:6], v[3:4], off
	s_waitcnt vmcnt(0)
	ds_store_b128 v2, v[3:6] offset:57344
.LBB285_15:
	s_or_b32 exec_lo, exec_lo, s2
	v_cmp_gt_u32_e32 vcc_lo, s18, v1
	v_cmp_gt_u32_e64 s2, s7, v68
	s_waitcnt lgkmcnt(0)
	s_barrier
	buffer_gl0_inv
	s_and_b32 s2, vcc_lo, s2
	s_delay_alu instid0(SALU_CYCLE_1)
	s_and_saveexec_b32 s3, s2
	s_cbranch_execz .LBB285_164
; %bb.16:
	s_clause 0x1
	s_load_b128 s[8:11], s[0:1], 0x28
	s_load_b64 s[16:17], s[0:1], 0x18
	s_cmp_lg_u32 s4, 0
	s_mul_i32 s26, s18, s19
	s_cselect_b32 s20, -1, 0
	s_add_i32 s21, s4, -8
	s_add_i32 s22, s7, -1
	v_mbcnt_lo_u32_b32 v2, -1, 0
	v_cmp_eq_u32_e64 s0, 31, v0
	v_lshlrev_b32_e32 v88, 4, v0
	v_mad_u64_u32 v[71:72], null, s6, 3, v[67:68]
	s_mul_i32 s26, s26, 3
	s_mul_i32 s33, s6, 6
	v_dual_mov_b32 v70, 0 :: v_dual_add_nc_u32 v89, s6, v67
	s_waitcnt lgkmcnt(0)
	s_cmp_lg_u64 s[8:9], 0
	s_cselect_b32 s23, -1, 0
	s_abs_i32 s1, s15
	s_add_i32 s24, s7, -3
	v_cvt_f32_u32_e32 v1, s1
	s_sub_i32 s3, 0, s1
	s_lshl_b32 s25, s6, 1
	s_sub_i32 s18, 0, s14
	s_sub_i32 s19, 1, s1
	v_rcp_iflag_f32_e32 v1, v1
	v_add_nc_u32_e32 v91, s25, v67
	s_mov_b32 s15, 0
	s_waitcnt_depctr 0xfff
	v_mul_f32_e32 v1, 0x4f7ffffe, v1
	s_delay_alu instid0(VALU_DEP_1) | instskip(NEXT) | instid1(VALU_DEP_1)
	v_cvt_u32_f32_e32 v1, v1
	v_readfirstlane_b32 s2, v1
	v_cvt_f32_u32_e32 v1, s14
	s_delay_alu instid0(VALU_DEP_2) | instskip(NEXT) | instid1(VALU_DEP_1)
	s_mul_i32 s3, s3, s2
	v_rcp_iflag_f32_e32 v1, v1
	s_mul_hi_u32 s3, s2, s3
	s_delay_alu instid0(SALU_CYCLE_1) | instskip(SKIP_2) | instid1(SALU_CYCLE_1)
	s_add_i32 s2, s2, s3
	s_cmp_lt_u32 s1, 2
	s_cselect_b32 s3, s19, 1
	s_sub_i32 s19, s3, s1
	s_cmp_ge_u32 s3, s1
	s_waitcnt_depctr 0xfff
	v_mul_f32_e32 v0, 0x4f7ffffe, v1
	s_cselect_b32 s27, s19, s3
	s_lshr_b32 s3, s2, 31
	v_xor_b32_e32 v1, 16, v2
	s_mul_i32 s3, s3, s1
	v_cvt_u32_f32_e32 v0, v0
	s_sub_i32 s3, 2, s3
	s_mul_i32 s27, s27, s14
	s_sub_i32 s19, s3, s1
	s_cmp_ge_u32 s3, s1
	v_mul_lo_u32 v3, s18, v0
	s_cselect_b32 s3, s19, s3
	s_mul_hi_u32 s19, s2, 3
	s_sub_i32 s28, s3, s1
	s_cmp_ge_u32 s3, s1
	s_mul_i32 s19, s19, s1
	s_cselect_b32 s28, s28, s3
	s_sub_i32 s3, 3, s19
	v_cmp_gt_i32_e32 vcc_lo, 32, v1
	s_sub_i32 s18, s3, s1
	s_cmp_ge_u32 s3, s1
	s_mul_i32 s28, s28, s14
	s_cselect_b32 s3, s18, s3
	v_cndmask_b32_e32 v1, v2, v1, vcc_lo
	s_sub_i32 s18, s3, s1
	s_cmp_ge_u32 s3, s1
	v_mul_hi_u32 v2, v0, v3
	s_cselect_b32 s30, s18, s3
	s_lshr_b32 s2, s2, 30
	v_lshlrev_b32_e32 v90, 2, v1
	s_mul_i32 s2, s2, s1
	s_mul_i32 s30, s30, s14
	s_sub_i32 s2, 4, s2
	s_delay_alu instid0(SALU_CYCLE_1) | instskip(SKIP_3) | instid1(SALU_CYCLE_1)
	s_sub_i32 s3, s2, s1
	s_cmp_ge_u32 s2, s1
	v_add_nc_u32_e32 v92, v0, v2
	s_cselect_b32 s2, s3, s2
	s_sub_i32 s3, s2, s1
	s_cmp_ge_u32 s2, s1
	s_cselect_b32 s31, s3, s2
	s_lshl_b32 s29, s6, 2
	s_mul_i32 s31, s31, s14
	v_add_nc_u32_e32 v93, s29, v67
	s_lshl_b32 s6, s6, 3
	s_branch .LBB285_19
.LBB285_17:                             ;   in Loop: Header=BB285_19 Depth=1
	s_or_b32 exec_lo, exec_lo, s35
	v_mov_b32_e32 v68, s24
.LBB285_18:                             ;   in Loop: Header=BB285_19 Depth=1
	s_or_b32 exec_lo, exec_lo, s34
	s_delay_alu instid0(VALU_DEP_1) | instskip(SKIP_1) | instid1(SALU_CYCLE_1)
	v_cmp_le_u32_e32 vcc_lo, s7, v68
	s_or_b32 s15, vcc_lo, s15
	s_and_not1_b32 exec_lo, exec_lo, s15
	s_cbranch_execz .LBB285_164
.LBB285_19:                             ; =>This Loop Header: Depth=1
                                        ;     Child Loop BB285_24 Depth 2
                                        ;     Child Loop BB285_162 Depth 2
	v_dual_mov_b32 v94, v70 :: v_dual_add_nc_u32 v73, 1, v68
	v_dual_mov_b32 v95, v70 :: v_dual_add_nc_u32 v72, 2, v68
	v_mov_b32_e32 v96, v70
	v_mov_b32_e32 v102, v70
	;; [unrolled: 1-line block ×13, first 2 shown]
	s_and_not1_b32 vcc_lo, exec_lo, s20
	s_cbranch_vccnz .LBB285_66
; %bb.20:                               ;   in Loop: Header=BB285_19 Depth=1
	v_min_u32_e32 v0, s22, v68
	s_waitcnt lgkmcnt(0)
	v_min_u32_e32 v1, s22, v73
	v_min_u32_e32 v2, s22, v72
	v_dual_mov_b32 v3, v70 :: v_dual_mov_b32 v108, 0
	v_mul_lo_u32 v69, v0, s5
	s_delay_alu instid0(VALU_DEP_4) | instskip(NEXT) | instid1(VALU_DEP_4)
	v_mul_lo_u32 v0, v1, s5
	v_mul_lo_u32 v2, v2, s5
	v_dual_mov_b32 v1, v70 :: v_dual_mov_b32 v104, v88
	v_dual_mov_b32 v107, 0 :: v_dual_mov_b32 v106, 0
	;; [unrolled: 1-line block ×3, first 2 shown]
	v_lshlrev_b64 v[74:75], 1, v[69:70]
	s_delay_alu instid0(VALU_DEP_4)
	v_lshlrev_b64 v[76:77], 1, v[0:1]
	v_lshlrev_b64 v[78:79], 1, v[2:3]
	v_dual_mov_b32 v105, 0 :: v_dual_mov_b32 v100, 0
	v_dual_mov_b32 v101, 0 :: v_dual_mov_b32 v102, 0
	;; [unrolled: 1-line block ×4, first 2 shown]
	v_mov_b32_e32 v103, 0
	v_mov_b32_e32 v95, 0
	s_mov_b32 s1, 0
	s_branch .LBB285_24
.LBB285_21:                             ;   in Loop: Header=BB285_24 Depth=2
	s_or_b32 exec_lo, exec_lo, s18
.LBB285_22:                             ;   in Loop: Header=BB285_24 Depth=2
	s_delay_alu instid0(SALU_CYCLE_1)
	s_or_b32 exec_lo, exec_lo, s3
.LBB285_23:                             ;   in Loop: Header=BB285_24 Depth=2
	s_delay_alu instid0(SALU_CYCLE_1)
	s_or_b32 exec_lo, exec_lo, s2
	s_waitcnt vmcnt(0) lgkmcnt(0)
	v_and_b32_e32 v111, 0xffff0000, v53
	v_lshlrev_b32_e32 v110, 16, v52
	v_and_b32_e32 v69, 0xffff0000, v49
	v_and_b32_e32 v80, 0xffff0000, v48
	v_lshlrev_b32_e32 v114, 16, v54
	v_and_b32_e32 v113, 0xffff0000, v54
	v_lshlrev_b32_e32 v81, 16, v48
	;; [unrolled: 2-line block ×3, first 2 shown]
	v_mul_f32_e32 v83, v111, v69
	v_and_b32_e32 v49, 0xffff0000, v50
	v_lshlrev_b32_e32 v48, 16, v50
	v_mul_f32_e32 v82, v87, v80
	v_lshlrev_b32_e32 v85, 16, v36
	v_and_b32_e32 v120, 0xffff0000, v62
	v_dual_mul_f32 v54, v113, v49 :: v_dual_lshlrev_b32 v121, 16, v62
	s_delay_alu instid0(VALU_DEP_4) | instskip(SKIP_2) | instid1(VALU_DEP_4)
	v_fmac_f32_e32 v82, v110, v81
	v_and_b32_e32 v62, 0xffff0000, v20
	v_add_nc_u32_e32 v104, 0x400, v104
	v_fmac_f32_e32 v54, v114, v48
	s_addk_i32 s1, 0x200
	v_dual_add_f32 v50, v107, v82 :: v_dual_and_b32 v107, 0xffff0000, v55
	v_lshlrev_b32_e32 v112, 16, v53
	v_and_b32_e32 v53, 0xffff0000, v40
	s_cmp_ge_u32 s1, s4
	s_delay_alu instid0(VALU_DEP_1) | instskip(NEXT) | instid1(VALU_DEP_1)
	v_dual_fmac_f32 v83, v112, v52 :: v_dual_mul_f32 v84, v87, v53
	v_add_f32_e32 v82, v50, v83
	v_lshlrev_b32_e32 v50, 16, v40
	v_lshlrev_b32_e32 v40, 16, v51
	s_delay_alu instid0(VALU_DEP_3) | instskip(SKIP_2) | instid1(VALU_DEP_1)
	v_add_f32_e32 v116, v82, v54
	v_and_b32_e32 v82, 0xffff0000, v41
	v_and_b32_e32 v86, 0xffff0000, v36
	v_dual_mul_f32 v118, v87, v86 :: v_dual_lshlrev_b32 v115, 16, v55
	v_and_b32_e32 v87, 0xffff0000, v37
	v_lshlrev_b32_e32 v55, 16, v41
	v_mul_f32_e32 v41, v111, v82
	v_fmac_f32_e32 v84, v110, v50
	v_and_b32_e32 v54, 0xffff0000, v51
	v_dual_fmac_f32 v118, v110, v85 :: v_dual_and_b32 v83, 0xffff0000, v42
	s_delay_alu instid0(VALU_DEP_3) | instskip(NEXT) | instid1(VALU_DEP_3)
	v_dual_mul_f32 v110, v111, v87 :: v_dual_add_f32 v51, v109, v84
	v_mul_f32_e32 v117, v107, v54
	v_dual_fmac_f32 v41, v112, v55 :: v_dual_lshlrev_b32 v84, 16, v42
	s_delay_alu instid0(VALU_DEP_4) | instskip(NEXT) | instid1(VALU_DEP_2)
	v_dual_mul_f32 v109, v113, v83 :: v_dual_and_b32 v42, 0xffff0000, v38
	v_dual_add_f32 v108, v108, v118 :: v_dual_add_f32 v119, v51, v41
	v_lshlrev_b32_e32 v51, 16, v37
	s_delay_alu instid0(VALU_DEP_3) | instskip(SKIP_3) | instid1(VALU_DEP_4)
	v_fmac_f32_e32 v109, v114, v84
	v_and_b32_e32 v41, 0xffff0000, v43
	v_lshlrev_b32_e32 v37, 16, v38
	v_mul_f32_e32 v38, v113, v42
	v_dual_fmac_f32 v110, v112, v51 :: v_dual_add_f32 v109, v119, v109
	v_dual_fmac_f32 v117, v115, v40 :: v_dual_and_b32 v118, 0xffff0000, v61
	s_delay_alu instid0(VALU_DEP_3) | instskip(NEXT) | instid1(VALU_DEP_3)
	v_fmac_f32_e32 v38, v114, v37
	v_add_f32_e32 v108, v108, v110
	s_delay_alu instid0(VALU_DEP_3) | instskip(SKIP_2) | instid1(VALU_DEP_4)
	v_add_f32_e32 v113, v116, v117
	v_and_b32_e32 v111, 0xffff0000, v33
	v_and_b32_e32 v116, 0xffff0000, v60
	v_dual_add_f32 v108, v108, v38 :: v_dual_lshlrev_b32 v117, 16, v60
	v_lshlrev_b32_e32 v119, 16, v61
	s_delay_alu instid0(VALU_DEP_4)
	v_dual_mul_f32 v33, v118, v111 :: v_dual_lshlrev_b32 v60, 16, v33
	v_and_b32_e32 v38, 0xffff0000, v39
	v_and_b32_e32 v114, 0xffff0000, v16
	v_lshlrev_b32_e32 v123, 16, v63
	v_and_b32_e32 v122, 0xffff0000, v63
	v_dual_fmac_f32 v33, v119, v60 :: v_dual_and_b32 v112, 0xffff0000, v34
	v_dual_mul_f32 v43, v107, v41 :: v_dual_lshlrev_b32 v36, 16, v43
	v_mul_f32_e32 v107, v107, v38
	v_lshlrev_b32_e32 v39, 16, v39
	s_delay_alu instid0(VALU_DEP_4) | instskip(NEXT) | instid1(VALU_DEP_4)
	v_dual_mul_f32 v34, v120, v112 :: v_dual_lshlrev_b32 v61, 16, v34
	v_fmac_f32_e32 v43, v115, v36
	s_delay_alu instid0(VALU_DEP_3) | instskip(NEXT) | instid1(VALU_DEP_3)
	v_dual_fmac_f32 v107, v115, v39 :: v_dual_and_b32 v110, 0xffff0000, v32
	v_dual_mul_f32 v63, v116, v62 :: v_dual_fmac_f32 v34, v121, v61
	s_delay_alu instid0(VALU_DEP_3) | instskip(NEXT) | instid1(VALU_DEP_3)
	v_add_f32_e32 v109, v109, v43
	v_dual_mul_f32 v32, v116, v110 :: v_dual_lshlrev_b32 v43, 16, v32
	v_mul_f32_e32 v116, v116, v114
	v_add_f32_e32 v108, v108, v107
	s_delay_alu instid0(VALU_DEP_3) | instskip(NEXT) | instid1(VALU_DEP_1)
	v_fmac_f32_e32 v32, v117, v43
	v_add_f32_e32 v32, v113, v32
	s_delay_alu instid0(VALU_DEP_1) | instskip(SKIP_1) | instid1(VALU_DEP_2)
	v_add_f32_e32 v113, v32, v33
	v_and_b32_e32 v33, 0xffff0000, v35
	v_dual_add_f32 v113, v113, v34 :: v_dual_lshlrev_b32 v20, 16, v20
	s_delay_alu instid0(VALU_DEP_2) | instskip(NEXT) | instid1(VALU_DEP_2)
	v_dual_mul_f32 v35, v122, v33 :: v_dual_lshlrev_b32 v32, 16, v35
	v_dual_fmac_f32 v63, v117, v20 :: v_dual_and_b32 v34, 0xffff0000, v21
	s_delay_alu instid0(VALU_DEP_2) | instskip(SKIP_1) | instid1(VALU_DEP_3)
	v_fmac_f32_e32 v35, v123, v32
	v_lshlrev_b32_e32 v21, 16, v21
	v_add_f32_e32 v63, v109, v63
	s_delay_alu instid0(VALU_DEP_4) | instskip(NEXT) | instid1(VALU_DEP_4)
	v_mul_f32_e32 v115, v118, v34
	v_add_f32_e32 v107, v113, v35
	v_lshlrev_b32_e32 v113, 16, v16
	s_delay_alu instid0(VALU_DEP_3) | instskip(NEXT) | instid1(VALU_DEP_2)
	v_dual_fmac_f32 v115, v119, v21 :: v_dual_lshlrev_b32 v16, 16, v23
	v_dual_fmac_f32 v116, v117, v113 :: v_dual_and_b32 v35, 0xffff0000, v22
	s_delay_alu instid0(VALU_DEP_2) | instskip(NEXT) | instid1(VALU_DEP_2)
	v_dual_add_f32 v124, v63, v115 :: v_dual_and_b32 v115, 0xffff0000, v17
	v_add_f32_e32 v108, v108, v116
	s_delay_alu instid0(VALU_DEP_3)
	v_dual_mul_f32 v109, v120, v35 :: v_dual_lshlrev_b32 v22, 16, v22
	v_and_b32_e32 v116, 0xffff0000, v19
	v_and_b32_e32 v63, 0xffff0000, v23
	v_lshlrev_b32_e32 v17, 16, v17
	v_mul_f32_e32 v117, v118, v115
	v_fmac_f32_e32 v109, v121, v22
	v_lshlrev_b32_e32 v19, 16, v19
	v_mul_f32_e32 v118, v122, v63
	v_dual_mul_f32 v122, v122, v116 :: v_dual_and_b32 v23, 0xffff0000, v18
	s_delay_alu instid0(VALU_DEP_4) | instskip(SKIP_1) | instid1(VALU_DEP_3)
	v_dual_add_f32 v109, v124, v109 :: v_dual_lshlrev_b32 v18, 16, v18
	v_fmac_f32_e32 v117, v119, v17
	v_fmac_f32_e32 v122, v123, v19
	s_delay_alu instid0(VALU_DEP_4) | instskip(SKIP_1) | instid1(VALU_DEP_4)
	v_dual_mul_f32 v119, v120, v23 :: v_dual_and_b32 v120, 0xffff0000, v28
	v_lshlrev_b32_e32 v28, 16, v28
	v_add_f32_e32 v108, v108, v117
	v_fmac_f32_e32 v118, v123, v16
	s_delay_alu instid0(VALU_DEP_4) | instskip(NEXT) | instid1(VALU_DEP_2)
	v_mul_f32_e32 v117, v120, v80
	v_dual_add_f32 v109, v109, v118 :: v_dual_mul_f32 v118, v120, v53
	s_delay_alu instid0(VALU_DEP_2) | instskip(SKIP_2) | instid1(VALU_DEP_4)
	v_fmac_f32_e32 v117, v28, v81
	v_fmac_f32_e32 v119, v121, v18
	v_mul_f32_e32 v120, v120, v86
	v_fmac_f32_e32 v118, v28, v50
	s_delay_alu instid0(VALU_DEP_4) | instskip(NEXT) | instid1(VALU_DEP_4)
	v_add_f32_e32 v106, v106, v117
	v_dual_add_f32 v108, v108, v119 :: v_dual_and_b32 v121, 0xffff0000, v29
	v_lshlrev_b32_e32 v29, 16, v29
	v_fmac_f32_e32 v120, v28, v85
	s_delay_alu instid0(VALU_DEP_3) | instskip(NEXT) | instid1(VALU_DEP_2)
	v_dual_mul_f32 v119, v121, v69 :: v_dual_add_f32 v108, v108, v122
	v_add_f32_e32 v98, v98, v120
	s_delay_alu instid0(VALU_DEP_2) | instskip(NEXT) | instid1(VALU_DEP_1)
	v_fmac_f32_e32 v119, v29, v52
	v_add_f32_e32 v106, v106, v119
	v_and_b32_e32 v119, 0xffff0000, v31
	v_lshlrev_b32_e32 v31, 16, v31
	v_mul_f32_e32 v123, v121, v82
	v_dual_mul_f32 v28, v121, v87 :: v_dual_and_b32 v121, 0xffff0000, v56
	s_delay_alu instid0(VALU_DEP_4) | instskip(SKIP_1) | instid1(VALU_DEP_4)
	v_mul_f32_e32 v124, v119, v54
	v_and_b32_e32 v117, 0xffff0000, v30
	v_dual_fmac_f32 v123, v29, v55 :: v_dual_lshlrev_b32 v30, 16, v30
	s_delay_alu instid0(VALU_DEP_3) | instskip(NEXT) | instid1(VALU_DEP_3)
	v_fmac_f32_e32 v124, v31, v40
	v_mul_f32_e32 v122, v117, v49
	v_and_b32_e32 v120, 0xffff0000, v57
	s_delay_alu instid0(VALU_DEP_2) | instskip(NEXT) | instid1(VALU_DEP_1)
	v_dual_fmac_f32 v122, v30, v48 :: v_dual_lshlrev_b32 v57, 16, v57
	v_add_f32_e32 v106, v106, v122
	v_add_f32_e32 v105, v105, v118
	v_mul_f32_e32 v118, v117, v83
	v_mul_f32_e32 v117, v117, v42
	v_fmac_f32_e32 v28, v29, v51
	s_delay_alu instid0(VALU_DEP_4) | instskip(SKIP_4) | instid1(VALU_DEP_3)
	v_dual_add_f32 v106, v106, v124 :: v_dual_add_f32 v105, v105, v123
	v_lshlrev_b32_e32 v29, 16, v56
	v_fmac_f32_e32 v118, v30, v84
	v_fmac_f32_e32 v117, v30, v37
	v_add_f32_e32 v28, v98, v28
	v_dual_mul_f32 v98, v120, v111 :: v_dual_add_f32 v105, v105, v118
	v_mul_f32_e32 v118, v119, v41
	v_mul_f32_e32 v119, v119, v38
	;; [unrolled: 1-line block ×3, first 2 shown]
	s_delay_alu instid0(VALU_DEP_2) | instskip(NEXT) | instid1(VALU_DEP_2)
	v_dual_fmac_f32 v98, v57, v60 :: v_dual_fmac_f32 v119, v31, v39
	v_fmac_f32_e32 v56, v29, v43
	s_delay_alu instid0(VALU_DEP_1) | instskip(NEXT) | instid1(VALU_DEP_1)
	v_add_f32_e32 v56, v106, v56
	v_dual_fmac_f32 v118, v31, v36 :: v_dual_add_f32 v31, v56, v98
	s_delay_alu instid0(VALU_DEP_1) | instskip(SKIP_3) | instid1(VALU_DEP_4)
	v_dual_add_f32 v98, v105, v118 :: v_dual_and_b32 v105, 0xffff0000, v59
	v_dual_mul_f32 v56, v121, v62 :: v_dual_lshlrev_b32 v59, 16, v59
	v_and_b32_e32 v30, 0xffff0000, v58
	v_add_f32_e32 v28, v28, v117
	v_dual_mul_f32 v117, v105, v33 :: v_dual_lshlrev_b32 v58, 16, v58
	s_delay_alu instid0(VALU_DEP_4) | instskip(NEXT) | instid1(VALU_DEP_4)
	v_fmac_f32_e32 v56, v29, v20
	v_mul_f32_e32 v106, v30, v112
	s_delay_alu instid0(VALU_DEP_3) | instskip(NEXT) | instid1(VALU_DEP_3)
	v_dual_mul_f32 v118, v121, v114 :: v_dual_fmac_f32 v117, v59, v32
	v_add_f32_e32 v56, v98, v56
	v_mul_f32_e32 v98, v30, v35
	s_delay_alu instid0(VALU_DEP_3) | instskip(NEXT) | instid1(VALU_DEP_2)
	v_dual_fmac_f32 v118, v29, v113 :: v_dual_mul_f32 v29, v120, v115
	v_fmac_f32_e32 v98, v58, v22
	v_fmac_f32_e32 v106, v58, v61
	s_delay_alu instid0(VALU_DEP_3) | instskip(NEXT) | instid1(VALU_DEP_2)
	v_fmac_f32_e32 v29, v57, v17
	v_add_f32_e32 v31, v31, v106
	v_mul_f32_e32 v106, v120, v34
	s_delay_alu instid0(VALU_DEP_1) | instskip(SKIP_2) | instid1(VALU_DEP_3)
	v_fmac_f32_e32 v106, v57, v21
	v_mul_f32_e32 v57, v105, v63
	v_add_f32_e32 v28, v28, v119
	v_add_f32_e32 v56, v56, v106
	;; [unrolled: 1-line block ×3, first 2 shown]
	s_delay_alu instid0(VALU_DEP_4) | instskip(NEXT) | instid1(VALU_DEP_3)
	v_fmac_f32_e32 v57, v59, v16
	v_dual_add_f32 v31, v56, v98 :: v_dual_mul_f32 v98, v105, v116
	s_delay_alu instid0(VALU_DEP_1) | instskip(SKIP_2) | instid1(VALU_DEP_4)
	v_dual_add_f32 v105, v31, v57 :: v_dual_and_b32 v56, 0xffff0000, v12
	v_and_b32_e32 v31, 0xffff0000, v14
	v_lshlrev_b32_e32 v14, 16, v14
	v_fmac_f32_e32 v98, v59, v19
	s_delay_alu instid0(VALU_DEP_3) | instskip(NEXT) | instid1(VALU_DEP_1)
	v_dual_mul_f32 v57, v31, v49 :: v_dual_lshlrev_b32 v12, 16, v12
	v_fmac_f32_e32 v57, v14, v48
	v_mul_f32_e32 v30, v30, v23
	s_delay_alu instid0(VALU_DEP_1) | instskip(SKIP_2) | instid1(VALU_DEP_2)
	v_fmac_f32_e32 v30, v58, v18
	v_and_b32_e32 v58, 0xffff0000, v13
	v_lshlrev_b32_e32 v13, 16, v13
	v_mul_f32_e32 v59, v58, v82
	s_delay_alu instid0(VALU_DEP_1) | instskip(NEXT) | instid1(VALU_DEP_1)
	v_dual_add_f32 v28, v28, v118 :: v_dual_fmac_f32 v59, v13, v55
	v_add_f32_e32 v28, v28, v29
	v_mul_f32_e32 v29, v56, v80
	s_delay_alu instid0(VALU_DEP_2) | instskip(NEXT) | instid1(VALU_DEP_2)
	v_add_f32_e32 v28, v28, v30
	v_fmac_f32_e32 v29, v12, v81
	v_mul_f32_e32 v30, v58, v69
	s_delay_alu instid0(VALU_DEP_2) | instskip(NEXT) | instid1(VALU_DEP_2)
	v_add_f32_e32 v29, v101, v29
	v_fmac_f32_e32 v30, v13, v52
	s_delay_alu instid0(VALU_DEP_1) | instskip(SKIP_1) | instid1(VALU_DEP_2)
	v_dual_add_f32 v29, v29, v30 :: v_dual_and_b32 v30, 0xffff0000, v15
	v_lshlrev_b32_e32 v15, 16, v15
	v_add_f32_e32 v29, v29, v57
	s_delay_alu instid0(VALU_DEP_3) | instskip(SKIP_2) | instid1(VALU_DEP_3)
	v_mul_f32_e32 v101, v30, v54
	v_dual_add_f32 v98, v28, v98 :: v_dual_and_b32 v57, 0xffff0000, v44
	v_mul_f32_e32 v28, v56, v53
	v_dual_mul_f32 v56, v56, v86 :: v_dual_fmac_f32 v101, v15, v40
	s_delay_alu instid0(VALU_DEP_1) | instskip(NEXT) | instid1(VALU_DEP_1)
	v_dual_fmac_f32 v28, v12, v50 :: v_dual_add_f32 v29, v29, v101
	v_add_f32_e32 v28, v100, v28
	s_delay_alu instid0(VALU_DEP_1)
	v_dual_add_f32 v28, v28, v59 :: v_dual_and_b32 v59, 0xffff0000, v45
	v_dual_mul_f32 v100, v31, v83 :: v_dual_lshlrev_b32 v45, 16, v45
	v_dual_mul_f32 v31, v31, v42 :: v_dual_fmac_f32 v56, v12, v85
	v_mul_f32_e32 v12, v58, v87
	v_mul_f32_e32 v58, v30, v41
	;; [unrolled: 1-line block ×3, first 2 shown]
	s_delay_alu instid0(VALU_DEP_4) | instskip(NEXT) | instid1(VALU_DEP_4)
	v_add_f32_e32 v56, v97, v56
	v_dual_fmac_f32 v12, v13, v51 :: v_dual_lshlrev_b32 v13, 16, v44
	v_mul_f32_e32 v44, v57, v110
	v_fmac_f32_e32 v58, v15, v36
	v_fmac_f32_e32 v30, v15, v39
	s_delay_alu instid0(VALU_DEP_4) | instskip(SKIP_2) | instid1(VALU_DEP_2)
	v_add_f32_e32 v12, v56, v12
	v_mul_f32_e32 v56, v59, v111
	v_fmac_f32_e32 v44, v13, v43
	v_fmac_f32_e32 v56, v45, v60
	s_delay_alu instid0(VALU_DEP_2) | instskip(NEXT) | instid1(VALU_DEP_1)
	v_dual_add_f32 v29, v29, v44 :: v_dual_lshlrev_b32 v44, 16, v46
	v_add_f32_e32 v15, v29, v56
	v_mul_f32_e32 v29, v57, v62
	v_mul_f32_e32 v56, v57, v114
	s_delay_alu instid0(VALU_DEP_2) | instskip(SKIP_1) | instid1(VALU_DEP_3)
	v_fmac_f32_e32 v29, v13, v20
	v_fmac_f32_e32 v31, v14, v37
	v_dual_fmac_f32 v56, v13, v113 :: v_dual_mul_f32 v13, v59, v115
	s_delay_alu instid0(VALU_DEP_2) | instskip(NEXT) | instid1(VALU_DEP_1)
	v_dual_add_f32 v12, v12, v31 :: v_dual_mul_f32 v31, v59, v34
	v_dual_fmac_f32 v13, v45, v17 :: v_dual_add_f32 v12, v12, v30
	s_delay_alu instid0(VALU_DEP_2) | instskip(SKIP_2) | instid1(VALU_DEP_2)
	v_dual_fmac_f32 v31, v45, v21 :: v_dual_fmac_f32 v100, v14, v84
	v_and_b32_e32 v14, 0xffff0000, v46
	v_and_b32_e32 v30, 0xffff0000, v47
	v_mul_f32_e32 v46, v14, v112
	s_delay_alu instid0(VALU_DEP_1) | instskip(NEXT) | instid1(VALU_DEP_1)
	v_fmac_f32_e32 v46, v44, v61
	v_dual_add_f32 v15, v15, v46 :: v_dual_lshlrev_b32 v46, 16, v47
	s_delay_alu instid0(VALU_DEP_4) | instskip(NEXT) | instid1(VALU_DEP_1)
	v_mul_f32_e32 v47, v30, v33
	v_fmac_f32_e32 v47, v46, v32
	s_delay_alu instid0(VALU_DEP_1) | instskip(NEXT) | instid1(VALU_DEP_1)
	v_dual_add_f32 v28, v28, v100 :: v_dual_add_f32 v101, v15, v47
	v_add_f32_e32 v28, v28, v58
	s_delay_alu instid0(VALU_DEP_1) | instskip(NEXT) | instid1(VALU_DEP_1)
	v_dual_add_f32 v28, v28, v29 :: v_dual_mul_f32 v29, v14, v35
	v_add_f32_e32 v28, v28, v31
	s_delay_alu instid0(VALU_DEP_2) | instskip(SKIP_2) | instid1(VALU_DEP_3)
	v_fmac_f32_e32 v29, v44, v22
	v_and_b32_e32 v31, 0xffff0000, v5
	v_lshlrev_b32_e32 v5, 16, v5
	v_add_f32_e32 v15, v28, v29
	v_dual_mul_f32 v29, v30, v63 :: v_dual_and_b32 v28, 0xffff0000, v4
	v_lshlrev_b32_e32 v4, 16, v4
	s_delay_alu instid0(VALU_DEP_2) | instskip(NEXT) | instid1(VALU_DEP_1)
	v_fmac_f32_e32 v29, v46, v16
	v_dual_add_f32 v100, v15, v29 :: v_dual_and_b32 v15, 0xffff0000, v6
	v_lshlrev_b32_e32 v6, 16, v6
	s_delay_alu instid0(VALU_DEP_2) | instskip(NEXT) | instid1(VALU_DEP_1)
	v_dual_add_f32 v12, v12, v56 :: v_dual_mul_f32 v29, v15, v49
	v_dual_mul_f32 v45, v15, v83 :: v_dual_add_f32 v12, v12, v13
	v_mul_f32_e32 v13, v28, v80
	s_delay_alu instid0(VALU_DEP_3) | instskip(NEXT) | instid1(VALU_DEP_3)
	v_fmac_f32_e32 v29, v6, v48
	v_fmac_f32_e32 v45, v6, v84
	s_delay_alu instid0(VALU_DEP_3) | instskip(NEXT) | instid1(VALU_DEP_1)
	v_fmac_f32_e32 v13, v4, v81
	v_dual_add_f32 v13, v99, v13 :: v_dual_mul_f32 v14, v14, v23
	s_delay_alu instid0(VALU_DEP_1) | instskip(NEXT) | instid1(VALU_DEP_1)
	v_fmac_f32_e32 v14, v44, v18
	v_add_f32_e32 v12, v12, v14
	v_mul_f32_e32 v14, v31, v69
	s_delay_alu instid0(VALU_DEP_1) | instskip(NEXT) | instid1(VALU_DEP_1)
	v_fmac_f32_e32 v14, v5, v52
	v_dual_add_f32 v13, v13, v14 :: v_dual_and_b32 v14, 0xffff0000, v7
	v_lshlrev_b32_e32 v7, 16, v7
	s_delay_alu instid0(VALU_DEP_2) | instskip(SKIP_2) | instid1(VALU_DEP_3)
	v_dual_add_f32 v13, v13, v29 :: v_dual_mul_f32 v44, v14, v54
	v_mul_f32_e32 v29, v14, v41
	v_mul_f32_e32 v14, v14, v38
	v_fmac_f32_e32 v44, v7, v40
	s_delay_alu instid0(VALU_DEP_3) | instskip(NEXT) | instid1(VALU_DEP_2)
	v_fmac_f32_e32 v29, v7, v36
	v_dual_fmac_f32 v14, v7, v39 :: v_dual_add_f32 v13, v13, v44
	v_mul_f32_e32 v30, v30, v116
	s_delay_alu instid0(VALU_DEP_1) | instskip(NEXT) | instid1(VALU_DEP_1)
	v_fmac_f32_e32 v30, v46, v19
	v_add_f32_e32 v97, v12, v30
	v_mul_f32_e32 v12, v28, v53
	v_mul_f32_e32 v30, v31, v82
	;; [unrolled: 1-line block ×3, first 2 shown]
	s_delay_alu instid0(VALU_DEP_3) | instskip(NEXT) | instid1(VALU_DEP_3)
	v_fmac_f32_e32 v12, v4, v50
	v_fmac_f32_e32 v30, v5, v55
	s_delay_alu instid0(VALU_DEP_2) | instskip(NEXT) | instid1(VALU_DEP_1)
	v_add_f32_e32 v12, v103, v12
	v_add_f32_e32 v12, v12, v30
	v_and_b32_e32 v30, 0xffff0000, v24
	s_delay_alu instid0(VALU_DEP_1) | instskip(SKIP_2) | instid1(VALU_DEP_3)
	v_dual_add_f32 v12, v12, v45 :: v_dual_mul_f32 v7, v30, v62
	v_fmac_f32_e32 v28, v4, v85
	v_mul_f32_e32 v4, v31, v87
	v_add_f32_e32 v12, v12, v29
	s_delay_alu instid0(VALU_DEP_3) | instskip(NEXT) | instid1(VALU_DEP_3)
	v_dual_add_f32 v28, v102, v28 :: v_dual_and_b32 v29, 0xffff0000, v25
	v_dual_fmac_f32 v4, v5, v51 :: v_dual_mul_f32 v5, v15, v42
	v_dual_mul_f32 v24, v30, v110 :: v_dual_lshlrev_b32 v15, 16, v24
	s_delay_alu instid0(VALU_DEP_2) | instskip(SKIP_1) | instid1(VALU_DEP_3)
	v_dual_add_f32 v4, v28, v4 :: v_dual_fmac_f32 v5, v6, v37
	v_lshlrev_b32_e32 v6, 16, v25
	v_fmac_f32_e32 v24, v15, v43
	v_mul_f32_e32 v25, v29, v111
	s_delay_alu instid0(VALU_DEP_4) | instskip(SKIP_1) | instid1(VALU_DEP_4)
	v_dual_fmac_f32 v7, v15, v20 :: v_dual_add_f32 v4, v4, v5
	v_mul_f32_e32 v28, v29, v34
	v_add_f32_e32 v5, v13, v24
	v_and_b32_e32 v13, 0xffff0000, v26
	v_dual_fmac_f32 v25, v6, v60 :: v_dual_lshlrev_b32 v24, 16, v26
	s_delay_alu instid0(VALU_DEP_4) | instskip(NEXT) | instid1(VALU_DEP_3)
	v_dual_add_f32 v7, v12, v7 :: v_dual_fmac_f32 v28, v6, v21
	v_mul_f32_e32 v26, v13, v112
	s_delay_alu instid0(VALU_DEP_3) | instskip(SKIP_4) | instid1(VALU_DEP_4)
	v_add_f32_e32 v5, v5, v25
	v_and_b32_e32 v25, 0xffff0000, v27
	v_lshlrev_b32_e32 v27, 16, v27
	v_mul_f32_e32 v12, v13, v35
	v_dual_fmac_f32 v26, v24, v61 :: v_dual_add_f32 v7, v7, v28
	v_dual_mul_f32 v31, v25, v33 :: v_dual_add_f32 v4, v4, v14
	s_delay_alu instid0(VALU_DEP_3) | instskip(NEXT) | instid1(VALU_DEP_3)
	v_fmac_f32_e32 v12, v24, v22
	v_add_f32_e32 v5, v5, v26
	s_delay_alu instid0(VALU_DEP_3) | instskip(NEXT) | instid1(VALU_DEP_1)
	v_dual_mul_f32 v14, v29, v115 :: v_dual_fmac_f32 v31, v27, v32
	v_dual_fmac_f32 v14, v6, v17 :: v_dual_add_f32 v99, v5, v31
	s_delay_alu instid0(VALU_DEP_4) | instskip(SKIP_2) | instid1(VALU_DEP_2)
	v_add_f32_e32 v5, v7, v12
	v_dual_mul_f32 v6, v13, v23 :: v_dual_and_b32 v7, 0xffff0000, v0
	v_dual_mul_f32 v13, v25, v63 :: v_dual_lshlrev_b32 v0, 16, v0
	v_fmac_f32_e32 v6, v24, v18
	s_delay_alu instid0(VALU_DEP_3) | instskip(NEXT) | instid1(VALU_DEP_3)
	v_dual_mul_f32 v24, v25, v116 :: v_dual_mul_f32 v25, v7, v53
	v_fmac_f32_e32 v13, v27, v16
	v_mul_f32_e32 v12, v7, v80
	v_mul_f32_e32 v7, v7, v86
	s_delay_alu instid0(VALU_DEP_4) | instskip(NEXT) | instid1(VALU_DEP_4)
	v_dual_fmac_f32 v24, v27, v19 :: v_dual_fmac_f32 v25, v0, v50
	v_add_f32_e32 v103, v5, v13
	s_delay_alu instid0(VALU_DEP_4) | instskip(NEXT) | instid1(VALU_DEP_4)
	v_fmac_f32_e32 v12, v0, v81
	v_fmac_f32_e32 v7, v0, v85
	s_delay_alu instid0(VALU_DEP_4) | instskip(NEXT) | instid1(VALU_DEP_1)
	v_dual_add_f32 v25, v95, v25 :: v_dual_mul_f32 v26, v30, v114
	v_dual_add_f32 v7, v94, v7 :: v_dual_fmac_f32 v26, v15, v113
	v_and_b32_e32 v15, 0xffff0000, v1
	s_delay_alu instid0(VALU_DEP_2) | instskip(NEXT) | instid1(VALU_DEP_2)
	v_dual_add_f32 v4, v4, v26 :: v_dual_lshlrev_b32 v1, 16, v1
	v_mul_f32_e32 v28, v15, v82
	v_mul_f32_e32 v0, v15, v87
	s_delay_alu instid0(VALU_DEP_3) | instskip(SKIP_1) | instid1(VALU_DEP_4)
	v_add_f32_e32 v4, v4, v14
	v_mul_f32_e32 v14, v15, v69
	v_dual_fmac_f32 v28, v1, v55 :: v_dual_and_b32 v15, 0xffff0000, v8
	s_delay_alu instid0(VALU_DEP_4) | instskip(NEXT) | instid1(VALU_DEP_4)
	v_fmac_f32_e32 v0, v1, v51
	v_add_f32_e32 v4, v4, v6
	v_add_f32_e32 v6, v96, v12
	v_and_b32_e32 v12, 0xffff0000, v2
	v_fmac_f32_e32 v14, v1, v52
	v_dual_add_f32 v25, v25, v28 :: v_dual_lshlrev_b32 v2, 16, v2
	s_delay_alu instid0(VALU_DEP_3) | instskip(NEXT) | instid1(VALU_DEP_3)
	v_dual_mul_f32 v26, v12, v49 :: v_dual_lshlrev_b32 v1, 16, v8
	v_add_f32_e32 v6, v6, v14
	v_and_b32_e32 v14, 0xffff0000, v3
	v_dual_mul_f32 v8, v15, v110 :: v_dual_lshlrev_b32 v3, 16, v3
	s_delay_alu instid0(VALU_DEP_4) | instskip(NEXT) | instid1(VALU_DEP_3)
	v_fmac_f32_e32 v26, v2, v48
	v_dual_mul_f32 v29, v14, v54 :: v_dual_and_b32 v28, 0xffff0000, v9
	v_mul_f32_e32 v30, v12, v83
	v_mul_f32_e32 v12, v12, v42
	s_delay_alu instid0(VALU_DEP_4) | instskip(SKIP_4) | instid1(VALU_DEP_3)
	v_add_f32_e32 v6, v6, v26
	v_add_f32_e32 v0, v7, v0
	v_dual_fmac_f32 v29, v3, v40 :: v_dual_fmac_f32 v8, v1, v43
	v_lshlrev_b32_e32 v7, 16, v9
	v_dual_mul_f32 v9, v28, v111 :: v_dual_fmac_f32 v30, v2, v84
	v_add_f32_e32 v6, v6, v29
	v_mul_f32_e32 v26, v14, v41
	v_fmac_f32_e32 v12, v2, v37
	v_and_b32_e32 v2, 0xffff0000, v10
	v_mul_f32_e32 v14, v14, v38
	v_add_f32_e32 v6, v6, v8
	v_fmac_f32_e32 v9, v7, v60
	v_add_f32_e32 v25, v25, v30
	v_lshlrev_b32_e32 v8, 16, v10
	v_mul_f32_e32 v10, v2, v112
	v_fmac_f32_e32 v26, v3, v36
	v_add_f32_e32 v0, v0, v12
	v_dual_fmac_f32 v14, v3, v39 :: v_dual_add_f32 v3, v6, v9
	v_mul_f32_e32 v9, v15, v62
	v_mul_f32_e32 v12, v15, v114
	v_fmac_f32_e32 v10, v8, v61
	v_add_f32_e32 v6, v25, v26
	s_delay_alu instid0(VALU_DEP_4) | instskip(SKIP_3) | instid1(VALU_DEP_4)
	v_dual_add_f32 v0, v0, v14 :: v_dual_fmac_f32 v9, v1, v20
	v_mul_f32_e32 v14, v28, v34
	v_dual_fmac_f32 v12, v1, v113 :: v_dual_mul_f32 v1, v28, v115
	v_dual_add_f32 v3, v3, v10 :: v_dual_and_b32 v10, 0xffff0000, v11
	v_add_f32_e32 v6, v6, v9
	s_delay_alu instid0(VALU_DEP_4) | instskip(NEXT) | instid1(VALU_DEP_4)
	v_dual_fmac_f32 v14, v7, v21 :: v_dual_mul_f32 v9, v2, v35
	v_dual_add_f32 v0, v0, v12 :: v_dual_fmac_f32 v1, v7, v17
	v_mul_f32_e32 v2, v2, v23
	v_lshlrev_b32_e32 v11, 16, v11
	v_mul_f32_e32 v15, v10, v33
	v_add_f32_e32 v6, v6, v14
	v_fmac_f32_e32 v9, v8, v22
	v_dual_mul_f32 v7, v10, v63 :: v_dual_add_f32 v0, v0, v1
	v_dual_fmac_f32 v2, v8, v18 :: v_dual_mul_f32 v1, v10, v116
	s_delay_alu instid0(VALU_DEP_3) | instskip(NEXT) | instid1(VALU_DEP_2)
	v_dual_fmac_f32 v15, v11, v32 :: v_dual_add_f32 v6, v6, v9
	v_dual_fmac_f32 v7, v11, v16 :: v_dual_add_f32 v0, v0, v2
	s_delay_alu instid0(VALU_DEP_3) | instskip(NEXT) | instid1(VALU_DEP_3)
	v_dual_fmac_f32 v1, v11, v19 :: v_dual_add_f32 v102, v4, v24
	v_add_f32_e32 v96, v3, v15
	s_delay_alu instid0(VALU_DEP_2)
	v_dual_add_f32 v95, v6, v7 :: v_dual_add_f32 v94, v0, v1
	s_cbranch_scc1 .LBB285_66
.LBB285_24:                             ;   Parent Loop BB285_19 Depth=1
                                        ; =>  This Inner Loop Header: Depth=2
	v_add_nc_u32_e32 v81, s1, v67
	s_waitcnt vmcnt(3)
	v_dual_mov_b32 v27, 0 :: v_dual_mov_b32 v26, 0
	v_dual_mov_b32 v25, 0 :: v_dual_mov_b32 v24, 0
	s_delay_alu instid0(VALU_DEP_3) | instskip(SKIP_3) | instid1(VALU_DEP_4)
	v_min_u32_e32 v69, s21, v81
	v_dual_mov_b32 v47, 0 :: v_dual_add_nc_u32 v80, 0x100, v81
	v_dual_mov_b32 v46, 0 :: v_dual_mov_b32 v45, 0
	v_mov_b32_e32 v44, 0
	v_lshlrev_b64 v[0:1], 1, v[69:70]
	s_delay_alu instid0(VALU_DEP_4) | instskip(SKIP_2) | instid1(VALU_DEP_4)
	v_min_u32_e32 v69, s21, v80
	v_dual_mov_b32 v59, 0 :: v_dual_mov_b32 v58, 0
	v_dual_mov_b32 v57, 0 :: v_dual_mov_b32 v56, 0
	v_add_co_u32 v6, vcc_lo, s16, v0
	v_add_co_ci_u32_e32 v7, vcc_lo, s17, v1, vcc_lo
	v_lshlrev_b64 v[0:1], 1, v[69:70]
	s_delay_alu instid0(VALU_DEP_3) | instskip(NEXT) | instid1(VALU_DEP_3)
	v_add_co_u32 v2, vcc_lo, v6, v74
	v_add_co_ci_u32_e32 v3, vcc_lo, v7, v75, vcc_lo
	v_add_co_u32 v4, vcc_lo, v6, v76
	v_add_co_ci_u32_e32 v5, vcc_lo, v7, v77, vcc_lo
	;; [unrolled: 2-line block ×4, first 2 shown]
	s_delay_alu instid0(VALU_DEP_4) | instskip(NEXT) | instid1(VALU_DEP_4)
	v_add_co_u32 v6, vcc_lo, v10, v74
	v_add_co_ci_u32_e32 v7, vcc_lo, v11, v75, vcc_lo
	v_add_co_u32 v8, vcc_lo, v10, v76
	v_add_co_ci_u32_e32 v9, vcc_lo, v11, v77, vcc_lo
	v_add_co_u32 v10, vcc_lo, v10, v78
	v_add_co_ci_u32_e32 v11, vcc_lo, v11, v79, vcc_lo
	s_clause 0x5
	global_load_b128 v[48:51], v[2:3], off slc dlc
	global_load_b128 v[40:43], v[4:5], off slc dlc
	;; [unrolled: 1-line block ×6, first 2 shown]
	v_dual_mov_b32 v11, 0 :: v_dual_mov_b32 v10, 0
	v_cmp_gt_u32_e32 vcc_lo, s4, v81
	v_dual_mov_b32 v9, 0 :: v_dual_mov_b32 v8, 0
	v_dual_mov_b32 v63, 0 :: v_dual_mov_b32 v62, 0
	;; [unrolled: 1-line block ×7, first 2 shown]
	s_waitcnt vmcnt(6)
	v_dual_mov_b32 v15, 0 :: v_dual_mov_b32 v14, 0
	v_dual_mov_b32 v13, 0 :: v_dual_mov_b32 v12, 0
	;; [unrolled: 1-line block ×6, first 2 shown]
	s_and_saveexec_b32 s2, vcc_lo
	s_cbranch_execz .LBB285_23
; %bb.25:                               ;   in Loop: Header=BB285_24 Depth=2
	s_mov_b32 s3, exec_lo
                                        ; implicit-def: $vgpr55
	v_cmpx_lt_u32_e32 0x7fff, v81
	s_xor_b32 s3, exec_lo, s3
	s_cbranch_execz .LBB285_27
; %bb.26:                               ;   in Loop: Header=BB285_24 Depth=2
	v_mov_b32_e32 v82, v70
	s_delay_alu instid0(VALU_DEP_1) | instskip(NEXT) | instid1(VALU_DEP_1)
	v_lshlrev_b64 v[0:1], 1, v[81:82]
	v_add_co_u32 v0, vcc_lo, s12, v0
	s_delay_alu instid0(VALU_DEP_2)
	v_add_co_ci_u32_e32 v1, vcc_lo, s13, v1, vcc_lo
	global_load_b128 v[52:55], v[0:1], off
.LBB285_27:                             ;   in Loop: Header=BB285_24 Depth=2
	s_and_not1_saveexec_b32 s3, s3
	s_cbranch_execz .LBB285_29
; %bb.28:                               ;   in Loop: Header=BB285_24 Depth=2
	s_waitcnt vmcnt(0)
	ds_load_b128 v[52:55], v104
.LBB285_29:                             ;   in Loop: Header=BB285_24 Depth=2
	s_or_b32 exec_lo, exec_lo, s3
	v_add_nc_u32_e32 v69, s1, v89
	s_mov_b32 s3, exec_lo
                                        ; implicit-def: $vgpr31
	s_delay_alu instid0(VALU_DEP_1)
	v_cmpx_lt_u32_e32 0x7fff, v69
	s_xor_b32 s3, exec_lo, s3
	s_cbranch_execz .LBB285_31
; %bb.30:                               ;   in Loop: Header=BB285_24 Depth=2
	v_lshlrev_b64 v[0:1], 1, v[69:70]
	s_delay_alu instid0(VALU_DEP_1) | instskip(NEXT) | instid1(VALU_DEP_2)
	v_add_co_u32 v0, vcc_lo, s12, v0
	v_add_co_ci_u32_e32 v1, vcc_lo, s13, v1, vcc_lo
	global_load_b128 v[28:31], v[0:1], off
.LBB285_31:                             ;   in Loop: Header=BB285_24 Depth=2
	s_and_not1_saveexec_b32 s3, s3
	s_cbranch_execz .LBB285_33
; %bb.32:                               ;   in Loop: Header=BB285_24 Depth=2
	v_add_nc_u32_e32 v0, s25, v104
	s_waitcnt vmcnt(0)
	ds_load_b128 v[28:31], v0
.LBB285_33:                             ;   in Loop: Header=BB285_24 Depth=2
	s_or_b32 exec_lo, exec_lo, s3
	v_add_nc_u32_e32 v86, s1, v91
	s_mov_b32 s3, exec_lo
                                        ; implicit-def: $vgpr15
	s_delay_alu instid0(VALU_DEP_1)
	v_cmpx_lt_u32_e32 0x7fff, v86
	s_xor_b32 s3, exec_lo, s3
	s_cbranch_execz .LBB285_35
; %bb.34:                               ;   in Loop: Header=BB285_24 Depth=2
	v_mov_b32_e32 v87, v70
	s_delay_alu instid0(VALU_DEP_1) | instskip(NEXT) | instid1(VALU_DEP_1)
	v_lshlrev_b64 v[0:1], 1, v[86:87]
	v_add_co_u32 v0, vcc_lo, s12, v0
	s_delay_alu instid0(VALU_DEP_2)
	v_add_co_ci_u32_e32 v1, vcc_lo, s13, v1, vcc_lo
	global_load_b128 v[12:15], v[0:1], off
.LBB285_35:                             ;   in Loop: Header=BB285_24 Depth=2
	s_and_not1_saveexec_b32 s3, s3
	s_cbranch_execz .LBB285_37
; %bb.36:                               ;   in Loop: Header=BB285_24 Depth=2
	v_add_nc_u32_e32 v0, s29, v104
	s_waitcnt vmcnt(0)
	ds_load_2addr_b32 v[12:13], v0 offset1:1
	ds_load_2addr_b32 v[14:15], v0 offset0:2 offset1:3
.LBB285_37:                             ;   in Loop: Header=BB285_24 Depth=2
	s_or_b32 exec_lo, exec_lo, s3
	v_add_nc_u32_e32 v84, s1, v71
	s_mov_b32 s3, exec_lo
                                        ; implicit-def: $vgpr7
	s_delay_alu instid0(VALU_DEP_1)
	v_cmpx_lt_u32_e32 0x7fff, v84
	s_xor_b32 s3, exec_lo, s3
	s_cbranch_execz .LBB285_39
; %bb.38:                               ;   in Loop: Header=BB285_24 Depth=2
	v_mov_b32_e32 v85, v70
	s_delay_alu instid0(VALU_DEP_1) | instskip(NEXT) | instid1(VALU_DEP_1)
	v_lshlrev_b64 v[0:1], 1, v[84:85]
	v_add_co_u32 v0, vcc_lo, s12, v0
	s_delay_alu instid0(VALU_DEP_2)
	v_add_co_ci_u32_e32 v1, vcc_lo, s13, v1, vcc_lo
	global_load_b128 v[4:7], v[0:1], off
.LBB285_39:                             ;   in Loop: Header=BB285_24 Depth=2
	s_and_not1_saveexec_b32 s3, s3
	s_cbranch_execz .LBB285_41
; %bb.40:                               ;   in Loop: Header=BB285_24 Depth=2
	v_add_nc_u32_e32 v0, s33, v104
	s_waitcnt vmcnt(0)
	ds_load_b128 v[4:7], v0
.LBB285_41:                             ;   in Loop: Header=BB285_24 Depth=2
	s_or_b32 exec_lo, exec_lo, s3
	v_add_nc_u32_e32 v82, s1, v93
	s_mov_b32 s3, exec_lo
                                        ; implicit-def: $vgpr3
	s_delay_alu instid0(VALU_DEP_1)
	v_cmpx_lt_u32_e32 0x7fff, v82
	s_xor_b32 s3, exec_lo, s3
	s_cbranch_execz .LBB285_43
; %bb.42:                               ;   in Loop: Header=BB285_24 Depth=2
	v_mov_b32_e32 v83, v70
	s_delay_alu instid0(VALU_DEP_1) | instskip(NEXT) | instid1(VALU_DEP_1)
	v_lshlrev_b64 v[0:1], 1, v[82:83]
	v_add_co_u32 v0, vcc_lo, s12, v0
	s_delay_alu instid0(VALU_DEP_2)
	v_add_co_ci_u32_e32 v1, vcc_lo, s13, v1, vcc_lo
	global_load_b128 v[0:3], v[0:1], off
.LBB285_43:                             ;   in Loop: Header=BB285_24 Depth=2
	s_and_not1_saveexec_b32 s3, s3
	s_cbranch_execz .LBB285_45
; %bb.44:                               ;   in Loop: Header=BB285_24 Depth=2
	s_waitcnt vmcnt(0)
	v_add_nc_u32_e32 v0, s6, v104
	ds_load_2addr_b64 v[0:3], v0 offset1:1
.LBB285_45:                             ;   in Loop: Header=BB285_24 Depth=2
	s_or_b32 exec_lo, exec_lo, s3
	v_cmp_gt_u32_e32 vcc_lo, s4, v80
	v_dual_mov_b32 v11, 0 :: v_dual_mov_b32 v10, 0
	v_dual_mov_b32 v9, 0 :: v_dual_mov_b32 v8, 0
	;; [unrolled: 1-line block ×10, first 2 shown]
	s_and_saveexec_b32 s3, vcc_lo
	s_cbranch_execz .LBB285_22
; %bb.46:                               ;   in Loop: Header=BB285_24 Depth=2
	s_mov_b32 s18, exec_lo
                                        ; implicit-def: $vgpr63
	v_cmpx_lt_u32_e32 0x7fff, v80
	s_xor_b32 s18, exec_lo, s18
	s_cbranch_execz .LBB285_48
; %bb.47:                               ;   in Loop: Header=BB285_24 Depth=2
	v_mov_b32_e32 v81, v70
	s_delay_alu instid0(VALU_DEP_1) | instskip(NEXT) | instid1(VALU_DEP_1)
	v_lshlrev_b64 v[8:9], 1, v[80:81]
	v_add_co_u32 v8, vcc_lo, s12, v8
	s_delay_alu instid0(VALU_DEP_2)
	v_add_co_ci_u32_e32 v9, vcc_lo, s13, v9, vcc_lo
	global_load_b128 v[60:63], v[8:9], off
.LBB285_48:                             ;   in Loop: Header=BB285_24 Depth=2
	s_and_not1_saveexec_b32 s18, s18
	s_cbranch_execz .LBB285_50
; %bb.49:                               ;   in Loop: Header=BB285_24 Depth=2
	s_waitcnt vmcnt(0)
	ds_load_b128 v[60:63], v104 offset:512
.LBB285_50:                             ;   in Loop: Header=BB285_24 Depth=2
	s_or_b32 exec_lo, exec_lo, s18
	v_add_nc_u32_e32 v69, 0x100, v69
	s_mov_b32 s18, exec_lo
                                        ; implicit-def: $vgpr59
	s_delay_alu instid0(VALU_DEP_1)
	v_cmpx_lt_u32_e32 0x7fff, v69
	s_xor_b32 s18, exec_lo, s18
	s_cbranch_execz .LBB285_52
; %bb.51:                               ;   in Loop: Header=BB285_24 Depth=2
	v_lshlrev_b64 v[8:9], 1, v[69:70]
	s_delay_alu instid0(VALU_DEP_1) | instskip(NEXT) | instid1(VALU_DEP_2)
	v_add_co_u32 v8, vcc_lo, s12, v8
	v_add_co_ci_u32_e32 v9, vcc_lo, s13, v9, vcc_lo
	global_load_b128 v[56:59], v[8:9], off
.LBB285_52:                             ;   in Loop: Header=BB285_24 Depth=2
	s_and_not1_saveexec_b32 s18, s18
	s_cbranch_execz .LBB285_54
; %bb.53:                               ;   in Loop: Header=BB285_24 Depth=2
	v_add_nc_u32_e32 v8, s25, v104
	s_waitcnt vmcnt(0)
	ds_load_b128 v[56:59], v8 offset:512
.LBB285_54:                             ;   in Loop: Header=BB285_24 Depth=2
	s_or_b32 exec_lo, exec_lo, s18
	v_add_nc_u32_e32 v69, 0x100, v86
	s_mov_b32 s18, exec_lo
                                        ; implicit-def: $vgpr47
	s_delay_alu instid0(VALU_DEP_1)
	v_cmpx_lt_u32_e32 0x7fff, v69
	s_xor_b32 s18, exec_lo, s18
	s_cbranch_execz .LBB285_56
; %bb.55:                               ;   in Loop: Header=BB285_24 Depth=2
	v_lshlrev_b64 v[8:9], 1, v[69:70]
	s_delay_alu instid0(VALU_DEP_1) | instskip(NEXT) | instid1(VALU_DEP_2)
	v_add_co_u32 v8, vcc_lo, s12, v8
	v_add_co_ci_u32_e32 v9, vcc_lo, s13, v9, vcc_lo
	global_load_b128 v[44:47], v[8:9], off
.LBB285_56:                             ;   in Loop: Header=BB285_24 Depth=2
	s_and_not1_saveexec_b32 s18, s18
	s_cbranch_execz .LBB285_58
; %bb.57:                               ;   in Loop: Header=BB285_24 Depth=2
	v_add_nc_u32_e32 v8, s29, v104
	s_waitcnt vmcnt(0)
	ds_load_2addr_b32 v[44:45], v8 offset0:128 offset1:129
	ds_load_2addr_b32 v[46:47], v8 offset0:130 offset1:131
.LBB285_58:                             ;   in Loop: Header=BB285_24 Depth=2
	s_or_b32 exec_lo, exec_lo, s18
	v_add_nc_u32_e32 v69, 0x100, v84
	s_mov_b32 s18, exec_lo
                                        ; implicit-def: $vgpr27
	s_delay_alu instid0(VALU_DEP_1)
	v_cmpx_lt_u32_e32 0x7fff, v69
	s_xor_b32 s18, exec_lo, s18
	s_cbranch_execz .LBB285_60
; %bb.59:                               ;   in Loop: Header=BB285_24 Depth=2
	v_lshlrev_b64 v[8:9], 1, v[69:70]
	s_delay_alu instid0(VALU_DEP_1) | instskip(NEXT) | instid1(VALU_DEP_2)
	v_add_co_u32 v8, vcc_lo, s12, v8
	v_add_co_ci_u32_e32 v9, vcc_lo, s13, v9, vcc_lo
	global_load_b128 v[24:27], v[8:9], off
.LBB285_60:                             ;   in Loop: Header=BB285_24 Depth=2
	s_and_not1_saveexec_b32 s18, s18
	s_cbranch_execz .LBB285_62
; %bb.61:                               ;   in Loop: Header=BB285_24 Depth=2
	v_add_nc_u32_e32 v8, s33, v104
	s_waitcnt vmcnt(0)
	ds_load_b128 v[24:27], v8 offset:512
.LBB285_62:                             ;   in Loop: Header=BB285_24 Depth=2
	s_or_b32 exec_lo, exec_lo, s18
	v_add_nc_u32_e32 v69, 0x100, v82
	s_mov_b32 s18, exec_lo
                                        ; implicit-def: $vgpr11
	s_delay_alu instid0(VALU_DEP_1)
	v_cmpx_lt_u32_e32 0x7fff, v69
	s_xor_b32 s18, exec_lo, s18
	s_cbranch_execz .LBB285_64
; %bb.63:                               ;   in Loop: Header=BB285_24 Depth=2
	v_lshlrev_b64 v[8:9], 1, v[69:70]
	s_delay_alu instid0(VALU_DEP_1) | instskip(NEXT) | instid1(VALU_DEP_2)
	v_add_co_u32 v8, vcc_lo, s12, v8
	v_add_co_ci_u32_e32 v9, vcc_lo, s13, v9, vcc_lo
	global_load_b128 v[8:11], v[8:9], off
.LBB285_64:                             ;   in Loop: Header=BB285_24 Depth=2
	s_and_not1_saveexec_b32 s18, s18
	s_cbranch_execz .LBB285_21
; %bb.65:                               ;   in Loop: Header=BB285_24 Depth=2
	s_waitcnt vmcnt(0)
	v_add_nc_u32_e32 v8, s6, v104
	ds_load_2addr_b64 v[8:11], v8 offset0:64 offset1:65
	s_branch .LBB285_21
.LBB285_66:                             ;   in Loop: Header=BB285_19 Depth=1
	s_delay_alu instid0(VALU_DEP_1)
	v_cvt_i32_f32_e32 v0, v107
	s_waitcnt lgkmcnt(0)
	v_cvt_i32_f32_e32 v1, v109
	v_cvt_i32_f32_e32 v2, v108
	;; [unrolled: 1-line block ×4, first 2 shown]
	v_cvt_f32_i32_dpp v0, v0 row_shr:8 row_mask:0xf bank_mask:0xf bound_ctrl:1
	v_cvt_f32_i32_dpp v1, v1 row_shr:8 row_mask:0xf bank_mask:0xf bound_ctrl:1
	;; [unrolled: 1-line block ×5, first 2 shown]
	s_delay_alu instid0(VALU_DEP_4) | instskip(NEXT) | instid1(VALU_DEP_3)
	v_dual_add_f32 v0, v107, v0 :: v_dual_add_f32 v1, v109, v1
	v_dual_add_f32 v2, v108, v2 :: v_dual_add_f32 v3, v106, v3
	s_delay_alu instid0(VALU_DEP_2) | instskip(NEXT) | instid1(VALU_DEP_3)
	v_cvt_i32_f32_e32 v5, v0
	v_cvt_i32_f32_e32 v6, v1
	s_delay_alu instid0(VALU_DEP_3) | instskip(NEXT) | instid1(VALU_DEP_4)
	v_cvt_i32_f32_e32 v7, v2
	v_cvt_i32_f32_e32 v8, v3
	s_delay_alu instid0(VALU_DEP_4) | instskip(NEXT) | instid1(VALU_DEP_4)
	v_cvt_f32_i32_dpp v5, v5 row_shr:4 row_mask:0xf bank_mask:0xf bound_ctrl:1
	v_cvt_f32_i32_dpp v6, v6 row_shr:4 row_mask:0xf bank_mask:0xf bound_ctrl:1
	s_delay_alu instid0(VALU_DEP_4) | instskip(NEXT) | instid1(VALU_DEP_4)
	v_cvt_f32_i32_dpp v7, v7 row_shr:4 row_mask:0xf bank_mask:0xf bound_ctrl:1
	v_cvt_f32_i32_dpp v8, v8 row_shr:4 row_mask:0xf bank_mask:0xf bound_ctrl:1
	s_delay_alu instid0(VALU_DEP_3) | instskip(NEXT) | instid1(VALU_DEP_2)
	v_dual_add_f32 v0, v0, v5 :: v_dual_add_f32 v1, v1, v6
	v_dual_add_f32 v2, v2, v7 :: v_dual_add_f32 v3, v3, v8
	s_delay_alu instid0(VALU_DEP_2) | instskip(NEXT) | instid1(VALU_DEP_3)
	v_cvt_i32_f32_e32 v5, v0
	v_cvt_i32_f32_e32 v6, v1
	s_delay_alu instid0(VALU_DEP_3) | instskip(NEXT) | instid1(VALU_DEP_4)
	v_cvt_i32_f32_e32 v7, v2
	v_cvt_i32_f32_e32 v8, v3
	s_delay_alu instid0(VALU_DEP_4) | instskip(NEXT) | instid1(VALU_DEP_4)
	v_cvt_f32_i32_dpp v5, v5 row_shr:2 row_mask:0xf bank_mask:0xf bound_ctrl:1
	v_cvt_f32_i32_dpp v6, v6 row_shr:2 row_mask:0xf bank_mask:0xf bound_ctrl:1
	s_delay_alu instid0(VALU_DEP_4) | instskip(NEXT) | instid1(VALU_DEP_4)
	v_cvt_f32_i32_dpp v7, v7 row_shr:2 row_mask:0xf bank_mask:0xf bound_ctrl:1
	v_cvt_f32_i32_dpp v8, v8 row_shr:2 row_mask:0xf bank_mask:0xf bound_ctrl:1
	s_delay_alu instid0(VALU_DEP_3) | instskip(NEXT) | instid1(VALU_DEP_2)
	v_dual_add_f32 v0, v0, v5 :: v_dual_add_f32 v1, v1, v6
	v_add_f32_e32 v3, v3, v8
	s_delay_alu instid0(VALU_DEP_2) | instskip(NEXT) | instid1(VALU_DEP_3)
	v_cvt_i32_f32_e32 v5, v0
	v_cvt_i32_f32_e32 v6, v1
	s_delay_alu instid0(VALU_DEP_3) | instskip(NEXT) | instid1(VALU_DEP_3)
	v_cvt_i32_f32_e32 v8, v3
	v_cvt_f32_i32_dpp v5, v5 row_shr:1 row_mask:0xf bank_mask:0xf bound_ctrl:1
	s_delay_alu instid0(VALU_DEP_3) | instskip(SKIP_1) | instid1(VALU_DEP_4)
	v_cvt_f32_i32_dpp v6, v6 row_shr:1 row_mask:0xf bank_mask:0xf bound_ctrl:1
	v_add_f32_e32 v2, v2, v7
	v_cvt_f32_i32_dpp v8, v8 row_shr:1 row_mask:0xf bank_mask:0xf bound_ctrl:1
	s_delay_alu instid0(VALU_DEP_4)
	v_add_f32_e32 v34, v0, v5
	v_cvt_i32_f32_e32 v0, v98
	v_add_f32_e32 v31, v1, v6
	v_cvt_i32_f32_e32 v7, v2
	v_cvt_i32_f32_e32 v1, v101
	v_add_f32_e32 v25, v3, v8
	v_cvt_f32_i32_dpp v0, v0 row_shr:8 row_mask:0xf bank_mask:0xf bound_ctrl:1
	v_cvt_i32_f32_e32 v3, v97
	v_cvt_f32_i32_dpp v7, v7 row_shr:1 row_mask:0xf bank_mask:0xf bound_ctrl:1
	v_cvt_f32_i32_dpp v1, v1 row_shr:8 row_mask:0xf bank_mask:0xf bound_ctrl:1
	ds_bpermute_b32 v32, v90, v31
	v_add_f32_e32 v0, v98, v0
	v_cvt_f32_i32_dpp v3, v3 row_shr:8 row_mask:0xf bank_mask:0xf bound_ctrl:1
	ds_bpermute_b32 v26, v90, v25
	v_dual_add_f32 v28, v2, v7 :: v_dual_add_f32 v1, v101, v1
	v_cvt_i32_f32_e32 v5, v0
	v_cvt_i32_f32_e32 v2, v100
	v_add_f32_e32 v3, v97, v3
	ds_bpermute_b32 v35, v90, v34
	v_cvt_i32_f32_e32 v6, v1
	v_cvt_f32_i32_dpp v5, v5 row_shr:4 row_mask:0xf bank_mask:0xf bound_ctrl:1
	v_cvt_f32_i32_dpp v2, v2 row_shr:8 row_mask:0xf bank_mask:0xf bound_ctrl:1
	v_cvt_i32_f32_e32 v8, v3
	ds_bpermute_b32 v29, v90, v28
	v_cvt_f32_i32_dpp v6, v6 row_shr:4 row_mask:0xf bank_mask:0xf bound_ctrl:1
	v_add_f32_e32 v0, v0, v5
	v_cvt_f32_i32_dpp v8, v8 row_shr:4 row_mask:0xf bank_mask:0xf bound_ctrl:1
	v_add_f32_e32 v2, v100, v2
	s_delay_alu instid0(VALU_DEP_4) | instskip(NEXT) | instid1(VALU_DEP_4)
	v_add_f32_e32 v1, v1, v6
	v_cvt_i32_f32_e32 v5, v0
	s_delay_alu instid0(VALU_DEP_4) | instskip(NEXT) | instid1(VALU_DEP_4)
	v_add_f32_e32 v3, v3, v8
	v_cvt_i32_f32_e32 v7, v2
	s_delay_alu instid0(VALU_DEP_4) | instskip(NEXT) | instid1(VALU_DEP_4)
	v_cvt_i32_f32_e32 v6, v1
	v_cvt_f32_i32_dpp v5, v5 row_shr:2 row_mask:0xf bank_mask:0xf bound_ctrl:1
	s_delay_alu instid0(VALU_DEP_4) | instskip(NEXT) | instid1(VALU_DEP_4)
	v_cvt_i32_f32_e32 v8, v3
	v_cvt_f32_i32_dpp v7, v7 row_shr:4 row_mask:0xf bank_mask:0xf bound_ctrl:1
	s_delay_alu instid0(VALU_DEP_4) | instskip(NEXT) | instid1(VALU_DEP_4)
	v_cvt_f32_i32_dpp v6, v6 row_shr:2 row_mask:0xf bank_mask:0xf bound_ctrl:1
	v_add_f32_e32 v0, v0, v5
	s_delay_alu instid0(VALU_DEP_4) | instskip(NEXT) | instid1(VALU_DEP_3)
	v_cvt_f32_i32_dpp v8, v8 row_shr:2 row_mask:0xf bank_mask:0xf bound_ctrl:1
	v_add_f32_e32 v1, v1, v6
	s_delay_alu instid0(VALU_DEP_3) | instskip(NEXT) | instid1(VALU_DEP_3)
	v_cvt_i32_f32_e32 v5, v0
	v_add_f32_e32 v3, v3, v8
	s_delay_alu instid0(VALU_DEP_3) | instskip(NEXT) | instid1(VALU_DEP_3)
	v_cvt_i32_f32_e32 v6, v1
	v_cvt_f32_i32_dpp v5, v5 row_shr:1 row_mask:0xf bank_mask:0xf bound_ctrl:1
	v_add_f32_e32 v4, v105, v4
	s_delay_alu instid0(VALU_DEP_4) | instskip(NEXT) | instid1(VALU_DEP_4)
	v_cvt_i32_f32_e32 v8, v3
	v_cvt_f32_i32_dpp v6, v6 row_shr:1 row_mask:0xf bank_mask:0xf bound_ctrl:1
	s_delay_alu instid0(VALU_DEP_4) | instskip(NEXT) | instid1(VALU_DEP_4)
	v_add_f32_e32 v23, v0, v5
	v_cvt_i32_f32_e32 v9, v4
	s_delay_alu instid0(VALU_DEP_4)
	v_cvt_f32_i32_dpp v8, v8 row_shr:1 row_mask:0xf bank_mask:0xf bound_ctrl:1
	v_cvt_i32_f32_e32 v0, v103
	v_add_f32_e32 v18, v1, v6
	v_cvt_i32_f32_e32 v1, v102
	v_cvt_f32_i32_dpp v9, v9 row_shr:4 row_mask:0xf bank_mask:0xf bound_ctrl:1
	v_add_f32_e32 v12, v3, v8
	v_cvt_i32_f32_e32 v3, v95
	v_cvt_f32_i32_dpp v0, v0 row_shr:8 row_mask:0xf bank_mask:0xf bound_ctrl:1
	ds_bpermute_b32 v24, v90, v23
	v_add_f32_e32 v4, v4, v9
	v_cvt_f32_i32_dpp v1, v1 row_shr:8 row_mask:0xf bank_mask:0xf bound_ctrl:1
	v_cvt_f32_i32_dpp v3, v3 row_shr:8 row_mask:0xf bank_mask:0xf bound_ctrl:1
	v_add_f32_e32 v0, v103, v0
	s_delay_alu instid0(VALU_DEP_4) | instskip(NEXT) | instid1(VALU_DEP_4)
	v_cvt_i32_f32_e32 v9, v4
	v_add_f32_e32 v1, v102, v1
	ds_bpermute_b32 v19, v90, v18
	v_cvt_i32_f32_e32 v5, v0
	v_add_f32_e32 v3, v95, v3
	v_cvt_f32_i32_dpp v9, v9 row_shr:2 row_mask:0xf bank_mask:0xf bound_ctrl:1
	v_cvt_i32_f32_e32 v6, v1
	s_delay_alu instid0(VALU_DEP_4) | instskip(NEXT) | instid1(VALU_DEP_4)
	v_cvt_f32_i32_dpp v5, v5 row_shr:4 row_mask:0xf bank_mask:0xf bound_ctrl:1
	v_cvt_i32_f32_e32 v10, v3
	s_delay_alu instid0(VALU_DEP_4) | instskip(NEXT) | instid1(VALU_DEP_4)
	v_add_f32_e32 v4, v4, v9
	v_cvt_f32_i32_dpp v6, v6 row_shr:4 row_mask:0xf bank_mask:0xf bound_ctrl:1
	v_add_f32_e32 v2, v2, v7
	v_add_f32_e32 v0, v0, v5
	v_cvt_f32_i32_dpp v10, v10 row_shr:4 row_mask:0xf bank_mask:0xf bound_ctrl:1
	v_cvt_i32_f32_e32 v9, v4
	v_add_f32_e32 v1, v1, v6
	v_cvt_i32_f32_e32 v7, v2
	v_cvt_i32_f32_e32 v5, v0
	v_add_f32_e32 v3, v3, v10
	v_cvt_f32_i32_dpp v9, v9 row_shr:1 row_mask:0xf bank_mask:0xf bound_ctrl:1
	v_cvt_i32_f32_e32 v6, v1
	v_cvt_f32_i32_dpp v7, v7 row_shr:2 row_mask:0xf bank_mask:0xf bound_ctrl:1
	v_cvt_f32_i32_dpp v5, v5 row_shr:2 row_mask:0xf bank_mask:0xf bound_ctrl:1
	v_cvt_i32_f32_e32 v10, v3
	v_add_f32_e32 v20, v4, v9
	v_cvt_i32_f32_e32 v4, v99
	v_cvt_f32_i32_dpp v6, v6 row_shr:2 row_mask:0xf bank_mask:0xf bound_ctrl:1
	v_add_f32_e32 v2, v2, v7
	v_add_f32_e32 v0, v0, v5
	ds_bpermute_b32 v21, v90, v20
	v_cvt_f32_i32_dpp v4, v4 row_shr:8 row_mask:0xf bank_mask:0xf bound_ctrl:1
	v_add_f32_e32 v1, v1, v6
	v_cvt_i32_f32_e32 v7, v2
	v_cvt_f32_i32_dpp v10, v10 row_shr:2 row_mask:0xf bank_mask:0xf bound_ctrl:1
	s_delay_alu instid0(VALU_DEP_3) | instskip(NEXT) | instid1(VALU_DEP_3)
	v_cvt_i32_f32_e32 v6, v1
	v_cvt_f32_i32_dpp v7, v7 row_shr:1 row_mask:0xf bank_mask:0xf bound_ctrl:1
	v_add_f32_e32 v4, v99, v4
	s_delay_alu instid0(VALU_DEP_4) | instskip(NEXT) | instid1(VALU_DEP_4)
	v_add_f32_e32 v3, v3, v10
	v_cvt_f32_i32_dpp v6, v6 row_shr:1 row_mask:0xf bank_mask:0xf bound_ctrl:1
	s_delay_alu instid0(VALU_DEP_4) | instskip(NEXT) | instid1(VALU_DEP_4)
	v_add_f32_e32 v15, v2, v7
	v_cvt_i32_f32_e32 v9, v4
	v_cvt_i32_f32_e32 v2, v96
	;; [unrolled: 1-line block ×3, first 2 shown]
	v_add_f32_e32 v6, v1, v6
	ds_bpermute_b32 v16, v90, v15
	v_cvt_f32_i32_dpp v9, v9 row_shr:4 row_mask:0xf bank_mask:0xf bound_ctrl:1
	v_cvt_f32_i32_dpp v2, v2 row_shr:8 row_mask:0xf bank_mask:0xf bound_ctrl:1
	s_waitcnt vmcnt(0)
	v_cvt_f32_i32_dpp v14, v10 row_shr:1 row_mask:0xf bank_mask:0xf bound_ctrl:1
	s_delay_alu instid0(VALU_DEP_3) | instskip(NEXT) | instid1(VALU_DEP_3)
	v_add_f32_e32 v4, v4, v9
	v_add_f32_e32 v2, v96, v2
	s_delay_alu instid0(VALU_DEP_2) | instskip(NEXT) | instid1(VALU_DEP_2)
	v_cvt_i32_f32_e32 v9, v4
	v_cvt_i32_f32_e32 v7, v2
	s_delay_alu instid0(VALU_DEP_2) | instskip(NEXT) | instid1(VALU_DEP_2)
	v_cvt_f32_i32_dpp v9, v9 row_shr:2 row_mask:0xf bank_mask:0xf bound_ctrl:1
	v_cvt_f32_i32_dpp v7, v7 row_shr:4 row_mask:0xf bank_mask:0xf bound_ctrl:1
	s_delay_alu instid0(VALU_DEP_2) | instskip(NEXT) | instid1(VALU_DEP_2)
	v_add_f32_e32 v4, v4, v9
	v_add_f32_e32 v2, v2, v7
	s_delay_alu instid0(VALU_DEP_2) | instskip(NEXT) | instid1(VALU_DEP_2)
	v_cvt_i32_f32_e32 v9, v4
	v_cvt_i32_f32_e32 v7, v2
	s_delay_alu instid0(VALU_DEP_2) | instskip(NEXT) | instid1(VALU_DEP_2)
	v_cvt_f32_i32_dpp v9, v9 row_shr:1 row_mask:0xf bank_mask:0xf bound_ctrl:1
	v_cvt_f32_i32_dpp v7, v7 row_shr:2 row_mask:0xf bank_mask:0xf bound_ctrl:1
	s_delay_alu instid0(VALU_DEP_2) | instskip(SKIP_1) | instid1(VALU_DEP_3)
	v_add_f32_e32 v8, v4, v9
	v_cvt_i32_f32_e32 v4, v94
	v_add_f32_e32 v2, v2, v7
	ds_bpermute_b32 v9, v90, v8
	v_cvt_f32_i32_dpp v4, v4 row_shr:8 row_mask:0xf bank_mask:0xf bound_ctrl:1
	v_cvt_i32_f32_e32 v7, v2
	s_delay_alu instid0(VALU_DEP_2) | instskip(NEXT) | instid1(VALU_DEP_2)
	v_add_f32_e32 v4, v94, v4
	v_cvt_f32_i32_dpp v7, v7 row_shr:1 row_mask:0xf bank_mask:0xf bound_ctrl:1
	s_delay_alu instid0(VALU_DEP_2) | instskip(NEXT) | instid1(VALU_DEP_1)
	v_cvt_i32_f32_e32 v11, v4
	v_cvt_f32_i32_dpp v11, v11 row_shr:4 row_mask:0xf bank_mask:0xf bound_ctrl:1
	s_delay_alu instid0(VALU_DEP_1) | instskip(NEXT) | instid1(VALU_DEP_1)
	v_add_f32_e32 v4, v4, v11
	v_cvt_i32_f32_e32 v11, v4
	s_delay_alu instid0(VALU_DEP_1) | instskip(NEXT) | instid1(VALU_DEP_1)
	v_cvt_f32_i32_dpp v11, v11 row_shr:2 row_mask:0xf bank_mask:0xf bound_ctrl:1
	v_add_f32_e32 v5, v4, v11
	v_cvt_i32_f32_e32 v4, v0
	ds_bpermute_b32 v13, v90, v12
	v_cvt_i32_f32_e32 v11, v5
	v_cvt_f32_i32_dpp v4, v4 row_shr:1 row_mask:0xf bank_mask:0xf bound_ctrl:1
	s_delay_alu instid0(VALU_DEP_2) | instskip(NEXT) | instid1(VALU_DEP_2)
	v_cvt_f32_i32_dpp v11, v11 row_shr:1 row_mask:0xf bank_mask:0xf bound_ctrl:1
	v_add_f32_e32 v10, v0, v4
	v_add_f32_e32 v4, v2, v7
	;; [unrolled: 1-line block ×3, first 2 shown]
	ds_bpermute_b32 v7, v90, v6
	v_add_f32_e32 v0, v5, v11
	ds_bpermute_b32 v11, v90, v10
	ds_bpermute_b32 v5, v90, v4
	;; [unrolled: 1-line block ×4, first 2 shown]
	s_and_saveexec_b32 s18, s0
	s_cbranch_execz .LBB285_159
; %bb.67:                               ;   in Loop: Header=BB285_19 Depth=1
	v_dual_mov_b32 v44, 0 :: v_dual_mov_b32 v43, 0
	v_dual_mov_b32 v42, 0 :: v_dual_mov_b32 v41, 0
	;; [unrolled: 1-line block ×7, first 2 shown]
	v_mov_b32_e32 v14, 0
	s_and_not1_b32 vcc_lo, exec_lo, s23
	s_cbranch_vccnz .LBB285_69
; %bb.68:                               ;   in Loop: Header=BB285_19 Depth=1
	v_mul_hi_u32 v14, v68, v92
	v_mul_hi_u32 v17, v73, v92
	;; [unrolled: 1-line block ×3, first 2 shown]
	v_mov_b32_e32 v61, v70
	s_delay_alu instid0(VALU_DEP_4) | instskip(NEXT) | instid1(VALU_DEP_4)
	v_mul_lo_u32 v14, v14, s14
	v_mul_lo_u32 v17, v17, s14
	s_delay_alu instid0(VALU_DEP_4) | instskip(NEXT) | instid1(VALU_DEP_3)
	v_mul_lo_u32 v22, v22, s14
	v_sub_nc_u32_e32 v14, v68, v14
	s_delay_alu instid0(VALU_DEP_3) | instskip(NEXT) | instid1(VALU_DEP_3)
	v_sub_nc_u32_e32 v17, v73, v17
	v_sub_nc_u32_e32 v22, v72, v22
	s_delay_alu instid0(VALU_DEP_3) | instskip(SKIP_1) | instid1(VALU_DEP_4)
	v_subrev_nc_u32_e32 v27, s14, v14
	v_cmp_le_u32_e32 vcc_lo, s14, v14
	v_subrev_nc_u32_e32 v30, s14, v17
	s_delay_alu instid0(VALU_DEP_4) | instskip(NEXT) | instid1(VALU_DEP_4)
	v_subrev_nc_u32_e32 v33, s14, v22
	v_cndmask_b32_e32 v14, v14, v27, vcc_lo
	v_cmp_le_u32_e32 vcc_lo, s14, v17
	v_mov_b32_e32 v38, v70
	s_delay_alu instid0(VALU_DEP_3) | instskip(SKIP_2) | instid1(VALU_DEP_2)
	v_subrev_nc_u32_e32 v27, s14, v14
	v_cndmask_b32_e32 v17, v17, v30, vcc_lo
	v_cmp_le_u32_e32 vcc_lo, s14, v22
	v_subrev_nc_u32_e32 v30, s14, v17
	v_cndmask_b32_e32 v22, v22, v33, vcc_lo
	v_cmp_le_u32_e32 vcc_lo, s14, v14
	s_delay_alu instid0(VALU_DEP_2) | instskip(SKIP_2) | instid1(VALU_DEP_2)
	v_subrev_nc_u32_e32 v33, s14, v22
	v_cndmask_b32_e32 v69, v14, v27, vcc_lo
	v_cmp_le_u32_e32 vcc_lo, s14, v17
	v_dual_mov_b32 v46, v70 :: v_dual_add_nc_u32 v39, s27, v69
	v_cndmask_b32_e32 v37, v17, v30, vcc_lo
	v_cmp_le_u32_e32 vcc_lo, s14, v22
	v_lshlrev_b64 v[43:44], 1, v[69:70]
	v_mov_b32_e32 v40, v70
	v_mov_b32_e32 v53, v70
	v_lshlrev_b64 v[47:48], 1, v[37:38]
	v_cndmask_b32_e32 v45, v22, v33, vcc_lo
	v_add_nc_u32_e32 v41, s27, v37
	v_add_co_u32 v43, vcc_lo, s8, v43
	v_add_co_ci_u32_e32 v44, vcc_lo, s9, v44, vcc_lo
	s_delay_alu instid0(VALU_DEP_4) | instskip(SKIP_3) | instid1(VALU_DEP_4)
	v_lshlrev_b64 v[49:50], 1, v[45:46]
	v_add_co_u32 v46, vcc_lo, s8, v47
	v_add_co_ci_u32_e32 v47, vcc_lo, s9, v48, vcc_lo
	v_lshlrev_b64 v[38:39], 1, v[39:40]
	v_add_co_u32 v48, vcc_lo, s8, v49
	v_add_co_ci_u32_e32 v49, vcc_lo, s9, v50, vcc_lo
	v_add_nc_u32_e32 v50, s27, v45
	v_mov_b32_e32 v42, v70
	v_dual_mov_b32 v51, v70 :: v_dual_add_nc_u32 v52, s28, v69
	v_add_nc_u32_e32 v60, s30, v69
	v_add_nc_u32_e32 v69, s31, v69
	s_delay_alu instid0(VALU_DEP_4) | instskip(SKIP_3) | instid1(VALU_DEP_4)
	v_lshlrev_b64 v[40:41], 1, v[41:42]
	v_add_co_u32 v38, vcc_lo, s8, v38
	v_add_co_ci_u32_e32 v39, vcc_lo, s9, v39, vcc_lo
	v_lshlrev_b64 v[50:51], 1, v[50:51]
	v_add_co_u32 v54, vcc_lo, s8, v40
	v_add_co_ci_u32_e32 v55, vcc_lo, s9, v41, vcc_lo
	v_lshlrev_b64 v[40:41], 1, v[52:53]
	v_add_nc_u32_e32 v52, s28, v37
	v_add_co_u32 v50, vcc_lo, s8, v50
	v_add_co_ci_u32_e32 v51, vcc_lo, s9, v51, vcc_lo
	s_delay_alu instid0(VALU_DEP_3) | instskip(SKIP_3) | instid1(VALU_DEP_4)
	v_lshlrev_b64 v[52:53], 1, v[52:53]
	v_add_co_u32 v56, vcc_lo, s8, v40
	v_add_co_ci_u32_e32 v57, vcc_lo, s9, v41, vcc_lo
	v_dual_mov_b32 v41, v70 :: v_dual_add_nc_u32 v40, s28, v45
	v_add_co_u32 v52, vcc_lo, s8, v52
	v_add_co_ci_u32_e32 v53, vcc_lo, s9, v53, vcc_lo
	s_delay_alu instid0(VALU_DEP_3)
	v_lshlrev_b64 v[58:59], 1, v[40:41]
	s_clause 0x7
	global_load_u16 v44, v[43:44], off
	global_load_u16 v43, v[46:47], off
	;; [unrolled: 1-line block ×8, first 2 shown]
	v_dual_mov_b32 v49, v70 :: v_dual_add_nc_u32 v48, s30, v37
	v_lshlrev_b64 v[46:47], 1, v[60:61]
	v_dual_mov_b32 v53, v70 :: v_dual_add_nc_u32 v52, s30, v45
	v_add_co_u32 v50, vcc_lo, s8, v58
	s_delay_alu instid0(VALU_DEP_4)
	v_lshlrev_b64 v[48:49], 1, v[48:49]
	v_add_co_ci_u32_e32 v51, vcc_lo, s9, v59, vcc_lo
	v_lshlrev_b64 v[54:55], 1, v[69:70]
	v_add_nc_u32_e32 v69, s31, v37
	v_add_co_u32 v46, vcc_lo, s8, v46
	v_lshlrev_b64 v[52:53], 1, v[52:53]
	v_add_co_ci_u32_e32 v47, vcc_lo, s9, v47, vcc_lo
	v_add_co_u32 v48, vcc_lo, s8, v48
	v_lshlrev_b64 v[56:57], 1, v[69:70]
	v_add_nc_u32_e32 v69, s31, v45
	v_add_co_ci_u32_e32 v49, vcc_lo, s9, v49, vcc_lo
	v_add_co_u32 v52, vcc_lo, s8, v52
	v_add_co_ci_u32_e32 v53, vcc_lo, s9, v53, vcc_lo
	v_add_co_u32 v54, vcc_lo, s8, v54
	v_lshlrev_b64 v[58:59], 1, v[69:70]
	v_add_co_ci_u32_e32 v55, vcc_lo, s9, v55, vcc_lo
	v_add_co_u32 v56, vcc_lo, s8, v56
	v_add_co_ci_u32_e32 v57, vcc_lo, s9, v57, vcc_lo
	s_delay_alu instid0(VALU_DEP_4)
	v_add_co_u32 v58, vcc_lo, s8, v58
	v_add_co_ci_u32_e32 v59, vcc_lo, s9, v59, vcc_lo
	s_clause 0x6
	global_load_u16 v37, v[50:51], off
	global_load_u16 v33, v[46:47], off
	;; [unrolled: 1-line block ×7, first 2 shown]
.LBB285_69:                             ;   in Loop: Header=BB285_19 Depth=1
	v_cmp_ne_u32_e32 vcc_lo, 0, v64
	s_and_saveexec_b32 s2, vcc_lo
	s_cbranch_execnz .LBB285_84
; %bb.70:                               ;   in Loop: Header=BB285_19 Depth=1
	s_or_b32 exec_lo, exec_lo, s2
	v_cmp_ne_u32_e64 s1, 0, v65
	s_delay_alu instid0(VALU_DEP_1)
	s_and_saveexec_b32 s3, s1
	s_cbranch_execnz .LBB285_89
.LBB285_71:                             ;   in Loop: Header=BB285_19 Depth=1
	s_or_b32 exec_lo, exec_lo, s3
	v_cmp_ne_u32_e64 s2, 0, v66
	s_delay_alu instid0(VALU_DEP_1)
	s_and_saveexec_b32 s19, s2
	s_cbranch_execnz .LBB285_94
.LBB285_72:                             ;   in Loop: Header=BB285_19 Depth=1
	s_or_b32 exec_lo, exec_lo, s19
	v_add_nc_u32_e32 v69, s7, v68
	s_and_saveexec_b32 s19, vcc_lo
	s_cbranch_execnz .LBB285_99
.LBB285_73:                             ;   in Loop: Header=BB285_19 Depth=1
	s_or_b32 exec_lo, exec_lo, s19
	s_and_saveexec_b32 s19, s1
	s_cbranch_execnz .LBB285_104
.LBB285_74:                             ;   in Loop: Header=BB285_19 Depth=1
	s_or_b32 exec_lo, exec_lo, s19
	s_and_saveexec_b32 s19, s2
	s_cbranch_execnz .LBB285_109
.LBB285_75:                             ;   in Loop: Header=BB285_19 Depth=1
	s_or_b32 exec_lo, exec_lo, s19
	v_add_nc_u32_e32 v69, s7, v69
	s_and_saveexec_b32 s19, vcc_lo
	s_cbranch_execnz .LBB285_114
.LBB285_76:                             ;   in Loop: Header=BB285_19 Depth=1
	s_or_b32 exec_lo, exec_lo, s19
	s_and_saveexec_b32 s19, s1
	s_cbranch_execnz .LBB285_119
.LBB285_77:                             ;   in Loop: Header=BB285_19 Depth=1
	s_or_b32 exec_lo, exec_lo, s19
	s_and_saveexec_b32 s19, s2
	s_cbranch_execnz .LBB285_124
.LBB285_78:                             ;   in Loop: Header=BB285_19 Depth=1
	s_or_b32 exec_lo, exec_lo, s19
	v_add_nc_u32_e32 v69, s7, v69
	s_and_saveexec_b32 s19, vcc_lo
	s_cbranch_execnz .LBB285_129
.LBB285_79:                             ;   in Loop: Header=BB285_19 Depth=1
	s_or_b32 exec_lo, exec_lo, s19
	s_and_saveexec_b32 s19, s1
	s_cbranch_execnz .LBB285_134
.LBB285_80:                             ;   in Loop: Header=BB285_19 Depth=1
	s_or_b32 exec_lo, exec_lo, s19
	s_and_saveexec_b32 s19, s2
	s_cbranch_execnz .LBB285_139
.LBB285_81:                             ;   in Loop: Header=BB285_19 Depth=1
	s_or_b32 exec_lo, exec_lo, s19
	v_add_nc_u32_e32 v69, s7, v69
	s_and_saveexec_b32 s3, vcc_lo
	s_cbranch_execnz .LBB285_144
.LBB285_82:                             ;   in Loop: Header=BB285_19 Depth=1
	s_or_b32 exec_lo, exec_lo, s3
	s_and_saveexec_b32 s3, s1
	s_cbranch_execnz .LBB285_149
.LBB285_83:                             ;   in Loop: Header=BB285_19 Depth=1
	s_or_b32 exec_lo, exec_lo, s3
	s_delay_alu instid0(SALU_CYCLE_1)
	s_and_b32 exec_lo, exec_lo, s2
	s_cbranch_execnz .LBB285_154
	s_branch .LBB285_159
.LBB285_84:                             ;   in Loop: Header=BB285_19 Depth=1
	s_waitcnt vmcnt(14) lgkmcnt(12)
	v_dual_add_f32 v34, v34, v35 :: v_dual_lshlrev_b32 v35, 16, v44
	s_delay_alu instid0(VALU_DEP_1) | instskip(NEXT) | instid1(VALU_DEP_1)
	v_add_f32_e32 v35, v34, v35
	v_and_b32_e32 v34, 0x7f800000, v35
	s_delay_alu instid0(VALU_DEP_1) | instskip(NEXT) | instid1(VALU_DEP_1)
	v_cmp_ne_u32_e64 s1, 0x7f800000, v34
                                        ; implicit-def: $vgpr34
	s_and_saveexec_b32 s3, s1
	s_delay_alu instid0(SALU_CYCLE_1)
	s_xor_b32 s1, exec_lo, s3
; %bb.85:                               ;   in Loop: Header=BB285_19 Depth=1
	v_bfe_u32 v34, v35, 16, 1
	s_delay_alu instid0(VALU_DEP_1)
	v_add3_u32 v34, v35, v34, 0x7fff
                                        ; implicit-def: $vgpr35
; %bb.86:                               ;   in Loop: Header=BB285_19 Depth=1
	s_and_not1_saveexec_b32 s3, s1
; %bb.87:                               ;   in Loop: Header=BB285_19 Depth=1
	v_and_b32_e32 v34, 0xffff, v35
	v_or_b32_e32 v44, 0x10000, v35
	s_delay_alu instid0(VALU_DEP_2) | instskip(NEXT) | instid1(VALU_DEP_1)
	v_cmp_eq_u32_e64 s1, 0, v34
	v_cndmask_b32_e64 v34, v44, v35, s1
; %bb.88:                               ;   in Loop: Header=BB285_19 Depth=1
	s_or_b32 exec_lo, exec_lo, s3
	v_mov_b32_e32 v69, v70
	s_delay_alu instid0(VALU_DEP_1) | instskip(NEXT) | instid1(VALU_DEP_1)
	v_lshlrev_b64 v[44:45], 1, v[68:69]
	v_add_co_u32 v44, s1, s10, v44
	s_delay_alu instid0(VALU_DEP_1) | instskip(SKIP_3) | instid1(VALU_DEP_1)
	v_add_co_ci_u32_e64 v45, s1, s11, v45, s1
	global_store_d16_hi_b16 v[44:45], v34, off
	s_or_b32 exec_lo, exec_lo, s2
	v_cmp_ne_u32_e64 s1, 0, v65
	s_and_saveexec_b32 s3, s1
	s_cbranch_execz .LBB285_71
.LBB285_89:                             ;   in Loop: Header=BB285_19 Depth=1
	s_waitcnt vmcnt(13) lgkmcnt(14)
	v_dual_add_f32 v31, v31, v32 :: v_dual_lshlrev_b32 v32, 16, v43
	s_delay_alu instid0(VALU_DEP_1) | instskip(NEXT) | instid1(VALU_DEP_1)
	v_add_f32_e32 v32, v31, v32
	v_and_b32_e32 v31, 0x7f800000, v32
	s_delay_alu instid0(VALU_DEP_1) | instskip(NEXT) | instid1(VALU_DEP_1)
	v_cmp_ne_u32_e64 s2, 0x7f800000, v31
                                        ; implicit-def: $vgpr31
	s_and_saveexec_b32 s19, s2
	s_delay_alu instid0(SALU_CYCLE_1)
	s_xor_b32 s2, exec_lo, s19
; %bb.90:                               ;   in Loop: Header=BB285_19 Depth=1
	v_bfe_u32 v31, v32, 16, 1
	s_delay_alu instid0(VALU_DEP_1)
	v_add3_u32 v31, v32, v31, 0x7fff
                                        ; implicit-def: $vgpr32
; %bb.91:                               ;   in Loop: Header=BB285_19 Depth=1
	s_and_not1_saveexec_b32 s19, s2
; %bb.92:                               ;   in Loop: Header=BB285_19 Depth=1
	v_and_b32_e32 v31, 0xffff, v32
	v_or_b32_e32 v34, 0x10000, v32
	s_delay_alu instid0(VALU_DEP_2) | instskip(NEXT) | instid1(VALU_DEP_1)
	v_cmp_eq_u32_e64 s2, 0, v31
	v_cndmask_b32_e64 v31, v34, v32, s2
; %bb.93:                               ;   in Loop: Header=BB285_19 Depth=1
	s_or_b32 exec_lo, exec_lo, s19
	v_mov_b32_e32 v74, v70
	s_waitcnt lgkmcnt(12)
	s_delay_alu instid0(VALU_DEP_1) | instskip(NEXT) | instid1(VALU_DEP_1)
	v_lshlrev_b64 v[34:35], 1, v[73:74]
	v_add_co_u32 v34, s2, s10, v34
	s_delay_alu instid0(VALU_DEP_1) | instskip(SKIP_3) | instid1(VALU_DEP_1)
	v_add_co_ci_u32_e64 v35, s2, s11, v35, s2
	global_store_d16_hi_b16 v[34:35], v31, off
	s_or_b32 exec_lo, exec_lo, s3
	v_cmp_ne_u32_e64 s2, 0, v66
	s_and_saveexec_b32 s19, s2
	s_cbranch_execz .LBB285_72
.LBB285_94:                             ;   in Loop: Header=BB285_19 Depth=1
	s_waitcnt vmcnt(12) lgkmcnt(11)
	v_dual_add_f32 v28, v28, v29 :: v_dual_lshlrev_b32 v29, 16, v42
	s_delay_alu instid0(VALU_DEP_1) | instskip(NEXT) | instid1(VALU_DEP_1)
	v_add_f32_e32 v29, v28, v29
	v_and_b32_e32 v28, 0x7f800000, v29
	s_delay_alu instid0(VALU_DEP_1) | instskip(NEXT) | instid1(VALU_DEP_1)
	v_cmp_ne_u32_e64 s3, 0x7f800000, v28
                                        ; implicit-def: $vgpr28
	s_and_saveexec_b32 s34, s3
	s_delay_alu instid0(SALU_CYCLE_1)
	s_xor_b32 s3, exec_lo, s34
; %bb.95:                               ;   in Loop: Header=BB285_19 Depth=1
	v_bfe_u32 v28, v29, 16, 1
	s_delay_alu instid0(VALU_DEP_1)
	v_add3_u32 v28, v29, v28, 0x7fff
                                        ; implicit-def: $vgpr29
; %bb.96:                               ;   in Loop: Header=BB285_19 Depth=1
	s_and_not1_saveexec_b32 s34, s3
; %bb.97:                               ;   in Loop: Header=BB285_19 Depth=1
	v_and_b32_e32 v28, 0xffff, v29
	v_or_b32_e32 v31, 0x10000, v29
	s_delay_alu instid0(VALU_DEP_2) | instskip(NEXT) | instid1(VALU_DEP_1)
	v_cmp_eq_u32_e64 s3, 0, v28
	v_cndmask_b32_e64 v28, v31, v29, s3
; %bb.98:                               ;   in Loop: Header=BB285_19 Depth=1
	s_or_b32 exec_lo, exec_lo, s34
	v_mov_b32_e32 v73, v70
	s_delay_alu instid0(VALU_DEP_1) | instskip(NEXT) | instid1(VALU_DEP_1)
	v_lshlrev_b64 v[31:32], 1, v[72:73]
	v_add_co_u32 v31, s3, s10, v31
	s_delay_alu instid0(VALU_DEP_1)
	v_add_co_ci_u32_e64 v32, s3, s11, v32, s3
	global_store_d16_hi_b16 v[31:32], v28, off
	s_or_b32 exec_lo, exec_lo, s19
	v_add_nc_u32_e32 v69, s7, v68
	s_and_saveexec_b32 s19, vcc_lo
	s_cbranch_execz .LBB285_73
.LBB285_99:                             ;   in Loop: Header=BB285_19 Depth=1
	s_waitcnt vmcnt(11) lgkmcnt(13)
	v_dual_add_f32 v25, v25, v26 :: v_dual_lshlrev_b32 v26, 16, v41
	s_delay_alu instid0(VALU_DEP_1) | instskip(NEXT) | instid1(VALU_DEP_1)
	v_add_f32_e32 v26, v25, v26
	v_and_b32_e32 v25, 0x7f800000, v26
	s_delay_alu instid0(VALU_DEP_1) | instskip(NEXT) | instid1(VALU_DEP_1)
	v_cmp_ne_u32_e64 s3, 0x7f800000, v25
                                        ; implicit-def: $vgpr25
	s_and_saveexec_b32 s34, s3
	s_delay_alu instid0(SALU_CYCLE_1)
	s_xor_b32 s3, exec_lo, s34
; %bb.100:                              ;   in Loop: Header=BB285_19 Depth=1
	v_bfe_u32 v25, v26, 16, 1
	s_delay_alu instid0(VALU_DEP_1)
	v_add3_u32 v25, v26, v25, 0x7fff
                                        ; implicit-def: $vgpr26
; %bb.101:                              ;   in Loop: Header=BB285_19 Depth=1
	s_and_not1_saveexec_b32 s34, s3
; %bb.102:                              ;   in Loop: Header=BB285_19 Depth=1
	v_and_b32_e32 v25, 0xffff, v26
	v_or_b32_e32 v28, 0x10000, v26
	s_delay_alu instid0(VALU_DEP_2) | instskip(NEXT) | instid1(VALU_DEP_1)
	v_cmp_eq_u32_e64 s3, 0, v25
	v_cndmask_b32_e64 v25, v28, v26, s3
; %bb.103:                              ;   in Loop: Header=BB285_19 Depth=1
	s_or_b32 exec_lo, exec_lo, s34
	s_waitcnt lgkmcnt(11)
	v_lshlrev_b64 v[28:29], 1, v[69:70]
	s_delay_alu instid0(VALU_DEP_1) | instskip(NEXT) | instid1(VALU_DEP_1)
	v_add_co_u32 v28, s3, s10, v28
	v_add_co_ci_u32_e64 v29, s3, s11, v29, s3
	global_store_d16_hi_b16 v[28:29], v25, off
	s_or_b32 exec_lo, exec_lo, s19
	s_and_saveexec_b32 s19, s1
	s_cbranch_execz .LBB285_74
.LBB285_104:                            ;   in Loop: Header=BB285_19 Depth=1
	s_waitcnt vmcnt(10) lgkmcnt(8)
	v_dual_add_f32 v20, v20, v21 :: v_dual_lshlrev_b32 v21, 16, v40
	s_delay_alu instid0(VALU_DEP_1) | instskip(NEXT) | instid1(VALU_DEP_1)
	v_add_f32_e32 v21, v20, v21
	v_and_b32_e32 v20, 0x7f800000, v21
	s_delay_alu instid0(VALU_DEP_1) | instskip(NEXT) | instid1(VALU_DEP_1)
	v_cmp_ne_u32_e64 s3, 0x7f800000, v20
                                        ; implicit-def: $vgpr20
	s_and_saveexec_b32 s34, s3
	s_delay_alu instid0(SALU_CYCLE_1)
	s_xor_b32 s3, exec_lo, s34
; %bb.105:                              ;   in Loop: Header=BB285_19 Depth=1
	v_bfe_u32 v20, v21, 16, 1
	s_delay_alu instid0(VALU_DEP_1)
	v_add3_u32 v20, v21, v20, 0x7fff
                                        ; implicit-def: $vgpr21
; %bb.106:                              ;   in Loop: Header=BB285_19 Depth=1
	s_and_not1_saveexec_b32 s34, s3
; %bb.107:                              ;   in Loop: Header=BB285_19 Depth=1
	v_and_b32_e32 v20, 0xffff, v21
	v_or_b32_e32 v25, 0x10000, v21
	s_delay_alu instid0(VALU_DEP_2) | instskip(NEXT) | instid1(VALU_DEP_1)
	v_cmp_eq_u32_e64 s3, 0, v20
	v_cndmask_b32_e64 v20, v25, v21, s3
; %bb.108:                              ;   in Loop: Header=BB285_19 Depth=1
	s_or_b32 exec_lo, exec_lo, s34
	v_dual_mov_b32 v26, v70 :: v_dual_add_nc_u32 v25, 1, v69
	s_delay_alu instid0(VALU_DEP_1) | instskip(NEXT) | instid1(VALU_DEP_1)
	v_lshlrev_b64 v[25:26], 1, v[25:26]
	v_add_co_u32 v25, s3, s10, v25
	s_delay_alu instid0(VALU_DEP_1)
	v_add_co_ci_u32_e64 v26, s3, s11, v26, s3
	global_store_d16_hi_b16 v[25:26], v20, off
	s_or_b32 exec_lo, exec_lo, s19
	s_and_saveexec_b32 s19, s2
	s_cbranch_execz .LBB285_75
.LBB285_109:                            ;   in Loop: Header=BB285_19 Depth=1
	s_waitcnt vmcnt(9) lgkmcnt(8)
	v_dual_add_f32 v20, v23, v24 :: v_dual_lshlrev_b32 v21, 16, v39
	s_delay_alu instid0(VALU_DEP_1) | instskip(NEXT) | instid1(VALU_DEP_1)
	v_add_f32_e32 v21, v20, v21
	v_and_b32_e32 v20, 0x7f800000, v21
	s_delay_alu instid0(VALU_DEP_1) | instskip(NEXT) | instid1(VALU_DEP_1)
	v_cmp_ne_u32_e64 s3, 0x7f800000, v20
                                        ; implicit-def: $vgpr20
	s_and_saveexec_b32 s34, s3
	s_delay_alu instid0(SALU_CYCLE_1)
	s_xor_b32 s3, exec_lo, s34
; %bb.110:                              ;   in Loop: Header=BB285_19 Depth=1
	v_bfe_u32 v20, v21, 16, 1
	s_delay_alu instid0(VALU_DEP_1)
	v_add3_u32 v20, v21, v20, 0x7fff
                                        ; implicit-def: $vgpr21
; %bb.111:                              ;   in Loop: Header=BB285_19 Depth=1
	s_and_not1_saveexec_b32 s34, s3
; %bb.112:                              ;   in Loop: Header=BB285_19 Depth=1
	v_and_b32_e32 v20, 0xffff, v21
	v_or_b32_e32 v23, 0x10000, v21
	s_delay_alu instid0(VALU_DEP_2) | instskip(NEXT) | instid1(VALU_DEP_1)
	v_cmp_eq_u32_e64 s3, 0, v20
	v_cndmask_b32_e64 v20, v23, v21, s3
; %bb.113:                              ;   in Loop: Header=BB285_19 Depth=1
	s_or_b32 exec_lo, exec_lo, s34
	v_dual_mov_b32 v24, v70 :: v_dual_add_nc_u32 v23, 2, v69
	s_delay_alu instid0(VALU_DEP_1) | instskip(NEXT) | instid1(VALU_DEP_1)
	v_lshlrev_b64 v[23:24], 1, v[23:24]
	v_add_co_u32 v23, s3, s10, v23
	s_delay_alu instid0(VALU_DEP_1)
	v_add_co_ci_u32_e64 v24, s3, s11, v24, s3
	global_store_d16_hi_b16 v[23:24], v20, off
	s_or_b32 exec_lo, exec_lo, s19
	v_add_nc_u32_e32 v69, s7, v69
	s_and_saveexec_b32 s19, vcc_lo
	s_cbranch_execz .LBB285_76
.LBB285_114:                            ;   in Loop: Header=BB285_19 Depth=1
	s_waitcnt vmcnt(8) lgkmcnt(9)
	v_dual_add_f32 v18, v18, v19 :: v_dual_lshlrev_b32 v19, 16, v38
	s_delay_alu instid0(VALU_DEP_1) | instskip(NEXT) | instid1(VALU_DEP_1)
	v_add_f32_e32 v19, v18, v19
	v_and_b32_e32 v18, 0x7f800000, v19
	s_delay_alu instid0(VALU_DEP_1) | instskip(NEXT) | instid1(VALU_DEP_1)
	v_cmp_ne_u32_e64 s3, 0x7f800000, v18
                                        ; implicit-def: $vgpr18
	s_and_saveexec_b32 s34, s3
	s_delay_alu instid0(SALU_CYCLE_1)
	s_xor_b32 s3, exec_lo, s34
; %bb.115:                              ;   in Loop: Header=BB285_19 Depth=1
	v_bfe_u32 v18, v19, 16, 1
	s_delay_alu instid0(VALU_DEP_1)
	v_add3_u32 v18, v19, v18, 0x7fff
                                        ; implicit-def: $vgpr19
; %bb.116:                              ;   in Loop: Header=BB285_19 Depth=1
	s_and_not1_saveexec_b32 s34, s3
; %bb.117:                              ;   in Loop: Header=BB285_19 Depth=1
	v_and_b32_e32 v18, 0xffff, v19
	v_or_b32_e32 v20, 0x10000, v19
	s_delay_alu instid0(VALU_DEP_2) | instskip(NEXT) | instid1(VALU_DEP_1)
	v_cmp_eq_u32_e64 s3, 0, v18
	v_cndmask_b32_e64 v18, v20, v19, s3
; %bb.118:                              ;   in Loop: Header=BB285_19 Depth=1
	s_or_b32 exec_lo, exec_lo, s34
	v_lshlrev_b64 v[19:20], 1, v[69:70]
	s_delay_alu instid0(VALU_DEP_1) | instskip(NEXT) | instid1(VALU_DEP_1)
	v_add_co_u32 v19, s3, s10, v19
	v_add_co_ci_u32_e64 v20, s3, s11, v20, s3
	global_store_d16_hi_b16 v[19:20], v18, off
	s_or_b32 exec_lo, exec_lo, s19
	s_and_saveexec_b32 s19, s1
	s_cbranch_execz .LBB285_77
.LBB285_119:                            ;   in Loop: Header=BB285_19 Depth=1
	s_waitcnt lgkmcnt(7)
	v_add_f32_e32 v15, v15, v16
	s_waitcnt vmcnt(7)
	v_lshlrev_b32_e32 v16, 16, v36
	s_delay_alu instid0(VALU_DEP_1) | instskip(NEXT) | instid1(VALU_DEP_1)
	v_add_f32_e32 v16, v15, v16
	v_and_b32_e32 v15, 0x7f800000, v16
	s_delay_alu instid0(VALU_DEP_1) | instskip(NEXT) | instid1(VALU_DEP_1)
	v_cmp_ne_u32_e64 s3, 0x7f800000, v15
                                        ; implicit-def: $vgpr15
	s_and_saveexec_b32 s34, s3
	s_delay_alu instid0(SALU_CYCLE_1)
	s_xor_b32 s3, exec_lo, s34
; %bb.120:                              ;   in Loop: Header=BB285_19 Depth=1
	v_bfe_u32 v15, v16, 16, 1
	s_delay_alu instid0(VALU_DEP_1)
	v_add3_u32 v15, v16, v15, 0x7fff
                                        ; implicit-def: $vgpr16
; %bb.121:                              ;   in Loop: Header=BB285_19 Depth=1
	s_and_not1_saveexec_b32 s34, s3
; %bb.122:                              ;   in Loop: Header=BB285_19 Depth=1
	v_and_b32_e32 v15, 0xffff, v16
	v_or_b32_e32 v18, 0x10000, v16
	s_delay_alu instid0(VALU_DEP_2) | instskip(NEXT) | instid1(VALU_DEP_1)
	v_cmp_eq_u32_e64 s3, 0, v15
	v_cndmask_b32_e64 v15, v18, v16, s3
; %bb.123:                              ;   in Loop: Header=BB285_19 Depth=1
	s_or_b32 exec_lo, exec_lo, s34
	v_dual_mov_b32 v19, v70 :: v_dual_add_nc_u32 v18, 1, v69
	s_delay_alu instid0(VALU_DEP_1) | instskip(NEXT) | instid1(VALU_DEP_1)
	v_lshlrev_b64 v[18:19], 1, v[18:19]
	v_add_co_u32 v18, s3, s10, v18
	s_delay_alu instid0(VALU_DEP_1)
	v_add_co_ci_u32_e64 v19, s3, s11, v19, s3
	global_store_d16_hi_b16 v[18:19], v15, off
	s_or_b32 exec_lo, exec_lo, s19
	s_and_saveexec_b32 s19, s2
	s_cbranch_execz .LBB285_78
.LBB285_124:                            ;   in Loop: Header=BB285_19 Depth=1
	s_waitcnt lgkmcnt(5)
	v_add_f32_e32 v12, v12, v13
	s_waitcnt vmcnt(6)
	v_lshlrev_b32_e32 v13, 16, v37
	s_delay_alu instid0(VALU_DEP_1) | instskip(NEXT) | instid1(VALU_DEP_1)
	v_add_f32_e32 v13, v12, v13
	v_and_b32_e32 v12, 0x7f800000, v13
	s_delay_alu instid0(VALU_DEP_1) | instskip(NEXT) | instid1(VALU_DEP_1)
	v_cmp_ne_u32_e64 s3, 0x7f800000, v12
                                        ; implicit-def: $vgpr12
	s_and_saveexec_b32 s34, s3
	s_delay_alu instid0(SALU_CYCLE_1)
	s_xor_b32 s3, exec_lo, s34
; %bb.125:                              ;   in Loop: Header=BB285_19 Depth=1
	v_bfe_u32 v12, v13, 16, 1
	s_delay_alu instid0(VALU_DEP_1)
	v_add3_u32 v12, v13, v12, 0x7fff
                                        ; implicit-def: $vgpr13
; %bb.126:                              ;   in Loop: Header=BB285_19 Depth=1
	s_and_not1_saveexec_b32 s34, s3
; %bb.127:                              ;   in Loop: Header=BB285_19 Depth=1
	v_and_b32_e32 v12, 0xffff, v13
	v_or_b32_e32 v15, 0x10000, v13
	s_delay_alu instid0(VALU_DEP_2) | instskip(NEXT) | instid1(VALU_DEP_1)
	v_cmp_eq_u32_e64 s3, 0, v12
	v_cndmask_b32_e64 v12, v15, v13, s3
; %bb.128:                              ;   in Loop: Header=BB285_19 Depth=1
	s_or_b32 exec_lo, exec_lo, s34
	v_dual_mov_b32 v16, v70 :: v_dual_add_nc_u32 v15, 2, v69
	s_delay_alu instid0(VALU_DEP_1) | instskip(NEXT) | instid1(VALU_DEP_1)
	v_lshlrev_b64 v[15:16], 1, v[15:16]
	v_add_co_u32 v15, s3, s10, v15
	s_delay_alu instid0(VALU_DEP_1)
	v_add_co_ci_u32_e64 v16, s3, s11, v16, s3
	global_store_d16_hi_b16 v[15:16], v12, off
	s_or_b32 exec_lo, exec_lo, s19
	v_add_nc_u32_e32 v69, s7, v69
	s_and_saveexec_b32 s19, vcc_lo
	s_cbranch_execz .LBB285_79
.LBB285_129:                            ;   in Loop: Header=BB285_19 Depth=1
	s_waitcnt lgkmcnt(6)
	v_add_f32_e32 v8, v8, v9
	s_waitcnt vmcnt(5)
	v_lshlrev_b32_e32 v9, 16, v33
	s_delay_alu instid0(VALU_DEP_1) | instskip(NEXT) | instid1(VALU_DEP_1)
	v_add_f32_e32 v9, v8, v9
	v_and_b32_e32 v8, 0x7f800000, v9
	s_delay_alu instid0(VALU_DEP_1) | instskip(NEXT) | instid1(VALU_DEP_1)
	v_cmp_ne_u32_e64 s3, 0x7f800000, v8
                                        ; implicit-def: $vgpr8
	s_and_saveexec_b32 s34, s3
	s_delay_alu instid0(SALU_CYCLE_1)
	s_xor_b32 s3, exec_lo, s34
; %bb.130:                              ;   in Loop: Header=BB285_19 Depth=1
	v_bfe_u32 v8, v9, 16, 1
	s_delay_alu instid0(VALU_DEP_1)
	v_add3_u32 v8, v9, v8, 0x7fff
                                        ; implicit-def: $vgpr9
; %bb.131:                              ;   in Loop: Header=BB285_19 Depth=1
	s_and_not1_saveexec_b32 s34, s3
; %bb.132:                              ;   in Loop: Header=BB285_19 Depth=1
	v_and_b32_e32 v8, 0xffff, v9
	v_or_b32_e32 v12, 0x10000, v9
	s_delay_alu instid0(VALU_DEP_2) | instskip(NEXT) | instid1(VALU_DEP_1)
	v_cmp_eq_u32_e64 s3, 0, v8
	v_cndmask_b32_e64 v8, v12, v9, s3
; %bb.133:                              ;   in Loop: Header=BB285_19 Depth=1
	s_or_b32 exec_lo, exec_lo, s34
	s_waitcnt lgkmcnt(5)
	v_lshlrev_b64 v[12:13], 1, v[69:70]
	s_delay_alu instid0(VALU_DEP_1) | instskip(NEXT) | instid1(VALU_DEP_1)
	v_add_co_u32 v12, s3, s10, v12
	v_add_co_ci_u32_e64 v13, s3, s11, v13, s3
	global_store_d16_hi_b16 v[12:13], v8, off
	s_or_b32 exec_lo, exec_lo, s19
	s_and_saveexec_b32 s19, s1
	s_cbranch_execz .LBB285_80
.LBB285_134:                            ;   in Loop: Header=BB285_19 Depth=1
	s_waitcnt vmcnt(4) lgkmcnt(3)
	v_dual_add_f32 v8, v10, v11 :: v_dual_lshlrev_b32 v9, 16, v30
	s_delay_alu instid0(VALU_DEP_1) | instskip(NEXT) | instid1(VALU_DEP_1)
	v_add_f32_e32 v9, v8, v9
	v_and_b32_e32 v8, 0x7f800000, v9
	s_delay_alu instid0(VALU_DEP_1) | instskip(NEXT) | instid1(VALU_DEP_1)
	v_cmp_ne_u32_e64 s3, 0x7f800000, v8
                                        ; implicit-def: $vgpr8
	s_and_saveexec_b32 s34, s3
	s_delay_alu instid0(SALU_CYCLE_1)
	s_xor_b32 s3, exec_lo, s34
; %bb.135:                              ;   in Loop: Header=BB285_19 Depth=1
	v_bfe_u32 v8, v9, 16, 1
	s_delay_alu instid0(VALU_DEP_1)
	v_add3_u32 v8, v9, v8, 0x7fff
                                        ; implicit-def: $vgpr9
; %bb.136:                              ;   in Loop: Header=BB285_19 Depth=1
	s_and_not1_saveexec_b32 s34, s3
; %bb.137:                              ;   in Loop: Header=BB285_19 Depth=1
	v_and_b32_e32 v8, 0xffff, v9
	v_or_b32_e32 v10, 0x10000, v9
	s_delay_alu instid0(VALU_DEP_2) | instskip(NEXT) | instid1(VALU_DEP_1)
	v_cmp_eq_u32_e64 s3, 0, v8
	v_cndmask_b32_e64 v8, v10, v9, s3
; %bb.138:                              ;   in Loop: Header=BB285_19 Depth=1
	s_or_b32 exec_lo, exec_lo, s34
	v_dual_mov_b32 v10, v70 :: v_dual_add_nc_u32 v9, 1, v69
	s_delay_alu instid0(VALU_DEP_1) | instskip(NEXT) | instid1(VALU_DEP_1)
	v_lshlrev_b64 v[9:10], 1, v[9:10]
	v_add_co_u32 v9, s3, s10, v9
	s_delay_alu instid0(VALU_DEP_1)
	v_add_co_ci_u32_e64 v10, s3, s11, v10, s3
	global_store_d16_hi_b16 v[9:10], v8, off
	s_or_b32 exec_lo, exec_lo, s19
	s_and_saveexec_b32 s19, s2
	s_cbranch_execz .LBB285_81
.LBB285_139:                            ;   in Loop: Header=BB285_19 Depth=1
	s_waitcnt lgkmcnt(4)
	v_add_f32_e32 v6, v6, v7
	s_waitcnt vmcnt(3)
	v_lshlrev_b32_e32 v7, 16, v27
	s_delay_alu instid0(VALU_DEP_1) | instskip(NEXT) | instid1(VALU_DEP_1)
	v_add_f32_e32 v7, v6, v7
	v_and_b32_e32 v6, 0x7f800000, v7
	s_delay_alu instid0(VALU_DEP_1) | instskip(NEXT) | instid1(VALU_DEP_1)
	v_cmp_ne_u32_e64 s3, 0x7f800000, v6
                                        ; implicit-def: $vgpr6
	s_and_saveexec_b32 s34, s3
	s_delay_alu instid0(SALU_CYCLE_1)
	s_xor_b32 s3, exec_lo, s34
; %bb.140:                              ;   in Loop: Header=BB285_19 Depth=1
	v_bfe_u32 v6, v7, 16, 1
	s_delay_alu instid0(VALU_DEP_1)
	v_add3_u32 v6, v7, v6, 0x7fff
                                        ; implicit-def: $vgpr7
; %bb.141:                              ;   in Loop: Header=BB285_19 Depth=1
	s_and_not1_saveexec_b32 s34, s3
; %bb.142:                              ;   in Loop: Header=BB285_19 Depth=1
	v_and_b32_e32 v6, 0xffff, v7
	v_or_b32_e32 v8, 0x10000, v7
	s_delay_alu instid0(VALU_DEP_2) | instskip(NEXT) | instid1(VALU_DEP_1)
	v_cmp_eq_u32_e64 s3, 0, v6
	v_cndmask_b32_e64 v6, v8, v7, s3
; %bb.143:                              ;   in Loop: Header=BB285_19 Depth=1
	s_or_b32 exec_lo, exec_lo, s34
	v_dual_mov_b32 v8, v70 :: v_dual_add_nc_u32 v7, 2, v69
	s_delay_alu instid0(VALU_DEP_1) | instskip(NEXT) | instid1(VALU_DEP_1)
	v_lshlrev_b64 v[7:8], 1, v[7:8]
	v_add_co_u32 v7, s3, s10, v7
	s_delay_alu instid0(VALU_DEP_1)
	v_add_co_ci_u32_e64 v8, s3, s11, v8, s3
	global_store_d16_hi_b16 v[7:8], v6, off
	s_or_b32 exec_lo, exec_lo, s19
	v_add_nc_u32_e32 v69, s7, v69
	s_and_saveexec_b32 s3, vcc_lo
	s_cbranch_execz .LBB285_82
.LBB285_144:                            ;   in Loop: Header=BB285_19 Depth=1
	s_waitcnt vmcnt(2) lgkmcnt(2)
	v_dual_add_f32 v4, v4, v5 :: v_dual_lshlrev_b32 v5, 16, v22
	s_delay_alu instid0(VALU_DEP_1) | instskip(NEXT) | instid1(VALU_DEP_1)
	v_add_f32_e32 v5, v4, v5
	v_and_b32_e32 v4, 0x7f800000, v5
	s_delay_alu instid0(VALU_DEP_1) | instskip(SKIP_1) | instid1(SALU_CYCLE_1)
	v_cmp_ne_u32_e32 vcc_lo, 0x7f800000, v4
                                        ; implicit-def: $vgpr4
	s_and_saveexec_b32 s19, vcc_lo
	s_xor_b32 s19, exec_lo, s19
; %bb.145:                              ;   in Loop: Header=BB285_19 Depth=1
	v_bfe_u32 v4, v5, 16, 1
	s_delay_alu instid0(VALU_DEP_1)
	v_add3_u32 v4, v5, v4, 0x7fff
                                        ; implicit-def: $vgpr5
; %bb.146:                              ;   in Loop: Header=BB285_19 Depth=1
	s_and_not1_saveexec_b32 s19, s19
; %bb.147:                              ;   in Loop: Header=BB285_19 Depth=1
	v_and_b32_e32 v4, 0xffff, v5
	v_or_b32_e32 v6, 0x10000, v5
	s_delay_alu instid0(VALU_DEP_2) | instskip(NEXT) | instid1(VALU_DEP_2)
	v_cmp_eq_u32_e32 vcc_lo, 0, v4
	v_cndmask_b32_e32 v4, v6, v5, vcc_lo
; %bb.148:                              ;   in Loop: Header=BB285_19 Depth=1
	s_or_b32 exec_lo, exec_lo, s19
	v_lshlrev_b64 v[5:6], 1, v[69:70]
	s_delay_alu instid0(VALU_DEP_1) | instskip(NEXT) | instid1(VALU_DEP_2)
	v_add_co_u32 v5, vcc_lo, s10, v5
	v_add_co_ci_u32_e32 v6, vcc_lo, s11, v6, vcc_lo
	global_store_d16_hi_b16 v[5:6], v4, off
	s_or_b32 exec_lo, exec_lo, s3
	s_and_saveexec_b32 s3, s1
	s_cbranch_execz .LBB285_83
.LBB285_149:                            ;   in Loop: Header=BB285_19 Depth=1
	s_waitcnt vmcnt(1) lgkmcnt(1)
	v_dual_add_f32 v2, v2, v3 :: v_dual_lshlrev_b32 v3, 16, v17
	s_delay_alu instid0(VALU_DEP_1) | instskip(NEXT) | instid1(VALU_DEP_1)
	v_add_f32_e32 v3, v2, v3
	v_and_b32_e32 v2, 0x7f800000, v3
	s_delay_alu instid0(VALU_DEP_1) | instskip(SKIP_1) | instid1(SALU_CYCLE_1)
	v_cmp_ne_u32_e32 vcc_lo, 0x7f800000, v2
                                        ; implicit-def: $vgpr2
	s_and_saveexec_b32 s1, vcc_lo
	s_xor_b32 s1, exec_lo, s1
; %bb.150:                              ;   in Loop: Header=BB285_19 Depth=1
	v_bfe_u32 v2, v3, 16, 1
	s_delay_alu instid0(VALU_DEP_1)
	v_add3_u32 v2, v3, v2, 0x7fff
                                        ; implicit-def: $vgpr3
; %bb.151:                              ;   in Loop: Header=BB285_19 Depth=1
	s_and_not1_saveexec_b32 s1, s1
; %bb.152:                              ;   in Loop: Header=BB285_19 Depth=1
	v_and_b32_e32 v2, 0xffff, v3
	v_or_b32_e32 v4, 0x10000, v3
	s_delay_alu instid0(VALU_DEP_2) | instskip(NEXT) | instid1(VALU_DEP_2)
	v_cmp_eq_u32_e32 vcc_lo, 0, v2
	v_cndmask_b32_e32 v2, v4, v3, vcc_lo
; %bb.153:                              ;   in Loop: Header=BB285_19 Depth=1
	s_or_b32 exec_lo, exec_lo, s1
	v_dual_mov_b32 v4, v70 :: v_dual_add_nc_u32 v3, 1, v69
	s_delay_alu instid0(VALU_DEP_1) | instskip(NEXT) | instid1(VALU_DEP_1)
	v_lshlrev_b64 v[3:4], 1, v[3:4]
	v_add_co_u32 v3, vcc_lo, s10, v3
	s_delay_alu instid0(VALU_DEP_2) | instskip(SKIP_2) | instid1(SALU_CYCLE_1)
	v_add_co_ci_u32_e32 v4, vcc_lo, s11, v4, vcc_lo
	global_store_d16_hi_b16 v[3:4], v2, off
	s_or_b32 exec_lo, exec_lo, s3
	s_and_b32 exec_lo, exec_lo, s2
	s_cbranch_execz .LBB285_159
.LBB285_154:                            ;   in Loop: Header=BB285_19 Depth=1
	s_waitcnt vmcnt(0) lgkmcnt(0)
	v_dual_add_f32 v0, v0, v1 :: v_dual_lshlrev_b32 v1, 16, v14
	s_delay_alu instid0(VALU_DEP_1) | instskip(NEXT) | instid1(VALU_DEP_1)
	v_add_f32_e32 v1, v0, v1
	v_and_b32_e32 v0, 0x7f800000, v1
	s_delay_alu instid0(VALU_DEP_1) | instskip(SKIP_1) | instid1(SALU_CYCLE_1)
	v_cmp_ne_u32_e32 vcc_lo, 0x7f800000, v0
                                        ; implicit-def: $vgpr0
	s_and_saveexec_b32 s1, vcc_lo
	s_xor_b32 s1, exec_lo, s1
; %bb.155:                              ;   in Loop: Header=BB285_19 Depth=1
	v_bfe_u32 v0, v1, 16, 1
	s_delay_alu instid0(VALU_DEP_1)
	v_add3_u32 v0, v1, v0, 0x7fff
                                        ; implicit-def: $vgpr1
; %bb.156:                              ;   in Loop: Header=BB285_19 Depth=1
	s_and_not1_saveexec_b32 s1, s1
; %bb.157:                              ;   in Loop: Header=BB285_19 Depth=1
	v_and_b32_e32 v0, 0xffff, v1
	v_or_b32_e32 v2, 0x10000, v1
	s_delay_alu instid0(VALU_DEP_2) | instskip(NEXT) | instid1(VALU_DEP_2)
	v_cmp_eq_u32_e32 vcc_lo, 0, v0
	v_cndmask_b32_e32 v0, v2, v1, vcc_lo
; %bb.158:                              ;   in Loop: Header=BB285_19 Depth=1
	s_or_b32 exec_lo, exec_lo, s1
	v_add_nc_u32_e32 v69, 2, v69
	s_delay_alu instid0(VALU_DEP_1) | instskip(NEXT) | instid1(VALU_DEP_1)
	v_lshlrev_b64 v[1:2], 1, v[69:70]
	v_add_co_u32 v1, vcc_lo, s10, v1
	s_delay_alu instid0(VALU_DEP_2)
	v_add_co_ci_u32_e32 v2, vcc_lo, s11, v2, vcc_lo
	global_store_d16_hi_b16 v[1:2], v0, off
.LBB285_159:                            ;   in Loop: Header=BB285_19 Depth=1
	s_or_b32 exec_lo, exec_lo, s18
	v_add_nc_u32_e32 v68, s26, v68
	s_delay_alu instid0(VALU_DEP_1) | instskip(SKIP_1) | instid1(VALU_DEP_2)
	v_add_nc_u32_e32 v0, 3, v68
	v_cmp_gt_u32_e32 vcc_lo, s7, v68
	v_cmp_le_u32_e64 s1, s7, v0
	s_delay_alu instid0(VALU_DEP_1) | instskip(NEXT) | instid1(SALU_CYCLE_1)
	s_and_b32 s1, vcc_lo, s1
	s_and_saveexec_b32 s34, s1
	s_cbranch_execz .LBB285_18
; %bb.160:                              ;   in Loop: Header=BB285_19 Depth=1
	s_mov_b32 s35, exec_lo
	v_cmpx_ne_u32_e64 s24, v68
	s_cbranch_execz .LBB285_17
; %bb.161:                              ;   in Loop: Header=BB285_19 Depth=1
	v_subrev_nc_u32_e32 v0, s24, v68
	s_mov_b32 s36, 0
	s_mov_b64 s[18:19], 0
	s_delay_alu instid0(VALU_DEP_1)
	v_cmp_lt_u32_e32 vcc_lo, 1, v0
	v_cndmask_b32_e32 v0, 1, v0, vcc_lo
	.p2align	6
.LBB285_162:                            ;   Parent Loop BB285_19 Depth=1
                                        ; =>  This Inner Loop Header: Depth=2
	s_cmp_lg_u32 s18, 2
	s_cselect_b32 vcc_lo, -1, 0
	s_cmp_lg_u32 s18, 1
	v_cndmask_b32_e32 v66, 0, v66, vcc_lo
	s_cselect_b32 s1, -1, 0
	s_cmp_lg_u32 s18, 0
	v_cndmask_b32_e64 v65, 0, v65, s1
	s_cselect_b32 s2, -1, 0
	s_add_u32 s18, s18, 1
	v_cndmask_b32_e64 v64, 0, v64, s2
	v_cmp_eq_u32_e64 s3, s18, v0
	s_addc_u32 s19, s19, 0
	s_delay_alu instid0(VALU_DEP_1) | instskip(NEXT) | instid1(SALU_CYCLE_1)
	s_or_b32 s36, s3, s36
	s_and_not1_b32 exec_lo, exec_lo, s36
	s_cbranch_execnz .LBB285_162
; %bb.163:                              ;   in Loop: Header=BB285_19 Depth=1
	s_or_b32 exec_lo, exec_lo, s36
	s_branch .LBB285_17
.LBB285_164:
	s_nop 0
	s_sendmsg sendmsg(MSG_DEALLOC_VGPRS)
	s_endpgm
	.section	.rodata,"a",@progbits
	.p2align	6, 0x0
	.amdhsa_kernel _Z12wvSplitK_hf_I14__hip_bfloat16Li32ELi3ELi16ELi8ELi2ELi5EEviiiiiiPKT_S3_S3_PS1_ii
		.amdhsa_group_segment_fixed_size 65536
		.amdhsa_private_segment_fixed_size 0
		.amdhsa_kernarg_size 64
		.amdhsa_user_sgpr_count 15
		.amdhsa_user_sgpr_dispatch_ptr 0
		.amdhsa_user_sgpr_queue_ptr 0
		.amdhsa_user_sgpr_kernarg_segment_ptr 1
		.amdhsa_user_sgpr_dispatch_id 0
		.amdhsa_user_sgpr_private_segment_size 0
		.amdhsa_wavefront_size32 1
		.amdhsa_uses_dynamic_stack 0
		.amdhsa_enable_private_segment 0
		.amdhsa_system_sgpr_workgroup_id_x 1
		.amdhsa_system_sgpr_workgroup_id_y 0
		.amdhsa_system_sgpr_workgroup_id_z 0
		.amdhsa_system_sgpr_workgroup_info 0
		.amdhsa_system_vgpr_workitem_id 1
		.amdhsa_next_free_vgpr 125
		.amdhsa_next_free_sgpr 37
		.amdhsa_reserve_vcc 1
		.amdhsa_float_round_mode_32 0
		.amdhsa_float_round_mode_16_64 0
		.amdhsa_float_denorm_mode_32 3
		.amdhsa_float_denorm_mode_16_64 3
		.amdhsa_dx10_clamp 1
		.amdhsa_ieee_mode 1
		.amdhsa_fp16_overflow 0
		.amdhsa_workgroup_processor_mode 1
		.amdhsa_memory_ordered 1
		.amdhsa_forward_progress 0
		.amdhsa_shared_vgpr_count 0
		.amdhsa_exception_fp_ieee_invalid_op 0
		.amdhsa_exception_fp_denorm_src 0
		.amdhsa_exception_fp_ieee_div_zero 0
		.amdhsa_exception_fp_ieee_overflow 0
		.amdhsa_exception_fp_ieee_underflow 0
		.amdhsa_exception_fp_ieee_inexact 0
		.amdhsa_exception_int_div_zero 0
	.end_amdhsa_kernel
	.section	.text._Z12wvSplitK_hf_I14__hip_bfloat16Li32ELi3ELi16ELi8ELi2ELi5EEviiiiiiPKT_S3_S3_PS1_ii,"axG",@progbits,_Z12wvSplitK_hf_I14__hip_bfloat16Li32ELi3ELi16ELi8ELi2ELi5EEviiiiiiPKT_S3_S3_PS1_ii,comdat
.Lfunc_end285:
	.size	_Z12wvSplitK_hf_I14__hip_bfloat16Li32ELi3ELi16ELi8ELi2ELi5EEviiiiiiPKT_S3_S3_PS1_ii, .Lfunc_end285-_Z12wvSplitK_hf_I14__hip_bfloat16Li32ELi3ELi16ELi8ELi2ELi5EEviiiiiiPKT_S3_S3_PS1_ii
                                        ; -- End function
	.section	.AMDGPU.csdata,"",@progbits
; Kernel info:
; codeLenInByte = 10720
; NumSgprs: 39
; NumVgprs: 125
; ScratchSize: 0
; MemoryBound: 0
; FloatMode: 240
; IeeeMode: 1
; LDSByteSize: 65536 bytes/workgroup (compile time only)
; SGPRBlocks: 4
; VGPRBlocks: 15
; NumSGPRsForWavesPerEU: 39
; NumVGPRsForWavesPerEU: 125
; Occupancy: 8
; WaveLimiterHint : 0
; COMPUTE_PGM_RSRC2:SCRATCH_EN: 0
; COMPUTE_PGM_RSRC2:USER_SGPR: 15
; COMPUTE_PGM_RSRC2:TRAP_HANDLER: 0
; COMPUTE_PGM_RSRC2:TGID_X_EN: 1
; COMPUTE_PGM_RSRC2:TGID_Y_EN: 0
; COMPUTE_PGM_RSRC2:TGID_Z_EN: 0
; COMPUTE_PGM_RSRC2:TIDIG_COMP_CNT: 1
	.section	.text._Z16wvSplitK_hf_big_I14__hip_bfloat16Li32ELi3ELi16ELi8ELi2ELi5EEviiiiiiPKT_S3_S3_PS1_ii,"axG",@progbits,_Z16wvSplitK_hf_big_I14__hip_bfloat16Li32ELi3ELi16ELi8ELi2ELi5EEviiiiiiPKT_S3_S3_PS1_ii,comdat
	.protected	_Z16wvSplitK_hf_big_I14__hip_bfloat16Li32ELi3ELi16ELi8ELi2ELi5EEviiiiiiPKT_S3_S3_PS1_ii ; -- Begin function _Z16wvSplitK_hf_big_I14__hip_bfloat16Li32ELi3ELi16ELi8ELi2ELi5EEviiiiiiPKT_S3_S3_PS1_ii
	.globl	_Z16wvSplitK_hf_big_I14__hip_bfloat16Li32ELi3ELi16ELi8ELi2ELi5EEviiiiiiPKT_S3_S3_PS1_ii
	.p2align	8
	.type	_Z16wvSplitK_hf_big_I14__hip_bfloat16Li32ELi3ELi16ELi8ELi2ELi5EEviiiiiiPKT_S3_S3_PS1_ii,@function
_Z16wvSplitK_hf_big_I14__hip_bfloat16Li32ELi3ELi16ELi8ELi2ELi5EEviiiiiiPKT_S3_S3_PS1_ii: ; @_Z16wvSplitK_hf_big_I14__hip_bfloat16Li32ELi3ELi16ELi8ELi2ELi5EEviiiiiiPKT_S3_S3_PS1_ii
; %bb.0:
	s_load_b64 s[20:21], s[0:1], 0x38
	v_bfe_u32 v1, v0, 10, 10
	s_mov_b32 s2, exec_lo
	s_waitcnt lgkmcnt(0)
	s_delay_alu instid0(VALU_DEP_1)
	v_cmpx_gt_u32_e64 s20, v1
	s_cbranch_execz .LBB286_130
; %bb.1:
	s_load_b128 s[16:19], s[0:1], 0x0
	v_mad_u64_u32 v[2:3], null, s15, s20, v[1:2]
	s_mov_b32 s4, 1
	s_delay_alu instid0(SALU_CYCLE_1) | instskip(SKIP_1) | instid1(SALU_CYCLE_1)
	s_mov_b32 s5, s4
	s_mov_b32 s6, s4
	v_mov_b32_e32 v62, s6
	s_delay_alu instid0(VALU_DEP_2) | instskip(SKIP_1) | instid1(VALU_DEP_2)
	v_lshl_add_u32 v66, v2, 1, v2
	v_dual_mov_b32 v60, s4 :: v_dual_mov_b32 v61, s5
	v_add_nc_u32_e32 v2, 3, v66
	s_waitcnt lgkmcnt(0)
	v_cmp_gt_u32_e32 vcc_lo, s19, v66
	s_delay_alu instid0(VALU_DEP_2) | instskip(NEXT) | instid1(VALU_DEP_1)
	v_cmp_le_u32_e64 s2, s19, v2
	s_and_b32 s2, vcc_lo, s2
	s_delay_alu instid0(SALU_CYCLE_1)
	s_and_saveexec_b32 s7, s2
	s_cbranch_execz .LBB286_7
; %bb.2:
	v_dual_mov_b32 v62, s6 :: v_dual_mov_b32 v61, s5
	v_mov_b32_e32 v60, s4
	s_add_i32 s8, s19, -3
	s_mov_b32 s9, exec_lo
	v_cmpx_ne_u32_e64 s8, v66
	s_cbranch_execz .LBB286_6
; %bb.3:
	v_subrev_nc_u32_e32 v2, s8, v66
	s_mov_b32 s10, 0
	s_mov_b64 s[2:3], 0
	s_mov_b32 s5, s4
	s_mov_b32 s6, s4
	v_cmp_lt_u32_e32 vcc_lo, 1, v2
	v_cndmask_b32_e32 v2, 1, v2, vcc_lo
.LBB286_4:                              ; =>This Inner Loop Header: Depth=1
	s_cmp_lg_u32 s2, 2
	s_cselect_b32 s6, s6, 0
	s_cmp_lg_u32 s2, 1
	s_cselect_b32 s5, s5, 0
	s_cmp_lg_u32 s2, 0
	s_cselect_b32 s4, s4, 0
	s_add_u32 s2, s2, 1
	v_dual_mov_b32 v62, s6 :: v_dual_mov_b32 v61, s5
	v_cmp_eq_u32_e32 vcc_lo, s2, v2
	v_mov_b32_e32 v60, s4
	s_addc_u32 s3, s3, 0
	s_or_b32 s10, vcc_lo, s10
	s_delay_alu instid0(SALU_CYCLE_1)
	s_and_not1_b32 exec_lo, exec_lo, s10
	s_cbranch_execnz .LBB286_4
; %bb.5:
	s_or_b32 exec_lo, exec_lo, s10
	v_mov_b32_e32 v66, s8
.LBB286_6:
	s_or_b32 exec_lo, exec_lo, s9
.LBB286_7:
	s_delay_alu instid0(SALU_CYCLE_1)
	s_or_b32 exec_lo, exec_lo, s7
	s_mul_i32 s2, s20, 3
	s_abs_i32 s6, s19
	s_abs_i32 s3, s2
	s_mov_b32 s23, 0
	v_cvt_f32_u32_e32 v2, s3
	s_sub_i32 s5, 0, s3
	s_delay_alu instid0(VALU_DEP_1) | instskip(SKIP_2) | instid1(VALU_DEP_1)
	v_rcp_iflag_f32_e32 v2, v2
	s_waitcnt_depctr 0xfff
	v_mul_f32_e32 v2, 0x4f7ffffe, v2
	v_cvt_u32_f32_e32 v2, v2
	s_delay_alu instid0(VALU_DEP_1) | instskip(NEXT) | instid1(VALU_DEP_1)
	v_readfirstlane_b32 s4, v2
	s_mul_i32 s5, s5, s4
	s_delay_alu instid0(SALU_CYCLE_1) | instskip(NEXT) | instid1(SALU_CYCLE_1)
	s_mul_hi_u32 s5, s4, s5
	s_add_i32 s4, s4, s5
	s_ashr_i32 s5, s19, 31
	s_mul_hi_u32 s4, s6, s4
	s_delay_alu instid0(SALU_CYCLE_1) | instskip(NEXT) | instid1(SALU_CYCLE_1)
	s_mul_i32 s4, s4, s3
	s_sub_i32 s4, s6, s4
	s_delay_alu instid0(SALU_CYCLE_1) | instskip(SKIP_2) | instid1(SALU_CYCLE_1)
	s_sub_i32 s6, s4, s3
	s_cmp_ge_u32 s4, s3
	s_cselect_b32 s4, s6, s4
	s_sub_i32 s6, s4, s3
	s_cmp_ge_u32 s4, s3
	s_cselect_b32 s3, s6, s4
	s_add_i32 s4, s2, s19
	s_xor_b32 s3, s3, s5
	s_delay_alu instid0(SALU_CYCLE_1) | instskip(NEXT) | instid1(SALU_CYCLE_1)
	s_sub_i32 s3, s3, s5
	s_sub_i32 s4, s4, s3
	s_cmp_eq_u32 s3, 0
	s_cselect_b32 s22, s19, s4
	s_delay_alu instid0(SALU_CYCLE_1)
	v_cmp_gt_u32_e32 vcc_lo, s22, v66
	s_and_b32 exec_lo, exec_lo, vcc_lo
	s_cbranch_execz .LBB286_130
; %bb.8:
	s_load_b256 s[4:11], s[0:1], 0x10
	s_min_u32 s24, s18, 0x1800
	s_cmp_lg_u32 s16, 0
	s_load_b64 s[12:13], s[0:1], 0x30
	s_cselect_b32 s25, -1, 0
	s_cmp_lg_u32 s18, 0
	v_and_b32_e32 v0, 0x3ff, v0
	s_cselect_b32 s26, -1, 0
	s_lshl_b32 s27, s20, 8
	s_add_i32 s28, s16, -8
	s_add_i32 s29, s19, -1
	v_mbcnt_lo_u32_b32 v78, -1, 0
	v_mov_b32_e32 v69, 0
	s_waitcnt lgkmcnt(0)
	s_cmp_lg_u64 s[10:11], 0
	s_cselect_b32 s30, -1, 0
	s_abs_i32 s3, s5
	s_mul_i32 s5, s2, s21
	v_cvt_f32_u32_e32 v2, s3
	s_sub_i32 s1, 0, s3
	s_add_i32 s31, s19, -3
	s_sub_i32 s2, 0, s4
	s_sub_i32 s14, 1, s3
	v_rcp_iflag_f32_e32 v2, v2
	s_mul_i32 s21, s24, 6
	s_waitcnt_depctr 0xfff
	v_mul_f32_e32 v2, 0x4f7ffffe, v2
	s_delay_alu instid0(VALU_DEP_1) | instskip(NEXT) | instid1(VALU_DEP_1)
	v_cvt_u32_f32_e32 v2, v2
	v_readfirstlane_b32 s0, v2
	v_cvt_f32_u32_e32 v2, s4
	s_delay_alu instid0(VALU_DEP_2) | instskip(NEXT) | instid1(VALU_DEP_1)
	s_mul_i32 s1, s1, s0
	v_rcp_iflag_f32_e32 v2, v2
	s_mul_hi_u32 s1, s0, s1
	v_lshlrev_b32_e32 v79, 3, v0
	s_add_i32 s1, s0, s1
	s_cmp_lt_u32 s3, 2
	v_cmp_eq_u32_e64 s0, 31, v0
	s_cselect_b32 s14, s14, 1
	v_lshlrev_b32_e32 v0, 4, v0
	s_sub_i32 s15, s14, s3
	s_cmp_ge_u32 s14, s3
	s_waitcnt_depctr 0xfff
	v_mul_f32_e32 v2, 0x4f7ffffe, v2
	s_cselect_b32 s33, s15, s14
	s_lshr_b32 s14, s1, 31
	v_lshl_add_u32 v70, v1, 8, v79
	s_mul_i32 s14, s14, s3
	v_cvt_u32_f32_e32 v2, v2
	s_sub_i32 s14, 2, s14
	v_lshl_add_u32 v80, v1, 9, v0
	s_sub_i32 s15, s14, s3
	s_cmp_ge_u32 s14, s3
	v_mul_lo_u32 v3, s2, v2
	s_cselect_b32 s2, s15, s14
	s_mul_hi_u32 s14, s1, 3
	s_sub_i32 s15, s2, s3
	s_cmp_ge_u32 s2, s3
	s_mul_i32 s14, s14, s3
	s_cselect_b32 s34, s15, s2
	s_sub_i32 s2, 3, s14
	v_mul_hi_u32 v0, v2, v3
	s_sub_i32 s14, s2, s3
	s_cmp_ge_u32 s2, s3
	v_mad_u64_u32 v[71:72], null, s18, 3, v[70:71]
	s_cselect_b32 s2, s14, s2
	v_lshl_add_u32 v81, s18, 1, v70
	s_sub_i32 s14, s2, s3
	s_cmp_ge_u32 s2, s3
	v_lshl_add_u32 v82, s18, 2, v70
	s_cselect_b32 s35, s14, s2
	s_lshr_b32 s1, s1, 30
	v_add_nc_u32_e32 v83, s18, v70
	s_mul_i32 s1, s1, s3
	v_add_nc_u32_e32 v84, v2, v0
	s_sub_i32 s1, 4, s1
	s_mul_i32 s33, s33, s4
	s_sub_i32 s2, s1, s3
	s_cmp_ge_u32 s1, s3
	s_mul_i32 s34, s34, s4
	s_cselect_b32 s1, s2, s1
	s_mul_i32 s35, s35, s4
	s_sub_i32 s2, s1, s3
	s_cmp_ge_u32 s1, s3
	s_cselect_b32 s40, s2, s1
	s_add_u32 s36, s12, 2
	s_addc_u32 s37, s13, 0
	s_lshl_b32 s38, s24, 3
	s_lshl_b32 s20, s20, 9
	;; [unrolled: 1-line block ×3, first 2 shown]
	s_mul_i32 s40, s40, s4
	s_lshl_b32 s41, s24, 1
	s_branch .LBB286_12
.LBB286_9:                              ;   in Loop: Header=BB286_12 Depth=1
	s_or_b32 exec_lo, exec_lo, s44
	v_mov_b32_e32 v66, s31
.LBB286_10:                             ;   in Loop: Header=BB286_12 Depth=1
	s_or_b32 exec_lo, exec_lo, s43
.LBB286_11:                             ;   in Loop: Header=BB286_12 Depth=1
	s_delay_alu instid0(SALU_CYCLE_1) | instskip(NEXT) | instid1(VALU_DEP_1)
	s_or_b32 exec_lo, exec_lo, s42
	v_cmp_le_u32_e32 vcc_lo, s22, v66
	s_or_b32 s23, vcc_lo, s23
	s_delay_alu instid0(SALU_CYCLE_1)
	s_and_not1_b32 exec_lo, exec_lo, s23
	s_cbranch_execz .LBB286_130
.LBB286_12:                             ; =>This Loop Header: Depth=1
                                        ;     Child Loop BB286_17 Depth 2
                                        ;       Child Loop BB286_22 Depth 3
                                        ;     Child Loop BB286_128 Depth 2
	v_mov_b32_e32 v67, v69
	v_mov_b32_e32 v85, v69
	;; [unrolled: 1-line block ×15, first 2 shown]
	s_and_not1_b32 vcc_lo, exec_lo, s25
	s_mov_b32 s3, 0
	s_cbranch_vccnz .LBB286_29
; %bb.13:                               ;   in Loop: Header=BB286_12 Depth=1
	v_add_nc_u32_e32 v0, 1, v66
	s_waitcnt lgkmcnt(0)
	v_dual_mov_b32 v98, 0 :: v_dual_add_nc_u32 v1, 2, v66
	v_min_u32_e32 v2, s29, v66
	v_dual_mov_b32 v3, v69 :: v_dual_mov_b32 v96, 0
	s_delay_alu instid0(VALU_DEP_3)
	v_min_u32_e32 v4, s29, v1
	v_mov_b32_e32 v1, v69
	v_min_u32_e32 v0, s29, v0
	v_mul_lo_u32 v68, v2, s17
	v_cmp_gt_u32_e64 s1, s19, v66
	v_mul_lo_u32 v2, v4, s17
	v_dual_mov_b32 v95, 0 :: v_dual_mov_b32 v94, 0
	v_mul_lo_u32 v0, v0, s17
	v_dual_mov_b32 v97, 0 :: v_dual_mov_b32 v90, 0
	v_lshlrev_b64 v[72:73], 1, v[68:69]
	v_dual_mov_b32 v93, 0 :: v_dual_mov_b32 v92, 0
	v_lshlrev_b64 v[76:77], 1, v[2:3]
	;; [unrolled: 2-line block ×3, first 2 shown]
	v_dual_mov_b32 v91, 0 :: v_dual_mov_b32 v86, 0
	v_mov_b32_e32 v87, 0
	v_mov_b32_e32 v85, 0
	v_mov_b32_e32 v67, 0
	s_mov_b32 s14, 0
	s_branch .LBB286_17
.LBB286_14:                             ;   in Loop: Header=BB286_17 Depth=2
	s_or_b32 exec_lo, exec_lo, s42
.LBB286_15:                             ;   in Loop: Header=BB286_17 Depth=2
	s_delay_alu instid0(SALU_CYCLE_1)
	s_or_b32 exec_lo, exec_lo, s15
	s_waitcnt lgkmcnt(4)
	v_and_b32_e32 v108, 0xffff0000, v59
	s_waitcnt vmcnt(5)
	v_and_b32_e32 v110, 0xffff0000, v55
	s_waitcnt vmcnt(4)
	v_and_b32_e32 v107, 0xffff0000, v48
	v_lshlrev_b32_e32 v48, 16, v48
	v_and_b32_e32 v112, 0xffff0000, v50
	v_lshlrev_b32_e32 v50, 16, v50
	v_lshlrev_b32_e32 v55, 16, v55
	v_mul_f32_e32 v113, v108, v110
	v_and_b32_e32 v109, 0xffff0000, v49
	v_lshlrev_b32_e32 v49, 16, v49
	v_and_b32_e32 v104, 0xffff0000, v58
	v_lshlrev_b32_e32 v59, 16, v59
	v_and_b32_e32 v100, 0xffff0000, v52
	v_and_b32_e32 v101, 0xffff0000, v57
	;; [unrolled: 1-line block ×3, first 2 shown]
	s_delay_alu instid0(VALU_DEP_4) | instskip(SKIP_4) | instid1(VALU_DEP_2)
	v_dual_fmac_f32 v113, v59, v55 :: v_dual_lshlrev_b32 v58, 16, v58
	v_lshlrev_b32_e32 v54, 16, v54
	v_and_b32_e32 v103, 0xffff0000, v53
	v_and_b32_e32 v99, 0xffff0000, v56
	s_waitcnt lgkmcnt(3)
	v_dual_mul_f32 v106, v101, v103 :: v_dual_and_b32 v115, 0xffff0000, v46
	s_delay_alu instid0(VALU_DEP_2) | instskip(SKIP_3) | instid1(VALU_DEP_1)
	v_mul_f32_e32 v102, v99, v100
	v_dual_mul_f32 v111, v101, v109 :: v_dual_lshlrev_b32 v52, 16, v52
	v_lshlrev_b32_e32 v57, 16, v57
	v_lshlrev_b32_e32 v53, 16, v53
	v_fmac_f32_e32 v106, v57, v53
	v_lshlrev_b32_e32 v56, 16, v56
	s_delay_alu instid0(VALU_DEP_1) | instskip(NEXT) | instid1(VALU_DEP_1)
	v_dual_fmac_f32 v102, v56, v52 :: v_dual_fmac_f32 v111, v57, v49
	v_dual_add_f32 v95, v95, v102 :: v_dual_mul_f32 v102, v104, v105
	s_delay_alu instid0(VALU_DEP_1) | instskip(SKIP_1) | instid1(VALU_DEP_1)
	v_add_f32_e32 v95, v95, v106
	v_mul_f32_e32 v106, v99, v107
	v_fmac_f32_e32 v106, v56, v48
	s_delay_alu instid0(VALU_DEP_1) | instskip(NEXT) | instid1(VALU_DEP_1)
	v_add_f32_e32 v98, v98, v106
	v_add_f32_e32 v98, v98, v111
	v_dual_fmac_f32 v102, v58, v54 :: v_dual_and_b32 v111, 0xffff0000, v51
	v_lshlrev_b32_e32 v51, 16, v51
	s_delay_alu instid0(VALU_DEP_2) | instskip(NEXT) | instid1(VALU_DEP_1)
	v_add_f32_e32 v95, v95, v102
	v_add_f32_e32 v95, v95, v113
	s_waitcnt vmcnt(3)
	v_and_b32_e32 v113, 0xffff0000, v42
	v_and_b32_e32 v102, 0xffff0000, v40
	v_lshlrev_b32_e32 v42, 16, v42
	s_delay_alu instid0(VALU_DEP_2) | instskip(NEXT) | instid1(VALU_DEP_1)
	v_dual_mul_f32 v99, v99, v102 :: v_dual_lshlrev_b32 v40, 16, v40
	v_fmac_f32_e32 v99, v56, v40
	v_mul_f32_e32 v106, v104, v112
	s_delay_alu instid0(VALU_DEP_2) | instskip(NEXT) | instid1(VALU_DEP_2)
	v_add_f32_e32 v96, v96, v99
	v_fmac_f32_e32 v106, v58, v50
	s_delay_alu instid0(VALU_DEP_1) | instskip(SKIP_1) | instid1(VALU_DEP_1)
	v_add_f32_e32 v98, v98, v106
	v_and_b32_e32 v106, 0xffff0000, v41
	v_dual_mul_f32 v56, v101, v106 :: v_dual_lshlrev_b32 v41, 16, v41
	v_mul_f32_e32 v101, v108, v111
	s_delay_alu instid0(VALU_DEP_2) | instskip(SKIP_1) | instid1(VALU_DEP_3)
	v_dual_fmac_f32 v56, v57, v41 :: v_dual_and_b32 v99, 0xffff0000, v44
	v_mul_f32_e32 v57, v104, v113
	v_fmac_f32_e32 v101, v59, v51
	s_delay_alu instid0(VALU_DEP_3) | instskip(NEXT) | instid1(VALU_DEP_3)
	v_mul_f32_e32 v104, v99, v100
	v_dual_add_f32 v56, v96, v56 :: v_dual_fmac_f32 v57, v58, v42
	v_and_b32_e32 v58, 0xffff0000, v43
	v_and_b32_e32 v96, 0xffff0000, v45
	v_lshlrev_b32_e32 v43, 16, v43
	v_lshlrev_b32_e32 v45, 16, v45
	v_add_f32_e32 v56, v56, v57
	v_mul_f32_e32 v108, v108, v58
	s_delay_alu instid0(VALU_DEP_1) | instskip(SKIP_3) | instid1(VALU_DEP_2)
	v_fmac_f32_e32 v108, v59, v43
	v_mul_f32_e32 v59, v99, v107
	v_mul_f32_e32 v114, v96, v103
	v_lshlrev_b32_e32 v46, 16, v46
	v_dual_mul_f32 v99, v99, v102 :: v_dual_fmac_f32 v114, v45, v53
	v_lshlrev_b32_e32 v44, 16, v44
	s_delay_alu instid0(VALU_DEP_1) | instskip(NEXT) | instid1(VALU_DEP_1)
	v_fmac_f32_e32 v104, v44, v52
	v_add_f32_e32 v97, v97, v104
	s_delay_alu instid0(VALU_DEP_1) | instskip(SKIP_4) | instid1(VALU_DEP_3)
	v_add_f32_e32 v57, v97, v114
	v_add_f32_e32 v97, v98, v101
	v_dual_fmac_f32 v59, v44, v48 :: v_dual_mul_f32 v104, v115, v105
	v_mul_f32_e32 v101, v96, v109
	v_fmac_f32_e32 v99, v44, v40
	v_dual_mul_f32 v44, v96, v106 :: v_dual_add_f32 v59, v94, v59
	s_delay_alu instid0(VALU_DEP_3) | instskip(NEXT) | instid1(VALU_DEP_3)
	v_dual_fmac_f32 v104, v46, v54 :: v_dual_fmac_f32 v101, v45, v49
	v_dual_add_f32 v56, v56, v108 :: v_dual_add_f32 v93, v93, v99
	s_delay_alu instid0(VALU_DEP_2) | instskip(NEXT) | instid1(VALU_DEP_3)
	v_add_f32_e32 v57, v57, v104
	v_dual_add_f32 v59, v59, v101 :: v_dual_and_b32 v98, 0xffff0000, v47
	v_fmac_f32_e32 v44, v45, v41
	v_mul_f32_e32 v45, v115, v113
	v_dual_mul_f32 v94, v115, v112 :: v_dual_lshlrev_b32 v47, 16, v47
	s_delay_alu instid0(VALU_DEP_4) | instskip(NEXT) | instid1(VALU_DEP_3)
	v_mul_f32_e32 v104, v98, v110
	v_dual_add_f32 v44, v93, v44 :: v_dual_fmac_f32 v45, v46, v42
	s_waitcnt lgkmcnt(2)
	s_delay_alu instid0(VALU_DEP_3) | instskip(NEXT) | instid1(VALU_DEP_3)
	v_dual_fmac_f32 v94, v46, v50 :: v_dual_and_b32 v93, 0xffff0000, v37
	v_dual_fmac_f32 v104, v47, v55 :: v_dual_lshlrev_b32 v37, 16, v37
	s_delay_alu instid0(VALU_DEP_2) | instskip(NEXT) | instid1(VALU_DEP_3)
	v_dual_add_f32 v44, v44, v45 :: v_dual_add_f32 v59, v59, v94
	v_dual_mul_f32 v45, v93, v103 :: v_dual_and_b32 v94, 0xffff0000, v36
	v_lshlrev_b32_e32 v36, 16, v36
	s_delay_alu instid0(VALU_DEP_4) | instskip(NEXT) | instid1(VALU_DEP_3)
	v_dual_add_f32 v57, v57, v104 :: v_dual_mul_f32 v96, v98, v111
	v_dual_mul_f32 v46, v94, v100 :: v_dual_fmac_f32 v45, v37, v53
	s_delay_alu instid0(VALU_DEP_1) | instskip(NEXT) | instid1(VALU_DEP_1)
	v_fmac_f32_e32 v46, v36, v52
	v_add_f32_e32 v46, v89, v46
	s_delay_alu instid0(VALU_DEP_4) | instskip(SKIP_1) | instid1(VALU_DEP_3)
	v_fmac_f32_e32 v96, v47, v51
	v_mul_f32_e32 v89, v94, v107
	v_add_f32_e32 v45, v46, v45
	v_mul_f32_e32 v98, v98, v58
	s_delay_alu instid0(VALU_DEP_3) | instskip(SKIP_1) | instid1(VALU_DEP_3)
	v_dual_fmac_f32 v89, v36, v48 :: v_dual_and_b32 v46, 0xffff0000, v39
	v_lshlrev_b32_e32 v39, 16, v39
	v_fmac_f32_e32 v98, v47, v43
	v_add_f32_e32 v47, v59, v96
	v_and_b32_e32 v59, 0xffff0000, v38
	v_mul_f32_e32 v99, v46, v110
	v_add_f32_e32 v89, v90, v89
	v_mul_f32_e32 v94, v94, v102
	s_delay_alu instid0(VALU_DEP_4) | instskip(NEXT) | instid1(VALU_DEP_4)
	v_mul_f32_e32 v96, v59, v105
	v_dual_fmac_f32 v99, v39, v55 :: v_dual_lshlrev_b32 v38, 16, v38
	v_mul_f32_e32 v90, v59, v112
	s_delay_alu instid0(VALU_DEP_4) | instskip(SKIP_1) | instid1(VALU_DEP_4)
	v_dual_mul_f32 v59, v59, v113 :: v_dual_fmac_f32 v94, v36, v40
	v_mul_f32_e32 v36, v93, v106
	v_fmac_f32_e32 v96, v38, v54
	v_add_f32_e32 v44, v44, v98
	s_waitcnt lgkmcnt(1)
	v_dual_mul_f32 v98, v93, v109 :: v_dual_and_b32 v93, 0xffff0000, v32
	v_fmac_f32_e32 v36, v37, v41
	v_lshlrev_b32_e32 v32, 16, v32
	s_delay_alu instid0(VALU_DEP_3) | instskip(NEXT) | instid1(VALU_DEP_4)
	v_fmac_f32_e32 v98, v37, v49
	v_mul_f32_e32 v37, v93, v100
	v_add_f32_e32 v45, v45, v96
	s_delay_alu instid0(VALU_DEP_2) | instskip(NEXT) | instid1(VALU_DEP_4)
	v_fmac_f32_e32 v37, v32, v52
	v_add_f32_e32 v89, v89, v98
	s_delay_alu instid0(VALU_DEP_3) | instskip(SKIP_1) | instid1(VALU_DEP_4)
	v_dual_add_f32 v45, v45, v99 :: v_dual_fmac_f32 v90, v38, v50
	v_fmac_f32_e32 v59, v38, v42
	v_add_f32_e32 v37, v91, v37
	s_delay_alu instid0(VALU_DEP_3) | instskip(SKIP_3) | instid1(VALU_DEP_2)
	v_add_f32_e32 v89, v89, v90
	v_add_f32_e32 v90, v92, v94
	v_mul_f32_e32 v92, v46, v111
	v_mul_f32_e32 v46, v46, v58
	v_fmac_f32_e32 v92, v39, v51
	v_and_b32_e32 v94, 0xffff0000, v33
	v_and_b32_e32 v38, 0xffff0000, v34
	v_lshlrev_b32_e32 v33, 16, v33
	v_lshlrev_b32_e32 v34, 16, v34
	v_fmac_f32_e32 v46, v39, v43
	v_mul_f32_e32 v39, v93, v107
	v_mul_f32_e32 v91, v38, v105
	s_delay_alu instid0(VALU_DEP_1) | instskip(SKIP_1) | instid1(VALU_DEP_1)
	v_fmac_f32_e32 v91, v34, v54
	v_add_f32_e32 v36, v90, v36
	v_dual_add_f32 v36, v36, v59 :: v_dual_add_f32 v59, v89, v92
	v_mul_f32_e32 v90, v94, v103
	v_mul_f32_e32 v89, v94, v109
	s_delay_alu instid0(VALU_DEP_2) | instskip(NEXT) | instid1(VALU_DEP_2)
	v_fmac_f32_e32 v90, v33, v53
	v_fmac_f32_e32 v89, v33, v49
	s_delay_alu instid0(VALU_DEP_2) | instskip(SKIP_1) | instid1(VALU_DEP_2)
	v_add_f32_e32 v37, v37, v90
	v_fmac_f32_e32 v39, v32, v48
	v_add_f32_e32 v37, v37, v91
	s_delay_alu instid0(VALU_DEP_2) | instskip(SKIP_1) | instid1(VALU_DEP_2)
	v_add_f32_e32 v39, v88, v39
	v_dual_mul_f32 v91, v93, v102 :: v_dual_mul_f32 v88, v38, v112
	v_add_f32_e32 v39, v39, v89
	s_delay_alu instid0(VALU_DEP_2) | instskip(SKIP_3) | instid1(VALU_DEP_4)
	v_dual_fmac_f32 v91, v32, v40 :: v_dual_mul_f32 v32, v94, v106
	v_add_f32_e32 v36, v36, v46
	v_and_b32_e32 v46, 0xffff0000, v35
	v_lshlrev_b32_e32 v35, 16, v35
	v_dual_add_f32 v87, v87, v91 :: v_dual_fmac_f32 v32, v33, v41
	v_mul_f32_e32 v33, v38, v113
	s_delay_alu instid0(VALU_DEP_4) | instskip(SKIP_1) | instid1(VALU_DEP_3)
	v_mul_f32_e32 v90, v46, v110
	s_waitcnt lgkmcnt(0)
	v_dual_add_f32 v32, v87, v32 :: v_dual_and_b32 v87, 0xffff0000, v29
	v_dual_fmac_f32 v88, v34, v50 :: v_dual_lshlrev_b32 v29, 16, v29
	s_delay_alu instid0(VALU_DEP_1) | instskip(SKIP_2) | instid1(VALU_DEP_3)
	v_dual_fmac_f32 v33, v34, v42 :: v_dual_add_f32 v38, v39, v88
	v_dual_fmac_f32 v90, v35, v55 :: v_dual_and_b32 v39, 0xffff0000, v28
	v_lshlrev_b32_e32 v28, 16, v28
	v_dual_add_f32 v32, v32, v33 :: v_dual_mul_f32 v33, v87, v103
	s_delay_alu instid0(VALU_DEP_3) | instskip(NEXT) | instid1(VALU_DEP_4)
	v_mul_f32_e32 v34, v39, v100
	v_dual_mul_f32 v88, v46, v111 :: v_dual_add_f32 v37, v37, v90
	s_delay_alu instid0(VALU_DEP_2) | instskip(NEXT) | instid1(VALU_DEP_1)
	v_dual_fmac_f32 v33, v29, v53 :: v_dual_fmac_f32 v34, v28, v52
	v_add_f32_e32 v34, v86, v34
	s_delay_alu instid0(VALU_DEP_1) | instskip(SKIP_3) | instid1(VALU_DEP_2)
	v_add_f32_e32 v33, v34, v33
	v_mul_f32_e32 v46, v46, v58
	v_and_b32_e32 v34, 0xffff0000, v31
	v_lshlrev_b32_e32 v31, 16, v31
	v_dual_mul_f32 v53, v34, v110 :: v_dual_fmac_f32 v46, v35, v43
	s_delay_alu instid0(VALU_DEP_1) | instskip(SKIP_3) | instid1(VALU_DEP_3)
	v_dual_fmac_f32 v53, v31, v55 :: v_dual_add_f32 v32, v32, v46
	v_mul_f32_e32 v46, v39, v107
	v_mul_f32_e32 v39, v39, v102
	v_fmac_f32_e32 v88, v35, v51
	v_fmac_f32_e32 v46, v28, v48
	s_delay_alu instid0(VALU_DEP_2) | instskip(NEXT) | instid1(VALU_DEP_4)
	v_dual_mul_f32 v48, v87, v109 :: v_dual_add_f32 v35, v38, v88
	v_dual_fmac_f32 v39, v28, v40 :: v_dual_and_b32 v38, 0xffff0000, v30
	v_mul_f32_e32 v40, v34, v111
	s_delay_alu instid0(VALU_DEP_4) | instskip(NEXT) | instid1(VALU_DEP_3)
	v_add_f32_e32 v46, v85, v46
	v_dual_fmac_f32 v48, v29, v49 :: v_dual_add_f32 v39, v67, v39
	s_delay_alu instid0(VALU_DEP_3) | instskip(SKIP_1) | instid1(VALU_DEP_3)
	v_dual_mul_f32 v49, v38, v112 :: v_dual_fmac_f32 v40, v31, v51
	v_lshlrev_b32_e32 v30, 16, v30
	v_add_f32_e32 v46, v46, v48
	s_waitcnt vmcnt(2)
	v_and_b32_e32 v48, 0xffff0000, v22
	v_mul_f32_e32 v28, v87, v106
	v_lshlrev_b32_e32 v22, 16, v22
	s_delay_alu instid0(VALU_DEP_2) | instskip(SKIP_1) | instid1(VALU_DEP_2)
	v_dual_fmac_f32 v49, v30, v50 :: v_dual_fmac_f32 v28, v29, v41
	v_mul_f32_e32 v29, v38, v113
	v_dual_add_f32 v46, v46, v49 :: v_dual_and_b32 v41, 0xffff0000, v20
	s_delay_alu instid0(VALU_DEP_3) | instskip(NEXT) | instid1(VALU_DEP_2)
	v_add_f32_e32 v28, v39, v28
	v_add_f32_e32 v39, v46, v40
	s_delay_alu instid0(VALU_DEP_4)
	v_dual_fmac_f32 v29, v30, v42 :: v_dual_and_b32 v40, 0xffff0000, v25
	v_mul_f32_e32 v34, v34, v58
	v_and_b32_e32 v46, 0xffff0000, v26
	v_and_b32_e32 v42, 0xffff0000, v21
	v_mul_f32_e32 v52, v38, v105
	v_and_b32_e32 v38, 0xffff0000, v24
	v_lshlrev_b32_e32 v20, 16, v20
	v_add_f32_e32 v28, v28, v29
	v_mul_f32_e32 v29, v40, v42
	v_dual_fmac_f32 v52, v30, v54 :: v_dual_lshlrev_b32 v21, 16, v21
	v_lshlrev_b32_e32 v26, 16, v26
	v_lshlrev_b32_e32 v24, 16, v24
	s_waitcnt vmcnt(1)
	v_dual_fmac_f32 v34, v31, v43 :: v_dual_and_b32 v43, 0xffff0000, v16
	v_lshlrev_b32_e32 v16, 16, v16
	v_mul_f32_e32 v30, v38, v41
	v_lshlrev_b32_e32 v25, 16, v25
	v_mul_f32_e32 v49, v46, v48
	v_and_b32_e32 v31, 0xffff0000, v23
	s_delay_alu instid0(VALU_DEP_4) | instskip(NEXT) | instid1(VALU_DEP_4)
	v_dual_fmac_f32 v30, v24, v20 :: v_dual_lshlrev_b32 v23, 16, v23
	v_fmac_f32_e32 v29, v25, v21
	s_delay_alu instid0(VALU_DEP_4) | instskip(NEXT) | instid1(VALU_DEP_3)
	v_fmac_f32_e32 v49, v26, v22
	v_dual_add_f32 v33, v33, v52 :: v_dual_add_f32 v30, v95, v30
	s_delay_alu instid0(VALU_DEP_1) | instskip(SKIP_1) | instid1(VALU_DEP_3)
	v_add_f32_e32 v33, v33, v53
	v_and_b32_e32 v53, 0xffff0000, v19
	v_dual_add_f32 v29, v30, v29 :: v_dual_and_b32 v30, 0xffff0000, v27
	v_lshlrev_b32_e32 v27, 16, v27
	v_lshlrev_b32_e32 v19, 16, v19
	s_delay_alu instid0(VALU_DEP_3) | instskip(SKIP_3) | instid1(VALU_DEP_4)
	v_dual_add_f32 v29, v29, v49 :: v_dual_mul_f32 v50, v30, v31
	v_and_b32_e32 v49, 0xffff0000, v17
	v_lshlrev_b32_e32 v17, 16, v17
	v_mul_f32_e32 v54, v30, v53
	v_fmac_f32_e32 v50, v27, v23
	s_delay_alu instid0(VALU_DEP_1) | instskip(SKIP_4) | instid1(VALU_DEP_4)
	v_dual_fmac_f32 v54, v27, v19 :: v_dual_add_f32 v95, v29, v50
	v_mul_f32_e32 v51, v38, v43
	v_and_b32_e32 v29, 0xffff0000, v18
	v_add_f32_e32 v28, v28, v34
	v_mul_f32_e32 v34, v40, v49
	v_dual_fmac_f32 v51, v24, v16 :: v_dual_lshlrev_b32 v18, 16, v18
	s_delay_alu instid0(VALU_DEP_4) | instskip(NEXT) | instid1(VALU_DEP_3)
	v_mul_f32_e32 v52, v46, v29
	v_fmac_f32_e32 v34, v25, v17
	s_delay_alu instid0(VALU_DEP_3) | instskip(SKIP_1) | instid1(VALU_DEP_3)
	v_add_f32_e32 v50, v97, v51
	s_waitcnt vmcnt(0)
	v_dual_fmac_f32 v52, v26, v18 :: v_dual_and_b32 v51, 0xffff0000, v8
	s_delay_alu instid0(VALU_DEP_2) | instskip(SKIP_1) | instid1(VALU_DEP_3)
	v_add_f32_e32 v34, v50, v34
	v_and_b32_e32 v50, 0xffff0000, v9
	v_dual_mul_f32 v38, v38, v51 :: v_dual_lshlrev_b32 v9, 16, v9
	s_delay_alu instid0(VALU_DEP_3) | instskip(NEXT) | instid1(VALU_DEP_1)
	v_add_f32_e32 v34, v34, v52
	v_add_f32_e32 v98, v34, v54
	v_and_b32_e32 v34, 0xffff0000, v14
	v_lshlrev_b32_e32 v14, 16, v14
	v_lshlrev_b32_e32 v8, 16, v8
	s_delay_alu instid0(VALU_DEP_1)
	v_fmac_f32_e32 v38, v24, v8
	v_mul_f32_e32 v24, v40, v50
	v_and_b32_e32 v40, 0xffff0000, v10
	v_lshlrev_b32_e32 v10, 16, v10
	v_and_b32_e32 v52, 0xffff0000, v13
	v_add_f32_e32 v38, v56, v38
	s_delay_alu instid0(VALU_DEP_4) | instskip(SKIP_2) | instid1(VALU_DEP_3)
	v_dual_fmac_f32 v24, v25, v9 :: v_dual_mul_f32 v25, v46, v40
	v_and_b32_e32 v46, 0xffff0000, v12
	v_lshlrev_b32_e32 v12, 16, v12
	v_dual_add_f32 v24, v38, v24 :: v_dual_lshlrev_b32 v13, 16, v13
	s_delay_alu instid0(VALU_DEP_4) | instskip(NEXT) | instid1(VALU_DEP_4)
	v_dual_fmac_f32 v25, v26, v10 :: v_dual_and_b32 v26, 0xffff0000, v11
	v_dual_mul_f32 v38, v46, v41 :: v_dual_lshlrev_b32 v11, 16, v11
	s_delay_alu instid0(VALU_DEP_2) | instskip(NEXT) | instid1(VALU_DEP_3)
	v_add_f32_e32 v24, v24, v25
	v_mul_f32_e32 v30, v30, v26
	v_mul_f32_e32 v25, v52, v42
	s_delay_alu instid0(VALU_DEP_4) | instskip(NEXT) | instid1(VALU_DEP_2)
	v_fmac_f32_e32 v38, v12, v20
	v_dual_fmac_f32 v30, v27, v11 :: v_dual_fmac_f32 v25, v13, v21
	s_delay_alu instid0(VALU_DEP_2) | instskip(NEXT) | instid1(VALU_DEP_2)
	v_dual_add_f32 v27, v57, v38 :: v_dual_mul_f32 v38, v52, v49
	v_add_f32_e32 v96, v24, v30
	s_delay_alu instid0(VALU_DEP_2) | instskip(SKIP_1) | instid1(VALU_DEP_4)
	v_dual_mul_f32 v24, v46, v43 :: v_dual_add_f32 v25, v27, v25
	v_dual_mul_f32 v30, v34, v48 :: v_dual_and_b32 v27, 0xffff0000, v15
	v_dual_fmac_f32 v38, v13, v17 :: v_dual_lshlrev_b32 v15, 16, v15
	s_delay_alu instid0(VALU_DEP_2) | instskip(NEXT) | instid1(VALU_DEP_1)
	v_fmac_f32_e32 v30, v14, v22
	v_dual_mul_f32 v54, v27, v31 :: v_dual_add_f32 v25, v25, v30
	v_fmac_f32_e32 v24, v12, v16
	s_delay_alu instid0(VALU_DEP_2) | instskip(SKIP_1) | instid1(VALU_DEP_3)
	v_fmac_f32_e32 v54, v15, v23
	v_mul_f32_e32 v30, v46, v51
	v_dual_add_f32 v24, v47, v24 :: v_dual_mul_f32 v47, v34, v29
	s_delay_alu instid0(VALU_DEP_3) | instskip(SKIP_1) | instid1(VALU_DEP_4)
	v_add_f32_e32 v97, v25, v54
	v_and_b32_e32 v25, 0xffff0000, v4
	v_fmac_f32_e32 v30, v12, v8
	s_delay_alu instid0(VALU_DEP_4)
	v_add_f32_e32 v24, v24, v38
	v_mul_f32_e32 v38, v27, v53
	v_mul_f32_e32 v27, v27, v26
	;; [unrolled: 1-line block ×3, first 2 shown]
	v_lshlrev_b32_e32 v4, 16, v4
	v_add_f32_e32 v30, v44, v30
	v_fmac_f32_e32 v38, v15, v19
	v_fmac_f32_e32 v27, v15, v11
	;; [unrolled: 1-line block ×3, first 2 shown]
	v_mul_f32_e32 v15, v25, v43
	v_fmac_f32_e32 v12, v13, v9
	s_delay_alu instid0(VALU_DEP_3) | instskip(NEXT) | instid1(VALU_DEP_3)
	v_add_f32_e32 v24, v24, v47
	v_fmac_f32_e32 v15, v4, v16
	v_dual_mul_f32 v13, v34, v40 :: v_dual_mul_f32 v34, v25, v41
	s_delay_alu instid0(VALU_DEP_4) | instskip(NEXT) | instid1(VALU_DEP_4)
	v_add_f32_e32 v12, v30, v12
	v_add_f32_e32 v94, v24, v38
	s_delay_alu instid0(VALU_DEP_3) | instskip(NEXT) | instid1(VALU_DEP_4)
	v_dual_fmac_f32 v13, v14, v10 :: v_dual_and_b32 v24, 0xffff0000, v5
	v_dual_fmac_f32 v34, v4, v20 :: v_dual_lshlrev_b32 v5, 16, v5
	v_and_b32_e32 v30, 0xffff0000, v6
	s_delay_alu instid0(VALU_DEP_3) | instskip(NEXT) | instid1(VALU_DEP_3)
	v_mul_f32_e32 v14, v24, v42
	v_dual_add_f32 v12, v12, v13 :: v_dual_add_f32 v13, v45, v34
	v_mul_f32_e32 v38, v24, v49
	v_lshlrev_b32_e32 v6, 16, v6
	s_delay_alu instid0(VALU_DEP_4) | instskip(SKIP_3) | instid1(VALU_DEP_4)
	v_dual_fmac_f32 v14, v5, v21 :: v_dual_add_f32 v15, v59, v15
	v_mul_f32_e32 v45, v30, v29
	v_mul_f32_e32 v34, v30, v48
	v_fmac_f32_e32 v38, v5, v17
	v_dual_add_f32 v13, v13, v14 :: v_dual_and_b32 v14, 0xffff0000, v7
	s_delay_alu instid0(VALU_DEP_3) | instskip(SKIP_1) | instid1(VALU_DEP_3)
	v_dual_fmac_f32 v34, v6, v22 :: v_dual_lshlrev_b32 v7, 16, v7
	v_mul_f32_e32 v25, v25, v51
	v_dual_add_f32 v15, v15, v38 :: v_dual_mul_f32 v44, v14, v31
	v_fmac_f32_e32 v45, v6, v18
	s_delay_alu instid0(VALU_DEP_4) | instskip(SKIP_1) | instid1(VALU_DEP_4)
	v_add_f32_e32 v13, v13, v34
	v_add_f32_e32 v93, v12, v27
	v_dual_fmac_f32 v25, v4, v8 :: v_dual_fmac_f32 v44, v7, v23
	v_mul_f32_e32 v4, v24, v50
	v_dual_add_f32 v12, v15, v45 :: v_dual_and_b32 v15, 0xffff0000, v0
	s_delay_alu instid0(VALU_DEP_3) | instskip(SKIP_1) | instid1(VALU_DEP_4)
	v_dual_add_f32 v24, v36, v25 :: v_dual_add_f32 v89, v13, v44
	v_mul_f32_e32 v13, v14, v53
	v_dual_fmac_f32 v4, v5, v9 :: v_dual_mul_f32 v5, v30, v40
	s_delay_alu instid0(VALU_DEP_4) | instskip(SKIP_1) | instid1(VALU_DEP_3)
	v_dual_mul_f32 v25, v15, v41 :: v_dual_lshlrev_b32 v0, 16, v0
	v_and_b32_e32 v27, 0xffff0000, v1
	v_dual_fmac_f32 v13, v7, v19 :: v_dual_add_f32 v4, v24, v4
	s_delay_alu instid0(VALU_DEP_4) | instskip(NEXT) | instid1(VALU_DEP_4)
	v_fmac_f32_e32 v5, v6, v10
	v_fmac_f32_e32 v25, v0, v20
	s_delay_alu instid0(VALU_DEP_4) | instskip(NEXT) | instid1(VALU_DEP_4)
	v_dual_mul_f32 v6, v27, v42 :: v_dual_lshlrev_b32 v1, 16, v1
	v_add_f32_e32 v90, v12, v13
	s_delay_alu instid0(VALU_DEP_4) | instskip(NEXT) | instid1(VALU_DEP_4)
	v_add_f32_e32 v4, v4, v5
	v_dual_add_f32 v5, v37, v25 :: v_dual_and_b32 v12, 0xffff0000, v2
	s_delay_alu instid0(VALU_DEP_4) | instskip(SKIP_2) | instid1(VALU_DEP_3)
	v_dual_fmac_f32 v6, v1, v21 :: v_dual_mul_f32 v13, v14, v26
	v_mul_f32_e32 v14, v15, v43
	v_lshlrev_b32_e32 v2, 16, v2
	v_dual_mul_f32 v24, v12, v48 :: v_dual_add_f32 v5, v5, v6
	v_and_b32_e32 v6, 0xffff0000, v3
	s_delay_alu instid0(VALU_DEP_4) | instskip(NEXT) | instid1(VALU_DEP_3)
	v_dual_fmac_f32 v14, v0, v16 :: v_dual_mul_f32 v25, v27, v49
	v_dual_fmac_f32 v24, v2, v22 :: v_dual_lshlrev_b32 v3, 16, v3
	s_delay_alu instid0(VALU_DEP_3) | instskip(NEXT) | instid1(VALU_DEP_3)
	v_mul_f32_e32 v30, v6, v31
	v_dual_add_f32 v14, v35, v14 :: v_dual_fmac_f32 v25, v1, v17
	v_dual_mul_f32 v34, v12, v29 :: v_dual_fmac_f32 v13, v7, v11
	s_delay_alu instid0(VALU_DEP_3) | instskip(NEXT) | instid1(VALU_DEP_3)
	v_dual_add_f32 v5, v5, v24 :: v_dual_fmac_f32 v30, v3, v23
	v_add_f32_e32 v7, v14, v25
	s_delay_alu instid0(VALU_DEP_3) | instskip(SKIP_4) | instid1(VALU_DEP_4)
	v_fmac_f32_e32 v34, v2, v18
	v_mul_f32_e32 v14, v15, v51
	v_add_f32_e32 v92, v4, v13
	v_and_b32_e32 v4, 0xffff0000, v68
	v_dual_mul_f32 v12, v12, v40 :: v_dual_add_f32 v91, v5, v30
	v_dual_add_f32 v5, v7, v34 :: v_dual_fmac_f32 v14, v0, v8
	s_delay_alu instid0(VALU_DEP_3)
	v_dual_mul_f32 v7, v4, v41 :: v_dual_lshlrev_b32 v0, 16, v68
	v_mul_f32_e32 v13, v6, v53
	v_dual_mul_f32 v24, v27, v50 :: v_dual_and_b32 v15, 0xffff0000, v63
	v_fmac_f32_e32 v12, v2, v10
	v_mul_f32_e32 v2, v6, v26
	v_add_f32_e32 v14, v32, v14
	v_dual_fmac_f32 v7, v0, v20 :: v_dual_lshlrev_b32 v20, 16, v63
	v_dual_mul_f32 v25, v15, v42 :: v_dual_fmac_f32 v24, v1, v9
	v_fmac_f32_e32 v13, v3, v19
	v_fmac_f32_e32 v2, v3, v11
	v_mul_f32_e32 v3, v4, v43
	v_dual_mul_f32 v4, v4, v51 :: v_dual_and_b32 v1, 0xffff0000, v64
	v_add_f32_e32 v7, v33, v7
	v_dual_fmac_f32 v25, v20, v21 :: v_dual_add_f32 v14, v14, v24
	s_delay_alu instid0(VALU_DEP_4) | instskip(NEXT) | instid1(VALU_DEP_4)
	v_dual_fmac_f32 v3, v0, v16 :: v_dual_mul_f32 v16, v15, v49
	v_fmac_f32_e32 v4, v0, v8
	v_dual_mul_f32 v0, v15, v50 :: v_dual_lshlrev_b32 v21, 16, v64
	s_delay_alu instid0(VALU_DEP_4) | instskip(SKIP_2) | instid1(VALU_DEP_2)
	v_dual_mul_f32 v27, v1, v48 :: v_dual_add_f32 v6, v7, v25
	v_dual_add_f32 v7, v14, v12 :: v_dual_and_b32 v12, 0xffff0000, v65
	v_dual_add_f32 v3, v39, v3 :: v_dual_fmac_f32 v16, v20, v17
	v_dual_mul_f32 v8, v1, v29 :: v_dual_add_f32 v87, v7, v2
	v_add_f32_e32 v4, v28, v4
	v_dual_fmac_f32 v0, v20, v9 :: v_dual_mul_f32 v1, v1, v40
	v_dual_fmac_f32 v27, v21, v22 :: v_dual_lshlrev_b32 v14, 16, v65
	v_dual_mul_f32 v22, v12, v31 :: v_dual_add_f32 v3, v3, v16
	v_dual_fmac_f32 v8, v21, v18 :: v_dual_mul_f32 v9, v12, v53
	s_delay_alu instid0(VALU_DEP_4) | instskip(SKIP_2) | instid1(VALU_DEP_4)
	v_dual_add_f32 v0, v4, v0 :: v_dual_fmac_f32 v1, v21, v10
	v_mul_f32_e32 v4, v12, v26
	v_add_f32_e32 v6, v6, v27
	v_dual_fmac_f32 v22, v14, v23 :: v_dual_add_f32 v3, v3, v8
	s_delay_alu instid0(VALU_DEP_4) | instskip(NEXT) | instid1(VALU_DEP_4)
	v_dual_fmac_f32 v9, v14, v19 :: v_dual_add_f32 v0, v0, v1
	v_fmac_f32_e32 v4, v14, v11
	v_add_f32_e32 v88, v5, v13
	s_delay_alu instid0(VALU_DEP_3) | instskip(NEXT) | instid1(VALU_DEP_3)
	v_dual_add_f32 v86, v6, v22 :: v_dual_add_f32 v85, v3, v9
	v_add_f32_e32 v67, v0, v4
.LBB286_16:                             ;   in Loop: Header=BB286_17 Depth=2
	s_or_b32 exec_lo, exec_lo, s2
	s_addk_i32 s14, 0x200
	s_delay_alu instid0(SALU_CYCLE_1)
	s_cmp_ge_u32 s14, s16
	s_cbranch_scc1 .LBB286_29
.LBB286_17:                             ;   Parent Loop BB286_12 Depth=1
                                        ; =>  This Loop Header: Depth=2
                                        ;       Child Loop BB286_22 Depth 3
	s_cmp_eq_u32 s14, 0
	s_cselect_b32 s15, -1, 0
	s_add_i32 s2, s3, s24
	s_delay_alu instid0(SALU_CYCLE_1) | instskip(SKIP_1) | instid1(SALU_CYCLE_1)
	s_cmp_eq_u32 s14, s2
	s_cselect_b32 s42, -1, 0
	s_or_b32 s42, s15, s42
	s_delay_alu instid0(SALU_CYCLE_1)
	s_and_not1_b32 vcc_lo, exec_lo, s42
	s_cbranch_vccz .LBB286_19
; %bb.18:                               ;   in Loop: Header=BB286_17 Depth=2
	s_and_saveexec_b32 s2, s1
	s_cbranch_execz .LBB286_16
	s_branch .LBB286_26
.LBB286_19:                             ;   in Loop: Header=BB286_17 Depth=2
	s_and_b32 s15, s15, exec_lo
	s_cselect_b32 s3, s3, s2
	s_and_not1_b32 vcc_lo, exec_lo, s26
	s_waitcnt vmcnt(0)
	s_waitcnt_vscnt null, 0x0
	s_barrier
	buffer_gl0_inv
	s_cbranch_vccnz .LBB286_25
; %bb.20:                               ;   in Loop: Header=BB286_17 Depth=2
	v_dual_mov_b32 v5, v80 :: v_dual_add_nc_u32 v0, s3, v81
	v_add_nc_u32_e32 v1, s3, v71
	v_add_nc_u32_e32 v2, s3, v82
	v_add_nc_u32_e32 v3, s3, v83
	v_add_nc_u32_e32 v4, s3, v70
	s_mov_b32 s15, 0
	s_mov_b32 s42, 0
                                        ; implicit-def: $sgpr43
	s_branch .LBB286_22
.LBB286_21:                             ;   in Loop: Header=BB286_22 Depth=3
	s_or_b32 exec_lo, exec_lo, s2
	s_delay_alu instid0(SALU_CYCLE_1) | instskip(NEXT) | instid1(SALU_CYCLE_1)
	s_and_b32 s2, exec_lo, s43
	s_or_b32 s15, s2, s15
	s_delay_alu instid0(SALU_CYCLE_1)
	s_and_not1_b32 exec_lo, exec_lo, s15
	s_cbranch_execz .LBB286_24
.LBB286_22:                             ;   Parent Loop BB286_12 Depth=1
                                        ;     Parent Loop BB286_17 Depth=2
                                        ; =>    This Inner Loop Header: Depth=3
	s_delay_alu instid0(VALU_DEP_1) | instskip(SKIP_2) | instid1(VALU_DEP_2)
	v_add_nc_u32_e32 v68, s42, v4
	v_add_nc_u32_e32 v6, s42, v70
	s_or_b32 s43, s43, exec_lo
	v_cmp_gt_u32_e32 vcc_lo, s18, v68
	s_delay_alu instid0(VALU_DEP_2) | instskip(NEXT) | instid1(VALU_DEP_1)
	v_cmp_gt_u32_e64 s2, s24, v6
	s_and_b32 s44, s2, vcc_lo
	s_delay_alu instid0(SALU_CYCLE_1)
	s_and_saveexec_b32 s2, s44
	s_cbranch_execz .LBB286_21
; %bb.23:                               ;   in Loop: Header=BB286_22 Depth=3
	v_lshlrev_b64 v[6:7], 1, v[68:69]
	v_add_nc_u32_e32 v68, s42, v3
	v_add_nc_u32_e32 v26, s41, v5
	;; [unrolled: 1-line block ×3, first 2 shown]
	s_delay_alu instid0(VALU_DEP_3) | instskip(SKIP_3) | instid1(VALU_DEP_3)
	v_lshlrev_b64 v[8:9], 1, v[68:69]
	v_add_nc_u32_e32 v68, s42, v0
	v_add_co_u32 v6, vcc_lo, s8, v6
	v_add_co_ci_u32_e32 v7, vcc_lo, s9, v7, vcc_lo
	v_lshlrev_b64 v[10:11], 1, v[68:69]
	v_add_nc_u32_e32 v68, s42, v1
	v_add_co_u32 v12, vcc_lo, s8, v8
	v_add_co_ci_u32_e32 v13, vcc_lo, s9, v9, vcc_lo
	s_delay_alu instid0(VALU_DEP_3) | instskip(SKIP_3) | instid1(VALU_DEP_3)
	v_lshlrev_b64 v[18:19], 1, v[68:69]
	v_add_nc_u32_e32 v68, s42, v2
	v_add_co_u32 v14, vcc_lo, s8, v10
	v_add_co_ci_u32_e32 v15, vcc_lo, s9, v11, vcc_lo
	v_lshlrev_b64 v[20:21], 1, v[68:69]
	v_add_co_u32 v18, vcc_lo, s8, v18
	v_add_co_ci_u32_e32 v19, vcc_lo, s9, v19, vcc_lo
	s_clause 0x2
	global_load_b128 v[6:9], v[6:7], off
	global_load_b128 v[10:13], v[12:13], off
	global_load_b128 v[14:17], v[14:15], off
	v_add_co_u32 v22, vcc_lo, s8, v20
	v_add_co_ci_u32_e32 v23, vcc_lo, s9, v21, vcc_lo
	s_clause 0x1
	global_load_b128 v[18:21], v[18:19], off
	global_load_b128 v[22:25], v[22:23], off
	s_add_i32 s42, s42, s27
	s_waitcnt vmcnt(4)
	ds_store_b128 v5, v[6:9]
	s_waitcnt vmcnt(3)
	ds_store_2addr_b64 v26, v[10:11], v[12:13] offset1:1
	s_waitcnt vmcnt(2)
	ds_store_2addr_b32 v27, v14, v15 offset1:1
	ds_store_2addr_b32 v27, v16, v17 offset0:2 offset1:3
	s_cmp_ge_u32 s42, s24
	v_add_nc_u32_e32 v6, s21, v5
	s_cselect_b32 s44, -1, 0
	v_add_nc_u32_e32 v7, s38, v5
	v_add_nc_u32_e32 v5, s20, v5
	s_and_not1_b32 s43, s43, exec_lo
	s_and_b32 s44, s44, exec_lo
	s_waitcnt vmcnt(1)
	ds_store_2addr_b64 v6, v[18:19], v[20:21] offset1:1
	s_or_b32 s43, s43, s44
	s_waitcnt vmcnt(0)
	ds_store_2addr_b64 v7, v[22:23], v[24:25] offset1:1
	s_branch .LBB286_21
.LBB286_24:                             ;   in Loop: Header=BB286_17 Depth=2
	s_or_b32 exec_lo, exec_lo, s15
.LBB286_25:                             ;   in Loop: Header=BB286_17 Depth=2
	s_waitcnt lgkmcnt(0)
	s_barrier
	buffer_gl0_inv
	s_and_saveexec_b32 s2, s1
	s_cbranch_execz .LBB286_16
.LBB286_26:                             ;   in Loop: Header=BB286_17 Depth=2
	v_dual_mov_b32 v64, 0 :: v_dual_add_nc_u32 v99, s14, v79
	v_mov_b32_e32 v63, 0
	s_waitcnt vmcnt(0)
	v_dual_mov_b32 v15, 0 :: v_dual_mov_b32 v14, 0
	s_delay_alu instid0(VALU_DEP_3) | instskip(SKIP_2) | instid1(VALU_DEP_3)
	v_min_u32_e32 v68, s28, v99
	v_dual_mov_b32 v65, 0 :: v_dual_add_nc_u32 v100, 0x100, v99
	v_dual_mov_b32 v13, 0 :: v_dual_mov_b32 v12, 0
	v_lshlrev_b64 v[0:1], 1, v[68:69]
	s_delay_alu instid0(VALU_DEP_3) | instskip(SKIP_2) | instid1(VALU_DEP_4)
	v_min_u32_e32 v68, s28, v100
	v_dual_mov_b32 v27, 0 :: v_dual_mov_b32 v26, 0
	v_dual_mov_b32 v25, 0 :: v_dual_mov_b32 v24, 0
	v_add_co_u32 v6, vcc_lo, s6, v0
	v_add_co_ci_u32_e32 v7, vcc_lo, s7, v1, vcc_lo
	v_lshlrev_b64 v[0:1], 1, v[68:69]
	s_delay_alu instid0(VALU_DEP_3) | instskip(NEXT) | instid1(VALU_DEP_3)
	v_add_co_u32 v2, vcc_lo, v6, v72
	v_add_co_ci_u32_e32 v3, vcc_lo, v7, v73, vcc_lo
	v_add_co_u32 v4, vcc_lo, v6, v74
	v_add_co_ci_u32_e32 v5, vcc_lo, v7, v75, vcc_lo
	;; [unrolled: 2-line block ×4, first 2 shown]
	s_delay_alu instid0(VALU_DEP_4) | instskip(NEXT) | instid1(VALU_DEP_4)
	v_add_co_u32 v6, vcc_lo, v10, v72
	v_add_co_ci_u32_e32 v7, vcc_lo, v11, v73, vcc_lo
	v_add_co_u32 v8, vcc_lo, v10, v74
	v_add_co_ci_u32_e32 v9, vcc_lo, v11, v75, vcc_lo
	;; [unrolled: 2-line block ×3, first 2 shown]
	s_clause 0x5
	global_load_b128 v[52:55], v[2:3], off slc dlc
	global_load_b128 v[48:51], v[4:5], off slc dlc
	;; [unrolled: 1-line block ×6, first 2 shown]
	v_cmp_gt_u32_e32 vcc_lo, s16, v99
	v_dual_mov_b32 v68, 0 :: v_dual_mov_b32 v3, 0
	v_dual_mov_b32 v2, 0 :: v_dual_mov_b32 v1, 0
	;; [unrolled: 1-line block ×14, first 2 shown]
	v_mov_b32_e32 v56, 0
	s_and_saveexec_b32 s15, vcc_lo
	s_cbranch_execz .LBB286_15
; %bb.27:                               ;   in Loop: Header=BB286_17 Depth=2
	v_subrev_nc_u32_e32 v0, s3, v99
	v_cmp_gt_u32_e32 vcc_lo, s16, v100
	v_dual_mov_b32 v13, 0 :: v_dual_mov_b32 v14, 0
	v_dual_mov_b32 v15, 0 :: v_dual_mov_b32 v4, 0
	s_delay_alu instid0(VALU_DEP_4) | instskip(SKIP_1) | instid1(VALU_DEP_2)
	v_dual_mov_b32 v24, 0 :: v_dual_lshlrev_b32 v103, 1, v0
	v_dual_mov_b32 v5, 0 :: v_dual_mov_b32 v6, 0
	v_dual_mov_b32 v25, 0 :: v_dual_add_nc_u32 v102, s41, v103
	v_dual_mov_b32 v7, 0 :: v_dual_mov_b32 v0, 0
	v_dual_mov_b32 v1, 0 :: v_dual_mov_b32 v2, 0
	s_delay_alu instid0(VALU_DEP_3) | instskip(SKIP_1) | instid1(VALU_DEP_2)
	v_dual_mov_b32 v26, 0 :: v_dual_add_nc_u32 v99, s41, v102
	v_dual_mov_b32 v3, 0 :: v_dual_mov_b32 v68, 0
	v_dual_mov_b32 v27, 0 :: v_dual_add_nc_u32 v100, s41, v99
	v_dual_mov_b32 v63, 0 :: v_dual_mov_b32 v64, 0
	v_dual_mov_b32 v65, 0 :: v_dual_mov_b32 v12, 0
	s_delay_alu instid0(VALU_DEP_3)
	v_add_nc_u32_e32 v101, s41, v100
	ds_load_b128 v[56:59], v103
	ds_load_b128 v[44:47], v102
	;; [unrolled: 1-line block ×5, first 2 shown]
	s_and_saveexec_b32 s42, vcc_lo
	s_cbranch_execz .LBB286_14
; %bb.28:                               ;   in Loop: Header=BB286_17 Depth=2
	ds_load_b128 v[24:27], v103 offset:512
	ds_load_b128 v[12:15], v102 offset:512
	;; [unrolled: 1-line block ×4, first 2 shown]
	ds_load_b32 v68, v101 offset:512
	ds_load_b96 v[63:65], v101 offset:516
	s_branch .LBB286_14
.LBB286_29:                             ;   in Loop: Header=BB286_12 Depth=1
	s_mov_b32 s1, exec_lo
	v_cmpx_le_u32_e64 s19, v66
	s_xor_b32 s1, exec_lo, s1
; %bb.30:                               ;   in Loop: Header=BB286_12 Depth=1
	v_add_nc_u32_e32 v66, s5, v66
                                        ; implicit-def: $vgpr67
                                        ; implicit-def: $vgpr85
                                        ; implicit-def: $vgpr86
                                        ; implicit-def: $vgpr87
                                        ; implicit-def: $vgpr88
                                        ; implicit-def: $vgpr91
                                        ; implicit-def: $vgpr92
                                        ; implicit-def: $vgpr90
                                        ; implicit-def: $vgpr89
                                        ; implicit-def: $vgpr93
                                        ; implicit-def: $vgpr94
                                        ; implicit-def: $vgpr97
                                        ; implicit-def: $vgpr96
                                        ; implicit-def: $vgpr98
                                        ; implicit-def: $vgpr95
; %bb.31:                               ;   in Loop: Header=BB286_12 Depth=1
	s_and_not1_saveexec_b32 s42, s1
	s_cbranch_execz .LBB286_11
; %bb.32:                               ;   in Loop: Header=BB286_12 Depth=1
	v_xor_b32_e32 v0, 16, v78
	s_waitcnt lgkmcnt(0)
	v_cvt_i32_f32_e32 v1, v95
	v_cvt_i32_f32_e32 v2, v98
	;; [unrolled: 1-line block ×4, first 2 shown]
	v_cmp_gt_i32_e32 vcc_lo, 32, v0
	v_cvt_f32_i32_dpp v1, v1 row_shr:8 row_mask:0xf bank_mask:0xf bound_ctrl:1
	v_cvt_i32_f32_e32 v5, v94
	v_cvt_f32_i32_dpp v2, v2 row_shr:8 row_mask:0xf bank_mask:0xf bound_ctrl:1
	s_delay_alu instid0(VALU_DEP_3) | instskip(SKIP_1) | instid1(VALU_DEP_1)
	v_dual_cndmask_b32 v0, v78, v0 :: v_dual_add_f32 v1, v95, v1
	s_waitcnt vmcnt(0)
	v_lshlrev_b32_e32 v14, 2, v0
	v_cvt_f32_i32_dpp v0, v3 row_shr:8 row_mask:0xf bank_mask:0xf bound_ctrl:1
	v_cvt_f32_i32_dpp v3, v4 row_shr:8 row_mask:0xf bank_mask:0xf bound_ctrl:1
	v_cvt_f32_i32_dpp v4, v5 row_shr:8 row_mask:0xf bank_mask:0xf bound_ctrl:1
	v_cvt_i32_f32_e32 v5, v1
	s_delay_alu instid0(VALU_DEP_3) | instskip(NEXT) | instid1(VALU_DEP_2)
	v_add_f32_e32 v3, v97, v3
	v_cvt_f32_i32_dpp v5, v5 row_shr:4 row_mask:0xf bank_mask:0xf bound_ctrl:1
	v_add_f32_e32 v2, v98, v2
	s_delay_alu instid0(VALU_DEP_3) | instskip(NEXT) | instid1(VALU_DEP_3)
	v_cvt_i32_f32_e32 v8, v3
	v_add_f32_e32 v1, v1, v5
	s_delay_alu instid0(VALU_DEP_3) | instskip(NEXT) | instid1(VALU_DEP_3)
	v_cvt_i32_f32_e32 v6, v2
	v_cvt_f32_i32_dpp v8, v8 row_shr:4 row_mask:0xf bank_mask:0xf bound_ctrl:1
	s_delay_alu instid0(VALU_DEP_3) | instskip(NEXT) | instid1(VALU_DEP_3)
	v_cvt_i32_f32_e32 v5, v1
	v_cvt_f32_i32_dpp v6, v6 row_shr:4 row_mask:0xf bank_mask:0xf bound_ctrl:1
	s_delay_alu instid0(VALU_DEP_3) | instskip(NEXT) | instid1(VALU_DEP_3)
	v_add_f32_e32 v3, v3, v8
	v_cvt_f32_i32_dpp v5, v5 row_shr:2 row_mask:0xf bank_mask:0xf bound_ctrl:1
	v_add_f32_e32 v0, v96, v0
	s_delay_alu instid0(VALU_DEP_4) | instskip(NEXT) | instid1(VALU_DEP_4)
	v_add_f32_e32 v2, v2, v6
	v_cvt_i32_f32_e32 v8, v3
	s_delay_alu instid0(VALU_DEP_4) | instskip(NEXT) | instid1(VALU_DEP_4)
	v_add_f32_e32 v1, v1, v5
	v_cvt_i32_f32_e32 v7, v0
	s_delay_alu instid0(VALU_DEP_4) | instskip(NEXT) | instid1(VALU_DEP_4)
	v_cvt_i32_f32_e32 v6, v2
	v_cvt_f32_i32_dpp v8, v8 row_shr:2 row_mask:0xf bank_mask:0xf bound_ctrl:1
	s_delay_alu instid0(VALU_DEP_4) | instskip(NEXT) | instid1(VALU_DEP_4)
	v_cvt_i32_f32_e32 v5, v1
	v_cvt_f32_i32_dpp v7, v7 row_shr:4 row_mask:0xf bank_mask:0xf bound_ctrl:1
	s_delay_alu instid0(VALU_DEP_4) | instskip(NEXT) | instid1(VALU_DEP_4)
	v_cvt_f32_i32_dpp v6, v6 row_shr:2 row_mask:0xf bank_mask:0xf bound_ctrl:1
	v_add_f32_e32 v3, v3, v8
	s_delay_alu instid0(VALU_DEP_4) | instskip(NEXT) | instid1(VALU_DEP_4)
	v_cvt_f32_i32_dpp v5, v5 row_shr:1 row_mask:0xf bank_mask:0xf bound_ctrl:1
	v_add_f32_e32 v0, v0, v7
	s_delay_alu instid0(VALU_DEP_3) | instskip(NEXT) | instid1(VALU_DEP_2)
	v_cvt_i32_f32_e32 v8, v3
	v_cvt_i32_f32_e32 v7, v0
	s_delay_alu instid0(VALU_DEP_2) | instskip(SKIP_1) | instid1(VALU_DEP_3)
	v_cvt_f32_i32_dpp v8, v8 row_shr:1 row_mask:0xf bank_mask:0xf bound_ctrl:1
	v_add_f32_e32 v2, v2, v6
	v_cvt_f32_i32_dpp v7, v7 row_shr:2 row_mask:0xf bank_mask:0xf bound_ctrl:1
	s_delay_alu instid0(VALU_DEP_3) | instskip(SKIP_1) | instid1(VALU_DEP_4)
	v_add_f32_e32 v25, v3, v8
	v_cvt_i32_f32_e32 v3, v92
	v_cvt_i32_f32_e32 v6, v2
	ds_bpermute_b32 v26, v14, v25
	v_cvt_f32_i32_dpp v3, v3 row_shr:8 row_mask:0xf bank_mask:0xf bound_ctrl:1
	v_add_f32_e32 v34, v1, v5
	v_cvt_i32_f32_e32 v1, v89
	v_cvt_f32_i32_dpp v6, v6 row_shr:1 row_mask:0xf bank_mask:0xf bound_ctrl:1
	s_delay_alu instid0(VALU_DEP_4)
	v_add_f32_e32 v3, v92, v3
	ds_bpermute_b32 v35, v14, v34
	v_cvt_f32_i32_dpp v1, v1 row_shr:8 row_mask:0xf bank_mask:0xf bound_ctrl:1
	v_add_f32_e32 v4, v94, v4
	v_add_f32_e32 v31, v2, v6
	v_cvt_i32_f32_e32 v8, v3
	v_cvt_i32_f32_e32 v2, v90
	v_add_f32_e32 v1, v89, v1
	v_cvt_i32_f32_e32 v9, v4
	ds_bpermute_b32 v32, v14, v31
	v_cvt_f32_i32_dpp v8, v8 row_shr:4 row_mask:0xf bank_mask:0xf bound_ctrl:1
	v_cvt_f32_i32_dpp v2, v2 row_shr:8 row_mask:0xf bank_mask:0xf bound_ctrl:1
	v_cvt_i32_f32_e32 v6, v1
	v_cvt_f32_i32_dpp v9, v9 row_shr:4 row_mask:0xf bank_mask:0xf bound_ctrl:1
	s_delay_alu instid0(VALU_DEP_3) | instskip(NEXT) | instid1(VALU_DEP_3)
	v_dual_add_f32 v3, v3, v8 :: v_dual_add_f32 v2, v90, v2
	v_cvt_f32_i32_dpp v6, v6 row_shr:4 row_mask:0xf bank_mask:0xf bound_ctrl:1
	s_delay_alu instid0(VALU_DEP_3) | instskip(SKIP_1) | instid1(VALU_DEP_4)
	v_add_f32_e32 v4, v4, v9
	v_add_f32_e32 v0, v0, v7
	v_cvt_i32_f32_e32 v8, v3
	s_delay_alu instid0(VALU_DEP_4) | instskip(NEXT) | instid1(VALU_DEP_4)
	v_add_f32_e32 v1, v1, v6
	v_cvt_i32_f32_e32 v9, v4
	s_delay_alu instid0(VALU_DEP_4) | instskip(NEXT) | instid1(VALU_DEP_4)
	v_cvt_i32_f32_e32 v7, v0
	v_cvt_f32_i32_dpp v8, v8 row_shr:2 row_mask:0xf bank_mask:0xf bound_ctrl:1
	s_delay_alu instid0(VALU_DEP_4) | instskip(NEXT) | instid1(VALU_DEP_4)
	v_cvt_i32_f32_e32 v6, v1
	v_cvt_f32_i32_dpp v9, v9 row_shr:2 row_mask:0xf bank_mask:0xf bound_ctrl:1
	s_delay_alu instid0(VALU_DEP_4) | instskip(NEXT) | instid1(VALU_DEP_4)
	v_cvt_f32_i32_dpp v7, v7 row_shr:1 row_mask:0xf bank_mask:0xf bound_ctrl:1
	v_add_f32_e32 v3, v3, v8
	s_delay_alu instid0(VALU_DEP_4) | instskip(NEXT) | instid1(VALU_DEP_4)
	v_cvt_f32_i32_dpp v6, v6 row_shr:2 row_mask:0xf bank_mask:0xf bound_ctrl:1
	v_add_f32_e32 v4, v4, v9
	s_delay_alu instid0(VALU_DEP_4)
	v_add_f32_e32 v28, v0, v7
	v_cvt_i32_f32_e32 v7, v2
	v_cvt_i32_f32_e32 v0, v93
	v_add_f32_e32 v1, v1, v6
	v_cvt_i32_f32_e32 v9, v4
	ds_bpermute_b32 v29, v14, v28
	v_cvt_f32_i32_dpp v7, v7 row_shr:4 row_mask:0xf bank_mask:0xf bound_ctrl:1
	v_cvt_f32_i32_dpp v0, v0 row_shr:8 row_mask:0xf bank_mask:0xf bound_ctrl:1
	v_cvt_i32_f32_e32 v6, v1
	v_cvt_f32_i32_dpp v9, v9 row_shr:1 row_mask:0xf bank_mask:0xf bound_ctrl:1
	v_cvt_i32_f32_e32 v8, v3
	s_delay_alu instid0(VALU_DEP_3) | instskip(NEXT) | instid1(VALU_DEP_3)
	v_cvt_f32_i32_dpp v6, v6 row_shr:1 row_mask:0xf bank_mask:0xf bound_ctrl:1
	v_add_f32_e32 v20, v4, v9
	v_cvt_i32_f32_e32 v4, v91
	s_delay_alu instid0(VALU_DEP_4)
	v_cvt_f32_i32_dpp v8, v8 row_shr:1 row_mask:0xf bank_mask:0xf bound_ctrl:1
	ds_bpermute_b32 v21, v14, v20
	v_cvt_f32_i32_dpp v4, v4 row_shr:8 row_mask:0xf bank_mask:0xf bound_ctrl:1
	v_add_f32_e32 v12, v3, v8
	v_cvt_i32_f32_e32 v3, v85
	ds_bpermute_b32 v13, v14, v12
	v_cvt_f32_i32_dpp v3, v3 row_shr:8 row_mask:0xf bank_mask:0xf bound_ctrl:1
	s_delay_alu instid0(VALU_DEP_1) | instskip(NEXT) | instid1(VALU_DEP_1)
	v_dual_add_f32 v4, v91, v4 :: v_dual_add_f32 v3, v85, v3
	v_cvt_i32_f32_e32 v9, v4
	s_delay_alu instid0(VALU_DEP_2) | instskip(NEXT) | instid1(VALU_DEP_2)
	v_cvt_i32_f32_e32 v10, v3
	v_cvt_f32_i32_dpp v9, v9 row_shr:4 row_mask:0xf bank_mask:0xf bound_ctrl:1
	s_delay_alu instid0(VALU_DEP_2) | instskip(NEXT) | instid1(VALU_DEP_1)
	v_cvt_f32_i32_dpp v10, v10 row_shr:4 row_mask:0xf bank_mask:0xf bound_ctrl:1
	v_dual_add_f32 v4, v4, v9 :: v_dual_add_f32 v3, v3, v10
	s_delay_alu instid0(VALU_DEP_1) | instskip(NEXT) | instid1(VALU_DEP_2)
	v_cvt_i32_f32_e32 v9, v4
	v_cvt_i32_f32_e32 v10, v3
	s_delay_alu instid0(VALU_DEP_2) | instskip(NEXT) | instid1(VALU_DEP_2)
	v_cvt_f32_i32_dpp v9, v9 row_shr:2 row_mask:0xf bank_mask:0xf bound_ctrl:1
	v_cvt_f32_i32_dpp v10, v10 row_shr:2 row_mask:0xf bank_mask:0xf bound_ctrl:1
	s_delay_alu instid0(VALU_DEP_1) | instskip(NEXT) | instid1(VALU_DEP_1)
	v_dual_add_f32 v4, v4, v9 :: v_dual_add_f32 v3, v3, v10
	v_cvt_i32_f32_e32 v9, v4
	s_delay_alu instid0(VALU_DEP_2) | instskip(NEXT) | instid1(VALU_DEP_2)
	v_cvt_i32_f32_e32 v10, v3
	v_cvt_f32_i32_dpp v9, v9 row_shr:1 row_mask:0xf bank_mask:0xf bound_ctrl:1
	s_delay_alu instid0(VALU_DEP_2) | instskip(NEXT) | instid1(VALU_DEP_2)
	v_cvt_f32_i32_dpp v17, v10 row_shr:1 row_mask:0xf bank_mask:0xf bound_ctrl:1
	v_add_f32_e32 v8, v4, v9
	v_cvt_i32_f32_e32 v4, v67
	ds_bpermute_b32 v9, v14, v8
	v_cvt_f32_i32_dpp v4, v4 row_shr:8 row_mask:0xf bank_mask:0xf bound_ctrl:1
	s_delay_alu instid0(VALU_DEP_1) | instskip(NEXT) | instid1(VALU_DEP_1)
	v_add_f32_e32 v4, v67, v4
	v_cvt_i32_f32_e32 v11, v4
	s_delay_alu instid0(VALU_DEP_1) | instskip(NEXT) | instid1(VALU_DEP_1)
	v_cvt_f32_i32_dpp v11, v11 row_shr:4 row_mask:0xf bank_mask:0xf bound_ctrl:1
	v_add_f32_e32 v4, v4, v11
	s_delay_alu instid0(VALU_DEP_1) | instskip(NEXT) | instid1(VALU_DEP_1)
	v_cvt_i32_f32_e32 v11, v4
	v_cvt_f32_i32_dpp v11, v11 row_shr:2 row_mask:0xf bank_mask:0xf bound_ctrl:1
	v_add_f32_e32 v18, v1, v6
	v_cvt_i32_f32_e32 v1, v87
	s_delay_alu instid0(VALU_DEP_1) | instskip(NEXT) | instid1(VALU_DEP_1)
	v_cvt_f32_i32_dpp v1, v1 row_shr:8 row_mask:0xf bank_mask:0xf bound_ctrl:1
	v_dual_add_f32 v2, v2, v7 :: v_dual_add_f32 v1, v87, v1
	s_delay_alu instid0(VALU_DEP_1) | instskip(NEXT) | instid1(VALU_DEP_2)
	v_cvt_i32_f32_e32 v7, v2
	v_cvt_i32_f32_e32 v6, v1
	s_delay_alu instid0(VALU_DEP_2) | instskip(NEXT) | instid1(VALU_DEP_2)
	v_cvt_f32_i32_dpp v7, v7 row_shr:2 row_mask:0xf bank_mask:0xf bound_ctrl:1
	v_cvt_f32_i32_dpp v6, v6 row_shr:4 row_mask:0xf bank_mask:0xf bound_ctrl:1
	s_delay_alu instid0(VALU_DEP_1) | instskip(NEXT) | instid1(VALU_DEP_1)
	v_dual_add_f32 v2, v2, v7 :: v_dual_add_f32 v1, v1, v6
	v_cvt_i32_f32_e32 v7, v2
	s_delay_alu instid0(VALU_DEP_2) | instskip(NEXT) | instid1(VALU_DEP_2)
	v_cvt_i32_f32_e32 v6, v1
	v_cvt_f32_i32_dpp v7, v7 row_shr:1 row_mask:0xf bank_mask:0xf bound_ctrl:1
	v_add_f32_e32 v0, v93, v0
	s_delay_alu instid0(VALU_DEP_3) | instskip(NEXT) | instid1(VALU_DEP_3)
	v_cvt_f32_i32_dpp v6, v6 row_shr:2 row_mask:0xf bank_mask:0xf bound_ctrl:1
	v_add_f32_e32 v15, v2, v7
	s_delay_alu instid0(VALU_DEP_3) | instskip(SKIP_1) | instid1(VALU_DEP_4)
	v_cvt_i32_f32_e32 v5, v0
	v_cvt_i32_f32_e32 v2, v86
	v_add_f32_e32 v1, v1, v6
	ds_bpermute_b32 v16, v14, v15
	v_cvt_f32_i32_dpp v5, v5 row_shr:4 row_mask:0xf bank_mask:0xf bound_ctrl:1
	v_cvt_f32_i32_dpp v2, v2 row_shr:8 row_mask:0xf bank_mask:0xf bound_ctrl:1
	v_cvt_i32_f32_e32 v6, v1
	s_delay_alu instid0(VALU_DEP_3) | instskip(NEXT) | instid1(VALU_DEP_3)
	v_add_f32_e32 v0, v0, v5
	v_add_f32_e32 v2, v86, v2
	s_delay_alu instid0(VALU_DEP_3) | instskip(NEXT) | instid1(VALU_DEP_3)
	v_cvt_f32_i32_dpp v6, v6 row_shr:1 row_mask:0xf bank_mask:0xf bound_ctrl:1
	v_cvt_i32_f32_e32 v5, v0
	s_delay_alu instid0(VALU_DEP_3) | instskip(NEXT) | instid1(VALU_DEP_3)
	v_cvt_i32_f32_e32 v7, v2
	v_add_f32_e32 v6, v1, v6
	s_delay_alu instid0(VALU_DEP_3) | instskip(NEXT) | instid1(VALU_DEP_3)
	v_cvt_f32_i32_dpp v5, v5 row_shr:2 row_mask:0xf bank_mask:0xf bound_ctrl:1
	v_cvt_f32_i32_dpp v7, v7 row_shr:4 row_mask:0xf bank_mask:0xf bound_ctrl:1
	s_delay_alu instid0(VALU_DEP_2) | instskip(NEXT) | instid1(VALU_DEP_2)
	v_add_f32_e32 v0, v0, v5
	v_add_f32_e32 v2, v2, v7
	s_delay_alu instid0(VALU_DEP_2) | instskip(NEXT) | instid1(VALU_DEP_2)
	v_cvt_i32_f32_e32 v5, v0
	v_cvt_i32_f32_e32 v7, v2
	s_delay_alu instid0(VALU_DEP_2) | instskip(NEXT) | instid1(VALU_DEP_2)
	v_cvt_f32_i32_dpp v5, v5 row_shr:1 row_mask:0xf bank_mask:0xf bound_ctrl:1
	v_cvt_f32_i32_dpp v7, v7 row_shr:2 row_mask:0xf bank_mask:0xf bound_ctrl:1
	s_delay_alu instid0(VALU_DEP_2) | instskip(SKIP_1) | instid1(VALU_DEP_3)
	v_add_f32_e32 v23, v0, v5
	v_cvt_i32_f32_e32 v0, v88
	v_add_f32_e32 v2, v2, v7
	ds_bpermute_b32 v24, v14, v23
	v_cvt_f32_i32_dpp v0, v0 row_shr:8 row_mask:0xf bank_mask:0xf bound_ctrl:1
	v_cvt_i32_f32_e32 v7, v2
	s_delay_alu instid0(VALU_DEP_2) | instskip(NEXT) | instid1(VALU_DEP_2)
	v_add_f32_e32 v0, v88, v0
	v_cvt_f32_i32_dpp v7, v7 row_shr:1 row_mask:0xf bank_mask:0xf bound_ctrl:1
	s_delay_alu instid0(VALU_DEP_2) | instskip(NEXT) | instid1(VALU_DEP_1)
	v_cvt_i32_f32_e32 v5, v0
	v_cvt_f32_i32_dpp v5, v5 row_shr:4 row_mask:0xf bank_mask:0xf bound_ctrl:1
	s_delay_alu instid0(VALU_DEP_1) | instskip(NEXT) | instid1(VALU_DEP_1)
	v_add_f32_e32 v0, v0, v5
	v_cvt_i32_f32_e32 v5, v0
	s_delay_alu instid0(VALU_DEP_1) | instskip(NEXT) | instid1(VALU_DEP_1)
	v_cvt_f32_i32_dpp v5, v5 row_shr:2 row_mask:0xf bank_mask:0xf bound_ctrl:1
	v_add_f32_e32 v0, v0, v5
	v_add_f32_e32 v5, v4, v11
	ds_bpermute_b32 v19, v14, v18
	v_cvt_i32_f32_e32 v4, v0
	v_cvt_i32_f32_e32 v11, v5
	s_delay_alu instid0(VALU_DEP_2) | instskip(NEXT) | instid1(VALU_DEP_2)
	v_cvt_f32_i32_dpp v4, v4 row_shr:1 row_mask:0xf bank_mask:0xf bound_ctrl:1
	v_cvt_f32_i32_dpp v11, v11 row_shr:1 row_mask:0xf bank_mask:0xf bound_ctrl:1
	s_delay_alu instid0(VALU_DEP_2) | instskip(SKIP_2) | instid1(VALU_DEP_4)
	v_add_f32_e32 v10, v0, v4
	v_add_f32_e32 v4, v2, v7
	;; [unrolled: 1-line block ×4, first 2 shown]
	ds_bpermute_b32 v7, v14, v6
	ds_bpermute_b32 v11, v14, v10
	;; [unrolled: 1-line block ×5, first 2 shown]
	s_and_saveexec_b32 s14, s0
	s_cbranch_execz .LBB286_125
; %bb.33:                               ;   in Loop: Header=BB286_12 Depth=1
	v_dual_mov_b32 v44, 0 :: v_dual_mov_b32 v43, 0
	v_dual_mov_b32 v41, 0 :: v_dual_add_nc_u32 v68, 2, v66
	v_dual_mov_b32 v42, 0 :: v_dual_mov_b32 v39, 0
	v_dual_mov_b32 v40, 0 :: v_dual_mov_b32 v37, 0
	;; [unrolled: 1-line block ×5, first 2 shown]
	v_mov_b32_e32 v22, 0
	v_mov_b32_e32 v14, 0
	s_and_not1_b32 vcc_lo, exec_lo, s30
	s_cbranch_vccnz .LBB286_35
; %bb.34:                               ;   in Loop: Header=BB286_12 Depth=1
	v_mul_hi_u32 v17, v66, v84
	v_mul_hi_u32 v22, v68, v84
	v_mov_b32_e32 v41, v69
	v_mov_b32_e32 v55, v69
	;; [unrolled: 1-line block ×3, first 2 shown]
	v_mul_lo_u32 v17, v17, s4
	v_mul_lo_u32 v22, v22, s4
	s_delay_alu instid0(VALU_DEP_2) | instskip(NEXT) | instid1(VALU_DEP_2)
	v_sub_nc_u32_e32 v17, v66, v17
	v_sub_nc_u32_e32 v22, v68, v22
	s_delay_alu instid0(VALU_DEP_2) | instskip(SKIP_1) | instid1(VALU_DEP_3)
	v_cmp_le_u32_e32 vcc_lo, s4, v17
	v_add_nc_u32_e32 v14, 1, v66
	v_subrev_nc_u32_e32 v30, s4, v22
	s_delay_alu instid0(VALU_DEP_2) | instskip(NEXT) | instid1(VALU_DEP_1)
	v_mul_hi_u32 v27, v14, v84
	v_mul_lo_u32 v27, v27, s4
	s_delay_alu instid0(VALU_DEP_1) | instskip(SKIP_1) | instid1(VALU_DEP_2)
	v_sub_nc_u32_e32 v14, v14, v27
	v_subrev_nc_u32_e32 v27, s4, v17
	v_subrev_nc_u32_e32 v33, s4, v14
	s_delay_alu instid0(VALU_DEP_2) | instskip(SKIP_1) | instid1(VALU_DEP_2)
	v_cndmask_b32_e32 v17, v17, v27, vcc_lo
	v_cmp_le_u32_e32 vcc_lo, s4, v22
	v_subrev_nc_u32_e32 v27, s4, v17
	v_cndmask_b32_e32 v22, v22, v30, vcc_lo
	v_cmp_le_u32_e32 vcc_lo, s4, v14
	s_delay_alu instid0(VALU_DEP_2)
	v_subrev_nc_u32_e32 v30, s4, v22
	v_cndmask_b32_e32 v14, v14, v33, vcc_lo
	v_cmp_le_u32_e32 vcc_lo, s4, v17
	v_cndmask_b32_e32 v37, v17, v27, vcc_lo
	v_cmp_le_u32_e32 vcc_lo, s4, v22
	v_mov_b32_e32 v38, v69
	v_subrev_nc_u32_e32 v33, s4, v14
	s_delay_alu instid0(VALU_DEP_4)
	v_dual_mov_b32 v48, v69 :: v_dual_add_nc_u32 v39, s33, v37
	v_cndmask_b32_e32 v47, v22, v30, vcc_lo
	v_cmp_le_u32_e32 vcc_lo, s4, v14
	v_lshlrev_b64 v[42:43], 1, v[37:38]
	v_mov_b32_e32 v46, v69
	v_add_nc_u32_e32 v54, s34, v37
	v_lshlrev_b64 v[48:49], 1, v[47:48]
	v_dual_cndmask_b32 v45, v14, v33 :: v_dual_mov_b32 v40, v69
	v_add_co_u32 v42, vcc_lo, s10, v42
	v_add_co_ci_u32_e32 v43, vcc_lo, s11, v43, vcc_lo
	s_delay_alu instid0(VALU_DEP_3) | instskip(NEXT) | instid1(VALU_DEP_4)
	v_lshlrev_b64 v[50:51], 1, v[45:46]
	v_lshlrev_b64 v[52:53], 1, v[39:40]
	v_add_nc_u32_e32 v40, s33, v45
	v_add_co_u32 v48, vcc_lo, s10, v48
	v_add_co_ci_u32_e32 v49, vcc_lo, s11, v49, vcc_lo
	v_dual_mov_b32 v39, v69 :: v_dual_add_nc_u32 v38, s33, v47
	s_delay_alu instid0(VALU_DEP_4)
	v_lshlrev_b64 v[40:41], 1, v[40:41]
	v_add_co_u32 v50, vcc_lo, s10, v50
	v_add_co_ci_u32_e32 v51, vcc_lo, s11, v51, vcc_lo
	v_add_co_u32 v52, vcc_lo, s10, v52
	v_add_co_ci_u32_e32 v53, vcc_lo, s11, v53, vcc_lo
	v_lshlrev_b64 v[38:39], 1, v[38:39]
	v_add_co_u32 v56, vcc_lo, s10, v40
	v_add_co_ci_u32_e32 v57, vcc_lo, s11, v41, vcc_lo
	v_lshlrev_b64 v[40:41], 1, v[54:55]
	v_add_nc_u32_e32 v54, s34, v45
	v_add_co_u32 v38, vcc_lo, s10, v38
	v_add_co_ci_u32_e32 v39, vcc_lo, s11, v39, vcc_lo
	s_delay_alu instid0(VALU_DEP_3)
	v_lshlrev_b64 v[54:55], 1, v[54:55]
	v_add_co_u32 v58, vcc_lo, s10, v40
	v_add_co_ci_u32_e32 v59, vcc_lo, s11, v41, vcc_lo
	v_dual_mov_b32 v41, v69 :: v_dual_add_nc_u32 v40, s34, v47
	v_add_nc_u32_e32 v72, s35, v37
	v_add_co_u32 v54, vcc_lo, s10, v54
	v_add_co_ci_u32_e32 v55, vcc_lo, s11, v55, vcc_lo
	s_delay_alu instid0(VALU_DEP_4)
	v_lshlrev_b64 v[63:64], 1, v[40:41]
	s_clause 0x7
	global_load_u16 v44, v[42:43], off
	global_load_u16 v43, v[50:51], off
	;; [unrolled: 1-line block ×8, first 2 shown]
	v_dual_mov_b32 v55, v69 :: v_dual_add_nc_u32 v50, s35, v45
	v_mov_b32_e32 v57, v69
	v_mov_b32_e32 v51, v69
	v_lshlrev_b64 v[48:49], 1, v[72:73]
	v_dual_mov_b32 v59, v69 :: v_dual_add_nc_u32 v54, s35, v47
	v_add_co_u32 v52, vcc_lo, s10, v63
	s_delay_alu instid0(VALU_DEP_4)
	v_lshlrev_b64 v[50:51], 1, v[50:51]
	v_add_nc_u32_e32 v56, s40, v37
	v_add_co_ci_u32_e32 v53, vcc_lo, s11, v64, vcc_lo
	v_add_co_u32 v48, vcc_lo, s10, v48
	v_lshlrev_b64 v[54:55], 1, v[54:55]
	v_add_nc_u32_e32 v45, s40, v45
	v_add_co_ci_u32_e32 v49, vcc_lo, s11, v49, vcc_lo
	v_add_co_u32 v50, vcc_lo, s10, v50
	;; [unrolled: 4-line block ×3, first 2 shown]
	v_lshlrev_b64 v[45:46], 1, v[45:46]
	v_add_co_ci_u32_e32 v55, vcc_lo, s11, v55, vcc_lo
	v_add_co_u32 v56, vcc_lo, s10, v56
	v_lshlrev_b64 v[58:59], 1, v[58:59]
	v_add_co_ci_u32_e32 v57, vcc_lo, s11, v57, vcc_lo
	v_add_co_u32 v45, vcc_lo, s10, v45
	v_add_co_ci_u32_e32 v46, vcc_lo, s11, v46, vcc_lo
	s_delay_alu instid0(VALU_DEP_4)
	v_add_co_u32 v58, vcc_lo, s10, v58
	v_add_co_ci_u32_e32 v59, vcc_lo, s11, v59, vcc_lo
	s_clause 0x6
	global_load_u16 v37, v[52:53], off
	global_load_u16 v33, v[48:49], off
	;; [unrolled: 1-line block ×7, first 2 shown]
.LBB286_35:                             ;   in Loop: Header=BB286_12 Depth=1
	v_cmp_ne_u32_e32 vcc_lo, 0, v60
	s_and_saveexec_b32 s2, vcc_lo
	s_cbranch_execnz .LBB286_50
; %bb.36:                               ;   in Loop: Header=BB286_12 Depth=1
	s_or_b32 exec_lo, exec_lo, s2
	v_cmp_ne_u32_e64 s1, 0, v61
	s_delay_alu instid0(VALU_DEP_1)
	s_and_saveexec_b32 s3, s1
	s_cbranch_execnz .LBB286_55
.LBB286_37:                             ;   in Loop: Header=BB286_12 Depth=1
	s_or_b32 exec_lo, exec_lo, s3
	v_cmp_ne_u32_e64 s2, 0, v62
	s_delay_alu instid0(VALU_DEP_1)
	s_and_saveexec_b32 s15, s2
	s_cbranch_execnz .LBB286_60
.LBB286_38:                             ;   in Loop: Header=BB286_12 Depth=1
	s_or_b32 exec_lo, exec_lo, s15
	v_add_nc_u32_e32 v68, s19, v66
	s_and_saveexec_b32 s15, vcc_lo
	s_cbranch_execnz .LBB286_65
.LBB286_39:                             ;   in Loop: Header=BB286_12 Depth=1
	s_or_b32 exec_lo, exec_lo, s15
	s_and_saveexec_b32 s15, s1
	s_cbranch_execnz .LBB286_70
.LBB286_40:                             ;   in Loop: Header=BB286_12 Depth=1
	s_or_b32 exec_lo, exec_lo, s15
	s_and_saveexec_b32 s15, s2
	s_cbranch_execnz .LBB286_75
.LBB286_41:                             ;   in Loop: Header=BB286_12 Depth=1
	s_or_b32 exec_lo, exec_lo, s15
	v_add_nc_u32_e32 v68, s19, v68
	s_and_saveexec_b32 s15, vcc_lo
	s_cbranch_execnz .LBB286_80
.LBB286_42:                             ;   in Loop: Header=BB286_12 Depth=1
	s_or_b32 exec_lo, exec_lo, s15
	s_and_saveexec_b32 s15, s1
	s_cbranch_execnz .LBB286_85
.LBB286_43:                             ;   in Loop: Header=BB286_12 Depth=1
	s_or_b32 exec_lo, exec_lo, s15
	s_and_saveexec_b32 s15, s2
	s_cbranch_execnz .LBB286_90
.LBB286_44:                             ;   in Loop: Header=BB286_12 Depth=1
	s_or_b32 exec_lo, exec_lo, s15
	v_add_nc_u32_e32 v68, s19, v68
	s_and_saveexec_b32 s15, vcc_lo
	s_cbranch_execnz .LBB286_95
.LBB286_45:                             ;   in Loop: Header=BB286_12 Depth=1
	s_or_b32 exec_lo, exec_lo, s15
	s_and_saveexec_b32 s15, s1
	s_cbranch_execnz .LBB286_100
.LBB286_46:                             ;   in Loop: Header=BB286_12 Depth=1
	s_or_b32 exec_lo, exec_lo, s15
	s_and_saveexec_b32 s15, s2
	s_cbranch_execnz .LBB286_105
.LBB286_47:                             ;   in Loop: Header=BB286_12 Depth=1
	s_or_b32 exec_lo, exec_lo, s15
	v_add_nc_u32_e32 v68, s19, v68
	s_and_saveexec_b32 s3, vcc_lo
	s_cbranch_execnz .LBB286_110
.LBB286_48:                             ;   in Loop: Header=BB286_12 Depth=1
	s_or_b32 exec_lo, exec_lo, s3
	s_and_saveexec_b32 s3, s1
	s_cbranch_execnz .LBB286_115
.LBB286_49:                             ;   in Loop: Header=BB286_12 Depth=1
	s_or_b32 exec_lo, exec_lo, s3
	s_delay_alu instid0(SALU_CYCLE_1)
	s_and_b32 exec_lo, exec_lo, s2
	s_cbranch_execnz .LBB286_120
	s_branch .LBB286_125
.LBB286_50:                             ;   in Loop: Header=BB286_12 Depth=1
	s_waitcnt vmcnt(14) lgkmcnt(13)
	v_dual_add_f32 v34, v34, v35 :: v_dual_lshlrev_b32 v35, 16, v44
	s_delay_alu instid0(VALU_DEP_1) | instskip(NEXT) | instid1(VALU_DEP_1)
	v_add_f32_e32 v35, v34, v35
	v_and_b32_e32 v34, 0x7f800000, v35
	s_delay_alu instid0(VALU_DEP_1) | instskip(NEXT) | instid1(VALU_DEP_1)
	v_cmp_ne_u32_e64 s1, 0x7f800000, v34
                                        ; implicit-def: $vgpr34
	s_and_saveexec_b32 s3, s1
	s_delay_alu instid0(SALU_CYCLE_1)
	s_xor_b32 s1, exec_lo, s3
; %bb.51:                               ;   in Loop: Header=BB286_12 Depth=1
	v_bfe_u32 v34, v35, 16, 1
	s_delay_alu instid0(VALU_DEP_1)
	v_add3_u32 v34, v35, v34, 0x7fff
                                        ; implicit-def: $vgpr35
; %bb.52:                               ;   in Loop: Header=BB286_12 Depth=1
	s_and_not1_saveexec_b32 s3, s1
; %bb.53:                               ;   in Loop: Header=BB286_12 Depth=1
	v_and_b32_e32 v34, 0xffff, v35
	v_or_b32_e32 v44, 0x10000, v35
	s_delay_alu instid0(VALU_DEP_2) | instskip(NEXT) | instid1(VALU_DEP_1)
	v_cmp_eq_u32_e64 s1, 0, v34
	v_cndmask_b32_e64 v34, v44, v35, s1
; %bb.54:                               ;   in Loop: Header=BB286_12 Depth=1
	s_or_b32 exec_lo, exec_lo, s3
	v_mov_b32_e32 v67, v69
	s_delay_alu instid0(VALU_DEP_1) | instskip(NEXT) | instid1(VALU_DEP_1)
	v_lshlrev_b64 v[44:45], 1, v[66:67]
	v_add_co_u32 v44, s1, s12, v44
	s_delay_alu instid0(VALU_DEP_1) | instskip(SKIP_3) | instid1(VALU_DEP_1)
	v_add_co_ci_u32_e64 v45, s1, s13, v45, s1
	global_store_d16_hi_b16 v[44:45], v34, off
	s_or_b32 exec_lo, exec_lo, s2
	v_cmp_ne_u32_e64 s1, 0, v61
	s_and_saveexec_b32 s3, s1
	s_cbranch_execz .LBB286_37
.LBB286_55:                             ;   in Loop: Header=BB286_12 Depth=1
	s_waitcnt vmcnt(13) lgkmcnt(12)
	v_dual_add_f32 v31, v31, v32 :: v_dual_lshlrev_b32 v32, 16, v43
	s_delay_alu instid0(VALU_DEP_1) | instskip(NEXT) | instid1(VALU_DEP_1)
	v_add_f32_e32 v32, v31, v32
	v_and_b32_e32 v31, 0x7f800000, v32
	s_delay_alu instid0(VALU_DEP_1) | instskip(NEXT) | instid1(VALU_DEP_1)
	v_cmp_ne_u32_e64 s2, 0x7f800000, v31
                                        ; implicit-def: $vgpr31
	s_and_saveexec_b32 s15, s2
	s_delay_alu instid0(SALU_CYCLE_1)
	s_xor_b32 s2, exec_lo, s15
; %bb.56:                               ;   in Loop: Header=BB286_12 Depth=1
	v_bfe_u32 v31, v32, 16, 1
	s_delay_alu instid0(VALU_DEP_1)
	v_add3_u32 v31, v32, v31, 0x7fff
                                        ; implicit-def: $vgpr32
; %bb.57:                               ;   in Loop: Header=BB286_12 Depth=1
	s_and_not1_saveexec_b32 s15, s2
; %bb.58:                               ;   in Loop: Header=BB286_12 Depth=1
	v_and_b32_e32 v31, 0xffff, v32
	v_or_b32_e32 v34, 0x10000, v32
	s_delay_alu instid0(VALU_DEP_2) | instskip(NEXT) | instid1(VALU_DEP_1)
	v_cmp_eq_u32_e64 s2, 0, v31
	v_cndmask_b32_e64 v31, v34, v32, s2
; %bb.59:                               ;   in Loop: Header=BB286_12 Depth=1
	s_or_b32 exec_lo, exec_lo, s15
	v_mov_b32_e32 v67, v69
	s_delay_alu instid0(VALU_DEP_1) | instskip(NEXT) | instid1(VALU_DEP_1)
	v_lshlrev_b64 v[34:35], 1, v[66:67]
	v_add_co_u32 v34, s2, s36, v34
	s_delay_alu instid0(VALU_DEP_1) | instskip(SKIP_3) | instid1(VALU_DEP_1)
	v_add_co_ci_u32_e64 v35, s2, s37, v35, s2
	global_store_d16_hi_b16 v[34:35], v31, off
	s_or_b32 exec_lo, exec_lo, s3
	v_cmp_ne_u32_e64 s2, 0, v62
	s_and_saveexec_b32 s15, s2
	s_cbranch_execz .LBB286_38
.LBB286_60:                             ;   in Loop: Header=BB286_12 Depth=1
	s_waitcnt vmcnt(12) lgkmcnt(11)
	v_dual_add_f32 v28, v28, v29 :: v_dual_lshlrev_b32 v29, 16, v42
	s_delay_alu instid0(VALU_DEP_1) | instskip(NEXT) | instid1(VALU_DEP_1)
	v_add_f32_e32 v29, v28, v29
	v_and_b32_e32 v28, 0x7f800000, v29
	s_delay_alu instid0(VALU_DEP_1) | instskip(NEXT) | instid1(VALU_DEP_1)
	v_cmp_ne_u32_e64 s3, 0x7f800000, v28
                                        ; implicit-def: $vgpr28
	s_and_saveexec_b32 s43, s3
	s_delay_alu instid0(SALU_CYCLE_1)
	s_xor_b32 s3, exec_lo, s43
; %bb.61:                               ;   in Loop: Header=BB286_12 Depth=1
	v_bfe_u32 v28, v29, 16, 1
	s_delay_alu instid0(VALU_DEP_1)
	v_add3_u32 v28, v29, v28, 0x7fff
                                        ; implicit-def: $vgpr29
; %bb.62:                               ;   in Loop: Header=BB286_12 Depth=1
	s_and_not1_saveexec_b32 s43, s3
; %bb.63:                               ;   in Loop: Header=BB286_12 Depth=1
	v_and_b32_e32 v28, 0xffff, v29
	v_or_b32_e32 v31, 0x10000, v29
	s_delay_alu instid0(VALU_DEP_2) | instskip(NEXT) | instid1(VALU_DEP_1)
	v_cmp_eq_u32_e64 s3, 0, v28
	v_cndmask_b32_e64 v28, v31, v29, s3
; %bb.64:                               ;   in Loop: Header=BB286_12 Depth=1
	s_or_b32 exec_lo, exec_lo, s43
	v_lshlrev_b64 v[31:32], 1, v[68:69]
	s_delay_alu instid0(VALU_DEP_1) | instskip(NEXT) | instid1(VALU_DEP_1)
	v_add_co_u32 v31, s3, s12, v31
	v_add_co_ci_u32_e64 v32, s3, s13, v32, s3
	global_store_d16_hi_b16 v[31:32], v28, off
	s_or_b32 exec_lo, exec_lo, s15
	v_add_nc_u32_e32 v68, s19, v66
	s_and_saveexec_b32 s15, vcc_lo
	s_cbranch_execz .LBB286_39
.LBB286_65:                             ;   in Loop: Header=BB286_12 Depth=1
	s_waitcnt vmcnt(11) lgkmcnt(14)
	v_dual_add_f32 v25, v25, v26 :: v_dual_lshlrev_b32 v26, 16, v41
	s_delay_alu instid0(VALU_DEP_1) | instskip(NEXT) | instid1(VALU_DEP_1)
	v_add_f32_e32 v26, v25, v26
	v_and_b32_e32 v25, 0x7f800000, v26
	s_delay_alu instid0(VALU_DEP_1) | instskip(NEXT) | instid1(VALU_DEP_1)
	v_cmp_ne_u32_e64 s3, 0x7f800000, v25
                                        ; implicit-def: $vgpr25
	s_and_saveexec_b32 s43, s3
	s_delay_alu instid0(SALU_CYCLE_1)
	s_xor_b32 s3, exec_lo, s43
; %bb.66:                               ;   in Loop: Header=BB286_12 Depth=1
	v_bfe_u32 v25, v26, 16, 1
	s_delay_alu instid0(VALU_DEP_1)
	v_add3_u32 v25, v26, v25, 0x7fff
                                        ; implicit-def: $vgpr26
; %bb.67:                               ;   in Loop: Header=BB286_12 Depth=1
	s_and_not1_saveexec_b32 s43, s3
; %bb.68:                               ;   in Loop: Header=BB286_12 Depth=1
	v_and_b32_e32 v25, 0xffff, v26
	v_or_b32_e32 v28, 0x10000, v26
	s_delay_alu instid0(VALU_DEP_2) | instskip(NEXT) | instid1(VALU_DEP_1)
	v_cmp_eq_u32_e64 s3, 0, v25
	v_cndmask_b32_e64 v25, v28, v26, s3
; %bb.69:                               ;   in Loop: Header=BB286_12 Depth=1
	s_or_b32 exec_lo, exec_lo, s43
	s_waitcnt lgkmcnt(11)
	v_lshlrev_b64 v[28:29], 1, v[68:69]
	s_delay_alu instid0(VALU_DEP_1) | instskip(NEXT) | instid1(VALU_DEP_1)
	v_add_co_u32 v28, s3, s12, v28
	v_add_co_ci_u32_e64 v29, s3, s13, v29, s3
	global_store_d16_hi_b16 v[28:29], v25, off
	s_or_b32 exec_lo, exec_lo, s15
	s_and_saveexec_b32 s15, s1
	s_cbranch_execz .LBB286_40
.LBB286_70:                             ;   in Loop: Header=BB286_12 Depth=1
	s_waitcnt vmcnt(10) lgkmcnt(10)
	v_dual_add_f32 v20, v20, v21 :: v_dual_lshlrev_b32 v21, 16, v40
	s_delay_alu instid0(VALU_DEP_1) | instskip(NEXT) | instid1(VALU_DEP_1)
	v_add_f32_e32 v21, v20, v21
	v_and_b32_e32 v20, 0x7f800000, v21
	s_delay_alu instid0(VALU_DEP_1) | instskip(NEXT) | instid1(VALU_DEP_1)
	v_cmp_ne_u32_e64 s3, 0x7f800000, v20
                                        ; implicit-def: $vgpr20
	s_and_saveexec_b32 s43, s3
	s_delay_alu instid0(SALU_CYCLE_1)
	s_xor_b32 s3, exec_lo, s43
; %bb.71:                               ;   in Loop: Header=BB286_12 Depth=1
	v_bfe_u32 v20, v21, 16, 1
	s_delay_alu instid0(VALU_DEP_1)
	v_add3_u32 v20, v21, v20, 0x7fff
                                        ; implicit-def: $vgpr21
; %bb.72:                               ;   in Loop: Header=BB286_12 Depth=1
	s_and_not1_saveexec_b32 s43, s3
; %bb.73:                               ;   in Loop: Header=BB286_12 Depth=1
	v_and_b32_e32 v20, 0xffff, v21
	v_or_b32_e32 v25, 0x10000, v21
	s_delay_alu instid0(VALU_DEP_2) | instskip(NEXT) | instid1(VALU_DEP_1)
	v_cmp_eq_u32_e64 s3, 0, v20
	v_cndmask_b32_e64 v20, v25, v21, s3
; %bb.74:                               ;   in Loop: Header=BB286_12 Depth=1
	s_or_b32 exec_lo, exec_lo, s43
	v_dual_mov_b32 v26, v69 :: v_dual_add_nc_u32 v25, 1, v68
	s_delay_alu instid0(VALU_DEP_1) | instskip(NEXT) | instid1(VALU_DEP_1)
	v_lshlrev_b64 v[25:26], 1, v[25:26]
	v_add_co_u32 v25, s3, s12, v25
	s_delay_alu instid0(VALU_DEP_1)
	v_add_co_ci_u32_e64 v26, s3, s13, v26, s3
	global_store_d16_hi_b16 v[25:26], v20, off
	s_or_b32 exec_lo, exec_lo, s15
	s_and_saveexec_b32 s15, s2
	s_cbranch_execz .LBB286_41
.LBB286_75:                             ;   in Loop: Header=BB286_12 Depth=1
	s_waitcnt vmcnt(9) lgkmcnt(6)
	v_dual_add_f32 v20, v23, v24 :: v_dual_lshlrev_b32 v21, 16, v39
	s_delay_alu instid0(VALU_DEP_1) | instskip(NEXT) | instid1(VALU_DEP_1)
	v_add_f32_e32 v21, v20, v21
	v_and_b32_e32 v20, 0x7f800000, v21
	s_delay_alu instid0(VALU_DEP_1) | instskip(NEXT) | instid1(VALU_DEP_1)
	v_cmp_ne_u32_e64 s3, 0x7f800000, v20
                                        ; implicit-def: $vgpr20
	s_and_saveexec_b32 s43, s3
	s_delay_alu instid0(SALU_CYCLE_1)
	s_xor_b32 s3, exec_lo, s43
; %bb.76:                               ;   in Loop: Header=BB286_12 Depth=1
	v_bfe_u32 v20, v21, 16, 1
	s_delay_alu instid0(VALU_DEP_1)
	v_add3_u32 v20, v21, v20, 0x7fff
                                        ; implicit-def: $vgpr21
; %bb.77:                               ;   in Loop: Header=BB286_12 Depth=1
	s_and_not1_saveexec_b32 s43, s3
; %bb.78:                               ;   in Loop: Header=BB286_12 Depth=1
	v_and_b32_e32 v20, 0xffff, v21
	v_or_b32_e32 v23, 0x10000, v21
	s_delay_alu instid0(VALU_DEP_2) | instskip(NEXT) | instid1(VALU_DEP_1)
	v_cmp_eq_u32_e64 s3, 0, v20
	v_cndmask_b32_e64 v20, v23, v21, s3
; %bb.79:                               ;   in Loop: Header=BB286_12 Depth=1
	s_or_b32 exec_lo, exec_lo, s43
	v_dual_mov_b32 v24, v69 :: v_dual_add_nc_u32 v23, 2, v68
	s_delay_alu instid0(VALU_DEP_1) | instskip(NEXT) | instid1(VALU_DEP_1)
	v_lshlrev_b64 v[23:24], 1, v[23:24]
	v_add_co_u32 v23, s3, s12, v23
	s_delay_alu instid0(VALU_DEP_1)
	v_add_co_ci_u32_e64 v24, s3, s13, v24, s3
	global_store_d16_hi_b16 v[23:24], v20, off
	s_or_b32 exec_lo, exec_lo, s15
	v_add_nc_u32_e32 v68, s19, v68
	s_and_saveexec_b32 s15, vcc_lo
	s_cbranch_execz .LBB286_42
.LBB286_80:                             ;   in Loop: Header=BB286_12 Depth=1
	s_waitcnt vmcnt(8) lgkmcnt(5)
	v_dual_add_f32 v18, v18, v19 :: v_dual_lshlrev_b32 v19, 16, v38
	s_delay_alu instid0(VALU_DEP_1) | instskip(NEXT) | instid1(VALU_DEP_1)
	v_add_f32_e32 v19, v18, v19
	v_and_b32_e32 v18, 0x7f800000, v19
	s_delay_alu instid0(VALU_DEP_1) | instskip(NEXT) | instid1(VALU_DEP_1)
	v_cmp_ne_u32_e64 s3, 0x7f800000, v18
                                        ; implicit-def: $vgpr18
	s_and_saveexec_b32 s43, s3
	s_delay_alu instid0(SALU_CYCLE_1)
	s_xor_b32 s3, exec_lo, s43
; %bb.81:                               ;   in Loop: Header=BB286_12 Depth=1
	v_bfe_u32 v18, v19, 16, 1
	s_delay_alu instid0(VALU_DEP_1)
	v_add3_u32 v18, v19, v18, 0x7fff
                                        ; implicit-def: $vgpr19
; %bb.82:                               ;   in Loop: Header=BB286_12 Depth=1
	s_and_not1_saveexec_b32 s43, s3
; %bb.83:                               ;   in Loop: Header=BB286_12 Depth=1
	v_and_b32_e32 v18, 0xffff, v19
	v_or_b32_e32 v20, 0x10000, v19
	s_delay_alu instid0(VALU_DEP_2) | instskip(NEXT) | instid1(VALU_DEP_1)
	v_cmp_eq_u32_e64 s3, 0, v18
	v_cndmask_b32_e64 v18, v20, v19, s3
; %bb.84:                               ;   in Loop: Header=BB286_12 Depth=1
	s_or_b32 exec_lo, exec_lo, s43
	v_lshlrev_b64 v[19:20], 1, v[68:69]
	s_delay_alu instid0(VALU_DEP_1) | instskip(NEXT) | instid1(VALU_DEP_1)
	v_add_co_u32 v19, s3, s12, v19
	v_add_co_ci_u32_e64 v20, s3, s13, v20, s3
	global_store_d16_hi_b16 v[19:20], v18, off
	s_or_b32 exec_lo, exec_lo, s15
	s_and_saveexec_b32 s15, s1
	s_cbranch_execz .LBB286_43
.LBB286_85:                             ;   in Loop: Header=BB286_12 Depth=1
	s_waitcnt lgkmcnt(7)
	v_add_f32_e32 v15, v15, v16
	s_waitcnt vmcnt(7)
	v_lshlrev_b32_e32 v16, 16, v36
	s_delay_alu instid0(VALU_DEP_1) | instskip(NEXT) | instid1(VALU_DEP_1)
	v_add_f32_e32 v16, v15, v16
	v_and_b32_e32 v15, 0x7f800000, v16
	s_delay_alu instid0(VALU_DEP_1) | instskip(NEXT) | instid1(VALU_DEP_1)
	v_cmp_ne_u32_e64 s3, 0x7f800000, v15
                                        ; implicit-def: $vgpr15
	s_and_saveexec_b32 s43, s3
	s_delay_alu instid0(SALU_CYCLE_1)
	s_xor_b32 s3, exec_lo, s43
; %bb.86:                               ;   in Loop: Header=BB286_12 Depth=1
	v_bfe_u32 v15, v16, 16, 1
	s_delay_alu instid0(VALU_DEP_1)
	v_add3_u32 v15, v16, v15, 0x7fff
                                        ; implicit-def: $vgpr16
; %bb.87:                               ;   in Loop: Header=BB286_12 Depth=1
	s_and_not1_saveexec_b32 s43, s3
; %bb.88:                               ;   in Loop: Header=BB286_12 Depth=1
	v_and_b32_e32 v15, 0xffff, v16
	v_or_b32_e32 v18, 0x10000, v16
	s_delay_alu instid0(VALU_DEP_2) | instskip(NEXT) | instid1(VALU_DEP_1)
	v_cmp_eq_u32_e64 s3, 0, v15
	v_cndmask_b32_e64 v15, v18, v16, s3
; %bb.89:                               ;   in Loop: Header=BB286_12 Depth=1
	s_or_b32 exec_lo, exec_lo, s43
	s_waitcnt lgkmcnt(5)
	v_dual_mov_b32 v19, v69 :: v_dual_add_nc_u32 v18, 1, v68
	s_delay_alu instid0(VALU_DEP_1) | instskip(NEXT) | instid1(VALU_DEP_1)
	v_lshlrev_b64 v[18:19], 1, v[18:19]
	v_add_co_u32 v18, s3, s12, v18
	s_delay_alu instid0(VALU_DEP_1)
	v_add_co_ci_u32_e64 v19, s3, s13, v19, s3
	global_store_d16_hi_b16 v[18:19], v15, off
	s_or_b32 exec_lo, exec_lo, s15
	s_and_saveexec_b32 s15, s2
	s_cbranch_execz .LBB286_44
.LBB286_90:                             ;   in Loop: Header=BB286_12 Depth=1
	s_waitcnt lgkmcnt(9)
	v_add_f32_e32 v12, v12, v13
	s_waitcnt vmcnt(6)
	v_lshlrev_b32_e32 v13, 16, v37
	s_delay_alu instid0(VALU_DEP_1) | instskip(NEXT) | instid1(VALU_DEP_1)
	v_add_f32_e32 v13, v12, v13
	v_and_b32_e32 v12, 0x7f800000, v13
	s_delay_alu instid0(VALU_DEP_1) | instskip(NEXT) | instid1(VALU_DEP_1)
	v_cmp_ne_u32_e64 s3, 0x7f800000, v12
                                        ; implicit-def: $vgpr12
	s_and_saveexec_b32 s43, s3
	s_delay_alu instid0(SALU_CYCLE_1)
	s_xor_b32 s3, exec_lo, s43
; %bb.91:                               ;   in Loop: Header=BB286_12 Depth=1
	v_bfe_u32 v12, v13, 16, 1
	s_delay_alu instid0(VALU_DEP_1)
	v_add3_u32 v12, v13, v12, 0x7fff
                                        ; implicit-def: $vgpr13
; %bb.92:                               ;   in Loop: Header=BB286_12 Depth=1
	s_and_not1_saveexec_b32 s43, s3
; %bb.93:                               ;   in Loop: Header=BB286_12 Depth=1
	v_and_b32_e32 v12, 0xffff, v13
	v_or_b32_e32 v15, 0x10000, v13
	s_delay_alu instid0(VALU_DEP_2) | instskip(NEXT) | instid1(VALU_DEP_1)
	v_cmp_eq_u32_e64 s3, 0, v12
	v_cndmask_b32_e64 v12, v15, v13, s3
; %bb.94:                               ;   in Loop: Header=BB286_12 Depth=1
	s_or_b32 exec_lo, exec_lo, s43
	s_waitcnt lgkmcnt(7)
	v_dual_mov_b32 v16, v69 :: v_dual_add_nc_u32 v15, 2, v68
	s_delay_alu instid0(VALU_DEP_1) | instskip(NEXT) | instid1(VALU_DEP_1)
	v_lshlrev_b64 v[15:16], 1, v[15:16]
	v_add_co_u32 v15, s3, s12, v15
	s_delay_alu instid0(VALU_DEP_1)
	v_add_co_ci_u32_e64 v16, s3, s13, v16, s3
	global_store_d16_hi_b16 v[15:16], v12, off
	s_or_b32 exec_lo, exec_lo, s15
	v_add_nc_u32_e32 v68, s19, v68
	s_and_saveexec_b32 s15, vcc_lo
	s_cbranch_execz .LBB286_45
.LBB286_95:                             ;   in Loop: Header=BB286_12 Depth=1
	s_waitcnt lgkmcnt(8)
	v_add_f32_e32 v8, v8, v9
	s_waitcnt vmcnt(5)
	v_lshlrev_b32_e32 v9, 16, v33
	s_delay_alu instid0(VALU_DEP_1) | instskip(NEXT) | instid1(VALU_DEP_1)
	v_add_f32_e32 v9, v8, v9
	v_and_b32_e32 v8, 0x7f800000, v9
	s_delay_alu instid0(VALU_DEP_1) | instskip(NEXT) | instid1(VALU_DEP_1)
	v_cmp_ne_u32_e64 s3, 0x7f800000, v8
                                        ; implicit-def: $vgpr8
	s_and_saveexec_b32 s43, s3
	s_delay_alu instid0(SALU_CYCLE_1)
	s_xor_b32 s3, exec_lo, s43
; %bb.96:                               ;   in Loop: Header=BB286_12 Depth=1
	v_bfe_u32 v8, v9, 16, 1
	s_delay_alu instid0(VALU_DEP_1)
	v_add3_u32 v8, v9, v8, 0x7fff
                                        ; implicit-def: $vgpr9
; %bb.97:                               ;   in Loop: Header=BB286_12 Depth=1
	s_and_not1_saveexec_b32 s43, s3
; %bb.98:                               ;   in Loop: Header=BB286_12 Depth=1
	v_and_b32_e32 v8, 0xffff, v9
	v_or_b32_e32 v12, 0x10000, v9
	s_delay_alu instid0(VALU_DEP_2) | instskip(NEXT) | instid1(VALU_DEP_1)
	v_cmp_eq_u32_e64 s3, 0, v8
	v_cndmask_b32_e64 v8, v12, v9, s3
; %bb.99:                               ;   in Loop: Header=BB286_12 Depth=1
	s_or_b32 exec_lo, exec_lo, s43
	v_lshlrev_b64 v[12:13], 1, v[68:69]
	s_delay_alu instid0(VALU_DEP_1) | instskip(NEXT) | instid1(VALU_DEP_1)
	v_add_co_u32 v12, s3, s12, v12
	v_add_co_ci_u32_e64 v13, s3, s13, v13, s3
	global_store_d16_hi_b16 v[12:13], v8, off
	s_or_b32 exec_lo, exec_lo, s15
	s_and_saveexec_b32 s15, s1
	s_cbranch_execz .LBB286_46
.LBB286_100:                            ;   in Loop: Header=BB286_12 Depth=1
	s_waitcnt vmcnt(4) lgkmcnt(3)
	v_dual_add_f32 v8, v10, v11 :: v_dual_lshlrev_b32 v9, 16, v30
	s_delay_alu instid0(VALU_DEP_1) | instskip(NEXT) | instid1(VALU_DEP_1)
	v_add_f32_e32 v9, v8, v9
	v_and_b32_e32 v8, 0x7f800000, v9
	s_delay_alu instid0(VALU_DEP_1) | instskip(NEXT) | instid1(VALU_DEP_1)
	v_cmp_ne_u32_e64 s3, 0x7f800000, v8
                                        ; implicit-def: $vgpr8
	s_and_saveexec_b32 s43, s3
	s_delay_alu instid0(SALU_CYCLE_1)
	s_xor_b32 s3, exec_lo, s43
; %bb.101:                              ;   in Loop: Header=BB286_12 Depth=1
	v_bfe_u32 v8, v9, 16, 1
	s_delay_alu instid0(VALU_DEP_1)
	v_add3_u32 v8, v9, v8, 0x7fff
                                        ; implicit-def: $vgpr9
; %bb.102:                              ;   in Loop: Header=BB286_12 Depth=1
	s_and_not1_saveexec_b32 s43, s3
; %bb.103:                              ;   in Loop: Header=BB286_12 Depth=1
	v_and_b32_e32 v8, 0xffff, v9
	v_or_b32_e32 v10, 0x10000, v9
	s_delay_alu instid0(VALU_DEP_2) | instskip(NEXT) | instid1(VALU_DEP_1)
	v_cmp_eq_u32_e64 s3, 0, v8
	v_cndmask_b32_e64 v8, v10, v9, s3
; %bb.104:                              ;   in Loop: Header=BB286_12 Depth=1
	s_or_b32 exec_lo, exec_lo, s43
	v_dual_mov_b32 v10, v69 :: v_dual_add_nc_u32 v9, 1, v68
	s_delay_alu instid0(VALU_DEP_1) | instskip(NEXT) | instid1(VALU_DEP_1)
	v_lshlrev_b64 v[9:10], 1, v[9:10]
	v_add_co_u32 v9, s3, s12, v9
	s_delay_alu instid0(VALU_DEP_1)
	v_add_co_ci_u32_e64 v10, s3, s13, v10, s3
	global_store_d16_hi_b16 v[9:10], v8, off
	s_or_b32 exec_lo, exec_lo, s15
	s_and_saveexec_b32 s15, s2
	s_cbranch_execz .LBB286_47
.LBB286_105:                            ;   in Loop: Header=BB286_12 Depth=1
	s_waitcnt lgkmcnt(4)
	v_add_f32_e32 v6, v6, v7
	s_waitcnt vmcnt(3)
	v_lshlrev_b32_e32 v7, 16, v27
	s_delay_alu instid0(VALU_DEP_1) | instskip(NEXT) | instid1(VALU_DEP_1)
	v_add_f32_e32 v7, v6, v7
	v_and_b32_e32 v6, 0x7f800000, v7
	s_delay_alu instid0(VALU_DEP_1) | instskip(NEXT) | instid1(VALU_DEP_1)
	v_cmp_ne_u32_e64 s3, 0x7f800000, v6
                                        ; implicit-def: $vgpr6
	s_and_saveexec_b32 s43, s3
	s_delay_alu instid0(SALU_CYCLE_1)
	s_xor_b32 s3, exec_lo, s43
; %bb.106:                              ;   in Loop: Header=BB286_12 Depth=1
	v_bfe_u32 v6, v7, 16, 1
	s_delay_alu instid0(VALU_DEP_1)
	v_add3_u32 v6, v7, v6, 0x7fff
                                        ; implicit-def: $vgpr7
; %bb.107:                              ;   in Loop: Header=BB286_12 Depth=1
	s_and_not1_saveexec_b32 s43, s3
; %bb.108:                              ;   in Loop: Header=BB286_12 Depth=1
	v_and_b32_e32 v6, 0xffff, v7
	v_or_b32_e32 v8, 0x10000, v7
	s_delay_alu instid0(VALU_DEP_2) | instskip(NEXT) | instid1(VALU_DEP_1)
	v_cmp_eq_u32_e64 s3, 0, v6
	v_cndmask_b32_e64 v6, v8, v7, s3
; %bb.109:                              ;   in Loop: Header=BB286_12 Depth=1
	s_or_b32 exec_lo, exec_lo, s43
	v_dual_mov_b32 v8, v69 :: v_dual_add_nc_u32 v7, 2, v68
	s_delay_alu instid0(VALU_DEP_1) | instskip(NEXT) | instid1(VALU_DEP_1)
	v_lshlrev_b64 v[7:8], 1, v[7:8]
	v_add_co_u32 v7, s3, s12, v7
	s_delay_alu instid0(VALU_DEP_1)
	v_add_co_ci_u32_e64 v8, s3, s13, v8, s3
	global_store_d16_hi_b16 v[7:8], v6, off
	s_or_b32 exec_lo, exec_lo, s15
	v_add_nc_u32_e32 v68, s19, v68
	s_and_saveexec_b32 s3, vcc_lo
	s_cbranch_execz .LBB286_48
.LBB286_110:                            ;   in Loop: Header=BB286_12 Depth=1
	s_waitcnt vmcnt(2) lgkmcnt(2)
	v_dual_add_f32 v4, v4, v5 :: v_dual_lshlrev_b32 v5, 16, v22
	s_delay_alu instid0(VALU_DEP_1) | instskip(NEXT) | instid1(VALU_DEP_1)
	v_add_f32_e32 v5, v4, v5
	v_and_b32_e32 v4, 0x7f800000, v5
	s_delay_alu instid0(VALU_DEP_1) | instskip(SKIP_1) | instid1(SALU_CYCLE_1)
	v_cmp_ne_u32_e32 vcc_lo, 0x7f800000, v4
                                        ; implicit-def: $vgpr4
	s_and_saveexec_b32 s15, vcc_lo
	s_xor_b32 s15, exec_lo, s15
; %bb.111:                              ;   in Loop: Header=BB286_12 Depth=1
	v_bfe_u32 v4, v5, 16, 1
	s_delay_alu instid0(VALU_DEP_1)
	v_add3_u32 v4, v5, v4, 0x7fff
                                        ; implicit-def: $vgpr5
; %bb.112:                              ;   in Loop: Header=BB286_12 Depth=1
	s_and_not1_saveexec_b32 s15, s15
; %bb.113:                              ;   in Loop: Header=BB286_12 Depth=1
	v_and_b32_e32 v4, 0xffff, v5
	v_or_b32_e32 v6, 0x10000, v5
	s_delay_alu instid0(VALU_DEP_2) | instskip(NEXT) | instid1(VALU_DEP_2)
	v_cmp_eq_u32_e32 vcc_lo, 0, v4
	v_cndmask_b32_e32 v4, v6, v5, vcc_lo
; %bb.114:                              ;   in Loop: Header=BB286_12 Depth=1
	s_or_b32 exec_lo, exec_lo, s15
	v_lshlrev_b64 v[5:6], 1, v[68:69]
	s_delay_alu instid0(VALU_DEP_1) | instskip(NEXT) | instid1(VALU_DEP_2)
	v_add_co_u32 v5, vcc_lo, s12, v5
	v_add_co_ci_u32_e32 v6, vcc_lo, s13, v6, vcc_lo
	global_store_d16_hi_b16 v[5:6], v4, off
	s_or_b32 exec_lo, exec_lo, s3
	s_and_saveexec_b32 s3, s1
	s_cbranch_execz .LBB286_49
.LBB286_115:                            ;   in Loop: Header=BB286_12 Depth=1
	s_waitcnt vmcnt(1) lgkmcnt(1)
	v_dual_add_f32 v2, v2, v3 :: v_dual_lshlrev_b32 v3, 16, v17
	s_delay_alu instid0(VALU_DEP_1) | instskip(NEXT) | instid1(VALU_DEP_1)
	v_add_f32_e32 v3, v2, v3
	v_and_b32_e32 v2, 0x7f800000, v3
	s_delay_alu instid0(VALU_DEP_1) | instskip(SKIP_1) | instid1(SALU_CYCLE_1)
	v_cmp_ne_u32_e32 vcc_lo, 0x7f800000, v2
                                        ; implicit-def: $vgpr2
	s_and_saveexec_b32 s1, vcc_lo
	s_xor_b32 s1, exec_lo, s1
; %bb.116:                              ;   in Loop: Header=BB286_12 Depth=1
	v_bfe_u32 v2, v3, 16, 1
	s_delay_alu instid0(VALU_DEP_1)
	v_add3_u32 v2, v3, v2, 0x7fff
                                        ; implicit-def: $vgpr3
; %bb.117:                              ;   in Loop: Header=BB286_12 Depth=1
	s_and_not1_saveexec_b32 s1, s1
; %bb.118:                              ;   in Loop: Header=BB286_12 Depth=1
	v_and_b32_e32 v2, 0xffff, v3
	v_or_b32_e32 v4, 0x10000, v3
	s_delay_alu instid0(VALU_DEP_2) | instskip(NEXT) | instid1(VALU_DEP_2)
	v_cmp_eq_u32_e32 vcc_lo, 0, v2
	v_cndmask_b32_e32 v2, v4, v3, vcc_lo
; %bb.119:                              ;   in Loop: Header=BB286_12 Depth=1
	s_or_b32 exec_lo, exec_lo, s1
	v_dual_mov_b32 v4, v69 :: v_dual_add_nc_u32 v3, 1, v68
	s_delay_alu instid0(VALU_DEP_1) | instskip(NEXT) | instid1(VALU_DEP_1)
	v_lshlrev_b64 v[3:4], 1, v[3:4]
	v_add_co_u32 v3, vcc_lo, s12, v3
	s_delay_alu instid0(VALU_DEP_2) | instskip(SKIP_2) | instid1(SALU_CYCLE_1)
	v_add_co_ci_u32_e32 v4, vcc_lo, s13, v4, vcc_lo
	global_store_d16_hi_b16 v[3:4], v2, off
	s_or_b32 exec_lo, exec_lo, s3
	s_and_b32 exec_lo, exec_lo, s2
	s_cbranch_execz .LBB286_125
.LBB286_120:                            ;   in Loop: Header=BB286_12 Depth=1
	s_waitcnt vmcnt(0) lgkmcnt(0)
	v_dual_add_f32 v0, v0, v1 :: v_dual_lshlrev_b32 v1, 16, v14
	s_delay_alu instid0(VALU_DEP_1) | instskip(NEXT) | instid1(VALU_DEP_1)
	v_add_f32_e32 v1, v0, v1
	v_and_b32_e32 v0, 0x7f800000, v1
	s_delay_alu instid0(VALU_DEP_1) | instskip(SKIP_1) | instid1(SALU_CYCLE_1)
	v_cmp_ne_u32_e32 vcc_lo, 0x7f800000, v0
                                        ; implicit-def: $vgpr0
	s_and_saveexec_b32 s1, vcc_lo
	s_xor_b32 s1, exec_lo, s1
; %bb.121:                              ;   in Loop: Header=BB286_12 Depth=1
	v_bfe_u32 v0, v1, 16, 1
	s_delay_alu instid0(VALU_DEP_1)
	v_add3_u32 v0, v1, v0, 0x7fff
                                        ; implicit-def: $vgpr1
; %bb.122:                              ;   in Loop: Header=BB286_12 Depth=1
	s_and_not1_saveexec_b32 s1, s1
; %bb.123:                              ;   in Loop: Header=BB286_12 Depth=1
	v_and_b32_e32 v0, 0xffff, v1
	v_or_b32_e32 v2, 0x10000, v1
	s_delay_alu instid0(VALU_DEP_2) | instskip(NEXT) | instid1(VALU_DEP_2)
	v_cmp_eq_u32_e32 vcc_lo, 0, v0
	v_cndmask_b32_e32 v0, v2, v1, vcc_lo
; %bb.124:                              ;   in Loop: Header=BB286_12 Depth=1
	s_or_b32 exec_lo, exec_lo, s1
	v_add_nc_u32_e32 v68, 2, v68
	s_delay_alu instid0(VALU_DEP_1) | instskip(NEXT) | instid1(VALU_DEP_1)
	v_lshlrev_b64 v[1:2], 1, v[68:69]
	v_add_co_u32 v1, vcc_lo, s12, v1
	s_delay_alu instid0(VALU_DEP_2)
	v_add_co_ci_u32_e32 v2, vcc_lo, s13, v2, vcc_lo
	global_store_d16_hi_b16 v[1:2], v0, off
.LBB286_125:                            ;   in Loop: Header=BB286_12 Depth=1
	s_or_b32 exec_lo, exec_lo, s14
	v_add_nc_u32_e32 v66, s5, v66
	s_delay_alu instid0(VALU_DEP_1) | instskip(SKIP_1) | instid1(VALU_DEP_2)
	v_add_nc_u32_e32 v0, 3, v66
	v_cmp_gt_u32_e32 vcc_lo, s19, v66
	v_cmp_le_u32_e64 s1, s19, v0
	s_delay_alu instid0(VALU_DEP_1) | instskip(NEXT) | instid1(SALU_CYCLE_1)
	s_and_b32 s1, vcc_lo, s1
	s_and_saveexec_b32 s43, s1
	s_cbranch_execz .LBB286_10
; %bb.126:                              ;   in Loop: Header=BB286_12 Depth=1
	s_mov_b32 s44, exec_lo
	v_cmpx_ne_u32_e64 s31, v66
	s_cbranch_execz .LBB286_9
; %bb.127:                              ;   in Loop: Header=BB286_12 Depth=1
	v_subrev_nc_u32_e32 v0, s31, v66
	s_mov_b32 s45, 0
	s_mov_b64 s[14:15], 0
	s_delay_alu instid0(VALU_DEP_1)
	v_cmp_lt_u32_e32 vcc_lo, 1, v0
	v_cndmask_b32_e32 v0, 1, v0, vcc_lo
	.p2align	6
.LBB286_128:                            ;   Parent Loop BB286_12 Depth=1
                                        ; =>  This Inner Loop Header: Depth=2
	s_cmp_lg_u32 s14, 2
	s_cselect_b32 vcc_lo, -1, 0
	s_cmp_lg_u32 s14, 1
	v_cndmask_b32_e32 v62, 0, v62, vcc_lo
	s_cselect_b32 s1, -1, 0
	s_cmp_lg_u32 s14, 0
	v_cndmask_b32_e64 v61, 0, v61, s1
	s_cselect_b32 s2, -1, 0
	s_add_u32 s14, s14, 1
	v_cndmask_b32_e64 v60, 0, v60, s2
	v_cmp_eq_u32_e64 s3, s14, v0
	s_addc_u32 s15, s15, 0
	s_delay_alu instid0(VALU_DEP_1) | instskip(NEXT) | instid1(SALU_CYCLE_1)
	s_or_b32 s45, s3, s45
	s_and_not1_b32 exec_lo, exec_lo, s45
	s_cbranch_execnz .LBB286_128
; %bb.129:                              ;   in Loop: Header=BB286_12 Depth=1
	s_or_b32 exec_lo, exec_lo, s45
	s_branch .LBB286_9
.LBB286_130:
	s_nop 0
	s_sendmsg sendmsg(MSG_DEALLOC_VGPRS)
	s_endpgm
	.section	.rodata,"a",@progbits
	.p2align	6, 0x0
	.amdhsa_kernel _Z16wvSplitK_hf_big_I14__hip_bfloat16Li32ELi3ELi16ELi8ELi2ELi5EEviiiiiiPKT_S3_S3_PS1_ii
		.amdhsa_group_segment_fixed_size 65536
		.amdhsa_private_segment_fixed_size 0
		.amdhsa_kernarg_size 64
		.amdhsa_user_sgpr_count 15
		.amdhsa_user_sgpr_dispatch_ptr 0
		.amdhsa_user_sgpr_queue_ptr 0
		.amdhsa_user_sgpr_kernarg_segment_ptr 1
		.amdhsa_user_sgpr_dispatch_id 0
		.amdhsa_user_sgpr_private_segment_size 0
		.amdhsa_wavefront_size32 1
		.amdhsa_uses_dynamic_stack 0
		.amdhsa_enable_private_segment 0
		.amdhsa_system_sgpr_workgroup_id_x 1
		.amdhsa_system_sgpr_workgroup_id_y 0
		.amdhsa_system_sgpr_workgroup_id_z 0
		.amdhsa_system_sgpr_workgroup_info 0
		.amdhsa_system_vgpr_workitem_id 1
		.amdhsa_next_free_vgpr 116
		.amdhsa_next_free_sgpr 46
		.amdhsa_reserve_vcc 1
		.amdhsa_float_round_mode_32 0
		.amdhsa_float_round_mode_16_64 0
		.amdhsa_float_denorm_mode_32 3
		.amdhsa_float_denorm_mode_16_64 3
		.amdhsa_dx10_clamp 1
		.amdhsa_ieee_mode 1
		.amdhsa_fp16_overflow 0
		.amdhsa_workgroup_processor_mode 1
		.amdhsa_memory_ordered 1
		.amdhsa_forward_progress 0
		.amdhsa_shared_vgpr_count 0
		.amdhsa_exception_fp_ieee_invalid_op 0
		.amdhsa_exception_fp_denorm_src 0
		.amdhsa_exception_fp_ieee_div_zero 0
		.amdhsa_exception_fp_ieee_overflow 0
		.amdhsa_exception_fp_ieee_underflow 0
		.amdhsa_exception_fp_ieee_inexact 0
		.amdhsa_exception_int_div_zero 0
	.end_amdhsa_kernel
	.section	.text._Z16wvSplitK_hf_big_I14__hip_bfloat16Li32ELi3ELi16ELi8ELi2ELi5EEviiiiiiPKT_S3_S3_PS1_ii,"axG",@progbits,_Z16wvSplitK_hf_big_I14__hip_bfloat16Li32ELi3ELi16ELi8ELi2ELi5EEviiiiiiPKT_S3_S3_PS1_ii,comdat
.Lfunc_end286:
	.size	_Z16wvSplitK_hf_big_I14__hip_bfloat16Li32ELi3ELi16ELi8ELi2ELi5EEviiiiiiPKT_S3_S3_PS1_ii, .Lfunc_end286-_Z16wvSplitK_hf_big_I14__hip_bfloat16Li32ELi3ELi16ELi8ELi2ELi5EEviiiiiiPKT_S3_S3_PS1_ii
                                        ; -- End function
	.section	.AMDGPU.csdata,"",@progbits
; Kernel info:
; codeLenInByte = 10148
; NumSgprs: 48
; NumVgprs: 116
; ScratchSize: 0
; MemoryBound: 0
; FloatMode: 240
; IeeeMode: 1
; LDSByteSize: 65536 bytes/workgroup (compile time only)
; SGPRBlocks: 5
; VGPRBlocks: 14
; NumSGPRsForWavesPerEU: 48
; NumVGPRsForWavesPerEU: 116
; Occupancy: 8
; WaveLimiterHint : 0
; COMPUTE_PGM_RSRC2:SCRATCH_EN: 0
; COMPUTE_PGM_RSRC2:USER_SGPR: 15
; COMPUTE_PGM_RSRC2:TRAP_HANDLER: 0
; COMPUTE_PGM_RSRC2:TGID_X_EN: 1
; COMPUTE_PGM_RSRC2:TGID_Y_EN: 0
; COMPUTE_PGM_RSRC2:TGID_Z_EN: 0
; COMPUTE_PGM_RSRC2:TIDIG_COMP_CNT: 1
	.section	.text._Z16wvSplitK_hf_sml_I14__hip_bfloat16Li32ELi4ELi16ELi8ELi1ELi5EEviiiiiiPKT_S3_S3_PS1_ii,"axG",@progbits,_Z16wvSplitK_hf_sml_I14__hip_bfloat16Li32ELi4ELi16ELi8ELi1ELi5EEviiiiiiPKT_S3_S3_PS1_ii,comdat
	.protected	_Z16wvSplitK_hf_sml_I14__hip_bfloat16Li32ELi4ELi16ELi8ELi1ELi5EEviiiiiiPKT_S3_S3_PS1_ii ; -- Begin function _Z16wvSplitK_hf_sml_I14__hip_bfloat16Li32ELi4ELi16ELi8ELi1ELi5EEviiiiiiPKT_S3_S3_PS1_ii
	.globl	_Z16wvSplitK_hf_sml_I14__hip_bfloat16Li32ELi4ELi16ELi8ELi1ELi5EEviiiiiiPKT_S3_S3_PS1_ii
	.p2align	8
	.type	_Z16wvSplitK_hf_sml_I14__hip_bfloat16Li32ELi4ELi16ELi8ELi1ELi5EEviiiiiiPKT_S3_S3_PS1_ii,@function
_Z16wvSplitK_hf_sml_I14__hip_bfloat16Li32ELi4ELi16ELi8ELi1ELi5EEviiiiiiPKT_S3_S3_PS1_ii: ; @_Z16wvSplitK_hf_sml_I14__hip_bfloat16Li32ELi4ELi16ELi8ELi1ELi5EEviiiiiiPKT_S3_S3_PS1_ii
; %bb.0:
	s_load_b128 s[4:7], s[0:1], 0x0
	v_and_b32_e32 v1, 0x3ff, v0
	v_bfe_u32 v0, v0, 10, 10
	s_mov_b32 s8, exec_lo
	s_delay_alu instid0(VALU_DEP_2) | instskip(NEXT) | instid1(VALU_DEP_1)
	v_lshlrev_b32_e32 v47, 3, v1
	v_lshl_add_u32 v3, v0, 8, v47
	s_waitcnt lgkmcnt(0)
	s_mul_i32 s2, s6, 5
	s_delay_alu instid0(SALU_CYCLE_1)
	s_min_u32 s9, s2, 0x8000
	s_delay_alu instid0(VALU_DEP_1) | instid1(SALU_CYCLE_1)
	v_cmpx_gt_u32_e64 s9, v3
	s_cbranch_execz .LBB287_9
; %bb.1:
	s_load_b64 s[2:3], s[0:1], 0x20
	v_lshlrev_b32_e32 v2, 1, v3
	v_add_nc_u32_e32 v8, 0x1000, v3
	s_mov_b32 s10, exec_lo
	s_waitcnt lgkmcnt(0)
	global_load_b128 v[4:7], v2, s[2:3]
	s_waitcnt vmcnt(0)
	ds_store_b128 v2, v[4:7]
	v_cmpx_gt_u32_e64 s9, v8
	s_xor_b32 s10, exec_lo, s10
	s_cbranch_execz .LBB287_9
; %bb.2:
	v_add_co_u32 v4, s2, s2, v2
	s_delay_alu instid0(VALU_DEP_1) | instskip(SKIP_1) | instid1(VALU_DEP_3)
	v_add_co_ci_u32_e64 v5, null, s3, 0, s2
	v_add_nc_u32_e32 v10, 0x2000, v3
	v_add_co_u32 v6, vcc_lo, 0x2000, v4
	s_delay_alu instid0(VALU_DEP_3)
	v_add_co_ci_u32_e32 v7, vcc_lo, 0, v5, vcc_lo
	s_mov_b32 s2, exec_lo
	global_load_b128 v[6:9], v[6:7], off
	s_waitcnt vmcnt(0)
	ds_store_b128 v2, v[6:9] offset:8192
	v_cmpx_gt_u32_e64 s9, v10
	s_xor_b32 s2, exec_lo, s2
	s_cbranch_execz .LBB287_9
; %bb.3:
	v_add_co_u32 v6, vcc_lo, 0x4000, v4
	v_add_co_ci_u32_e32 v7, vcc_lo, 0, v5, vcc_lo
	v_add_nc_u32_e32 v10, 0x3000, v3
	s_mov_b32 s2, exec_lo
	global_load_b128 v[6:9], v[6:7], off
	s_waitcnt vmcnt(0)
	ds_store_b128 v2, v[6:9] offset:16384
	v_cmpx_gt_u32_e64 s9, v10
	s_xor_b32 s2, exec_lo, s2
	s_cbranch_execz .LBB287_9
; %bb.4:
	v_add_co_u32 v6, vcc_lo, 0x6000, v4
	v_add_co_ci_u32_e32 v7, vcc_lo, 0, v5, vcc_lo
	v_add_nc_u32_e32 v10, 0x4000, v3
	;; [unrolled: 11-line block ×5, first 2 shown]
	s_mov_b32 s2, exec_lo
	global_load_b128 v[6:9], v[6:7], off
	s_waitcnt vmcnt(0)
	ds_store_b128 v2, v[6:9] offset:49152
	v_cmpx_gt_u32_e64 s9, v3
	s_xor_b32 s2, exec_lo, s2
	s_cbranch_execz .LBB287_9
; %bb.8:
	v_add_co_u32 v3, vcc_lo, 0xe000, v4
	v_add_co_ci_u32_e32 v4, vcc_lo, 0, v5, vcc_lo
	global_load_b128 v[3:6], v[3:4], off
	s_waitcnt vmcnt(0)
	ds_store_b128 v2, v[3:6] offset:57344
.LBB287_9:
	s_or_b32 exec_lo, exec_lo, s8
	s_load_b64 s[16:17], s[0:1], 0x38
	s_waitcnt lgkmcnt(0)
	s_barrier
	buffer_gl0_inv
	s_mov_b32 s2, exec_lo
	v_cmpx_gt_u32_e64 s16, v0
	s_cbranch_execz .LBB287_102
; %bb.10:
	s_load_b64 s[2:3], s[0:1], 0x10
	s_mul_i32 s15, s15, s16
	s_delay_alu instid0(SALU_CYCLE_1) | instskip(NEXT) | instid1(VALU_DEP_1)
	v_add_lshl_u32 v32, s15, v0, 2
	v_cmp_gt_u32_e32 vcc_lo, s7, v32
	s_and_b32 exec_lo, exec_lo, vcc_lo
	s_cbranch_execz .LBB287_102
; %bb.11:
	s_clause 0x1
	s_load_b128 s[8:11], s[0:1], 0x28
	s_load_b64 s[12:13], s[0:1], 0x18
	s_cmp_lg_u32 s4, 0
	s_mul_i32 s0, s16, s17
	s_cselect_b32 s1, -1, 0
	s_add_i32 s14, s4, -8
	s_add_i32 s15, s7, -1
	s_waitcnt lgkmcnt(0)
	v_cvt_f32_u32_e32 v2, s2
	v_lshlrev_b32_e32 v48, 4, v1
	v_mov_b32_e32 v34, 0
	s_cmp_lg_u64 s[8:9], 0
	s_cselect_b32 s18, -1, 0
	s_abs_i32 s21, s3
	s_lshl_b32 s16, s0, 2
	v_cvt_f32_u32_e32 v0, s21
	s_sub_i32 s19, 0, s21
	s_sub_i32 s20, 0, s2
	s_mov_b32 s3, 0
	s_delay_alu instid0(VALU_DEP_1) | instskip(SKIP_2) | instid1(VALU_DEP_1)
	v_rcp_iflag_f32_e32 v0, v0
	s_waitcnt_depctr 0xfff
	v_mul_f32_e32 v0, 0x4f7ffffe, v0
	v_cvt_u32_f32_e32 v0, v0
	s_delay_alu instid0(VALU_DEP_1) | instskip(SKIP_2) | instid1(VALU_DEP_2)
	v_readfirstlane_b32 s17, v0
	v_rcp_iflag_f32_e32 v0, v2
	v_mbcnt_lo_u32_b32 v2, -1, 0
	s_mul_i32 s19, s19, s17
	s_delay_alu instid0(SALU_CYCLE_1)
	s_mul_hi_u32 s0, s17, s19
	s_sub_i32 s19, 1, s21
	s_add_i32 s22, s17, s0
	s_cmp_lt_u32 s21, 2
	s_waitcnt_depctr 0xfff
	v_mul_f32_e32 v0, 0x4f7ffffe, v0
	s_cselect_b32 s17, s19, 1
	v_cmp_eq_u32_e64 s0, 31, v1
	s_sub_i32 s19, s17, s21
	s_cmp_ge_u32 s17, s21
	v_cvt_u32_f32_e32 v0, v0
	s_cselect_b32 s19, s19, s17
	s_lshr_b32 s17, s22, 31
	v_xor_b32_e32 v3, 16, v2
	s_mul_i32 s17, s17, s21
	v_mul_lo_u32 v1, s20, v0
	s_sub_i32 s17, 2, s17
	s_mul_hi_u32 s20, s22, 3
	s_sub_i32 s23, s17, s21
	s_cmp_ge_u32 s17, s21
	s_mul_i32 s20, s20, s21
	s_cselect_b32 s17, s23, s17
	v_cmp_gt_i32_e32 vcc_lo, 32, v3
	s_sub_i32 s23, s17, s21
	s_cmp_ge_u32 s17, s21
	v_mul_hi_u32 v1, v0, v1
	s_cselect_b32 s23, s23, s17
	s_sub_i32 s20, 3, s20
	v_cndmask_b32_e32 v2, v2, v3, vcc_lo
	s_sub_i32 s24, s20, s21
	s_cmp_ge_u32 s20, s21
	s_mul_i32 s17, s6, 6
	s_cselect_b32 s20, s24, s20
	v_lshlrev_b32_e32 v49, 2, v2
	s_sub_i32 s24, s20, s21
	s_cmp_ge_u32 s20, s21
	v_add_nc_u32_e32 v50, v0, v1
	s_cselect_b32 s24, s24, s20
	s_lshr_b32 s20, s22, 30
	s_mul_i32 s19, s19, s2
	s_mul_i32 s20, s20, s21
	s_delay_alu instid0(SALU_CYCLE_1) | instskip(NEXT) | instid1(SALU_CYCLE_1)
	s_sub_i32 s20, 4, s20
	s_sub_i32 s22, s20, s21
	s_cmp_ge_u32 s20, s21
	s_cselect_b32 s22, s22, s20
	s_mul_i32 s20, s23, s2
	s_sub_i32 s23, s22, s21
	s_cmp_ge_u32 s22, s21
	s_mul_i32 s21, s24, s2
	s_cselect_b32 s24, s23, s22
	s_lshl_b32 s22, s6, 3
	s_lshl_b32 s23, s6, 2
	s_mul_i32 s24, s24, s2
	s_lshl_b32 s6, s6, 1
	s_branch .LBB287_14
.LBB287_12:                             ;   in Loop: Header=BB287_14 Depth=1
	s_or_b32 exec_lo, exec_lo, s26
	global_store_d16_hi_b16 v[0:1], v3, off offset:6
.LBB287_13:                             ;   in Loop: Header=BB287_14 Depth=1
	s_or_b32 exec_lo, exec_lo, s25
	v_add_nc_u32_e32 v32, s16, v32
	s_delay_alu instid0(VALU_DEP_1) | instskip(SKIP_1) | instid1(SALU_CYCLE_1)
	v_cmp_le_u32_e32 vcc_lo, s7, v32
	s_or_b32 s3, vcc_lo, s3
	s_and_not1_b32 exec_lo, exec_lo, s3
	s_cbranch_execz .LBB287_102
.LBB287_14:                             ; =>This Loop Header: Depth=1
                                        ;     Child Loop BB287_17 Depth 2
	v_mov_b32_e32 v51, v34
	v_mov_b32_e32 v52, v34
	;; [unrolled: 1-line block ×19, first 2 shown]
	s_waitcnt lgkmcnt(18)
	v_mov_b32_e32 v66, v34
	s_and_not1_b32 vcc_lo, exec_lo, s1
	s_cbranch_vccnz .LBB287_19
; %bb.15:                               ;   in Loop: Header=BB287_14 Depth=1
	v_or_b32_e32 v0, 1, v32
	s_waitcnt lgkmcnt(17)
	v_or_b32_e32 v1, 2, v32
	v_or_b32_e32 v2, 3, v32
	s_waitcnt lgkmcnt(2)
	v_min_u32_e32 v3, s15, v32
	s_waitcnt lgkmcnt(0)
	v_dual_mov_b32 v5, v34 :: v_dual_mov_b32 v68, 0
	v_min_u32_e32 v0, s15, v0
	v_min_u32_e32 v1, s15, v1
	;; [unrolled: 1-line block ×3, first 2 shown]
	v_mul_lo_u32 v33, v3, s5
	v_dual_mov_b32 v3, v34 :: v_dual_mov_b32 v70, 0
	v_mul_lo_u32 v0, v0, s5
	v_mul_lo_u32 v2, v1, s5
	;; [unrolled: 1-line block ×3, first 2 shown]
	v_dual_mov_b32 v1, v34 :: v_dual_mov_b32 v66, 0
	v_lshlrev_b64 v[35:36], 1, v[33:34]
	v_dual_mov_b32 v71, v48 :: v_dual_mov_b32 v64, 0
	s_delay_alu instid0(VALU_DEP_3)
	v_lshlrev_b64 v[37:38], 1, v[0:1]
	v_lshlrev_b64 v[39:40], 1, v[2:3]
	;; [unrolled: 1-line block ×3, first 2 shown]
	v_dual_mov_b32 v67, 0 :: v_dual_mov_b32 v62, 0
	v_dual_mov_b32 v69, 0 :: v_dual_mov_b32 v60, 0
	;; [unrolled: 1-line block ×6, first 2 shown]
	v_mov_b32_e32 v57, 0
	v_mov_b32_e32 v55, 0
	;; [unrolled: 1-line block ×4, first 2 shown]
	s_mov_b32 s25, 0
	s_branch .LBB287_17
.LBB287_16:                             ;   in Loop: Header=BB287_17 Depth=2
	s_or_b32 exec_lo, exec_lo, s26
	s_waitcnt lgkmcnt(1)
	v_and_b32_e32 v79, 0xffff0000, v31
	s_waitcnt vmcnt(3)
	v_and_b32_e32 v80, 0xffff0000, v27
	v_and_b32_e32 v73, 0xffff0000, v29
	v_and_b32_e32 v77, 0xffff0000, v30
	v_and_b32_e32 v78, 0xffff0000, v26
	s_delay_alu instid0(VALU_DEP_4)
	v_dual_mul_f32 v81, v79, v80 :: v_dual_lshlrev_b32 v30, 16, v30
	v_and_b32_e32 v72, 0xffff0000, v24
	v_and_b32_e32 v74, 0xffff0000, v25
	;; [unrolled: 1-line block ×3, first 2 shown]
	v_lshlrev_b32_e32 v26, 16, v26
	v_lshlrev_b32_e32 v28, 16, v28
	s_delay_alu instid0(VALU_DEP_4) | instskip(NEXT) | instid1(VALU_DEP_4)
	v_dual_mul_f32 v76, v73, v74 :: v_dual_lshlrev_b32 v31, 16, v31
	v_mul_f32_e32 v75, v33, v72
	v_lshlrev_b32_e32 v27, 16, v27
	v_lshlrev_b32_e32 v24, 16, v24
	;; [unrolled: 1-line block ×3, first 2 shown]
	v_add_nc_u32_e32 v71, 0x200, v71
	s_addk_i32 s25, 0x100
	v_fmac_f32_e32 v81, v31, v27
	v_fmac_f32_e32 v75, v28, v24
	s_cmp_ge_u32 s25, s4
	s_waitcnt vmcnt(0)
	v_and_b32_e32 v90, 0xffff0000, v9
	s_delay_alu instid0(VALU_DEP_2) | instskip(SKIP_2) | instid1(VALU_DEP_1)
	v_dual_add_f32 v66, v66, v75 :: v_dual_lshlrev_b32 v9, 16, v9
	v_lshlrev_b32_e32 v29, 16, v29
	v_mul_f32_e32 v75, v77, v78
	v_dual_fmac_f32 v76, v29, v25 :: v_dual_fmac_f32 v75, v30, v26
	s_delay_alu instid0(VALU_DEP_1) | instskip(SKIP_1) | instid1(VALU_DEP_2)
	v_add_f32_e32 v66, v66, v76
	v_and_b32_e32 v76, 0xffff0000, v20
	v_add_f32_e32 v66, v66, v75
	s_delay_alu instid0(VALU_DEP_2) | instskip(NEXT) | instid1(VALU_DEP_2)
	v_mul_f32_e32 v82, v33, v76
	v_add_f32_e32 v66, v66, v81
	v_and_b32_e32 v88, 0xffff0000, v18
	v_and_b32_e32 v86, 0xffff0000, v23
	v_lshlrev_b32_e32 v20, 16, v20
	v_and_b32_e32 v81, 0xffff0000, v22
	s_delay_alu instid0(VALU_DEP_2) | instskip(NEXT) | instid1(VALU_DEP_2)
	v_dual_fmac_f32 v82, v28, v20 :: v_dual_lshlrev_b32 v23, 16, v23
	v_mul_f32_e32 v84, v77, v81
	s_delay_alu instid0(VALU_DEP_2) | instskip(SKIP_2) | instid1(VALU_DEP_2)
	v_add_f32_e32 v70, v70, v82
	v_and_b32_e32 v82, 0xffff0000, v16
	v_and_b32_e32 v75, 0xffff0000, v21
	v_dual_mul_f32 v85, v33, v82 :: v_dual_lshlrev_b32 v16, 16, v16
	s_delay_alu instid0(VALU_DEP_2) | instskip(NEXT) | instid1(VALU_DEP_2)
	v_dual_mul_f32 v83, v73, v75 :: v_dual_lshlrev_b32 v22, 16, v22
	v_fmac_f32_e32 v85, v28, v16
	s_delay_alu instid0(VALU_DEP_2) | instskip(NEXT) | instid1(VALU_DEP_2)
	v_dual_fmac_f32 v84, v30, v22 :: v_dual_lshlrev_b32 v21, 16, v21
	v_add_f32_e32 v67, v67, v85
	s_delay_alu instid0(VALU_DEP_2) | instskip(SKIP_1) | instid1(VALU_DEP_2)
	v_fmac_f32_e32 v83, v29, v21
	v_mul_f32_e32 v85, v77, v88
	v_dual_mul_f32 v89, v79, v86 :: v_dual_add_f32 v70, v70, v83
	v_and_b32_e32 v83, 0xffff0000, v17
	s_delay_alu instid0(VALU_DEP_2) | instskip(SKIP_2) | instid1(VALU_DEP_2)
	v_dual_fmac_f32 v89, v31, v23 :: v_dual_add_f32 v70, v70, v84
	v_and_b32_e32 v84, 0xffff0000, v8
	v_lshlrev_b32_e32 v8, 16, v8
	v_dual_add_f32 v70, v70, v89 :: v_dual_mul_f32 v33, v33, v84
	s_delay_alu instid0(VALU_DEP_1) | instskip(SKIP_3) | instid1(VALU_DEP_4)
	v_dual_fmac_f32 v33, v28, v8 :: v_dual_mul_f32 v28, v73, v90
	v_mul_f32_e32 v87, v73, v83
	v_and_b32_e32 v73, 0xffff0000, v10
	v_lshlrev_b32_e32 v10, 16, v10
	v_fmac_f32_e32 v28, v29, v9
	v_add_f32_e32 v33, v69, v33
	v_lshlrev_b32_e32 v17, 16, v17
	v_mul_f32_e32 v69, v77, v73
	s_delay_alu instid0(VALU_DEP_3) | instskip(NEXT) | instid1(VALU_DEP_3)
	v_add_f32_e32 v28, v33, v28
	v_dual_fmac_f32 v87, v29, v17 :: v_dual_lshlrev_b32 v18, 16, v18
	v_and_b32_e32 v33, 0xffff0000, v11
	s_delay_alu instid0(VALU_DEP_4) | instskip(SKIP_1) | instid1(VALU_DEP_4)
	v_fmac_f32_e32 v69, v30, v10
	v_and_b32_e32 v89, 0xffff0000, v14
	v_add_f32_e32 v67, v67, v87
	v_fmac_f32_e32 v85, v30, v18
	v_and_b32_e32 v87, 0xffff0000, v19
	v_dual_add_f32 v28, v28, v69 :: v_dual_lshlrev_b32 v19, 16, v19
	s_delay_alu instid0(VALU_DEP_3) | instskip(NEXT) | instid1(VALU_DEP_3)
	v_dual_add_f32 v67, v67, v85 :: v_dual_lshlrev_b32 v14, 16, v14
	v_mul_f32_e32 v91, v79, v87
	v_and_b32_e32 v29, 0xffff0000, v12
	v_lshlrev_b32_e32 v12, 16, v12
	v_and_b32_e32 v30, 0xffff0000, v13
	v_lshlrev_b32_e32 v11, 16, v11
	v_fmac_f32_e32 v91, v31, v19
	v_mul_f32_e32 v77, v29, v72
	v_mul_f32_e32 v79, v79, v33
	v_lshlrev_b32_e32 v13, 16, v13
	v_mul_f32_e32 v85, v30, v74
	v_add_f32_e32 v67, v67, v91
	v_fmac_f32_e32 v77, v12, v24
	v_fmac_f32_e32 v79, v31, v11
	v_mul_f32_e32 v91, v30, v75
	v_fmac_f32_e32 v85, v13, v25
	s_delay_alu instid0(VALU_DEP_4) | instskip(NEXT) | instid1(VALU_DEP_4)
	v_dual_add_f32 v31, v68, v77 :: v_dual_mul_f32 v68, v89, v78
	v_add_f32_e32 v69, v28, v79
	v_and_b32_e32 v28, 0xffff0000, v15
	v_lshlrev_b32_e32 v15, 16, v15
	s_delay_alu instid0(VALU_DEP_4) | instskip(SKIP_1) | instid1(VALU_DEP_4)
	v_dual_add_f32 v31, v31, v85 :: v_dual_fmac_f32 v68, v14, v26
	v_mul_f32_e32 v77, v29, v76
	v_mul_f32_e32 v79, v28, v80
	;; [unrolled: 1-line block ×4, first 2 shown]
	v_add_f32_e32 v31, v31, v68
	v_fmac_f32_e32 v77, v12, v20
	v_fmac_f32_e32 v79, v15, v27
	;; [unrolled: 1-line block ×4, first 2 shown]
	s_delay_alu instid0(VALU_DEP_4) | instskip(SKIP_3) | instid1(VALU_DEP_3)
	v_add_f32_e32 v61, v61, v77
	v_mul_f32_e32 v77, v30, v83
	v_add_f32_e32 v68, v31, v79
	v_dual_add_f32 v64, v64, v85 :: v_dual_mul_f32 v79, v89, v88
	v_dual_mul_f32 v30, v30, v90 :: v_dual_fmac_f32 v77, v13, v17
	v_add_f32_e32 v29, v62, v29
	v_mul_f32_e32 v31, v89, v81
	s_delay_alu instid0(VALU_DEP_4) | instskip(SKIP_3) | instid1(VALU_DEP_2)
	v_fmac_f32_e32 v79, v14, v18
	v_mul_f32_e32 v85, v28, v86
	v_add_f32_e32 v64, v64, v77
	v_mul_f32_e32 v77, v28, v87
	v_dual_fmac_f32 v31, v14, v22 :: v_dual_add_f32 v12, v64, v79
	s_delay_alu instid0(VALU_DEP_2) | instskip(NEXT) | instid1(VALU_DEP_1)
	v_fmac_f32_e32 v77, v15, v19
	v_add_f32_e32 v64, v12, v77
	v_mul_f32_e32 v12, v89, v73
	s_delay_alu instid0(VALU_DEP_1) | instskip(SKIP_3) | instid1(VALU_DEP_3)
	v_fmac_f32_e32 v12, v14, v10
	v_fmac_f32_e32 v30, v13, v9
	v_mul_f32_e32 v14, v28, v33
	v_lshlrev_b32_e32 v28, 16, v46
	v_add_f32_e32 v29, v29, v30
	v_and_b32_e32 v30, 0xffff0000, v46
	s_delay_alu instid0(VALU_DEP_2) | instskip(NEXT) | instid1(VALU_DEP_2)
	v_add_f32_e32 v12, v29, v12
	v_mul_f32_e32 v46, v30, v74
	v_mul_f32_e32 v77, v30, v75
	v_and_b32_e32 v29, 0xffff0000, v43
	s_delay_alu instid0(VALU_DEP_3) | instskip(SKIP_3) | instid1(VALU_DEP_3)
	v_dual_fmac_f32 v46, v28, v25 :: v_dual_lshlrev_b32 v43, 16, v43
	v_fmac_f32_e32 v14, v15, v11
	v_fmac_f32_e32 v85, v15, v23
	;; [unrolled: 1-line block ×3, first 2 shown]
	v_add_f32_e32 v62, v12, v14
	v_dual_fmac_f32 v91, v13, v21 :: v_dual_and_b32 v12, 0xffff0000, v44
	v_lshlrev_b32_e32 v44, 16, v44
	v_lshlrev_b32_e32 v13, 16, v45
	s_delay_alu instid0(VALU_DEP_3) | instskip(NEXT) | instid1(VALU_DEP_1)
	v_add_f32_e32 v61, v61, v91
	v_add_f32_e32 v31, v61, v31
	s_delay_alu instid0(VALU_DEP_1) | instskip(SKIP_1) | instid1(VALU_DEP_1)
	v_add_f32_e32 v61, v31, v85
	v_and_b32_e32 v31, 0xffff0000, v45
	v_mul_f32_e32 v14, v31, v76
	s_delay_alu instid0(VALU_DEP_1) | instskip(NEXT) | instid1(VALU_DEP_1)
	v_fmac_f32_e32 v14, v13, v20
	v_add_f32_e32 v14, v65, v14
	v_mul_f32_e32 v65, v29, v81
	s_delay_alu instid0(VALU_DEP_2)
	v_add_f32_e32 v14, v14, v77
	v_and_b32_e32 v77, 0xffff0000, v5
	v_lshlrev_b32_e32 v5, 16, v5
	v_mul_f32_e32 v45, v31, v72
	v_fmac_f32_e32 v65, v43, v22
	v_mul_f32_e32 v79, v30, v83
	s_delay_alu instid0(VALU_DEP_2) | instskip(NEXT) | instid1(VALU_DEP_2)
	v_dual_fmac_f32 v45, v13, v24 :: v_dual_add_f32 v14, v14, v65
	v_fmac_f32_e32 v79, v28, v17
	s_delay_alu instid0(VALU_DEP_2) | instskip(SKIP_1) | instid1(VALU_DEP_2)
	v_add_f32_e32 v15, v63, v45
	v_mul_f32_e32 v45, v29, v78
	v_add_f32_e32 v15, v15, v46
	s_delay_alu instid0(VALU_DEP_2) | instskip(NEXT) | instid1(VALU_DEP_1)
	v_dual_fmac_f32 v45, v43, v26 :: v_dual_mul_f32 v46, v12, v80
	v_dual_add_f32 v15, v15, v45 :: v_dual_fmac_f32 v46, v44, v27
	v_mul_f32_e32 v45, v31, v82
	v_mul_f32_e32 v31, v31, v84
	s_delay_alu instid0(VALU_DEP_3) | instskip(NEXT) | instid1(VALU_DEP_3)
	v_add_f32_e32 v63, v15, v46
	v_dual_mul_f32 v46, v12, v86 :: v_dual_fmac_f32 v45, v13, v16
	s_delay_alu instid0(VALU_DEP_1) | instskip(SKIP_2) | instid1(VALU_DEP_3)
	v_dual_fmac_f32 v46, v44, v23 :: v_dual_add_f32 v15, v59, v45
	v_mul_f32_e32 v45, v29, v88
	v_mul_f32_e32 v29, v29, v73
	v_dual_add_f32 v65, v14, v46 :: v_dual_and_b32 v14, 0xffff0000, v7
	v_lshlrev_b32_e32 v7, 16, v7
	v_fmac_f32_e32 v31, v13, v8
	v_dual_mul_f32 v13, v30, v90 :: v_dual_and_b32 v30, 0xffff0000, v4
	v_add_f32_e32 v15, v15, v79
	v_fmac_f32_e32 v45, v43, v18
	s_delay_alu instid0(VALU_DEP_4) | instskip(NEXT) | instid1(VALU_DEP_4)
	v_add_f32_e32 v31, v57, v31
	v_dual_fmac_f32 v13, v28, v9 :: v_dual_lshlrev_b32 v4, 16, v4
	s_delay_alu instid0(VALU_DEP_3) | instskip(SKIP_1) | instid1(VALU_DEP_3)
	v_dual_mul_f32 v28, v30, v72 :: v_dual_add_f32 v15, v15, v45
	v_mul_f32_e32 v45, v12, v87
	v_add_f32_e32 v13, v31, v13
	s_delay_alu instid0(VALU_DEP_3) | instskip(SKIP_2) | instid1(VALU_DEP_3)
	v_dual_mul_f32 v31, v77, v74 :: v_dual_fmac_f32 v28, v4, v24
	v_fmac_f32_e32 v29, v43, v10
	v_dual_mul_f32 v12, v12, v33 :: v_dual_and_b32 v43, 0xffff0000, v6
	v_dual_fmac_f32 v31, v5, v25 :: v_dual_add_f32 v28, v60, v28
	v_lshlrev_b32_e32 v6, 16, v6
	s_delay_alu instid0(VALU_DEP_3) | instskip(NEXT) | instid1(VALU_DEP_4)
	v_dual_mul_f32 v60, v43, v78 :: v_dual_add_f32 v13, v13, v29
	v_fmac_f32_e32 v12, v44, v11
	s_delay_alu instid0(VALU_DEP_4) | instskip(NEXT) | instid1(VALU_DEP_3)
	v_add_f32_e32 v28, v28, v31
	v_dual_fmac_f32 v45, v44, v19 :: v_dual_fmac_f32 v60, v6, v26
	s_delay_alu instid0(VALU_DEP_3) | instskip(NEXT) | instid1(VALU_DEP_2)
	v_dual_mul_f32 v44, v43, v81 :: v_dual_add_f32 v57, v13, v12
	v_dual_mul_f32 v12, v30, v76 :: v_dual_add_f32 v59, v15, v45
	s_delay_alu instid0(VALU_DEP_3) | instskip(NEXT) | instid1(VALU_DEP_2)
	v_dual_add_f32 v13, v28, v60 :: v_dual_mul_f32 v28, v77, v75
	v_dual_mul_f32 v15, v30, v82 :: v_dual_fmac_f32 v12, v4, v20
	s_delay_alu instid0(VALU_DEP_4) | instskip(NEXT) | instid1(VALU_DEP_2)
	v_dual_mul_f32 v31, v77, v83 :: v_dual_fmac_f32 v44, v6, v22
	v_dual_fmac_f32 v28, v5, v21 :: v_dual_fmac_f32 v15, v4, v16
	s_delay_alu instid0(VALU_DEP_3) | instskip(SKIP_1) | instid1(VALU_DEP_4)
	v_add_f32_e32 v12, v56, v12
	v_mul_f32_e32 v29, v14, v80
	v_fmac_f32_e32 v31, v5, v17
	v_mul_f32_e32 v45, v43, v88
	s_delay_alu instid0(VALU_DEP_4) | instskip(NEXT) | instid1(VALU_DEP_4)
	v_dual_add_f32 v15, v58, v15 :: v_dual_add_f32 v12, v12, v28
	v_dual_mul_f32 v28, v14, v86 :: v_dual_fmac_f32 v29, v7, v27
	s_delay_alu instid0(VALU_DEP_3) | instskip(NEXT) | instid1(VALU_DEP_3)
	v_fmac_f32_e32 v45, v6, v18
	v_dual_add_f32 v15, v15, v31 :: v_dual_add_f32 v12, v12, v44
	s_delay_alu instid0(VALU_DEP_3) | instskip(SKIP_1) | instid1(VALU_DEP_3)
	v_fmac_f32_e32 v28, v7, v23
	v_mul_f32_e32 v31, v14, v87
	v_dual_mul_f32 v30, v30, v84 :: v_dual_add_f32 v15, v15, v45
	v_add_f32_e32 v60, v13, v29
	s_delay_alu instid0(VALU_DEP_4)
	v_add_f32_e32 v56, v12, v28
	s_waitcnt lgkmcnt(0)
	v_dual_fmac_f32 v31, v7, v19 :: v_dual_and_b32 v12, 0xffff0000, v0
	v_fmac_f32_e32 v30, v4, v8
	v_mul_f32_e32 v4, v77, v90
	v_lshlrev_b32_e32 v0, 16, v0
	s_delay_alu instid0(VALU_DEP_4) | instskip(SKIP_1) | instid1(VALU_DEP_4)
	v_dual_mul_f32 v13, v12, v72 :: v_dual_and_b32 v28, 0xffff0000, v1
	v_add_f32_e32 v58, v15, v31
	v_dual_add_f32 v15, v55, v30 :: v_dual_fmac_f32 v4, v5, v9
	v_mul_f32_e32 v5, v43, v73
	s_delay_alu instid0(VALU_DEP_4) | instskip(SKIP_1) | instid1(VALU_DEP_3)
	v_fmac_f32_e32 v13, v0, v24
	v_dual_mul_f32 v24, v28, v74 :: v_dual_lshlrev_b32 v1, 16, v1
	v_dual_add_f32 v4, v15, v4 :: v_dual_fmac_f32 v5, v6, v10
	v_mul_f32_e32 v6, v14, v33
	s_delay_alu instid0(VALU_DEP_4) | instskip(NEXT) | instid1(VALU_DEP_4)
	v_add_f32_e32 v13, v54, v13
	v_fmac_f32_e32 v24, v1, v25
	v_mul_f32_e32 v14, v12, v76
	v_add_f32_e32 v4, v4, v5
	v_dual_fmac_f32 v6, v7, v11 :: v_dual_and_b32 v5, 0xffff0000, v2
	s_delay_alu instid0(VALU_DEP_4) | instskip(NEXT) | instid1(VALU_DEP_4)
	v_add_f32_e32 v7, v13, v24
	v_fmac_f32_e32 v14, v0, v20
	v_dual_mul_f32 v13, v28, v75 :: v_dual_lshlrev_b32 v2, 16, v2
	s_delay_alu instid0(VALU_DEP_4) | instskip(NEXT) | instid1(VALU_DEP_3)
	v_dual_mul_f32 v15, v5, v78 :: v_dual_and_b32 v20, 0xffff0000, v3
	v_add_f32_e32 v14, v53, v14
	s_delay_alu instid0(VALU_DEP_3) | instskip(SKIP_1) | instid1(VALU_DEP_4)
	v_fmac_f32_e32 v13, v1, v21
	v_mul_f32_e32 v21, v5, v81
	v_fmac_f32_e32 v15, v2, v26
	v_dual_mul_f32 v24, v20, v80 :: v_dual_lshlrev_b32 v3, 16, v3
	s_delay_alu instid0(VALU_DEP_4) | instskip(NEXT) | instid1(VALU_DEP_3)
	v_dual_add_f32 v13, v14, v13 :: v_dual_mul_f32 v14, v12, v82
	v_dual_mul_f32 v12, v12, v84 :: v_dual_add_f32 v7, v7, v15
	v_mul_f32_e32 v15, v28, v83
	s_delay_alu instid0(VALU_DEP_3) | instskip(NEXT) | instid1(VALU_DEP_3)
	v_dual_fmac_f32 v21, v2, v22 :: v_dual_fmac_f32 v14, v0, v16
	v_fmac_f32_e32 v12, v0, v8
	s_delay_alu instid0(VALU_DEP_3) | instskip(SKIP_1) | instid1(VALU_DEP_4)
	v_dual_mul_f32 v0, v28, v90 :: v_dual_fmac_f32 v15, v1, v17
	v_mul_f32_e32 v16, v20, v86
	v_add_f32_e32 v8, v52, v14
	v_mul_f32_e32 v14, v5, v88
	v_add_f32_e32 v12, v51, v12
	v_fmac_f32_e32 v0, v1, v9
	v_mul_f32_e32 v1, v5, v73
	s_delay_alu instid0(VALU_DEP_4) | instskip(SKIP_1) | instid1(VALU_DEP_3)
	v_dual_add_f32 v5, v8, v15 :: v_dual_fmac_f32 v14, v2, v18
	v_mul_f32_e32 v8, v20, v87
	v_dual_add_f32 v0, v12, v0 :: v_dual_fmac_f32 v1, v2, v10
	v_mul_f32_e32 v2, v20, v33
	v_dual_fmac_f32 v24, v3, v27 :: v_dual_add_f32 v13, v13, v21
	v_dual_fmac_f32 v16, v3, v23 :: v_dual_add_f32 v5, v5, v14
	v_fmac_f32_e32 v8, v3, v19
	v_add_f32_e32 v0, v0, v1
	v_dual_fmac_f32 v2, v3, v11 :: v_dual_add_f32 v55, v4, v6
	v_add_f32_e32 v54, v7, v24
	s_delay_alu instid0(VALU_DEP_4) | instskip(SKIP_1) | instid1(VALU_DEP_4)
	v_add_f32_e32 v52, v5, v8
	v_add_f32_e32 v53, v13, v16
	;; [unrolled: 1-line block ×3, first 2 shown]
	s_cbranch_scc1 .LBB287_19
.LBB287_17:                             ;   Parent Loop BB287_14 Depth=1
                                        ; =>  This Inner Loop Header: Depth=2
	v_add_nc_u32_e32 v12, s25, v47
	v_dual_mov_b32 v44, 0 :: v_dual_mov_b32 v45, 0
	v_dual_mov_b32 v46, 0 :: v_dual_mov_b32 v15, 0
	s_delay_alu instid0(VALU_DEP_3) | instskip(SKIP_2) | instid1(VALU_DEP_3)
	v_min_u32_e32 v33, s14, v12
	v_dual_mov_b32 v14, 0 :: v_dual_mov_b32 v13, 0
	v_dual_mov_b32 v30, 0 :: v_dual_mov_b32 v29, 0
	v_lshlrev_b64 v[0:1], 1, v[33:34]
	v_dual_mov_b32 v28, 0 :: v_dual_mov_b32 v43, 0
	v_mov_b32_e32 v31, 0
	s_delay_alu instid0(VALU_DEP_3) | instskip(NEXT) | instid1(VALU_DEP_4)
	v_add_co_u32 v6, vcc_lo, s12, v0
	v_add_co_ci_u32_e32 v7, vcc_lo, s13, v1, vcc_lo
	s_delay_alu instid0(VALU_DEP_2) | instskip(NEXT) | instid1(VALU_DEP_2)
	v_add_co_u32 v0, vcc_lo, v6, v35
	v_add_co_ci_u32_e32 v1, vcc_lo, v7, v36, vcc_lo
	v_add_co_u32 v2, vcc_lo, v6, v37
	v_add_co_ci_u32_e32 v3, vcc_lo, v7, v38, vcc_lo
	;; [unrolled: 2-line block ×4, first 2 shown]
	s_clause 0x3
	global_load_b128 v[24:27], v[0:1], off slc dlc
	global_load_b128 v[20:23], v[2:3], off slc dlc
	;; [unrolled: 1-line block ×4, first 2 shown]
	v_mov_b32_e32 v3, 0
	v_cmp_gt_u32_e32 vcc_lo, s4, v12
	v_dual_mov_b32 v2, 0 :: v_dual_mov_b32 v1, 0
	v_dual_mov_b32 v0, 0 :: v_dual_mov_b32 v7, 0
	;; [unrolled: 1-line block ×3, first 2 shown]
	v_mov_b32_e32 v4, 0
	v_mov_b32_e32 v12, 0
	s_and_saveexec_b32 s26, vcc_lo
	s_cbranch_execz .LBB287_16
; %bb.18:                               ;   in Loop: Header=BB287_17 Depth=2
	v_add_nc_u32_e32 v0, s6, v71
	v_add_nc_u32_e32 v1, s23, v71
	;; [unrolled: 1-line block ×4, first 2 shown]
	ds_load_b128 v[12:15], v0
	ds_load_2addr_b32 v[45:46], v1 offset1:1
	ds_load_2addr_b32 v[43:44], v1 offset0:2 offset1:3
	ds_load_b128 v[4:7], v2
	ds_load_b128 v[28:31], v71
	ds_load_2addr_b64 v[0:3], v3 offset1:1
	s_branch .LBB287_16
.LBB287_19:                             ;   in Loop: Header=BB287_14 Depth=1
	; sched_barrier mask(0x00000000)
	s_delay_alu instid0(VALU_DEP_1)
	v_cvt_i32_f32_e32 v0, v66
	s_waitcnt lgkmcnt(2)
	v_cvt_i32_f32_e32 v3, v69
	v_cvt_i32_f32_e32 v1, v70
	;; [unrolled: 1-line block ×4, first 2 shown]
	v_cvt_f32_i32_dpp v0, v0 row_shr:8 row_mask:0xf bank_mask:0xf bound_ctrl:1
	v_cvt_f32_i32_dpp v3, v3 row_shr:8 row_mask:0xf bank_mask:0xf bound_ctrl:1
	;; [unrolled: 1-line block ×5, first 2 shown]
	s_delay_alu instid0(VALU_DEP_4) | instskip(NEXT) | instid1(VALU_DEP_3)
	v_dual_add_f32 v0, v66, v0 :: v_dual_add_f32 v3, v69, v3
	v_dual_add_f32 v1, v70, v1 :: v_dual_add_f32 v2, v67, v2
	s_waitcnt lgkmcnt(0)
	s_delay_alu instid0(VALU_DEP_2) | instskip(NEXT) | instid1(VALU_DEP_3)
	v_cvt_i32_f32_e32 v5, v0
	v_cvt_i32_f32_e32 v8, v3
	s_delay_alu instid0(VALU_DEP_3) | instskip(SKIP_1) | instid1(VALU_DEP_4)
	v_cvt_i32_f32_e32 v6, v1
	v_cvt_i32_f32_e32 v7, v2
	v_cvt_f32_i32_dpp v5, v5 row_shr:4 row_mask:0xf bank_mask:0xf bound_ctrl:1
	s_delay_alu instid0(VALU_DEP_4) | instskip(NEXT) | instid1(VALU_DEP_4)
	v_cvt_f32_i32_dpp v8, v8 row_shr:4 row_mask:0xf bank_mask:0xf bound_ctrl:1
	v_cvt_f32_i32_dpp v6, v6 row_shr:4 row_mask:0xf bank_mask:0xf bound_ctrl:1
	v_add_f32_e32 v4, v68, v4
	v_cvt_f32_i32_dpp v7, v7 row_shr:4 row_mask:0xf bank_mask:0xf bound_ctrl:1
	s_delay_alu instid0(VALU_DEP_4) | instskip(NEXT) | instid1(VALU_DEP_4)
	v_dual_add_f32 v0, v0, v5 :: v_dual_add_f32 v3, v3, v8
	v_add_f32_e32 v1, v1, v6
	s_delay_alu instid0(VALU_DEP_4) | instskip(NEXT) | instid1(VALU_DEP_3)
	v_cvt_i32_f32_e32 v9, v4
	v_cvt_i32_f32_e32 v5, v0
	s_delay_alu instid0(VALU_DEP_4) | instskip(NEXT) | instid1(VALU_DEP_4)
	v_cvt_i32_f32_e32 v8, v3
	v_cvt_i32_f32_e32 v6, v1
	s_delay_alu instid0(VALU_DEP_4) | instskip(NEXT) | instid1(VALU_DEP_4)
	v_cvt_f32_i32_dpp v9, v9 row_shr:4 row_mask:0xf bank_mask:0xf bound_ctrl:1
	v_cvt_f32_i32_dpp v5, v5 row_shr:2 row_mask:0xf bank_mask:0xf bound_ctrl:1
	s_delay_alu instid0(VALU_DEP_4) | instskip(NEXT) | instid1(VALU_DEP_4)
	v_cvt_f32_i32_dpp v8, v8 row_shr:2 row_mask:0xf bank_mask:0xf bound_ctrl:1
	v_cvt_f32_i32_dpp v6, v6 row_shr:2 row_mask:0xf bank_mask:0xf bound_ctrl:1
	s_delay_alu instid0(VALU_DEP_4) | instskip(NEXT) | instid1(VALU_DEP_3)
	v_add_f32_e32 v4, v4, v9
	v_dual_add_f32 v2, v2, v7 :: v_dual_add_f32 v3, v3, v8
	s_delay_alu instid0(VALU_DEP_3) | instskip(NEXT) | instid1(VALU_DEP_3)
	v_add_f32_e32 v1, v1, v6
	v_cvt_i32_f32_e32 v9, v4
	s_delay_alu instid0(VALU_DEP_3) | instskip(NEXT) | instid1(VALU_DEP_4)
	v_cvt_i32_f32_e32 v7, v2
	v_cvt_i32_f32_e32 v8, v3
	s_delay_alu instid0(VALU_DEP_4) | instskip(NEXT) | instid1(VALU_DEP_4)
	v_cvt_i32_f32_e32 v6, v1
	v_cvt_f32_i32_dpp v9, v9 row_shr:2 row_mask:0xf bank_mask:0xf bound_ctrl:1
	s_delay_alu instid0(VALU_DEP_4) | instskip(NEXT) | instid1(VALU_DEP_4)
	v_cvt_f32_i32_dpp v7, v7 row_shr:2 row_mask:0xf bank_mask:0xf bound_ctrl:1
	v_cvt_f32_i32_dpp v8, v8 row_shr:1 row_mask:0xf bank_mask:0xf bound_ctrl:1
	s_delay_alu instid0(VALU_DEP_4) | instskip(NEXT) | instid1(VALU_DEP_2)
	v_cvt_f32_i32_dpp v6, v6 row_shr:1 row_mask:0xf bank_mask:0xf bound_ctrl:1
	v_add_f32_e32 v38, v3, v8
	v_cvt_i32_f32_e32 v3, v64
	s_delay_alu instid0(VALU_DEP_1) | instskip(NEXT) | instid1(VALU_DEP_1)
	v_cvt_f32_i32_dpp v3, v3 row_shr:8 row_mask:0xf bank_mask:0xf bound_ctrl:1
	v_add_f32_e32 v3, v64, v3
	ds_bpermute_b32 v39, v49, v38
	v_cvt_i32_f32_e32 v8, v3
	s_delay_alu instid0(VALU_DEP_1) | instskip(NEXT) | instid1(VALU_DEP_1)
	v_cvt_f32_i32_dpp v8, v8 row_shr:4 row_mask:0xf bank_mask:0xf bound_ctrl:1
	v_dual_add_f32 v0, v0, v5 :: v_dual_add_f32 v3, v3, v8
	s_delay_alu instid0(VALU_DEP_1) | instskip(NEXT) | instid1(VALU_DEP_2)
	v_cvt_i32_f32_e32 v5, v0
	v_cvt_i32_f32_e32 v8, v3
	s_delay_alu instid0(VALU_DEP_2) | instskip(NEXT) | instid1(VALU_DEP_2)
	v_cvt_f32_i32_dpp v5, v5 row_shr:1 row_mask:0xf bank_mask:0xf bound_ctrl:1
	v_cvt_f32_i32_dpp v8, v8 row_shr:2 row_mask:0xf bank_mask:0xf bound_ctrl:1
	s_delay_alu instid0(VALU_DEP_2) | instskip(SKIP_1) | instid1(VALU_DEP_3)
	v_add_f32_e32 v46, v0, v5
	v_cvt_i32_f32_e32 v5, v63
	v_add_f32_e32 v3, v3, v8
	ds_bpermute_b32 v66, v49, v46
	v_cvt_f32_i32_dpp v5, v5 row_shr:8 row_mask:0xf bank_mask:0xf bound_ctrl:1
	v_add_f32_e32 v2, v2, v7
	v_cvt_i32_f32_e32 v8, v3
	s_delay_alu instid0(VALU_DEP_3) | instskip(NEXT) | instid1(VALU_DEP_3)
	v_add_f32_e32 v5, v63, v5
	v_cvt_i32_f32_e32 v7, v2
	s_delay_alu instid0(VALU_DEP_3) | instskip(SKIP_1) | instid1(VALU_DEP_4)
	v_cvt_f32_i32_dpp v8, v8 row_shr:1 row_mask:0xf bank_mask:0xf bound_ctrl:1
	v_add_f32_e32 v0, v1, v6
	v_cvt_i32_f32_e32 v10, v5
	s_delay_alu instid0(VALU_DEP_4)
	v_cvt_f32_i32_dpp v7, v7 row_shr:1 row_mask:0xf bank_mask:0xf bound_ctrl:1
	v_cvt_i32_f32_e32 v6, v65
	v_add_f32_e32 v35, v3, v8
	v_cvt_i32_f32_e32 v3, v57
	v_cvt_f32_i32_dpp v10, v10 row_shr:4 row_mask:0xf bank_mask:0xf bound_ctrl:1
	v_add_f32_e32 v4, v4, v9
	v_cvt_f32_i32_dpp v6, v6 row_shr:8 row_mask:0xf bank_mask:0xf bound_ctrl:1
	ds_bpermute_b32 v1, v49, v0
	v_cvt_f32_i32_dpp v3, v3 row_shr:8 row_mask:0xf bank_mask:0xf bound_ctrl:1
	v_add_f32_e32 v5, v5, v10
	v_cvt_i32_f32_e32 v9, v4
	ds_bpermute_b32 v36, v49, v35
	v_add_f32_e32 v3, v57, v3
	v_cvt_i32_f32_e32 v10, v5
	v_cvt_f32_i32_dpp v9, v9 row_shr:1 row_mask:0xf bank_mask:0xf bound_ctrl:1
	s_delay_alu instid0(VALU_DEP_3) | instskip(NEXT) | instid1(VALU_DEP_3)
	v_cvt_i32_f32_e32 v8, v3
	v_cvt_f32_i32_dpp v10, v10 row_shr:2 row_mask:0xf bank_mask:0xf bound_ctrl:1
	v_add_f32_e32 v42, v2, v7
	s_delay_alu instid0(VALU_DEP_4)
	v_add_f32_e32 v30, v4, v9
	v_cvt_i32_f32_e32 v4, v62
	v_cvt_i32_f32_e32 v2, v61
	v_add_f32_e32 v5, v5, v10
	v_cvt_f32_i32_dpp v8, v8 row_shr:4 row_mask:0xf bank_mask:0xf bound_ctrl:1
	v_add_f32_e32 v6, v65, v6
	v_cvt_f32_i32_dpp v4, v4 row_shr:8 row_mask:0xf bank_mask:0xf bound_ctrl:1
	v_cvt_f32_i32_dpp v2, v2 row_shr:8 row_mask:0xf bank_mask:0xf bound_ctrl:1
	v_cvt_i32_f32_e32 v10, v5
	v_add_f32_e32 v3, v3, v8
	v_cvt_i32_f32_e32 v11, v6
	ds_bpermute_b32 v44, v49, v42
	ds_bpermute_b32 v31, v49, v30
	v_cvt_f32_i32_dpp v10, v10 row_shr:1 row_mask:0xf bank_mask:0xf bound_ctrl:1
	v_cvt_i32_f32_e32 v8, v3
	v_cvt_f32_i32_dpp v11, v11 row_shr:4 row_mask:0xf bank_mask:0xf bound_ctrl:1
	s_delay_alu instid0(VALU_DEP_3) | instskip(SKIP_1) | instid1(VALU_DEP_4)
	v_add_f32_e32 v22, v5, v10
	v_cvt_i32_f32_e32 v5, v56
	v_cvt_f32_i32_dpp v8, v8 row_shr:2 row_mask:0xf bank_mask:0xf bound_ctrl:1
	s_delay_alu instid0(VALU_DEP_2) | instskip(SKIP_1) | instid1(VALU_DEP_3)
	v_cvt_f32_i32_dpp v5, v5 row_shr:8 row_mask:0xf bank_mask:0xf bound_ctrl:1
	v_add_f32_e32 v4, v62, v4
	v_add_f32_e32 v3, v3, v8
	s_delay_alu instid0(VALU_DEP_3) | instskip(NEXT) | instid1(VALU_DEP_3)
	v_add_f32_e32 v5, v56, v5
	v_cvt_i32_f32_e32 v9, v4
	s_delay_alu instid0(VALU_DEP_3) | instskip(NEXT) | instid1(VALU_DEP_3)
	v_cvt_i32_f32_e32 v8, v3
	v_cvt_i32_f32_e32 v10, v5
	s_delay_alu instid0(VALU_DEP_3) | instskip(NEXT) | instid1(VALU_DEP_3)
	v_cvt_f32_i32_dpp v9, v9 row_shr:4 row_mask:0xf bank_mask:0xf bound_ctrl:1
	v_cvt_f32_i32_dpp v8, v8 row_shr:1 row_mask:0xf bank_mask:0xf bound_ctrl:1
	s_delay_alu instid0(VALU_DEP_3) | instskip(NEXT) | instid1(VALU_DEP_3)
	v_cvt_f32_i32_dpp v10, v10 row_shr:4 row_mask:0xf bank_mask:0xf bound_ctrl:1
	v_add_f32_e32 v4, v4, v9
	s_delay_alu instid0(VALU_DEP_3) | instskip(SKIP_1) | instid1(VALU_DEP_4)
	v_add_f32_e32 v20, v3, v8
	v_cvt_i32_f32_e32 v3, v54
	v_add_f32_e32 v5, v5, v10
	s_delay_alu instid0(VALU_DEP_4) | instskip(SKIP_4) | instid1(VALU_DEP_3)
	v_cvt_i32_f32_e32 v9, v4
	ds_bpermute_b32 v21, v49, v20
	v_cvt_f32_i32_dpp v3, v3 row_shr:8 row_mask:0xf bank_mask:0xf bound_ctrl:1
	v_cvt_i32_f32_e32 v10, v5
	v_cvt_f32_i32_dpp v9, v9 row_shr:2 row_mask:0xf bank_mask:0xf bound_ctrl:1
	v_add_f32_e32 v3, v54, v3
	s_delay_alu instid0(VALU_DEP_3) | instskip(NEXT) | instid1(VALU_DEP_3)
	v_cvt_f32_i32_dpp v10, v10 row_shr:2 row_mask:0xf bank_mask:0xf bound_ctrl:1
	v_add_f32_e32 v4, v4, v9
	s_delay_alu instid0(VALU_DEP_2) | instskip(NEXT) | instid1(VALU_DEP_2)
	v_dual_add_f32 v6, v6, v11 :: v_dual_add_f32 v5, v5, v10
	v_cvt_i32_f32_e32 v9, v4
	s_delay_alu instid0(VALU_DEP_2) | instskip(NEXT) | instid1(VALU_DEP_3)
	v_cvt_i32_f32_e32 v11, v6
	v_cvt_i32_f32_e32 v10, v5
	s_delay_alu instid0(VALU_DEP_3) | instskip(SKIP_1) | instid1(VALU_DEP_4)
	v_cvt_f32_i32_dpp v9, v9 row_shr:1 row_mask:0xf bank_mask:0xf bound_ctrl:1
	v_add_f32_e32 v2, v61, v2
	v_cvt_f32_i32_dpp v11, v11 row_shr:2 row_mask:0xf bank_mask:0xf bound_ctrl:1
	s_delay_alu instid0(VALU_DEP_4) | instskip(NEXT) | instid1(VALU_DEP_4)
	v_cvt_f32_i32_dpp v10, v10 row_shr:1 row_mask:0xf bank_mask:0xf bound_ctrl:1
	v_add_f32_e32 v27, v4, v9
	s_delay_alu instid0(VALU_DEP_4) | instskip(SKIP_1) | instid1(VALU_DEP_4)
	v_cvt_i32_f32_e32 v7, v2
	v_cvt_i32_f32_e32 v4, v60
	v_add_f32_e32 v12, v5, v10
	v_cvt_i32_f32_e32 v5, v52
	s_delay_alu instid0(VALU_DEP_4)
	v_cvt_f32_i32_dpp v7, v7 row_shr:4 row_mask:0xf bank_mask:0xf bound_ctrl:1
	v_cvt_i32_f32_e32 v10, v3
	v_cvt_f32_i32_dpp v4, v4 row_shr:8 row_mask:0xf bank_mask:0xf bound_ctrl:1
	ds_bpermute_b32 v28, v49, v27
	v_cvt_f32_i32_dpp v5, v5 row_shr:8 row_mask:0xf bank_mask:0xf bound_ctrl:1
	v_add_f32_e32 v2, v2, v7
	v_cvt_f32_i32_dpp v10, v10 row_shr:4 row_mask:0xf bank_mask:0xf bound_ctrl:1
	v_add_f32_e32 v6, v6, v11
	ds_bpermute_b32 v13, v49, v12
	v_add_f32_e32 v5, v52, v5
	v_cvt_i32_f32_e32 v7, v2
	v_add_f32_e32 v3, v3, v10
	v_cvt_i32_f32_e32 v11, v6
	s_delay_alu instid0(VALU_DEP_4) | instskip(NEXT) | instid1(VALU_DEP_4)
	v_cvt_i32_f32_e32 v14, v5
	v_cvt_f32_i32_dpp v7, v7 row_shr:2 row_mask:0xf bank_mask:0xf bound_ctrl:1
	s_delay_alu instid0(VALU_DEP_4) | instskip(NEXT) | instid1(VALU_DEP_4)
	v_cvt_i32_f32_e32 v10, v3
	v_cvt_f32_i32_dpp v11, v11 row_shr:1 row_mask:0xf bank_mask:0xf bound_ctrl:1
	s_delay_alu instid0(VALU_DEP_4) | instskip(NEXT) | instid1(VALU_DEP_4)
	v_cvt_f32_i32_dpp v14, v14 row_shr:4 row_mask:0xf bank_mask:0xf bound_ctrl:1
	v_add_f32_e32 v2, v2, v7
	s_delay_alu instid0(VALU_DEP_4) | instskip(NEXT) | instid1(VALU_DEP_4)
	v_cvt_f32_i32_dpp v10, v10 row_shr:2 row_mask:0xf bank_mask:0xf bound_ctrl:1
	v_add_f32_e32 v18, v6, v11
	v_cvt_i32_f32_e32 v6, v58
	v_add_f32_e32 v5, v5, v14
	v_cvt_i32_f32_e32 v7, v2
	v_add_f32_e32 v3, v3, v10
	ds_bpermute_b32 v19, v49, v18
	v_cvt_f32_i32_dpp v6, v6 row_shr:8 row_mask:0xf bank_mask:0xf bound_ctrl:1
	v_cvt_i32_f32_e32 v14, v5
	v_cvt_f32_i32_dpp v7, v7 row_shr:1 row_mask:0xf bank_mask:0xf bound_ctrl:1
	v_cvt_i32_f32_e32 v10, v3
	s_delay_alu instid0(VALU_DEP_4) | instskip(NEXT) | instid1(VALU_DEP_4)
	v_add_f32_e32 v6, v58, v6
	v_cvt_f32_i32_dpp v14, v14 row_shr:2 row_mask:0xf bank_mask:0xf bound_ctrl:1
	s_delay_alu instid0(VALU_DEP_4)
	v_add_f32_e32 v40, v2, v7
	v_cvt_i32_f32_e32 v2, v59
	v_add_f32_e32 v4, v60, v4
	v_cvt_i32_f32_e32 v11, v6
	v_add_f32_e32 v5, v5, v14
	v_cvt_f32_i32_dpp v10, v10 row_shr:1 row_mask:0xf bank_mask:0xf bound_ctrl:1
	v_cvt_f32_i32_dpp v2, v2 row_shr:8 row_mask:0xf bank_mask:0xf bound_ctrl:1
	v_cvt_i32_f32_e32 v9, v4
	v_cvt_f32_i32_dpp v11, v11 row_shr:4 row_mask:0xf bank_mask:0xf bound_ctrl:1
	ds_bpermute_b32 v41, v49, v40
	v_add_f32_e32 v10, v3, v10
	v_add_f32_e32 v2, v59, v2
	v_cvt_f32_i32_dpp v9, v9 row_shr:4 row_mask:0xf bank_mask:0xf bound_ctrl:1
	v_add_f32_e32 v6, v6, v11
	v_cvt_i32_f32_e32 v14, v5
	s_delay_alu instid0(VALU_DEP_4) | instskip(NEXT) | instid1(VALU_DEP_4)
	v_cvt_i32_f32_e32 v7, v2
	v_add_f32_e32 v4, v4, v9
	s_delay_alu instid0(VALU_DEP_4) | instskip(NEXT) | instid1(VALU_DEP_4)
	v_cvt_i32_f32_e32 v11, v6
	v_cvt_f32_i32_dpp v26, v14 row_shr:1 row_mask:0xf bank_mask:0xf bound_ctrl:1
	s_delay_alu instid0(VALU_DEP_4) | instskip(NEXT) | instid1(VALU_DEP_4)
	v_cvt_f32_i32_dpp v7, v7 row_shr:4 row_mask:0xf bank_mask:0xf bound_ctrl:1
	v_cvt_i32_f32_e32 v9, v4
	s_delay_alu instid0(VALU_DEP_4) | instskip(NEXT) | instid1(VALU_DEP_3)
	v_cvt_f32_i32_dpp v11, v11 row_shr:2 row_mask:0xf bank_mask:0xf bound_ctrl:1
	v_add_f32_e32 v2, v2, v7
	s_delay_alu instid0(VALU_DEP_3) | instskip(NEXT) | instid1(VALU_DEP_3)
	v_cvt_f32_i32_dpp v9, v9 row_shr:2 row_mask:0xf bank_mask:0xf bound_ctrl:1
	v_add_f32_e32 v6, v6, v11
	s_delay_alu instid0(VALU_DEP_3) | instskip(NEXT) | instid1(VALU_DEP_3)
	v_cvt_i32_f32_e32 v7, v2
	v_add_f32_e32 v4, v4, v9
	s_delay_alu instid0(VALU_DEP_3) | instskip(NEXT) | instid1(VALU_DEP_3)
	v_cvt_i32_f32_e32 v11, v6
	v_cvt_f32_i32_dpp v7, v7 row_shr:2 row_mask:0xf bank_mask:0xf bound_ctrl:1
	s_delay_alu instid0(VALU_DEP_3) | instskip(NEXT) | instid1(VALU_DEP_3)
	v_cvt_i32_f32_e32 v9, v4
	v_cvt_f32_i32_dpp v11, v11 row_shr:1 row_mask:0xf bank_mask:0xf bound_ctrl:1
	s_delay_alu instid0(VALU_DEP_3) | instskip(NEXT) | instid1(VALU_DEP_3)
	v_add_f32_e32 v2, v2, v7
	v_cvt_f32_i32_dpp v9, v9 row_shr:1 row_mask:0xf bank_mask:0xf bound_ctrl:1
	s_delay_alu instid0(VALU_DEP_3) | instskip(SKIP_1) | instid1(VALU_DEP_4)
	v_add_f32_e32 v8, v6, v11
	v_cvt_i32_f32_e32 v6, v51
	v_cvt_i32_f32_e32 v7, v2
	s_delay_alu instid0(VALU_DEP_4) | instskip(SKIP_1) | instid1(VALU_DEP_4)
	v_add_f32_e32 v16, v4, v9
	v_cvt_i32_f32_e32 v4, v53
	v_cvt_f32_i32_dpp v6, v6 row_shr:8 row_mask:0xf bank_mask:0xf bound_ctrl:1
	ds_bpermute_b32 v9, v49, v8
	v_cvt_f32_i32_dpp v7, v7 row_shr:1 row_mask:0xf bank_mask:0xf bound_ctrl:1
	ds_bpermute_b32 v17, v49, v16
	v_cvt_f32_i32_dpp v4, v4 row_shr:8 row_mask:0xf bank_mask:0xf bound_ctrl:1
	v_add_f32_e32 v6, v51, v6
	v_add_f32_e32 v24, v2, v7
	v_cvt_i32_f32_e32 v2, v55
	s_delay_alu instid0(VALU_DEP_4) | instskip(NEXT) | instid1(VALU_DEP_4)
	v_add_f32_e32 v4, v53, v4
	v_cvt_i32_f32_e32 v15, v6
	ds_bpermute_b32 v25, v49, v24
	v_cvt_f32_i32_dpp v2, v2 row_shr:8 row_mask:0xf bank_mask:0xf bound_ctrl:1
	v_cvt_i32_f32_e32 v11, v4
	v_cvt_f32_i32_dpp v15, v15 row_shr:4 row_mask:0xf bank_mask:0xf bound_ctrl:1
	s_delay_alu instid0(VALU_DEP_3) | instskip(NEXT) | instid1(VALU_DEP_3)
	v_add_f32_e32 v2, v55, v2
	v_cvt_f32_i32_dpp v11, v11 row_shr:4 row_mask:0xf bank_mask:0xf bound_ctrl:1
	s_delay_alu instid0(VALU_DEP_3) | instskip(NEXT) | instid1(VALU_DEP_3)
	v_add_f32_e32 v6, v6, v15
	v_cvt_i32_f32_e32 v7, v2
	s_delay_alu instid0(VALU_DEP_3) | instskip(NEXT) | instid1(VALU_DEP_3)
	v_add_f32_e32 v4, v4, v11
	v_cvt_i32_f32_e32 v15, v6
	s_delay_alu instid0(VALU_DEP_3) | instskip(NEXT) | instid1(VALU_DEP_3)
	v_cvt_f32_i32_dpp v7, v7 row_shr:4 row_mask:0xf bank_mask:0xf bound_ctrl:1
	v_cvt_i32_f32_e32 v11, v4
	s_delay_alu instid0(VALU_DEP_3) | instskip(NEXT) | instid1(VALU_DEP_3)
	v_cvt_f32_i32_dpp v15, v15 row_shr:2 row_mask:0xf bank_mask:0xf bound_ctrl:1
	v_add_f32_e32 v2, v2, v7
	s_delay_alu instid0(VALU_DEP_3) | instskip(NEXT) | instid1(VALU_DEP_2)
	v_cvt_f32_i32_dpp v11, v11 row_shr:2 row_mask:0xf bank_mask:0xf bound_ctrl:1
	v_cvt_i32_f32_e32 v7, v2
	s_delay_alu instid0(VALU_DEP_2) | instskip(NEXT) | instid1(VALU_DEP_2)
	v_add_f32_e32 v4, v4, v11
	v_cvt_f32_i32_dpp v7, v7 row_shr:2 row_mask:0xf bank_mask:0xf bound_ctrl:1
	s_delay_alu instid0(VALU_DEP_2) | instskip(NEXT) | instid1(VALU_DEP_2)
	v_cvt_i32_f32_e32 v11, v4
	v_add_f32_e32 v2, v2, v7
	v_add_f32_e32 v7, v6, v15
	ds_bpermute_b32 v23, v49, v22
	v_cvt_f32_i32_dpp v11, v11 row_shr:1 row_mask:0xf bank_mask:0xf bound_ctrl:1
	v_cvt_i32_f32_e32 v6, v2
	v_cvt_i32_f32_e32 v15, v7
	s_delay_alu instid0(VALU_DEP_2) | instskip(NEXT) | instid1(VALU_DEP_2)
	v_cvt_f32_i32_dpp v6, v6 row_shr:1 row_mask:0xf bank_mask:0xf bound_ctrl:1
	v_cvt_f32_i32_dpp v15, v15 row_shr:1 row_mask:0xf bank_mask:0xf bound_ctrl:1
	s_delay_alu instid0(VALU_DEP_2) | instskip(NEXT) | instid1(VALU_DEP_2)
	v_add_f32_e32 v14, v2, v6
	v_add_f32_e32 v2, v7, v15
	;; [unrolled: 1-line block ×4, first 2 shown]
	ds_bpermute_b32 v11, v49, v10
	ds_bpermute_b32 v15, v49, v14
	;; [unrolled: 1-line block ×5, first 2 shown]
	s_and_saveexec_b32 s25, s0
	s_cbranch_execz .LBB287_13
; %bb.20:                               ;   in Loop: Header=BB287_14 Depth=1
	v_dual_mov_b32 v65, 0 :: v_dual_mov_b32 v64, 0
	v_dual_mov_b32 v63, 0 :: v_dual_mov_b32 v62, 0
	;; [unrolled: 1-line block ×8, first 2 shown]
	v_mov_b32_e32 v45, 0
	v_mov_b32_e32 v43, 0
	;; [unrolled: 1-line block ×4, first 2 shown]
	s_and_not1_b32 vcc_lo, exec_lo, s18
	s_cbranch_vccnz .LBB287_22
; %bb.21:                               ;   in Loop: Header=BB287_14 Depth=1
	v_mul_hi_u32 v26, v32, v50
	v_or_b32_e32 v29, 1, v32
	v_or_b32_e32 v37, 3, v32
	;; [unrolled: 1-line block ×3, first 2 shown]
	v_mov_b32_e32 v74, v34
	v_mov_b32_e32 v68, v34
	v_mul_hi_u32 v43, v29, v50
	v_mul_hi_u32 v51, v37, v50
	v_mul_lo_u32 v26, v26, s2
	v_mul_hi_u32 v45, v33, v50
	v_mov_b32_e32 v80, v34
	v_mov_b32_e32 v70, v34
	v_mov_b32_e32 v82, v34
	v_mul_lo_u32 v43, v43, s2
	v_mul_lo_u32 v51, v51, s2
	v_sub_nc_u32_e32 v26, v32, v26
	v_mul_lo_u32 v45, v45, s2
	s_delay_alu instid0(VALU_DEP_2) | instskip(SKIP_4) | instid1(VALU_DEP_4)
	v_subrev_nc_u32_e32 v53, s2, v26
	v_sub_nc_u32_e32 v29, v29, v43
	v_sub_nc_u32_e32 v37, v37, v51
	v_cmp_le_u32_e32 vcc_lo, s2, v26
	v_sub_nc_u32_e32 v33, v33, v45
	v_subrev_nc_u32_e32 v43, s2, v29
	s_delay_alu instid0(VALU_DEP_4)
	v_subrev_nc_u32_e32 v51, s2, v37
	v_cndmask_b32_e32 v26, v26, v53, vcc_lo
	v_cmp_le_u32_e32 vcc_lo, s2, v29
	v_mov_b32_e32 v52, v34
	v_subrev_nc_u32_e32 v45, s2, v33
	v_cndmask_b32_e32 v29, v29, v43, vcc_lo
	v_cmp_le_u32_e32 vcc_lo, s2, v33
	s_delay_alu instid0(VALU_DEP_3) | instskip(SKIP_1) | instid1(VALU_DEP_4)
	v_dual_mov_b32 v54, v34 :: v_dual_cndmask_b32 v43, v33, v45
	v_cmp_le_u32_e32 vcc_lo, s2, v37
	v_subrev_nc_u32_e32 v45, s2, v29
	v_cndmask_b32_e32 v37, v37, v51, vcc_lo
	v_subrev_nc_u32_e32 v53, s2, v26
	v_cmp_le_u32_e32 vcc_lo, s2, v26
	s_delay_alu instid0(VALU_DEP_3) | instskip(NEXT) | instid1(VALU_DEP_3)
	v_subrev_nc_u32_e32 v55, s2, v37
	v_cndmask_b32_e32 v33, v26, v53, vcc_lo
	v_cmp_le_u32_e32 vcc_lo, s2, v29
	v_mov_b32_e32 v56, v34
	v_subrev_nc_u32_e32 v26, s2, v43
	s_delay_alu instid0(VALU_DEP_4) | instskip(SKIP_3) | instid1(VALU_DEP_3)
	v_lshlrev_b64 v[57:58], 1, v[33:34]
	v_cndmask_b32_e32 v51, v29, v45, vcc_lo
	v_cmp_le_u32_e32 vcc_lo, s2, v43
	v_add_nc_u32_e32 v67, s19, v33
	v_lshlrev_b64 v[59:60], 1, v[51:52]
	v_cndmask_b32_e32 v53, v43, v26, vcc_lo
	v_cmp_le_u32_e32 vcc_lo, s2, v37
	v_add_nc_u32_e32 v69, s19, v51
	v_lshlrev_b64 v[67:68], 1, v[67:68]
	v_add_nc_u32_e32 v79, s20, v51
	v_lshlrev_b64 v[61:62], 1, v[53:54]
	v_cndmask_b32_e32 v55, v37, v55, vcc_lo
	v_add_co_u32 v57, vcc_lo, s8, v57
	v_add_co_ci_u32_e32 v58, vcc_lo, s9, v58, vcc_lo
	v_add_co_u32 v59, vcc_lo, s8, v59
	s_delay_alu instid0(VALU_DEP_4) | instskip(SKIP_3) | instid1(VALU_DEP_4)
	v_lshlrev_b64 v[63:64], 1, v[55:56]
	v_add_co_ci_u32_e32 v60, vcc_lo, s9, v60, vcc_lo
	v_add_co_u32 v61, vcc_lo, s8, v61
	v_add_co_ci_u32_e32 v62, vcc_lo, s9, v62, vcc_lo
	v_add_co_u32 v71, vcc_lo, s8, v63
	v_add_co_ci_u32_e32 v72, vcc_lo, s9, v64, vcc_lo
	v_lshlrev_b64 v[63:64], 1, v[69:70]
	v_add_nc_u32_e32 v69, s19, v53
	v_add_co_u32 v67, vcc_lo, s8, v67
	v_add_nc_u32_e32 v73, s19, v55
	v_add_co_ci_u32_e32 v68, vcc_lo, s9, v68, vcc_lo
	s_delay_alu instid0(VALU_DEP_4) | instskip(SKIP_3) | instid1(VALU_DEP_4)
	v_lshlrev_b64 v[69:70], 1, v[69:70]
	v_add_co_u32 v75, vcc_lo, s8, v63
	v_add_co_ci_u32_e32 v76, vcc_lo, s9, v64, vcc_lo
	v_lshlrev_b64 v[63:64], 1, v[73:74]
	v_add_co_u32 v69, vcc_lo, s8, v69
	v_add_nc_u32_e32 v73, s20, v33
	v_add_co_ci_u32_e32 v70, vcc_lo, s9, v70, vcc_lo
	s_delay_alu instid0(VALU_DEP_4)
	v_add_co_u32 v77, vcc_lo, s8, v63
	v_add_co_ci_u32_e32 v78, vcc_lo, s9, v64, vcc_lo
	s_clause 0x7
	global_load_u16 v65, v[57:58], off
	global_load_u16 v64, v[59:60], off
	;; [unrolled: 1-line block ×8, first 2 shown]
	v_mov_b32_e32 v76, v34
	v_lshlrev_b64 v[73:74], 1, v[73:74]
	v_dual_mov_b32 v70, v34 :: v_dual_add_nc_u32 v69, s20, v53
	v_mov_b32_e32 v78, v34
	v_lshlrev_b64 v[67:68], 1, v[79:80]
	v_add_nc_u32_e32 v75, s21, v33
	v_add_co_u32 v71, vcc_lo, s8, v73
	v_add_co_ci_u32_e32 v72, vcc_lo, s9, v74, vcc_lo
	v_dual_mov_b32 v74, v34 :: v_dual_add_nc_u32 v73, s20, v55
	v_lshlrev_b64 v[69:70], 1, v[69:70]
	v_add_co_u32 v67, vcc_lo, s8, v67
	v_add_nc_u32_e32 v77, s21, v51
	s_delay_alu instid0(VALU_DEP_4)
	v_lshlrev_b64 v[73:74], 1, v[73:74]
	v_add_co_ci_u32_e32 v68, vcc_lo, s9, v68, vcc_lo
	v_add_co_u32 v69, vcc_lo, s8, v69
	v_lshlrev_b64 v[75:76], 1, v[75:76]
	v_add_nc_u32_e32 v79, s21, v53
	v_add_co_ci_u32_e32 v70, vcc_lo, s9, v70, vcc_lo
	v_add_co_u32 v73, vcc_lo, s8, v73
	v_lshlrev_b64 v[77:78], 1, v[77:78]
	v_add_nc_u32_e32 v33, s24, v33
	v_add_nc_u32_e32 v81, s21, v55
	v_add_co_ci_u32_e32 v74, vcc_lo, s9, v74, vcc_lo
	v_add_co_u32 v75, vcc_lo, s8, v75
	v_lshlrev_b64 v[79:80], 1, v[79:80]
	v_add_co_ci_u32_e32 v76, vcc_lo, s9, v76, vcc_lo
	v_lshlrev_b64 v[83:84], 1, v[33:34]
	v_add_nc_u32_e32 v33, s24, v51
	v_add_co_u32 v77, vcc_lo, s8, v77
	v_lshlrev_b64 v[81:82], 1, v[81:82]
	v_add_co_ci_u32_e32 v78, vcc_lo, s9, v78, vcc_lo
	v_add_co_u32 v79, vcc_lo, s8, v79
	v_lshlrev_b64 v[51:52], 1, v[33:34]
	v_add_nc_u32_e32 v33, s24, v53
	v_add_co_ci_u32_e32 v80, vcc_lo, s9, v80, vcc_lo
	v_add_co_u32 v81, vcc_lo, s8, v81
	v_add_co_ci_u32_e32 v82, vcc_lo, s9, v82, vcc_lo
	v_add_co_u32 v83, vcc_lo, s8, v83
	v_lshlrev_b64 v[53:54], 1, v[33:34]
	v_add_nc_u32_e32 v33, s24, v55
	v_add_co_ci_u32_e32 v84, vcc_lo, s9, v84, vcc_lo
	v_add_co_u32 v85, vcc_lo, s8, v51
	v_add_co_ci_u32_e32 v86, vcc_lo, s9, v52, vcc_lo
	s_delay_alu instid0(VALU_DEP_4) | instskip(SKIP_2) | instid1(VALU_DEP_3)
	v_lshlrev_b64 v[51:52], 1, v[33:34]
	v_add_co_u32 v87, vcc_lo, s8, v53
	v_add_co_ci_u32_e32 v88, vcc_lo, s9, v54, vcc_lo
	v_add_co_u32 v89, vcc_lo, s8, v51
	s_delay_alu instid0(VALU_DEP_4)
	v_add_co_ci_u32_e32 v90, vcc_lo, s9, v52, vcc_lo
	s_clause 0xb
	global_load_u16 v59, v[71:72], off
	global_load_u16 v57, v[67:68], off
	;; [unrolled: 1-line block ×12, first 2 shown]
.LBB287_22:                             ;   in Loop: Header=BB287_14 Depth=1
	s_waitcnt vmcnt(19) lgkmcnt(18)
	v_dual_add_f32 v33, v46, v66 :: v_dual_lshlrev_b32 v46, 16, v65
	s_delay_alu instid0(VALU_DEP_1) | instskip(NEXT) | instid1(VALU_DEP_1)
	v_add_f32_e32 v33, v33, v46
	v_and_b32_e32 v46, 0x7f800000, v33
	s_delay_alu instid0(VALU_DEP_1) | instskip(SKIP_1) | instid1(SALU_CYCLE_1)
	v_cmp_ne_u32_e32 vcc_lo, 0x7f800000, v46
                                        ; implicit-def: $vgpr46
	s_and_saveexec_b32 s26, vcc_lo
	s_xor_b32 s26, exec_lo, s26
; %bb.23:                               ;   in Loop: Header=BB287_14 Depth=1
	v_bfe_u32 v46, v33, 16, 1
	s_delay_alu instid0(VALU_DEP_1)
	v_add3_u32 v46, v33, v46, 0x7fff
                                        ; implicit-def: $vgpr33
; %bb.24:                               ;   in Loop: Header=BB287_14 Depth=1
	s_and_not1_saveexec_b32 s26, s26
; %bb.25:                               ;   in Loop: Header=BB287_14 Depth=1
	v_and_b32_e32 v46, 0xffff, v33
	v_or_b32_e32 v65, 0x10000, v33
	s_delay_alu instid0(VALU_DEP_2) | instskip(NEXT) | instid1(VALU_DEP_2)
	v_cmp_eq_u32_e32 vcc_lo, 0, v46
	v_cndmask_b32_e32 v46, v65, v33, vcc_lo
; %bb.26:                               ;   in Loop: Header=BB287_14 Depth=1
	s_or_b32 exec_lo, exec_lo, s26
	s_waitcnt vmcnt(18) lgkmcnt(17)
	v_dual_add_f32 v0, v0, v1 :: v_dual_lshlrev_b32 v1, 16, v64
	s_delay_alu instid0(VALU_DEP_1) | instskip(NEXT) | instid1(VALU_DEP_1)
	v_dual_mov_b32 v33, v34 :: v_dual_add_f32 v64, v0, v1
	v_lshlrev_b64 v[0:1], 1, v[32:33]
	s_delay_alu instid0(VALU_DEP_2) | instskip(NEXT) | instid1(VALU_DEP_2)
	v_and_b32_e32 v33, 0x7f800000, v64
	v_add_co_u32 v0, vcc_lo, s10, v0
	s_delay_alu instid0(VALU_DEP_3) | instskip(NEXT) | instid1(VALU_DEP_3)
	v_add_co_ci_u32_e32 v1, vcc_lo, s11, v1, vcc_lo
	v_cmp_ne_u32_e32 vcc_lo, 0x7f800000, v33
                                        ; implicit-def: $vgpr33
	global_store_d16_hi_b16 v[0:1], v46, off
	s_and_saveexec_b32 s26, vcc_lo
	s_delay_alu instid0(SALU_CYCLE_1)
	s_xor_b32 s26, exec_lo, s26
; %bb.27:                               ;   in Loop: Header=BB287_14 Depth=1
	v_bfe_u32 v33, v64, 16, 1
	s_delay_alu instid0(VALU_DEP_1)
	v_add3_u32 v33, v64, v33, 0x7fff
                                        ; implicit-def: $vgpr64
; %bb.28:                               ;   in Loop: Header=BB287_14 Depth=1
	s_and_not1_saveexec_b32 s26, s26
; %bb.29:                               ;   in Loop: Header=BB287_14 Depth=1
	v_and_b32_e32 v33, 0xffff, v64
	v_or_b32_e32 v46, 0x10000, v64
	s_delay_alu instid0(VALU_DEP_2) | instskip(NEXT) | instid1(VALU_DEP_2)
	v_cmp_eq_u32_e32 vcc_lo, 0, v33
	v_cndmask_b32_e32 v33, v46, v64, vcc_lo
; %bb.30:                               ;   in Loop: Header=BB287_14 Depth=1
	s_or_b32 exec_lo, exec_lo, s26
	s_waitcnt lgkmcnt(15)
	v_add_f32_e32 v42, v42, v44
	s_waitcnt vmcnt(17)
	v_lshlrev_b32_e32 v44, 16, v63
	s_mov_b32 s26, exec_lo
	global_store_d16_hi_b16 v[0:1], v33, off offset:2
                                        ; implicit-def: $vgpr33
	v_add_f32_e32 v42, v42, v44
	s_delay_alu instid0(VALU_DEP_1) | instskip(NEXT) | instid1(VALU_DEP_1)
	v_and_b32_e32 v44, 0x7f800000, v42
	v_cmpx_ne_u32_e32 0x7f800000, v44
	s_xor_b32 s26, exec_lo, s26
; %bb.31:                               ;   in Loop: Header=BB287_14 Depth=1
	v_bfe_u32 v33, v42, 16, 1
	s_delay_alu instid0(VALU_DEP_1)
	v_add3_u32 v33, v42, v33, 0x7fff
                                        ; implicit-def: $vgpr42
; %bb.32:                               ;   in Loop: Header=BB287_14 Depth=1
	s_and_not1_saveexec_b32 s26, s26
; %bb.33:                               ;   in Loop: Header=BB287_14 Depth=1
	v_and_b32_e32 v33, 0xffff, v42
	v_or_b32_e32 v44, 0x10000, v42
	s_delay_alu instid0(VALU_DEP_2) | instskip(NEXT) | instid1(VALU_DEP_2)
	v_cmp_eq_u32_e32 vcc_lo, 0, v33
	v_cndmask_b32_e32 v33, v44, v42, vcc_lo
; %bb.34:                               ;   in Loop: Header=BB287_14 Depth=1
	s_or_b32 exec_lo, exec_lo, s26
	s_waitcnt vmcnt(16)
	v_dual_add_f32 v38, v38, v39 :: v_dual_lshlrev_b32 v39, 16, v62
	s_mov_b32 s26, exec_lo
	global_store_d16_hi_b16 v[0:1], v33, off offset:4
                                        ; implicit-def: $vgpr33
	v_add_f32_e32 v38, v38, v39
	s_delay_alu instid0(VALU_DEP_1) | instskip(NEXT) | instid1(VALU_DEP_1)
	v_and_b32_e32 v39, 0x7f800000, v38
	v_cmpx_ne_u32_e32 0x7f800000, v39
	s_xor_b32 s26, exec_lo, s26
; %bb.35:                               ;   in Loop: Header=BB287_14 Depth=1
	v_bfe_u32 v33, v38, 16, 1
	s_delay_alu instid0(VALU_DEP_1)
	v_add3_u32 v33, v38, v33, 0x7fff
                                        ; implicit-def: $vgpr38
; %bb.36:                               ;   in Loop: Header=BB287_14 Depth=1
	s_and_not1_saveexec_b32 s26, s26
; %bb.37:                               ;   in Loop: Header=BB287_14 Depth=1
	v_and_b32_e32 v33, 0xffff, v38
	v_or_b32_e32 v39, 0x10000, v38
	s_delay_alu instid0(VALU_DEP_2) | instskip(NEXT) | instid1(VALU_DEP_2)
	v_cmp_eq_u32_e32 vcc_lo, 0, v33
	v_cndmask_b32_e32 v33, v39, v38, vcc_lo
; %bb.38:                               ;   in Loop: Header=BB287_14 Depth=1
	s_or_b32 exec_lo, exec_lo, s26
	s_waitcnt vmcnt(15) lgkmcnt(14)
	v_dual_add_f32 v30, v30, v31 :: v_dual_lshlrev_b32 v31, 16, v61
	s_mov_b32 s26, exec_lo
	global_store_d16_hi_b16 v[0:1], v33, off offset:6
                                        ; implicit-def: $vgpr0
	v_add_f32_e32 v30, v30, v31
	s_delay_alu instid0(VALU_DEP_1) | instskip(NEXT) | instid1(VALU_DEP_1)
	v_and_b32_e32 v31, 0x7f800000, v30
	v_cmpx_ne_u32_e32 0x7f800000, v31
	s_xor_b32 s26, exec_lo, s26
; %bb.39:                               ;   in Loop: Header=BB287_14 Depth=1
	v_bfe_u32 v0, v30, 16, 1
	s_delay_alu instid0(VALU_DEP_1)
	v_add3_u32 v0, v30, v0, 0x7fff
                                        ; implicit-def: $vgpr30
; %bb.40:                               ;   in Loop: Header=BB287_14 Depth=1
	s_and_not1_saveexec_b32 s26, s26
; %bb.41:                               ;   in Loop: Header=BB287_14 Depth=1
	v_and_b32_e32 v0, 0xffff, v30
	v_or_b32_e32 v1, 0x10000, v30
	s_delay_alu instid0(VALU_DEP_2) | instskip(NEXT) | instid1(VALU_DEP_2)
	v_cmp_eq_u32_e32 vcc_lo, 0, v0
	v_cndmask_b32_e32 v0, v1, v30, vcc_lo
; %bb.42:                               ;   in Loop: Header=BB287_14 Depth=1
	s_or_b32 exec_lo, exec_lo, s26
	s_waitcnt vmcnt(14) lgkmcnt(9)
	v_dual_add_f32 v1, v40, v41 :: v_dual_lshlrev_b32 v30, 16, v60
	v_add_nc_u32_e32 v33, s7, v32
	s_mov_b32 s26, exec_lo
	s_delay_alu instid0(VALU_DEP_2) | instskip(NEXT) | instid1(VALU_DEP_2)
	v_add_f32_e32 v1, v1, v30
	v_lshlrev_b64 v[30:31], 1, v[33:34]
	s_delay_alu instid0(VALU_DEP_2) | instskip(NEXT) | instid1(VALU_DEP_2)
	v_and_b32_e32 v38, 0x7f800000, v1
	v_add_co_u32 v30, vcc_lo, s10, v30
	s_delay_alu instid0(VALU_DEP_3)
	v_add_co_ci_u32_e32 v31, vcc_lo, s11, v31, vcc_lo
	global_store_d16_hi_b16 v[30:31], v0, off
                                        ; implicit-def: $vgpr0
	v_cmpx_ne_u32_e32 0x7f800000, v38
	s_xor_b32 s26, exec_lo, s26
; %bb.43:                               ;   in Loop: Header=BB287_14 Depth=1
	v_bfe_u32 v0, v1, 16, 1
	s_delay_alu instid0(VALU_DEP_1)
	v_add3_u32 v0, v1, v0, 0x7fff
                                        ; implicit-def: $vgpr1
; %bb.44:                               ;   in Loop: Header=BB287_14 Depth=1
	s_and_not1_saveexec_b32 s26, s26
; %bb.45:                               ;   in Loop: Header=BB287_14 Depth=1
	v_and_b32_e32 v0, 0xffff, v1
	v_or_b32_e32 v30, 0x10000, v1
	s_delay_alu instid0(VALU_DEP_2) | instskip(NEXT) | instid1(VALU_DEP_2)
	v_cmp_eq_u32_e32 vcc_lo, 0, v0
	v_cndmask_b32_e32 v0, v30, v1, vcc_lo
; %bb.46:                               ;   in Loop: Header=BB287_14 Depth=1
	s_or_b32 exec_lo, exec_lo, s26
	v_dual_add_f32 v1, v35, v36 :: v_dual_add_nc_u32 v30, 1, v33
	v_mov_b32_e32 v31, v34
	s_waitcnt vmcnt(13)
	v_lshlrev_b32_e32 v35, 16, v58
	s_mov_b32 s26, exec_lo
	s_delay_alu instid0(VALU_DEP_2) | instskip(NEXT) | instid1(VALU_DEP_2)
	v_lshlrev_b64 v[30:31], 1, v[30:31]
	v_add_f32_e32 v1, v1, v35
	s_delay_alu instid0(VALU_DEP_1) | instskip(NEXT) | instid1(VALU_DEP_3)
	v_and_b32_e32 v35, 0x7f800000, v1
	v_add_co_u32 v30, vcc_lo, s10, v30
	s_delay_alu instid0(VALU_DEP_4)
	v_add_co_ci_u32_e32 v31, vcc_lo, s11, v31, vcc_lo
	global_store_d16_hi_b16 v[30:31], v0, off
                                        ; implicit-def: $vgpr0
	v_cmpx_ne_u32_e32 0x7f800000, v35
	s_xor_b32 s26, exec_lo, s26
; %bb.47:                               ;   in Loop: Header=BB287_14 Depth=1
	v_bfe_u32 v0, v1, 16, 1
	s_delay_alu instid0(VALU_DEP_1)
	v_add3_u32 v0, v1, v0, 0x7fff
                                        ; implicit-def: $vgpr1
; %bb.48:                               ;   in Loop: Header=BB287_14 Depth=1
	s_and_not1_saveexec_b32 s26, s26
; %bb.49:                               ;   in Loop: Header=BB287_14 Depth=1
	v_and_b32_e32 v0, 0xffff, v1
	v_or_b32_e32 v30, 0x10000, v1
	s_delay_alu instid0(VALU_DEP_2) | instskip(NEXT) | instid1(VALU_DEP_2)
	v_cmp_eq_u32_e32 vcc_lo, 0, v0
	v_cndmask_b32_e32 v0, v30, v1, vcc_lo
; %bb.50:                               ;   in Loop: Header=BB287_14 Depth=1
	s_or_b32 exec_lo, exec_lo, s26
	v_dual_add_f32 v1, v27, v28 :: v_dual_mov_b32 v28, v34
	v_add_nc_u32_e32 v27, 2, v33
	s_waitcnt vmcnt(12)
	v_lshlrev_b32_e32 v30, 16, v56
	s_mov_b32 s26, exec_lo
	s_delay_alu instid0(VALU_DEP_2) | instskip(NEXT) | instid1(VALU_DEP_2)
	v_lshlrev_b64 v[27:28], 1, v[27:28]
	v_add_f32_e32 v1, v1, v30
	s_delay_alu instid0(VALU_DEP_1) | instskip(NEXT) | instid1(VALU_DEP_3)
	v_and_b32_e32 v30, 0x7f800000, v1
	v_add_co_u32 v27, vcc_lo, s10, v27
	s_delay_alu instid0(VALU_DEP_4)
	v_add_co_ci_u32_e32 v28, vcc_lo, s11, v28, vcc_lo
	global_store_d16_hi_b16 v[27:28], v0, off
                                        ; implicit-def: $vgpr0
	v_cmpx_ne_u32_e32 0x7f800000, v30
	s_xor_b32 s26, exec_lo, s26
; %bb.51:                               ;   in Loop: Header=BB287_14 Depth=1
	v_bfe_u32 v0, v1, 16, 1
	s_delay_alu instid0(VALU_DEP_1)
	v_add3_u32 v0, v1, v0, 0x7fff
                                        ; implicit-def: $vgpr1
; %bb.52:                               ;   in Loop: Header=BB287_14 Depth=1
	s_and_not1_saveexec_b32 s26, s26
; %bb.53:                               ;   in Loop: Header=BB287_14 Depth=1
	v_and_b32_e32 v0, 0xffff, v1
	v_or_b32_e32 v27, 0x10000, v1
	s_delay_alu instid0(VALU_DEP_2) | instskip(NEXT) | instid1(VALU_DEP_2)
	v_cmp_eq_u32_e32 vcc_lo, 0, v0
	v_cndmask_b32_e32 v0, v27, v1, vcc_lo
; %bb.54:                               ;   in Loop: Header=BB287_14 Depth=1
	s_or_b32 exec_lo, exec_lo, s26
	s_waitcnt lgkmcnt(5)
	v_dual_add_f32 v1, v22, v23 :: v_dual_add_nc_u32 v22, 3, v33
	v_mov_b32_e32 v23, v34
	s_waitcnt vmcnt(11)
	v_lshlrev_b32_e32 v27, 16, v59
	s_mov_b32 s26, exec_lo
	s_delay_alu instid0(VALU_DEP_2) | instskip(NEXT) | instid1(VALU_DEP_2)
	v_lshlrev_b64 v[22:23], 1, v[22:23]
	v_add_f32_e32 v1, v1, v27
	s_delay_alu instid0(VALU_DEP_1) | instskip(NEXT) | instid1(VALU_DEP_3)
	v_and_b32_e32 v27, 0x7f800000, v1
	v_add_co_u32 v22, vcc_lo, s10, v22
	s_delay_alu instid0(VALU_DEP_4)
	v_add_co_ci_u32_e32 v23, vcc_lo, s11, v23, vcc_lo
	global_store_d16_hi_b16 v[22:23], v0, off
                                        ; implicit-def: $vgpr22
	v_cmpx_ne_u32_e32 0x7f800000, v27
	s_xor_b32 s26, exec_lo, s26
; %bb.55:                               ;   in Loop: Header=BB287_14 Depth=1
	v_bfe_u32 v0, v1, 16, 1
	s_delay_alu instid0(VALU_DEP_1)
	v_add3_u32 v22, v1, v0, 0x7fff
                                        ; implicit-def: $vgpr1
; %bb.56:                               ;   in Loop: Header=BB287_14 Depth=1
	s_and_not1_saveexec_b32 s26, s26
; %bb.57:                               ;   in Loop: Header=BB287_14 Depth=1
	v_and_b32_e32 v0, 0xffff, v1
	v_or_b32_e32 v22, 0x10000, v1
	s_delay_alu instid0(VALU_DEP_2) | instskip(NEXT) | instid1(VALU_DEP_2)
	v_cmp_eq_u32_e32 vcc_lo, 0, v0
	v_cndmask_b32_e32 v22, v22, v1, vcc_lo
; %bb.58:                               ;   in Loop: Header=BB287_14 Depth=1
	s_or_b32 exec_lo, exec_lo, s26
	s_waitcnt vmcnt(10)
	v_dual_add_f32 v0, v18, v19 :: v_dual_lshlrev_b32 v1, 16, v57
	v_add_nc_u32_e32 v33, s7, v33
	s_delay_alu instid0(VALU_DEP_2) | instskip(NEXT) | instid1(VALU_DEP_2)
	v_add_f32_e32 v18, v0, v1
	v_lshlrev_b64 v[0:1], 1, v[33:34]
	s_delay_alu instid0(VALU_DEP_2) | instskip(NEXT) | instid1(VALU_DEP_2)
	v_and_b32_e32 v19, 0x7f800000, v18
	v_add_co_u32 v0, vcc_lo, s10, v0
	s_delay_alu instid0(VALU_DEP_3) | instskip(NEXT) | instid1(VALU_DEP_3)
	v_add_co_ci_u32_e32 v1, vcc_lo, s11, v1, vcc_lo
	v_cmp_ne_u32_e32 vcc_lo, 0x7f800000, v19
                                        ; implicit-def: $vgpr19
	global_store_d16_hi_b16 v[0:1], v22, off
	s_and_saveexec_b32 s26, vcc_lo
	s_delay_alu instid0(SALU_CYCLE_1)
	s_xor_b32 s26, exec_lo, s26
; %bb.59:                               ;   in Loop: Header=BB287_14 Depth=1
	v_bfe_u32 v19, v18, 16, 1
	s_delay_alu instid0(VALU_DEP_1)
	v_add3_u32 v19, v18, v19, 0x7fff
                                        ; implicit-def: $vgpr18
; %bb.60:                               ;   in Loop: Header=BB287_14 Depth=1
	s_and_not1_saveexec_b32 s26, s26
; %bb.61:                               ;   in Loop: Header=BB287_14 Depth=1
	v_and_b32_e32 v19, 0xffff, v18
	v_or_b32_e32 v22, 0x10000, v18
	s_delay_alu instid0(VALU_DEP_2) | instskip(NEXT) | instid1(VALU_DEP_2)
	v_cmp_eq_u32_e32 vcc_lo, 0, v19
	v_cndmask_b32_e32 v19, v22, v18, vcc_lo
; %bb.62:                               ;   in Loop: Header=BB287_14 Depth=1
	s_or_b32 exec_lo, exec_lo, s26
	v_add_f32_e32 v18, v24, v25
	s_waitcnt vmcnt(9)
	v_lshlrev_b32_e32 v22, 16, v55
	s_mov_b32 s26, exec_lo
	global_store_d16_hi_b16 v[0:1], v19, off offset:2
                                        ; implicit-def: $vgpr0
	v_add_f32_e32 v18, v18, v22
	s_delay_alu instid0(VALU_DEP_1) | instskip(NEXT) | instid1(VALU_DEP_1)
	v_and_b32_e32 v22, 0x7f800000, v18
	v_cmpx_ne_u32_e32 0x7f800000, v22
	s_xor_b32 s26, exec_lo, s26
; %bb.63:                               ;   in Loop: Header=BB287_14 Depth=1
	v_bfe_u32 v0, v18, 16, 1
	s_delay_alu instid0(VALU_DEP_1)
	v_add3_u32 v0, v18, v0, 0x7fff
                                        ; implicit-def: $vgpr18
; %bb.64:                               ;   in Loop: Header=BB287_14 Depth=1
	s_and_not1_saveexec_b32 s26, s26
; %bb.65:                               ;   in Loop: Header=BB287_14 Depth=1
	v_and_b32_e32 v0, 0xffff, v18
	v_or_b32_e32 v1, 0x10000, v18
	s_delay_alu instid0(VALU_DEP_2) | instskip(NEXT) | instid1(VALU_DEP_2)
	v_cmp_eq_u32_e32 vcc_lo, 0, v0
	v_cndmask_b32_e32 v0, v1, v18, vcc_lo
; %bb.66:                               ;   in Loop: Header=BB287_14 Depth=1
	s_or_b32 exec_lo, exec_lo, s26
	v_dual_mov_b32 v19, v34 :: v_dual_add_nc_u32 v18, 2, v33
	s_waitcnt vmcnt(8)
	v_dual_add_f32 v1, v20, v21 :: v_dual_lshlrev_b32 v20, 16, v54
	s_mov_b32 s26, exec_lo
	s_delay_alu instid0(VALU_DEP_2) | instskip(NEXT) | instid1(VALU_DEP_2)
	v_lshlrev_b64 v[18:19], 1, v[18:19]
	v_add_f32_e32 v1, v1, v20
	s_delay_alu instid0(VALU_DEP_2) | instskip(NEXT) | instid1(VALU_DEP_2)
	v_add_co_u32 v18, vcc_lo, s10, v18
	v_and_b32_e32 v20, 0x7f800000, v1
	s_delay_alu instid0(VALU_DEP_4)
	v_add_co_ci_u32_e32 v19, vcc_lo, s11, v19, vcc_lo
	global_store_d16_hi_b16 v[18:19], v0, off
                                        ; implicit-def: $vgpr0
	v_cmpx_ne_u32_e32 0x7f800000, v20
	s_xor_b32 s26, exec_lo, s26
; %bb.67:                               ;   in Loop: Header=BB287_14 Depth=1
	v_bfe_u32 v0, v1, 16, 1
	s_delay_alu instid0(VALU_DEP_1)
	v_add3_u32 v0, v1, v0, 0x7fff
                                        ; implicit-def: $vgpr1
; %bb.68:                               ;   in Loop: Header=BB287_14 Depth=1
	s_and_not1_saveexec_b32 s26, s26
; %bb.69:                               ;   in Loop: Header=BB287_14 Depth=1
	v_and_b32_e32 v0, 0xffff, v1
	v_or_b32_e32 v18, 0x10000, v1
	s_delay_alu instid0(VALU_DEP_2) | instskip(NEXT) | instid1(VALU_DEP_2)
	v_cmp_eq_u32_e32 vcc_lo, 0, v0
	v_cndmask_b32_e32 v0, v18, v1, vcc_lo
; %bb.70:                               ;   in Loop: Header=BB287_14 Depth=1
	s_or_b32 exec_lo, exec_lo, s26
	v_add_f32_e32 v1, v16, v17
	v_dual_mov_b32 v17, v34 :: v_dual_add_nc_u32 v16, 3, v33
	s_waitcnt vmcnt(7)
	v_lshlrev_b32_e32 v18, 16, v53
	s_mov_b32 s26, exec_lo
	s_delay_alu instid0(VALU_DEP_2) | instskip(NEXT) | instid1(VALU_DEP_2)
	v_lshlrev_b64 v[16:17], 1, v[16:17]
	v_add_f32_e32 v1, v1, v18
	s_delay_alu instid0(VALU_DEP_1) | instskip(NEXT) | instid1(VALU_DEP_3)
	v_and_b32_e32 v18, 0x7f800000, v1
	v_add_co_u32 v16, vcc_lo, s10, v16
	s_delay_alu instid0(VALU_DEP_4)
	v_add_co_ci_u32_e32 v17, vcc_lo, s11, v17, vcc_lo
	global_store_d16_hi_b16 v[16:17], v0, off
                                        ; implicit-def: $vgpr0
	v_cmpx_ne_u32_e32 0x7f800000, v18
	s_xor_b32 s26, exec_lo, s26
; %bb.71:                               ;   in Loop: Header=BB287_14 Depth=1
	v_bfe_u32 v0, v1, 16, 1
	s_delay_alu instid0(VALU_DEP_1)
	v_add3_u32 v0, v1, v0, 0x7fff
                                        ; implicit-def: $vgpr1
; %bb.72:                               ;   in Loop: Header=BB287_14 Depth=1
	s_and_not1_saveexec_b32 s26, s26
; %bb.73:                               ;   in Loop: Header=BB287_14 Depth=1
	v_and_b32_e32 v0, 0xffff, v1
	v_or_b32_e32 v16, 0x10000, v1
	s_delay_alu instid0(VALU_DEP_2) | instskip(NEXT) | instid1(VALU_DEP_2)
	v_cmp_eq_u32_e32 vcc_lo, 0, v0
	v_cndmask_b32_e32 v0, v16, v1, vcc_lo
; %bb.74:                               ;   in Loop: Header=BB287_14 Depth=1
	s_or_b32 exec_lo, exec_lo, s26
	s_waitcnt vmcnt(6)
	v_dual_add_f32 v1, v12, v13 :: v_dual_lshlrev_b32 v12, 16, v52
	v_add_nc_u32_e32 v33, s7, v33
	s_mov_b32 s26, exec_lo
	s_delay_alu instid0(VALU_DEP_2) | instskip(NEXT) | instid1(VALU_DEP_2)
	v_add_f32_e32 v1, v1, v12
	v_lshlrev_b64 v[12:13], 1, v[33:34]
	s_delay_alu instid0(VALU_DEP_2) | instskip(NEXT) | instid1(VALU_DEP_2)
	v_and_b32_e32 v16, 0x7f800000, v1
	v_add_co_u32 v12, vcc_lo, s10, v12
	s_delay_alu instid0(VALU_DEP_3)
	v_add_co_ci_u32_e32 v13, vcc_lo, s11, v13, vcc_lo
	global_store_d16_hi_b16 v[12:13], v0, off
                                        ; implicit-def: $vgpr0
	v_cmpx_ne_u32_e32 0x7f800000, v16
	s_xor_b32 s26, exec_lo, s26
; %bb.75:                               ;   in Loop: Header=BB287_14 Depth=1
	v_bfe_u32 v0, v1, 16, 1
	s_delay_alu instid0(VALU_DEP_1)
	v_add3_u32 v0, v1, v0, 0x7fff
                                        ; implicit-def: $vgpr1
; %bb.76:                               ;   in Loop: Header=BB287_14 Depth=1
	s_and_not1_saveexec_b32 s26, s26
; %bb.77:                               ;   in Loop: Header=BB287_14 Depth=1
	v_and_b32_e32 v0, 0xffff, v1
	v_or_b32_e32 v12, 0x10000, v1
	s_delay_alu instid0(VALU_DEP_2) | instskip(NEXT) | instid1(VALU_DEP_2)
	v_cmp_eq_u32_e32 vcc_lo, 0, v0
	v_cndmask_b32_e32 v0, v12, v1, vcc_lo
; %bb.78:                               ;   in Loop: Header=BB287_14 Depth=1
	s_or_b32 exec_lo, exec_lo, s26
	s_waitcnt vmcnt(5)
	v_dual_add_f32 v1, v8, v9 :: v_dual_lshlrev_b32 v12, 16, v51
	v_dual_mov_b32 v9, v34 :: v_dual_add_nc_u32 v8, 1, v33
	s_mov_b32 s26, exec_lo
	s_delay_alu instid0(VALU_DEP_2) | instskip(NEXT) | instid1(VALU_DEP_2)
	v_add_f32_e32 v1, v1, v12
	v_lshlrev_b64 v[8:9], 1, v[8:9]
	s_delay_alu instid0(VALU_DEP_2) | instskip(NEXT) | instid1(VALU_DEP_2)
	v_and_b32_e32 v12, 0x7f800000, v1
	v_add_co_u32 v8, vcc_lo, s10, v8
	s_delay_alu instid0(VALU_DEP_3)
	v_add_co_ci_u32_e32 v9, vcc_lo, s11, v9, vcc_lo
	global_store_d16_hi_b16 v[8:9], v0, off
                                        ; implicit-def: $vgpr0
	v_cmpx_ne_u32_e32 0x7f800000, v12
	s_xor_b32 s26, exec_lo, s26
; %bb.79:                               ;   in Loop: Header=BB287_14 Depth=1
	v_bfe_u32 v0, v1, 16, 1
	s_delay_alu instid0(VALU_DEP_1)
	v_add3_u32 v0, v1, v0, 0x7fff
                                        ; implicit-def: $vgpr1
; %bb.80:                               ;   in Loop: Header=BB287_14 Depth=1
	s_and_not1_saveexec_b32 s26, s26
; %bb.81:                               ;   in Loop: Header=BB287_14 Depth=1
	v_and_b32_e32 v0, 0xffff, v1
	v_or_b32_e32 v8, 0x10000, v1
	s_delay_alu instid0(VALU_DEP_2) | instskip(NEXT) | instid1(VALU_DEP_2)
	v_cmp_eq_u32_e32 vcc_lo, 0, v0
	v_cndmask_b32_e32 v0, v8, v1, vcc_lo
; %bb.82:                               ;   in Loop: Header=BB287_14 Depth=1
	s_or_b32 exec_lo, exec_lo, s26
	s_waitcnt lgkmcnt(3)
	v_dual_add_f32 v1, v14, v15 :: v_dual_add_nc_u32 v8, 2, v33
	s_waitcnt vmcnt(4)
	v_dual_mov_b32 v9, v34 :: v_dual_lshlrev_b32 v12, 16, v45
	s_mov_b32 s26, exec_lo
	s_delay_alu instid0(VALU_DEP_1) | instskip(NEXT) | instid1(VALU_DEP_2)
	v_add_f32_e32 v1, v1, v12
	v_lshlrev_b64 v[8:9], 1, v[8:9]
	s_delay_alu instid0(VALU_DEP_2) | instskip(NEXT) | instid1(VALU_DEP_2)
	v_and_b32_e32 v12, 0x7f800000, v1
	v_add_co_u32 v8, vcc_lo, s10, v8
	s_delay_alu instid0(VALU_DEP_3)
	v_add_co_ci_u32_e32 v9, vcc_lo, s11, v9, vcc_lo
	global_store_d16_hi_b16 v[8:9], v0, off
                                        ; implicit-def: $vgpr0
	v_cmpx_ne_u32_e32 0x7f800000, v12
	s_xor_b32 s26, exec_lo, s26
; %bb.83:                               ;   in Loop: Header=BB287_14 Depth=1
	v_bfe_u32 v0, v1, 16, 1
	s_delay_alu instid0(VALU_DEP_1)
	v_add3_u32 v0, v1, v0, 0x7fff
                                        ; implicit-def: $vgpr1
; %bb.84:                               ;   in Loop: Header=BB287_14 Depth=1
	s_and_not1_saveexec_b32 s26, s26
; %bb.85:                               ;   in Loop: Header=BB287_14 Depth=1
	v_and_b32_e32 v0, 0xffff, v1
	v_or_b32_e32 v8, 0x10000, v1
	s_delay_alu instid0(VALU_DEP_2) | instskip(NEXT) | instid1(VALU_DEP_2)
	v_cmp_eq_u32_e32 vcc_lo, 0, v0
	v_cndmask_b32_e32 v0, v8, v1, vcc_lo
; %bb.86:                               ;   in Loop: Header=BB287_14 Depth=1
	s_or_b32 exec_lo, exec_lo, s26
	v_dual_add_f32 v1, v10, v11 :: v_dual_add_nc_u32 v8, 3, v33
	s_waitcnt vmcnt(3)
	v_dual_mov_b32 v9, v34 :: v_dual_lshlrev_b32 v10, 16, v43
	s_mov_b32 s26, exec_lo
	s_delay_alu instid0(VALU_DEP_1) | instskip(NEXT) | instid1(VALU_DEP_2)
	v_add_f32_e32 v1, v1, v10
	v_lshlrev_b64 v[8:9], 1, v[8:9]
	s_delay_alu instid0(VALU_DEP_2) | instskip(NEXT) | instid1(VALU_DEP_2)
	v_and_b32_e32 v10, 0x7f800000, v1
	v_add_co_u32 v8, vcc_lo, s10, v8
	s_delay_alu instid0(VALU_DEP_3)
	v_add_co_ci_u32_e32 v9, vcc_lo, s11, v9, vcc_lo
	global_store_d16_hi_b16 v[8:9], v0, off
                                        ; implicit-def: $vgpr8
	v_cmpx_ne_u32_e32 0x7f800000, v10
	s_xor_b32 s26, exec_lo, s26
; %bb.87:                               ;   in Loop: Header=BB287_14 Depth=1
	v_bfe_u32 v0, v1, 16, 1
	s_delay_alu instid0(VALU_DEP_1)
	v_add3_u32 v8, v1, v0, 0x7fff
                                        ; implicit-def: $vgpr1
; %bb.88:                               ;   in Loop: Header=BB287_14 Depth=1
	s_and_not1_saveexec_b32 s26, s26
; %bb.89:                               ;   in Loop: Header=BB287_14 Depth=1
	v_and_b32_e32 v0, 0xffff, v1
	v_or_b32_e32 v8, 0x10000, v1
	s_delay_alu instid0(VALU_DEP_2) | instskip(NEXT) | instid1(VALU_DEP_2)
	v_cmp_eq_u32_e32 vcc_lo, 0, v0
	v_cndmask_b32_e32 v8, v8, v1, vcc_lo
; %bb.90:                               ;   in Loop: Header=BB287_14 Depth=1
	s_or_b32 exec_lo, exec_lo, s26
	s_waitcnt vmcnt(2) lgkmcnt(1)
	v_dual_add_f32 v0, v6, v7 :: v_dual_lshlrev_b32 v1, 16, v37
	v_add_nc_u32_e32 v33, s7, v33
	s_delay_alu instid0(VALU_DEP_2) | instskip(NEXT) | instid1(VALU_DEP_2)
	v_add_f32_e32 v6, v0, v1
	v_lshlrev_b64 v[0:1], 1, v[33:34]
	s_delay_alu instid0(VALU_DEP_2) | instskip(NEXT) | instid1(VALU_DEP_2)
	v_and_b32_e32 v7, 0x7f800000, v6
	v_add_co_u32 v0, vcc_lo, s10, v0
	s_delay_alu instid0(VALU_DEP_3) | instskip(NEXT) | instid1(VALU_DEP_3)
	v_add_co_ci_u32_e32 v1, vcc_lo, s11, v1, vcc_lo
	v_cmp_ne_u32_e32 vcc_lo, 0x7f800000, v7
                                        ; implicit-def: $vgpr7
	global_store_d16_hi_b16 v[0:1], v8, off
	s_and_saveexec_b32 s26, vcc_lo
	s_delay_alu instid0(SALU_CYCLE_1)
	s_xor_b32 s26, exec_lo, s26
; %bb.91:                               ;   in Loop: Header=BB287_14 Depth=1
	v_bfe_u32 v7, v6, 16, 1
	s_delay_alu instid0(VALU_DEP_1)
	v_add3_u32 v7, v6, v7, 0x7fff
                                        ; implicit-def: $vgpr6
; %bb.92:                               ;   in Loop: Header=BB287_14 Depth=1
	s_and_not1_saveexec_b32 s26, s26
; %bb.93:                               ;   in Loop: Header=BB287_14 Depth=1
	v_and_b32_e32 v7, 0xffff, v6
	v_or_b32_e32 v8, 0x10000, v6
	s_delay_alu instid0(VALU_DEP_2) | instskip(NEXT) | instid1(VALU_DEP_2)
	v_cmp_eq_u32_e32 vcc_lo, 0, v7
	v_cndmask_b32_e32 v7, v8, v6, vcc_lo
; %bb.94:                               ;   in Loop: Header=BB287_14 Depth=1
	s_or_b32 exec_lo, exec_lo, s26
	s_waitcnt lgkmcnt(0)
	v_add_f32_e32 v4, v4, v5
	s_waitcnt vmcnt(1)
	v_lshlrev_b32_e32 v5, 16, v29
	global_store_d16_hi_b16 v[0:1], v7, off offset:2
	v_add_f32_e32 v5, v4, v5
	s_delay_alu instid0(VALU_DEP_1) | instskip(NEXT) | instid1(VALU_DEP_1)
	v_and_b32_e32 v4, 0x7f800000, v5
	v_cmp_ne_u32_e32 vcc_lo, 0x7f800000, v4
                                        ; implicit-def: $vgpr4
	s_and_saveexec_b32 s26, vcc_lo
	s_delay_alu instid0(SALU_CYCLE_1)
	s_xor_b32 s26, exec_lo, s26
; %bb.95:                               ;   in Loop: Header=BB287_14 Depth=1
	v_bfe_u32 v4, v5, 16, 1
	s_delay_alu instid0(VALU_DEP_1)
	v_add3_u32 v4, v5, v4, 0x7fff
                                        ; implicit-def: $vgpr5
; %bb.96:                               ;   in Loop: Header=BB287_14 Depth=1
	s_and_not1_saveexec_b32 s26, s26
; %bb.97:                               ;   in Loop: Header=BB287_14 Depth=1
	v_and_b32_e32 v4, 0xffff, v5
	v_or_b32_e32 v6, 0x10000, v5
	s_delay_alu instid0(VALU_DEP_2) | instskip(NEXT) | instid1(VALU_DEP_2)
	v_cmp_eq_u32_e32 vcc_lo, 0, v4
	v_cndmask_b32_e32 v4, v6, v5, vcc_lo
; %bb.98:                               ;   in Loop: Header=BB287_14 Depth=1
	s_or_b32 exec_lo, exec_lo, s26
	s_waitcnt vmcnt(0)
	v_dual_add_f32 v2, v2, v3 :: v_dual_lshlrev_b32 v3, 16, v26
	global_store_d16_hi_b16 v[0:1], v4, off offset:4
	v_add_f32_e32 v2, v2, v3
	s_delay_alu instid0(VALU_DEP_1) | instskip(NEXT) | instid1(VALU_DEP_1)
	v_and_b32_e32 v3, 0x7f800000, v2
	v_cmp_ne_u32_e32 vcc_lo, 0x7f800000, v3
                                        ; implicit-def: $vgpr3
	s_and_saveexec_b32 s26, vcc_lo
	s_delay_alu instid0(SALU_CYCLE_1)
	s_xor_b32 s26, exec_lo, s26
; %bb.99:                               ;   in Loop: Header=BB287_14 Depth=1
	v_bfe_u32 v3, v2, 16, 1
	s_delay_alu instid0(VALU_DEP_1)
	v_add3_u32 v3, v2, v3, 0x7fff
                                        ; implicit-def: $vgpr2
; %bb.100:                              ;   in Loop: Header=BB287_14 Depth=1
	s_and_not1_saveexec_b32 s26, s26
	s_cbranch_execz .LBB287_12
; %bb.101:                              ;   in Loop: Header=BB287_14 Depth=1
	v_and_b32_e32 v3, 0xffff, v2
	v_or_b32_e32 v4, 0x10000, v2
	s_delay_alu instid0(VALU_DEP_2) | instskip(NEXT) | instid1(VALU_DEP_2)
	v_cmp_eq_u32_e32 vcc_lo, 0, v3
	v_cndmask_b32_e32 v3, v4, v2, vcc_lo
	s_branch .LBB287_12
.LBB287_102:
	s_nop 0
	s_sendmsg sendmsg(MSG_DEALLOC_VGPRS)
	s_endpgm
	.section	.rodata,"a",@progbits
	.p2align	6, 0x0
	.amdhsa_kernel _Z16wvSplitK_hf_sml_I14__hip_bfloat16Li32ELi4ELi16ELi8ELi1ELi5EEviiiiiiPKT_S3_S3_PS1_ii
		.amdhsa_group_segment_fixed_size 65536
		.amdhsa_private_segment_fixed_size 0
		.amdhsa_kernarg_size 64
		.amdhsa_user_sgpr_count 15
		.amdhsa_user_sgpr_dispatch_ptr 0
		.amdhsa_user_sgpr_queue_ptr 0
		.amdhsa_user_sgpr_kernarg_segment_ptr 1
		.amdhsa_user_sgpr_dispatch_id 0
		.amdhsa_user_sgpr_private_segment_size 0
		.amdhsa_wavefront_size32 1
		.amdhsa_uses_dynamic_stack 0
		.amdhsa_enable_private_segment 0
		.amdhsa_system_sgpr_workgroup_id_x 1
		.amdhsa_system_sgpr_workgroup_id_y 0
		.amdhsa_system_sgpr_workgroup_id_z 0
		.amdhsa_system_sgpr_workgroup_info 0
		.amdhsa_system_vgpr_workitem_id 1
		.amdhsa_next_free_vgpr 92
		.amdhsa_next_free_sgpr 27
		.amdhsa_reserve_vcc 1
		.amdhsa_float_round_mode_32 0
		.amdhsa_float_round_mode_16_64 0
		.amdhsa_float_denorm_mode_32 3
		.amdhsa_float_denorm_mode_16_64 3
		.amdhsa_dx10_clamp 1
		.amdhsa_ieee_mode 1
		.amdhsa_fp16_overflow 0
		.amdhsa_workgroup_processor_mode 1
		.amdhsa_memory_ordered 1
		.amdhsa_forward_progress 0
		.amdhsa_shared_vgpr_count 0
		.amdhsa_exception_fp_ieee_invalid_op 0
		.amdhsa_exception_fp_denorm_src 0
		.amdhsa_exception_fp_ieee_div_zero 0
		.amdhsa_exception_fp_ieee_overflow 0
		.amdhsa_exception_fp_ieee_underflow 0
		.amdhsa_exception_fp_ieee_inexact 0
		.amdhsa_exception_int_div_zero 0
	.end_amdhsa_kernel
	.section	.text._Z16wvSplitK_hf_sml_I14__hip_bfloat16Li32ELi4ELi16ELi8ELi1ELi5EEviiiiiiPKT_S3_S3_PS1_ii,"axG",@progbits,_Z16wvSplitK_hf_sml_I14__hip_bfloat16Li32ELi4ELi16ELi8ELi1ELi5EEviiiiiiPKT_S3_S3_PS1_ii,comdat
.Lfunc_end287:
	.size	_Z16wvSplitK_hf_sml_I14__hip_bfloat16Li32ELi4ELi16ELi8ELi1ELi5EEviiiiiiPKT_S3_S3_PS1_ii, .Lfunc_end287-_Z16wvSplitK_hf_sml_I14__hip_bfloat16Li32ELi4ELi16ELi8ELi1ELi5EEviiiiiiPKT_S3_S3_PS1_ii
                                        ; -- End function
	.section	.AMDGPU.csdata,"",@progbits
; Kernel info:
; codeLenInByte = 8800
; NumSgprs: 29
; NumVgprs: 92
; ScratchSize: 0
; MemoryBound: 0
; FloatMode: 240
; IeeeMode: 1
; LDSByteSize: 65536 bytes/workgroup (compile time only)
; SGPRBlocks: 3
; VGPRBlocks: 11
; NumSGPRsForWavesPerEU: 29
; NumVGPRsForWavesPerEU: 92
; Occupancy: 8
; WaveLimiterHint : 0
; COMPUTE_PGM_RSRC2:SCRATCH_EN: 0
; COMPUTE_PGM_RSRC2:USER_SGPR: 15
; COMPUTE_PGM_RSRC2:TRAP_HANDLER: 0
; COMPUTE_PGM_RSRC2:TGID_X_EN: 1
; COMPUTE_PGM_RSRC2:TGID_Y_EN: 0
; COMPUTE_PGM_RSRC2:TGID_Z_EN: 0
; COMPUTE_PGM_RSRC2:TIDIG_COMP_CNT: 1
	.section	.text._Z12wvSplitK_hf_I14__hip_bfloat16Li32ELi4ELi16ELi8ELi1ELi5EEviiiiiiPKT_S3_S3_PS1_ii,"axG",@progbits,_Z12wvSplitK_hf_I14__hip_bfloat16Li32ELi4ELi16ELi8ELi1ELi5EEviiiiiiPKT_S3_S3_PS1_ii,comdat
	.protected	_Z12wvSplitK_hf_I14__hip_bfloat16Li32ELi4ELi16ELi8ELi1ELi5EEviiiiiiPKT_S3_S3_PS1_ii ; -- Begin function _Z12wvSplitK_hf_I14__hip_bfloat16Li32ELi4ELi16ELi8ELi1ELi5EEviiiiiiPKT_S3_S3_PS1_ii
	.globl	_Z12wvSplitK_hf_I14__hip_bfloat16Li32ELi4ELi16ELi8ELi1ELi5EEviiiiiiPKT_S3_S3_PS1_ii
	.p2align	8
	.type	_Z12wvSplitK_hf_I14__hip_bfloat16Li32ELi4ELi16ELi8ELi1ELi5EEviiiiiiPKT_S3_S3_PS1_ii,@function
_Z12wvSplitK_hf_I14__hip_bfloat16Li32ELi4ELi16ELi8ELi1ELi5EEviiiiiiPKT_S3_S3_PS1_ii: ; @_Z12wvSplitK_hf_I14__hip_bfloat16Li32ELi4ELi16ELi8ELi1ELi5EEviiiiiiPKT_S3_S3_PS1_ii
; %bb.0:
	s_clause 0x1
	s_load_b64 s[20:21], s[0:1], 0x38
	s_load_b128 s[8:11], s[0:1], 0x0
	v_bfe_u32 v5, v0, 10, 10
	s_clause 0x1
	s_load_b64 s[16:17], s[0:1], 0x20
	s_load_b64 s[18:19], s[0:1], 0x10
	s_mov_b32 s4, 1
	s_delay_alu instid0(SALU_CYCLE_1) | instskip(SKIP_4) | instid1(SALU_CYCLE_1)
	s_mov_b32 s5, s4
	s_mov_b32 s6, s4
	;; [unrolled: 1-line block ×3, first 2 shown]
	s_waitcnt lgkmcnt(0)
	s_mul_i32 s15, s15, s20
	v_add_lshl_u32 v41, s15, v5, 2
	s_delay_alu instid0(VALU_DEP_1) | instskip(SKIP_1) | instid1(VALU_DEP_2)
	v_add_nc_u32_e32 v1, 4, v41
	v_cmp_gt_u32_e32 vcc_lo, s11, v41
	v_cmp_le_u32_e64 s2, s11, v1
	v_dual_mov_b32 v1, s4 :: v_dual_mov_b32 v4, s7
	v_dual_mov_b32 v2, s5 :: v_dual_mov_b32 v3, s6
	s_delay_alu instid0(VALU_DEP_3) | instskip(NEXT) | instid1(SALU_CYCLE_1)
	s_and_b32 s2, vcc_lo, s2
	s_and_saveexec_b32 s12, s2
	s_cbranch_execz .LBB288_6
; %bb.1:
	v_dual_mov_b32 v1, s4 :: v_dual_mov_b32 v2, s5
	v_dual_mov_b32 v3, s6 :: v_dual_mov_b32 v4, s7
	s_add_i32 s13, s11, -4
	s_mov_b32 s14, exec_lo
	v_cmpx_ne_u32_e64 s13, v41
	s_cbranch_execz .LBB288_5
; %bb.2:
	v_subrev_nc_u32_e32 v1, s13, v41
	s_mov_b32 s15, 0
	s_mov_b64 s[2:3], 0
	s_mov_b32 s5, s4
	s_mov_b32 s6, s4
	v_cmp_lt_u32_e32 vcc_lo, 1, v1
	s_mov_b32 s7, s4
	v_cndmask_b32_e32 v6, 1, v1, vcc_lo
	.p2align	6
.LBB288_3:                              ; =>This Inner Loop Header: Depth=1
	s_cmp_lg_u32 s2, 3
	s_cselect_b32 s7, s7, 0
	s_cmp_lg_u32 s2, 2
	s_cselect_b32 s6, s6, 0
	;; [unrolled: 2-line block ×4, first 2 shown]
	s_add_u32 s2, s2, 1
	v_dual_mov_b32 v1, s4 :: v_dual_mov_b32 v2, s5
	v_cmp_eq_u32_e32 vcc_lo, s2, v6
	v_dual_mov_b32 v3, s6 :: v_dual_mov_b32 v4, s7
	s_addc_u32 s3, s3, 0
	s_or_b32 s15, vcc_lo, s15
	s_delay_alu instid0(SALU_CYCLE_1)
	s_and_not1_b32 exec_lo, exec_lo, s15
	s_cbranch_execnz .LBB288_3
; %bb.4:
	s_or_b32 exec_lo, exec_lo, s15
	v_mov_b32_e32 v41, s13
.LBB288_5:
	s_or_b32 exec_lo, exec_lo, s14
.LBB288_6:
	s_delay_alu instid0(SALU_CYCLE_1) | instskip(SKIP_2) | instid1(SALU_CYCLE_1)
	s_or_b32 exec_lo, exec_lo, s12
	v_and_b32_e32 v6, 0x3ff, v0
	s_mul_i32 s2, s10, 5
	s_min_u32 s3, s2, 0x8000
	s_mov_b32 s2, exec_lo
	s_delay_alu instid0(VALU_DEP_1) | instskip(NEXT) | instid1(VALU_DEP_1)
	v_lshlrev_b32_e32 v0, 3, v6
	v_lshl_add_u32 v8, v5, 8, v0
	s_delay_alu instid0(VALU_DEP_1)
	v_cmpx_gt_u32_e64 s3, v8
	s_cbranch_execz .LBB288_15
; %bb.7:
	v_lshlrev_b32_e32 v7, 1, v8
	v_add_nc_u32_e32 v13, 0x1000, v8
	s_mov_b32 s4, exec_lo
	global_load_b128 v[9:12], v7, s[16:17]
	s_waitcnt vmcnt(0)
	ds_store_b128 v7, v[9:12]
	v_cmpx_gt_u32_e64 s3, v13
	s_xor_b32 s4, exec_lo, s4
	s_cbranch_execz .LBB288_15
; %bb.8:
	v_add_co_u32 v9, s4, s16, v7
	s_delay_alu instid0(VALU_DEP_1) | instskip(SKIP_1) | instid1(VALU_DEP_3)
	v_add_co_ci_u32_e64 v10, null, s17, 0, s4
	v_add_nc_u32_e32 v15, 0x2000, v8
	v_add_co_u32 v11, vcc_lo, 0x2000, v9
	s_delay_alu instid0(VALU_DEP_3)
	v_add_co_ci_u32_e32 v12, vcc_lo, 0, v10, vcc_lo
	s_mov_b32 s4, exec_lo
	global_load_b128 v[11:14], v[11:12], off
	s_waitcnt vmcnt(0)
	ds_store_b128 v7, v[11:14] offset:8192
	v_cmpx_gt_u32_e64 s3, v15
	s_xor_b32 s4, exec_lo, s4
	s_cbranch_execz .LBB288_15
; %bb.9:
	v_add_co_u32 v11, vcc_lo, 0x4000, v9
	v_add_co_ci_u32_e32 v12, vcc_lo, 0, v10, vcc_lo
	v_add_nc_u32_e32 v15, 0x3000, v8
	s_mov_b32 s4, exec_lo
	global_load_b128 v[11:14], v[11:12], off
	s_waitcnt vmcnt(0)
	ds_store_b128 v7, v[11:14] offset:16384
	v_cmpx_gt_u32_e64 s3, v15
	s_xor_b32 s4, exec_lo, s4
	s_cbranch_execz .LBB288_15
; %bb.10:
	v_add_co_u32 v11, vcc_lo, 0x6000, v9
	v_add_co_ci_u32_e32 v12, vcc_lo, 0, v10, vcc_lo
	v_add_nc_u32_e32 v15, 0x4000, v8
	;; [unrolled: 11-line block ×5, first 2 shown]
	global_load_b128 v[11:14], v[11:12], off
	v_cmp_gt_u32_e32 vcc_lo, s3, v8
	s_waitcnt vmcnt(0)
	ds_store_b128 v7, v[11:14] offset:49152
	s_and_saveexec_b32 s3, vcc_lo
	s_delay_alu instid0(SALU_CYCLE_1)
	s_xor_b32 s3, exec_lo, s3
	s_cbranch_execz .LBB288_15
; %bb.14:
	v_add_co_u32 v8, vcc_lo, 0xe000, v9
	v_add_co_ci_u32_e32 v9, vcc_lo, 0, v10, vcc_lo
	global_load_b128 v[8:11], v[8:9], off
	s_waitcnt vmcnt(0)
	ds_store_b128 v7, v[8:11] offset:57344
.LBB288_15:
	s_or_b32 exec_lo, exec_lo, s2
	v_cmp_gt_u32_e32 vcc_lo, s20, v5
	v_cmp_gt_u32_e64 s2, s11, v41
	s_waitcnt lgkmcnt(0)
	s_barrier
	buffer_gl0_inv
	s_and_b32 s2, vcc_lo, s2
	s_delay_alu instid0(SALU_CYCLE_1)
	s_and_saveexec_b32 s3, s2
	s_cbranch_execz .LBB288_172
; %bb.16:
	s_clause 0x1
	s_load_b128 s[12:15], s[0:1], 0x28
	s_load_b64 s[6:7], s[0:1], 0x18
	s_cmp_lg_u32 s8, 0
	v_cvt_f32_u32_e32 v7, s18
	s_cselect_b32 s22, -1, 0
	s_add_i32 s23, s8, -8
	s_add_i32 s24, s11, -1
	s_mul_i32 s0, s20, s21
	v_mad_u64_u32 v[44:45], null, s10, 3, v[0:1]
	v_add_nc_u32_e32 v59, s10, v0
	s_mul_i32 s33, s10, 6
	v_lshlrev_b32_e32 v58, 4, v6
	s_waitcnt lgkmcnt(0)
	s_cmp_lg_u64 s[12:13], 0
	s_cselect_b32 s25, -1, 0
	s_abs_i32 s1, s19
	s_lshl_b32 s20, s0, 2
	v_cvt_f32_u32_e32 v5, s1
	s_sub_i32 s0, 0, s1
	s_add_i32 s21, s11, -4
	s_sub_i32 s3, 0, s18
	s_sub_i32 s4, 1, s1
	v_rcp_iflag_f32_e32 v5, v5
	s_mov_b32 s19, 0
	s_waitcnt_depctr 0xfff
	v_mul_f32_e32 v5, 0x4f7ffffe, v5
	s_delay_alu instid0(VALU_DEP_1) | instskip(NEXT) | instid1(VALU_DEP_1)
	v_cvt_u32_f32_e32 v5, v5
	v_readfirstlane_b32 s2, v5
	v_rcp_iflag_f32_e32 v5, v7
	v_mbcnt_lo_u32_b32 v7, -1, 0
	s_delay_alu instid0(VALU_DEP_2) | instskip(NEXT) | instid1(VALU_DEP_1)
	s_mul_i32 s0, s0, s2
	v_xor_b32_e32 v8, 16, v7
	s_mul_hi_u32 s0, s2, s0
	s_delay_alu instid0(SALU_CYCLE_1) | instskip(SKIP_1) | instid1(VALU_DEP_1)
	s_add_i32 s2, s2, s0
	s_cmp_lt_u32 s1, 2
	v_cmp_gt_i32_e32 vcc_lo, 32, v8
	s_cselect_b32 s4, s4, 1
	v_cmp_eq_u32_e64 s0, 31, v6
	s_sub_i32 s5, s4, s1
	s_cmp_ge_u32 s4, s1
	v_cndmask_b32_e32 v7, v7, v8, vcc_lo
	s_waitcnt_depctr 0xfff
	v_mul_f32_e32 v5, 0x4f7ffffe, v5
	s_cselect_b32 s26, s5, s4
	s_lshr_b32 s4, s2, 31
	s_mul_i32 s26, s26, s18
	v_lshlrev_b32_e32 v60, 2, v7
	s_mul_i32 s4, s4, s1
	v_cvt_u32_f32_e32 v5, v5
	s_sub_i32 s4, 2, s4
	s_delay_alu instid0(SALU_CYCLE_1) | instskip(SKIP_1) | instid1(VALU_DEP_1)
	s_sub_i32 s5, s4, s1
	s_cmp_ge_u32 s4, s1
	v_mul_lo_u32 v6, s3, v5
	s_cselect_b32 s3, s5, s4
	s_mul_hi_u32 s4, s2, 3
	s_sub_i32 s5, s3, s1
	s_cmp_ge_u32 s3, s1
	s_mul_i32 s4, s4, s1
	s_cselect_b32 s27, s5, s3
	s_sub_i32 s3, 3, s4
	v_mul_hi_u32 v6, v5, v6
	s_sub_i32 s4, s3, s1
	s_cmp_ge_u32 s3, s1
	s_mul_i32 s27, s27, s18
	s_cselect_b32 s3, s4, s3
	s_delay_alu instid0(SALU_CYCLE_1) | instskip(SKIP_1) | instid1(VALU_DEP_1)
	s_sub_i32 s4, s3, s1
	s_cmp_ge_u32 s3, s1
	v_add_nc_u32_e32 v61, v5, v6
	s_cselect_b32 s28, s4, s3
	s_lshr_b32 s2, s2, 30
	s_mul_i32 s28, s28, s18
	s_mul_i32 s2, s2, s1
	s_delay_alu instid0(SALU_CYCLE_1) | instskip(NEXT) | instid1(SALU_CYCLE_1)
	s_sub_i32 s2, 4, s2
	s_sub_i32 s3, s2, s1
	s_cmp_ge_u32 s2, s1
	s_cselect_b32 s2, s3, s2
	s_delay_alu instid0(SALU_CYCLE_1)
	s_sub_i32 s3, s2, s1
	s_cmp_ge_u32 s2, s1
	s_cselect_b32 s31, s3, s2
	s_lshl_b32 s29, s10, 1
	s_lshl_b32 s30, s10, 2
	v_dual_mov_b32 v43, 0 :: v_dual_add_nc_u32 v62, s29, v0
	v_add_nc_u32_e32 v63, s30, v0
	s_mul_i32 s31, s31, s18
	s_lshl_b32 s10, s10, 3
	s_branch .LBB288_19
.LBB288_17:                             ;   in Loop: Header=BB288_19 Depth=1
	s_or_b32 exec_lo, exec_lo, s35
	v_mov_b32_e32 v41, s21
.LBB288_18:                             ;   in Loop: Header=BB288_19 Depth=1
	s_or_b32 exec_lo, exec_lo, s34
	s_delay_alu instid0(VALU_DEP_1) | instskip(SKIP_1) | instid1(SALU_CYCLE_1)
	v_cmp_le_u32_e32 vcc_lo, s11, v41
	s_or_b32 s19, vcc_lo, s19
	s_and_not1_b32 exec_lo, exec_lo, s19
	s_cbranch_execz .LBB288_172
.LBB288_19:                             ; =>This Loop Header: Depth=1
                                        ;     Child Loop BB288_23 Depth 2
                                        ;     Child Loop BB288_170 Depth 2
	s_waitcnt vmcnt(8)
	v_dual_mov_b32 v64, v43 :: v_dual_add_nc_u32 v47, 1, v41
	v_dual_mov_b32 v65, v43 :: v_dual_add_nc_u32 v46, 2, v41
	v_dual_mov_b32 v66, v43 :: v_dual_add_nc_u32 v45, 3, v41
	v_mov_b32_e32 v67, v43
	v_mov_b32_e32 v68, v43
	;; [unrolled: 1-line block ×14, first 2 shown]
	s_waitcnt lgkmcnt(17)
	v_mov_b32_e32 v80, v43
	v_mov_b32_e32 v83, v43
	;; [unrolled: 1-line block ×3, first 2 shown]
	s_and_not1_b32 vcc_lo, exec_lo, s22
	s_cbranch_vccnz .LBB288_44
; %bb.20:                               ;   in Loop: Header=BB288_19 Depth=1
	v_min_u32_e32 v5, s24, v41
	s_waitcnt lgkmcnt(0)
	v_min_u32_e32 v6, s24, v47
	v_min_u32_e32 v7, s24, v46
	v_min_u32_e32 v8, s24, v45
	v_dual_mov_b32 v10, v43 :: v_dual_mov_b32 v81, 0
	v_mul_lo_u32 v42, v5, s9
	v_mul_lo_u32 v5, v6, s9
	;; [unrolled: 1-line block ×4, first 2 shown]
	v_dual_mov_b32 v6, v43 :: v_dual_mov_b32 v79, 0
	v_dual_mov_b32 v8, v43 :: v_dual_mov_b32 v83, 0
	v_lshlrev_b64 v[48:49], 1, v[42:43]
	s_delay_alu instid0(VALU_DEP_3)
	v_lshlrev_b64 v[50:51], 1, v[5:6]
	v_dual_mov_b32 v84, v58 :: v_dual_mov_b32 v77, 0
	s_waitcnt vmcnt(5)
	v_lshlrev_b64 v[52:53], 1, v[7:8]
	v_lshlrev_b64 v[54:55], 1, v[9:10]
	v_dual_mov_b32 v80, 0 :: v_dual_mov_b32 v75, 0
	v_dual_mov_b32 v82, 0 :: v_dual_mov_b32 v73, 0
	;; [unrolled: 1-line block ×6, first 2 shown]
	v_mov_b32_e32 v70, 0
	v_mov_b32_e32 v68, 0
	;; [unrolled: 1-line block ×4, first 2 shown]
	s_mov_b32 s1, 0
	s_branch .LBB288_23
.LBB288_21:                             ;   in Loop: Header=BB288_23 Depth=2
	s_or_b32 exec_lo, exec_lo, s3
.LBB288_22:                             ;   in Loop: Header=BB288_23 Depth=2
	s_delay_alu instid0(SALU_CYCLE_1)
	s_or_b32 exec_lo, exec_lo, s2
	s_waitcnt vmcnt(0) lgkmcnt(0)
	v_and_b32_e32 v90, 0xffff0000, v40
	v_and_b32_e32 v91, 0xffff0000, v36
	v_lshlrev_b32_e32 v40, 16, v40
	v_lshlrev_b32_e32 v36, 16, v36
	v_and_b32_e32 v56, 0xffff0000, v33
	v_and_b32_e32 v88, 0xffff0000, v39
	v_mul_f32_e32 v92, v90, v91
	v_and_b32_e32 v89, 0xffff0000, v35
	v_lshlrev_b32_e32 v39, 16, v39
	v_lshlrev_b32_e32 v35, 16, v35
	;; [unrolled: 1-line block ×3, first 2 shown]
	v_dual_fmac_f32 v92, v40, v36 :: v_dual_and_b32 v57, 0xffff0000, v38
	v_and_b32_e32 v85, 0xffff0000, v34
	v_lshlrev_b32_e32 v38, 16, v38
	v_lshlrev_b32_e32 v34, 16, v34
	v_add_nc_u32_e32 v84, 0x200, v84
	s_addk_i32 s1, 0x100
	v_mul_f32_e32 v87, v57, v85
	v_and_b32_e32 v42, 0xffff0000, v37
	s_cmp_ge_u32 s1, s8
	s_delay_alu instid0(VALU_DEP_2) | instskip(NEXT) | instid1(VALU_DEP_2)
	v_fmac_f32_e32 v87, v38, v34
	v_dual_mul_f32 v86, v42, v56 :: v_dual_lshlrev_b32 v37, 16, v37
	s_delay_alu instid0(VALU_DEP_1) | instskip(NEXT) | instid1(VALU_DEP_1)
	v_fmac_f32_e32 v86, v37, v33
	v_dual_add_f32 v79, v79, v86 :: v_dual_mul_f32 v86, v88, v89
	s_delay_alu instid0(VALU_DEP_1) | instskip(NEXT) | instid1(VALU_DEP_2)
	v_add_f32_e32 v79, v79, v87
	v_dual_fmac_f32 v86, v39, v35 :: v_dual_and_b32 v87, 0xffff0000, v29
	v_lshlrev_b32_e32 v29, 16, v29
	s_delay_alu instid0(VALU_DEP_2) | instskip(NEXT) | instid1(VALU_DEP_3)
	v_mul_f32_e32 v93, v42, v87
	v_add_f32_e32 v79, v79, v86
	v_and_b32_e32 v86, 0xffff0000, v30
	v_and_b32_e32 v99, 0xffff0000, v23
	;; [unrolled: 1-line block ×3, first 2 shown]
	v_fmac_f32_e32 v93, v37, v29
	s_delay_alu instid0(VALU_DEP_4) | instskip(NEXT) | instid1(VALU_DEP_2)
	v_dual_add_f32 v79, v79, v92 :: v_dual_mul_f32 v94, v57, v86
	v_dual_add_f32 v83, v83, v93 :: v_dual_and_b32 v92, 0xffff0000, v31
	v_lshlrev_b32_e32 v30, 16, v30
	v_and_b32_e32 v93, 0xffff0000, v21
	s_delay_alu instid0(VALU_DEP_2) | instskip(NEXT) | instid1(VALU_DEP_1)
	v_dual_mul_f32 v95, v88, v92 :: v_dual_fmac_f32 v94, v38, v30
	v_dual_mul_f32 v96, v42, v93 :: v_dual_add_f32 v83, v83, v94
	v_and_b32_e32 v94, 0xffff0000, v22
	v_lshlrev_b32_e32 v22, 16, v22
	s_delay_alu instid0(VALU_DEP_2) | instskip(NEXT) | instid1(VALU_DEP_1)
	v_dual_mul_f32 v98, v57, v94 :: v_dual_lshlrev_b32 v21, 16, v21
	v_dual_fmac_f32 v98, v38, v22 :: v_dual_lshlrev_b32 v31, 16, v31
	s_delay_alu instid0(VALU_DEP_1) | instskip(NEXT) | instid1(VALU_DEP_1)
	v_dual_fmac_f32 v96, v37, v21 :: v_dual_fmac_f32 v95, v39, v31
	v_add_f32_e32 v80, v80, v96
	v_mul_f32_e32 v96, v88, v99
	s_delay_alu instid0(VALU_DEP_3) | instskip(NEXT) | instid1(VALU_DEP_3)
	v_dual_mul_f32 v100, v90, v97 :: v_dual_add_f32 v83, v83, v95
	v_dual_add_f32 v80, v80, v98 :: v_dual_and_b32 v95, 0xffff0000, v13
	v_lshlrev_b32_e32 v13, 16, v13
	v_and_b32_e32 v101, 0xffff0000, v14
	v_lshlrev_b32_e32 v32, 16, v32
	s_delay_alu instid0(VALU_DEP_4) | instskip(SKIP_1) | instid1(VALU_DEP_2)
	v_mul_f32_e32 v42, v42, v95
	v_lshlrev_b32_e32 v14, 16, v14
	v_fmac_f32_e32 v42, v37, v13
	v_mul_f32_e32 v37, v57, v101
	v_and_b32_e32 v57, 0xffff0000, v15
	v_dual_fmac_f32 v100, v40, v32 :: v_dual_lshlrev_b32 v23, 16, v23
	s_delay_alu instid0(VALU_DEP_4) | instskip(NEXT) | instid1(VALU_DEP_2)
	v_dual_add_f32 v42, v82, v42 :: v_dual_lshlrev_b32 v15, 16, v15
	v_dual_fmac_f32 v37, v38, v14 :: v_dual_fmac_f32 v96, v39, v23
	v_and_b32_e32 v98, 0xffff0000, v24
	v_mul_f32_e32 v82, v88, v57
	v_and_b32_e32 v38, 0xffff0000, v25
	s_delay_alu instid0(VALU_DEP_4) | instskip(NEXT) | instid1(VALU_DEP_4)
	v_dual_add_f32 v37, v42, v37 :: v_dual_and_b32 v42, 0xffff0000, v16
	v_dual_mul_f32 v102, v90, v98 :: v_dual_add_f32 v83, v83, v100
	v_add_f32_e32 v80, v80, v96
	v_fmac_f32_e32 v82, v39, v15
	v_lshlrev_b32_e32 v24, 16, v24
	v_and_b32_e32 v39, 0xffff0000, v26
	v_lshlrev_b32_e32 v16, 16, v16
	v_dual_mul_f32 v90, v90, v42 :: v_dual_lshlrev_b32 v25, 16, v25
	v_dual_mul_f32 v88, v38, v56 :: v_dual_add_f32 v37, v37, v82
	v_fmac_f32_e32 v102, v40, v24
	s_delay_alu instid0(VALU_DEP_3) | instskip(SKIP_1) | instid1(VALU_DEP_4)
	v_fmac_f32_e32 v90, v40, v16
	v_lshlrev_b32_e32 v26, 16, v26
	v_fmac_f32_e32 v88, v25, v33
	v_mul_f32_e32 v96, v39, v85
	v_add_f32_e32 v80, v80, v102
	v_dual_add_f32 v82, v37, v90 :: v_dual_and_b32 v37, 0xffff0000, v28
	v_and_b32_e32 v100, 0xffff0000, v27
	v_dual_add_f32 v40, v81, v88 :: v_dual_lshlrev_b32 v27, 16, v27
	v_fmac_f32_e32 v96, v26, v34
	s_delay_alu instid0(VALU_DEP_3) | instskip(NEXT) | instid1(VALU_DEP_1)
	v_dual_mul_f32 v102, v39, v86 :: v_dual_mul_f32 v81, v100, v89
	v_dual_add_f32 v40, v40, v96 :: v_dual_fmac_f32 v81, v27, v35
	v_mul_f32_e32 v88, v38, v87
	v_mul_f32_e32 v96, v38, v93
	v_mul_f32_e32 v38, v38, v95
	s_delay_alu instid0(VALU_DEP_4) | instskip(NEXT) | instid1(VALU_DEP_4)
	v_add_f32_e32 v40, v40, v81
	v_fmac_f32_e32 v88, v25, v29
	s_delay_alu instid0(VALU_DEP_4) | instskip(NEXT) | instid1(VALU_DEP_4)
	v_fmac_f32_e32 v96, v25, v21
	v_fmac_f32_e32 v38, v25, v13
	s_delay_alu instid0(VALU_DEP_3) | instskip(NEXT) | instid1(VALU_DEP_3)
	v_add_f32_e32 v74, v74, v88
	v_dual_mul_f32 v88, v39, v94 :: v_dual_add_f32 v77, v77, v96
	v_mul_f32_e32 v39, v39, v101
	s_delay_alu instid0(VALU_DEP_4) | instskip(SKIP_1) | instid1(VALU_DEP_4)
	v_add_f32_e32 v38, v75, v38
	v_mul_f32_e32 v96, v37, v97
	v_fmac_f32_e32 v88, v26, v22
	s_delay_alu instid0(VALU_DEP_1) | instskip(SKIP_3) | instid1(VALU_DEP_3)
	v_add_f32_e32 v77, v77, v88
	v_fmac_f32_e32 v39, v26, v14
	v_mul_f32_e32 v88, v37, v98
	v_fmac_f32_e32 v102, v26, v30
	v_dual_add_f32 v38, v38, v39 :: v_dual_and_b32 v39, 0xffff0000, v18
	v_lshlrev_b32_e32 v18, 16, v18
	v_lshlrev_b32_e32 v28, 16, v28
	v_mul_f32_e32 v90, v37, v91
	v_add_f32_e32 v74, v74, v102
	s_delay_alu instid0(VALU_DEP_2) | instskip(NEXT) | instid1(VALU_DEP_1)
	v_fmac_f32_e32 v90, v28, v36
	v_add_f32_e32 v81, v40, v90
	v_mul_f32_e32 v90, v100, v99
	v_fmac_f32_e32 v88, v28, v24
	s_delay_alu instid0(VALU_DEP_2) | instskip(NEXT) | instid1(VALU_DEP_1)
	v_fmac_f32_e32 v90, v27, v23
	v_add_f32_e32 v25, v77, v90
	s_delay_alu instid0(VALU_DEP_1) | instskip(NEXT) | instid1(VALU_DEP_1)
	v_dual_mul_f32 v90, v39, v94 :: v_dual_add_f32 v77, v25, v88
	v_dual_mul_f32 v25, v100, v57 :: v_dual_fmac_f32 v90, v18, v22
	v_mul_f32_e32 v40, v100, v92
	v_mul_f32_e32 v88, v39, v86
	s_delay_alu instid0(VALU_DEP_3) | instskip(NEXT) | instid1(VALU_DEP_3)
	v_fmac_f32_e32 v25, v27, v15
	v_dual_fmac_f32 v40, v27, v31 :: v_dual_mul_f32 v27, v37, v42
	v_mul_f32_e32 v37, v39, v85
	s_delay_alu instid0(VALU_DEP_3) | instskip(SKIP_1) | instid1(VALU_DEP_3)
	v_dual_add_f32 v25, v38, v25 :: v_dual_and_b32 v38, 0xffff0000, v19
	v_dual_fmac_f32 v88, v18, v30 :: v_dual_lshlrev_b32 v19, 16, v19
	v_fmac_f32_e32 v37, v18, v34
	v_fmac_f32_e32 v27, v28, v16
	;; [unrolled: 1-line block ×3, first 2 shown]
	s_delay_alu instid0(VALU_DEP_2) | instskip(SKIP_2) | instid1(VALU_DEP_3)
	v_dual_mul_f32 v28, v38, v89 :: v_dual_add_f32 v75, v25, v27
	v_and_b32_e32 v25, 0xffff0000, v20
	v_add_f32_e32 v40, v74, v40
	v_fmac_f32_e32 v28, v19, v35
	v_lshlrev_b32_e32 v20, 16, v20
	s_delay_alu instid0(VALU_DEP_3) | instskip(SKIP_1) | instid1(VALU_DEP_1)
	v_add_f32_e32 v74, v40, v96
	v_and_b32_e32 v40, 0xffff0000, v17
	v_dual_mul_f32 v26, v40, v56 :: v_dual_lshlrev_b32 v17, 16, v17
	s_delay_alu instid0(VALU_DEP_1) | instskip(NEXT) | instid1(VALU_DEP_1)
	v_dual_mul_f32 v27, v40, v87 :: v_dual_fmac_f32 v26, v17, v33
	v_dual_fmac_f32 v27, v17, v29 :: v_dual_add_f32 v26, v76, v26
	s_delay_alu instid0(VALU_DEP_1) | instskip(SKIP_1) | instid1(VALU_DEP_3)
	v_add_f32_e32 v27, v78, v27
	v_mul_f32_e32 v78, v38, v92
	v_dual_add_f32 v26, v26, v37 :: v_dual_mul_f32 v37, v25, v91
	s_delay_alu instid0(VALU_DEP_2) | instskip(NEXT) | instid1(VALU_DEP_2)
	v_fmac_f32_e32 v78, v19, v31
	v_add_f32_e32 v26, v26, v28
	v_mul_f32_e32 v28, v40, v93
	s_delay_alu instid0(VALU_DEP_1) | instskip(NEXT) | instid1(VALU_DEP_1)
	v_dual_fmac_f32 v37, v20, v36 :: v_dual_fmac_f32 v28, v17, v21
	v_add_f32_e32 v76, v26, v37
	v_dual_add_f32 v26, v27, v88 :: v_dual_mul_f32 v37, v40, v95
	s_delay_alu instid0(VALU_DEP_3) | instskip(SKIP_2) | instid1(VALU_DEP_4)
	v_dual_add_f32 v27, v72, v28 :: v_dual_and_b32 v88, 0xffff0000, v10
	v_mul_f32_e32 v28, v38, v99
	v_mul_f32_e32 v38, v38, v57
	v_fmac_f32_e32 v37, v17, v13
	v_mul_f32_e32 v17, v39, v101
	v_add_f32_e32 v27, v27, v90
	v_dual_fmac_f32 v28, v19, v23 :: v_dual_and_b32 v39, 0xffff0000, v9
	v_lshlrev_b32_e32 v9, 16, v9
	s_delay_alu instid0(VALU_DEP_4) | instskip(NEXT) | instid1(VALU_DEP_3)
	v_fmac_f32_e32 v17, v18, v14
	v_dual_add_f32 v27, v27, v28 :: v_dual_lshlrev_b32 v10, 16, v10
	v_add_f32_e32 v28, v70, v37
	v_mul_f32_e32 v40, v25, v97
	v_dual_mul_f32 v18, v39, v56 :: v_dual_mul_f32 v37, v25, v98
	s_delay_alu instid0(VALU_DEP_3) | instskip(SKIP_1) | instid1(VALU_DEP_3)
	v_dual_fmac_f32 v38, v19, v15 :: v_dual_add_f32 v17, v28, v17
	v_mul_f32_e32 v25, v25, v42
	v_fmac_f32_e32 v18, v9, v33
	v_dual_mul_f32 v28, v88, v85 :: v_dual_and_b32 v19, 0xffff0000, v11
	s_delay_alu instid0(VALU_DEP_4) | instskip(NEXT) | instid1(VALU_DEP_3)
	v_add_f32_e32 v17, v17, v38
	v_dual_fmac_f32 v25, v20, v16 :: v_dual_add_f32 v18, v73, v18
	s_delay_alu instid0(VALU_DEP_3) | instskip(NEXT) | instid1(VALU_DEP_4)
	v_dual_fmac_f32 v28, v10, v34 :: v_dual_lshlrev_b32 v11, 16, v11
	v_mul_f32_e32 v38, v19, v99
	s_delay_alu instid0(VALU_DEP_3) | instskip(NEXT) | instid1(VALU_DEP_3)
	v_add_f32_e32 v70, v17, v25
	v_dual_mul_f32 v25, v39, v93 :: v_dual_add_f32 v18, v18, v28
	v_mul_f32_e32 v28, v88, v94
	s_delay_alu instid0(VALU_DEP_4) | instskip(SKIP_1) | instid1(VALU_DEP_4)
	v_fmac_f32_e32 v38, v11, v23
	v_mul_f32_e32 v17, v39, v87
	v_fmac_f32_e32 v25, v9, v21
	s_delay_alu instid0(VALU_DEP_4) | instskip(NEXT) | instid1(VALU_DEP_3)
	v_dual_mul_f32 v73, v19, v89 :: v_dual_fmac_f32 v28, v10, v22
	v_fmac_f32_e32 v17, v9, v29
	s_delay_alu instid0(VALU_DEP_3) | instskip(SKIP_3) | instid1(VALU_DEP_4)
	v_dual_add_f32 v25, v71, v25 :: v_dual_fmac_f32 v40, v20, v32
	v_fmac_f32_e32 v37, v20, v24
	v_and_b32_e32 v20, 0xffff0000, v12
	v_lshlrev_b32_e32 v12, 16, v12
	v_add_f32_e32 v25, v25, v28
	v_add_f32_e32 v17, v69, v17
	;; [unrolled: 1-line block ×3, first 2 shown]
	v_dual_mul_f32 v28, v20, v98 :: v_dual_mul_f32 v37, v19, v92
	s_delay_alu instid0(VALU_DEP_4) | instskip(SKIP_2) | instid1(VALU_DEP_4)
	v_add_f32_e32 v25, v25, v38
	v_fmac_f32_e32 v73, v11, v35
	v_mul_f32_e32 v27, v20, v91
	v_fmac_f32_e32 v28, v12, v24
	v_dual_add_f32 v26, v26, v78 :: v_dual_fmac_f32 v37, v11, v31
	s_delay_alu instid0(VALU_DEP_3) | instskip(NEXT) | instid1(VALU_DEP_3)
	v_dual_add_f32 v18, v18, v73 :: v_dual_fmac_f32 v27, v12, v36
	v_add_f32_e32 v71, v25, v28
	s_delay_alu instid0(VALU_DEP_3) | instskip(NEXT) | instid1(VALU_DEP_3)
	v_add_f32_e32 v78, v26, v40
	v_dual_mul_f32 v26, v88, v86 :: v_dual_add_f32 v73, v18, v27
	s_delay_alu instid0(VALU_DEP_1) | instskip(NEXT) | instid1(VALU_DEP_1)
	v_fmac_f32_e32 v26, v10, v30
	v_dual_add_f32 v17, v17, v26 :: v_dual_mul_f32 v26, v20, v97
	s_delay_alu instid0(VALU_DEP_1) | instskip(SKIP_1) | instid1(VALU_DEP_1)
	v_add_f32_e32 v17, v17, v37
	v_mul_f32_e32 v37, v39, v95
	v_fmac_f32_e32 v37, v9, v13
	v_mul_f32_e32 v9, v88, v101
	s_delay_alu instid0(VALU_DEP_2) | instskip(NEXT) | instid1(VALU_DEP_2)
	v_add_f32_e32 v25, v68, v37
	v_fmac_f32_e32 v9, v10, v14
	s_delay_alu instid0(VALU_DEP_1) | instskip(SKIP_4) | instid1(VALU_DEP_4)
	v_add_f32_e32 v9, v25, v9
	v_and_b32_e32 v25, 0xffff0000, v8
	v_fmac_f32_e32 v26, v12, v32
	v_lshlrev_b32_e32 v8, 16, v8
	v_mul_f32_e32 v10, v19, v57
	v_mul_f32_e32 v28, v25, v91
	s_delay_alu instid0(VALU_DEP_4)
	v_add_f32_e32 v69, v17, v26
	v_and_b32_e32 v17, 0xffff0000, v5
	v_lshlrev_b32_e32 v5, 16, v5
	v_and_b32_e32 v26, 0xffff0000, v6
	v_lshlrev_b32_e32 v6, 16, v6
	v_fmac_f32_e32 v28, v8, v36
	v_mul_f32_e32 v18, v17, v56
	s_delay_alu instid0(VALU_DEP_4) | instskip(SKIP_1) | instid1(VALU_DEP_3)
	v_dual_fmac_f32 v10, v11, v15 :: v_dual_mul_f32 v19, v26, v85
	v_dual_mul_f32 v11, v20, v42 :: v_dual_mul_f32 v20, v17, v87
	v_fmac_f32_e32 v18, v5, v33
	s_delay_alu instid0(VALU_DEP_3) | instskip(NEXT) | instid1(VALU_DEP_4)
	v_add_f32_e32 v9, v9, v10
	v_fmac_f32_e32 v19, v6, v34
	s_delay_alu instid0(VALU_DEP_4) | instskip(NEXT) | instid1(VALU_DEP_4)
	v_dual_fmac_f32 v11, v12, v16 :: v_dual_and_b32 v10, 0xffff0000, v7
	v_add_f32_e32 v18, v67, v18
	v_dual_fmac_f32 v20, v5, v29 :: v_dual_lshlrev_b32 v7, 16, v7
	s_delay_alu instid0(VALU_DEP_3) | instskip(NEXT) | instid1(VALU_DEP_3)
	v_dual_add_f32 v68, v9, v11 :: v_dual_mul_f32 v27, v10, v92
	v_add_f32_e32 v12, v18, v19
	v_mul_f32_e32 v18, v26, v86
	v_mul_f32_e32 v19, v10, v89
	s_delay_alu instid0(VALU_DEP_4) | instskip(NEXT) | instid1(VALU_DEP_2)
	v_dual_add_f32 v20, v66, v20 :: v_dual_fmac_f32 v27, v7, v31
	v_dual_fmac_f32 v18, v6, v30 :: v_dual_fmac_f32 v19, v7, v35
	s_delay_alu instid0(VALU_DEP_1) | instskip(SKIP_2) | instid1(VALU_DEP_4)
	v_add_f32_e32 v18, v20, v18
	v_mul_f32_e32 v20, v17, v93
	v_mul_f32_e32 v17, v17, v95
	v_dual_add_f32 v12, v12, v19 :: v_dual_mul_f32 v19, v26, v94
	s_delay_alu instid0(VALU_DEP_4) | instskip(NEXT) | instid1(VALU_DEP_4)
	v_add_f32_e32 v18, v18, v27
	v_fmac_f32_e32 v20, v5, v21
	s_delay_alu instid0(VALU_DEP_4) | instskip(NEXT) | instid1(VALU_DEP_4)
	v_fmac_f32_e32 v17, v5, v13
	v_add_f32_e32 v67, v12, v28
	v_mul_f32_e32 v5, v26, v101
	v_fmac_f32_e32 v19, v6, v22
	v_dual_add_f32 v13, v65, v20 :: v_dual_mul_f32 v20, v10, v99
	v_add_f32_e32 v17, v64, v17
	s_delay_alu instid0(VALU_DEP_4) | instskip(SKIP_4) | instid1(VALU_DEP_4)
	v_fmac_f32_e32 v5, v6, v14
	v_mul_f32_e32 v6, v10, v57
	v_mul_f32_e32 v21, v25, v97
	v_add_f32_e32 v10, v13, v19
	v_dual_fmac_f32 v20, v7, v23 :: v_dual_mul_f32 v13, v25, v98
	v_dual_add_f32 v5, v17, v5 :: v_dual_fmac_f32 v6, v7, v15
	v_mul_f32_e32 v7, v25, v42
	v_fmac_f32_e32 v21, v8, v32
	s_delay_alu instid0(VALU_DEP_4) | instskip(SKIP_2) | instid1(VALU_DEP_4)
	v_add_f32_e32 v10, v10, v20
	v_fmac_f32_e32 v13, v8, v24
	v_add_f32_e32 v5, v5, v6
	v_dual_fmac_f32 v7, v8, v16 :: v_dual_add_f32 v66, v18, v21
	s_delay_alu instid0(VALU_DEP_1)
	v_dual_add_f32 v65, v10, v13 :: v_dual_add_f32 v64, v5, v7
	s_cbranch_scc1 .LBB288_44
.LBB288_23:                             ;   Parent Loop BB288_19 Depth=1
                                        ; =>  This Inner Loop Header: Depth=2
	v_add_nc_u32_e32 v56, s1, v0
	v_dual_mov_b32 v20, 0 :: v_dual_mov_b32 v17, 0
	v_dual_mov_b32 v18, 0 :: v_dual_mov_b32 v27, 0
	s_delay_alu instid0(VALU_DEP_3) | instskip(SKIP_3) | instid1(VALU_DEP_3)
	v_min_u32_e32 v42, s23, v56
	v_dual_mov_b32 v28, 0 :: v_dual_mov_b32 v25, 0
	s_waitcnt vmcnt(1)
	v_dual_mov_b32 v26, 0 :: v_dual_mov_b32 v39, 0
	v_lshlrev_b64 v[5:6], 1, v[42:43]
	v_dual_mov_b32 v40, 0 :: v_dual_mov_b32 v37, 0
	v_dual_mov_b32 v38, 0 :: v_dual_mov_b32 v19, 0
	s_delay_alu instid0(VALU_DEP_3) | instskip(NEXT) | instid1(VALU_DEP_4)
	v_add_co_u32 v11, vcc_lo, s6, v5
	v_add_co_ci_u32_e32 v12, vcc_lo, s7, v6, vcc_lo
	s_delay_alu instid0(VALU_DEP_2) | instskip(NEXT) | instid1(VALU_DEP_2)
	v_add_co_u32 v5, vcc_lo, v11, v48
	v_add_co_ci_u32_e32 v6, vcc_lo, v12, v49, vcc_lo
	v_add_co_u32 v7, vcc_lo, v11, v50
	v_add_co_ci_u32_e32 v8, vcc_lo, v12, v51, vcc_lo
	;; [unrolled: 2-line block ×4, first 2 shown]
	s_clause 0x3
	global_load_b128 v[33:36], v[5:6], off slc dlc
	global_load_b128 v[29:32], v[7:8], off slc dlc
	;; [unrolled: 1-line block ×4, first 2 shown]
	v_dual_mov_b32 v8, 0 :: v_dual_mov_b32 v5, 0
	v_mov_b32_e32 v7, 0
	v_cmp_gt_u32_e32 vcc_lo, s8, v56
	v_dual_mov_b32 v6, 0 :: v_dual_mov_b32 v11, 0
	v_dual_mov_b32 v12, 0 :: v_dual_mov_b32 v9, 0
	v_mov_b32_e32 v10, 0
	s_and_saveexec_b32 s2, vcc_lo
	s_cbranch_execz .LBB288_22
; %bb.24:                               ;   in Loop: Header=BB288_23 Depth=2
	s_mov_b32 s3, exec_lo
                                        ; implicit-def: $vgpr40
	v_cmpx_lt_u32_e32 0x7fff, v56
	s_xor_b32 s3, exec_lo, s3
	s_cbranch_execz .LBB288_26
; %bb.25:                               ;   in Loop: Header=BB288_23 Depth=2
	v_mov_b32_e32 v57, v43
	s_delay_alu instid0(VALU_DEP_1) | instskip(NEXT) | instid1(VALU_DEP_1)
	v_lshlrev_b64 v[5:6], 1, v[56:57]
	v_add_co_u32 v5, vcc_lo, s16, v5
	s_delay_alu instid0(VALU_DEP_2)
	v_add_co_ci_u32_e32 v6, vcc_lo, s17, v6, vcc_lo
	global_load_b128 v[37:40], v[5:6], off
.LBB288_26:                             ;   in Loop: Header=BB288_23 Depth=2
	s_and_not1_saveexec_b32 s3, s3
	s_cbranch_execz .LBB288_28
; %bb.27:                               ;   in Loop: Header=BB288_23 Depth=2
	s_waitcnt vmcnt(0)
	ds_load_b128 v[37:40], v84
.LBB288_28:                             ;   in Loop: Header=BB288_23 Depth=2
	s_or_b32 exec_lo, exec_lo, s3
	v_add_nc_u32_e32 v42, s1, v59
	s_mov_b32 s3, exec_lo
                                        ; implicit-def: $vgpr28
	s_delay_alu instid0(VALU_DEP_1)
	v_cmpx_lt_u32_e32 0x7fff, v42
	s_xor_b32 s3, exec_lo, s3
	s_cbranch_execz .LBB288_30
; %bb.29:                               ;   in Loop: Header=BB288_23 Depth=2
	v_lshlrev_b64 v[5:6], 1, v[42:43]
	s_delay_alu instid0(VALU_DEP_1) | instskip(NEXT) | instid1(VALU_DEP_2)
	v_add_co_u32 v5, vcc_lo, s16, v5
	v_add_co_ci_u32_e32 v6, vcc_lo, s17, v6, vcc_lo
	global_load_b128 v[25:28], v[5:6], off
.LBB288_30:                             ;   in Loop: Header=BB288_23 Depth=2
	s_and_not1_saveexec_b32 s3, s3
	s_cbranch_execz .LBB288_32
; %bb.31:                               ;   in Loop: Header=BB288_23 Depth=2
	v_add_nc_u32_e32 v5, s29, v84
	s_waitcnt vmcnt(0)
	ds_load_b128 v[25:28], v5
.LBB288_32:                             ;   in Loop: Header=BB288_23 Depth=2
	s_or_b32 exec_lo, exec_lo, s3
	v_add_nc_u32_e32 v42, s1, v62
	s_mov_b32 s3, exec_lo
                                        ; implicit-def: $vgpr20
	s_delay_alu instid0(VALU_DEP_1)
	v_cmpx_lt_u32_e32 0x7fff, v42
	s_xor_b32 s3, exec_lo, s3
	s_cbranch_execz .LBB288_34
; %bb.33:                               ;   in Loop: Header=BB288_23 Depth=2
	v_lshlrev_b64 v[5:6], 1, v[42:43]
	s_delay_alu instid0(VALU_DEP_1) | instskip(NEXT) | instid1(VALU_DEP_2)
	v_add_co_u32 v5, vcc_lo, s16, v5
	v_add_co_ci_u32_e32 v6, vcc_lo, s17, v6, vcc_lo
	global_load_b128 v[17:20], v[5:6], off
.LBB288_34:                             ;   in Loop: Header=BB288_23 Depth=2
	s_and_not1_saveexec_b32 s3, s3
	s_cbranch_execz .LBB288_36
; %bb.35:                               ;   in Loop: Header=BB288_23 Depth=2
	v_add_nc_u32_e32 v5, s30, v84
	s_waitcnt vmcnt(0)
	ds_load_2addr_b32 v[17:18], v5 offset1:1
	ds_load_2addr_b32 v[19:20], v5 offset0:2 offset1:3
.LBB288_36:                             ;   in Loop: Header=BB288_23 Depth=2
	s_or_b32 exec_lo, exec_lo, s3
	v_add_nc_u32_e32 v42, s1, v44
	s_mov_b32 s3, exec_lo
                                        ; implicit-def: $vgpr12
	s_delay_alu instid0(VALU_DEP_1)
	v_cmpx_lt_u32_e32 0x7fff, v42
	s_xor_b32 s3, exec_lo, s3
	s_cbranch_execz .LBB288_38
; %bb.37:                               ;   in Loop: Header=BB288_23 Depth=2
	v_lshlrev_b64 v[5:6], 1, v[42:43]
	s_delay_alu instid0(VALU_DEP_1) | instskip(NEXT) | instid1(VALU_DEP_2)
	v_add_co_u32 v5, vcc_lo, s16, v5
	v_add_co_ci_u32_e32 v6, vcc_lo, s17, v6, vcc_lo
	global_load_b128 v[9:12], v[5:6], off
.LBB288_38:                             ;   in Loop: Header=BB288_23 Depth=2
	s_and_not1_saveexec_b32 s3, s3
	s_cbranch_execz .LBB288_40
; %bb.39:                               ;   in Loop: Header=BB288_23 Depth=2
	v_add_nc_u32_e32 v5, s33, v84
	s_waitcnt vmcnt(0)
	ds_load_b128 v[9:12], v5
.LBB288_40:                             ;   in Loop: Header=BB288_23 Depth=2
	s_or_b32 exec_lo, exec_lo, s3
	v_add_nc_u32_e32 v42, s1, v63
	s_mov_b32 s3, exec_lo
                                        ; implicit-def: $vgpr8
	s_delay_alu instid0(VALU_DEP_1)
	v_cmpx_lt_u32_e32 0x7fff, v42
	s_xor_b32 s3, exec_lo, s3
	s_cbranch_execz .LBB288_42
; %bb.41:                               ;   in Loop: Header=BB288_23 Depth=2
	v_lshlrev_b64 v[5:6], 1, v[42:43]
	s_delay_alu instid0(VALU_DEP_1) | instskip(NEXT) | instid1(VALU_DEP_2)
	v_add_co_u32 v5, vcc_lo, s16, v5
	v_add_co_ci_u32_e32 v6, vcc_lo, s17, v6, vcc_lo
	global_load_b128 v[5:8], v[5:6], off
.LBB288_42:                             ;   in Loop: Header=BB288_23 Depth=2
	s_and_not1_saveexec_b32 s3, s3
	s_cbranch_execz .LBB288_21
; %bb.43:                               ;   in Loop: Header=BB288_23 Depth=2
	s_waitcnt vmcnt(0)
	v_add_nc_u32_e32 v5, s10, v84
	ds_load_2addr_b64 v[5:8], v5 offset1:1
	s_branch .LBB288_21
.LBB288_44:                             ;   in Loop: Header=BB288_19 Depth=1
	s_delay_alu instid0(VALU_DEP_1)
	v_cvt_i32_f32_e32 v5, v79
	s_waitcnt lgkmcnt(1)
	v_cvt_i32_f32_e32 v8, v82
	s_waitcnt lgkmcnt(0)
	v_cvt_i32_f32_e32 v6, v83
	v_cvt_i32_f32_e32 v7, v80
	;; [unrolled: 1-line block ×3, first 2 shown]
	v_cvt_f32_i32_dpp v5, v5 row_shr:8 row_mask:0xf bank_mask:0xf bound_ctrl:1
	v_cvt_f32_i32_dpp v8, v8 row_shr:8 row_mask:0xf bank_mask:0xf bound_ctrl:1
	;; [unrolled: 1-line block ×5, first 2 shown]
	s_delay_alu instid0(VALU_DEP_4) | instskip(NEXT) | instid1(VALU_DEP_3)
	v_dual_add_f32 v5, v79, v5 :: v_dual_add_f32 v8, v82, v8
	v_dual_add_f32 v6, v83, v6 :: v_dual_add_f32 v7, v80, v7
	s_delay_alu instid0(VALU_DEP_2) | instskip(NEXT) | instid1(VALU_DEP_3)
	v_cvt_i32_f32_e32 v10, v5
	v_cvt_i32_f32_e32 v13, v8
	s_delay_alu instid0(VALU_DEP_3) | instskip(NEXT) | instid1(VALU_DEP_4)
	v_cvt_i32_f32_e32 v11, v6
	v_cvt_i32_f32_e32 v12, v7
	s_delay_alu instid0(VALU_DEP_4) | instskip(NEXT) | instid1(VALU_DEP_4)
	v_cvt_f32_i32_dpp v10, v10 row_shr:4 row_mask:0xf bank_mask:0xf bound_ctrl:1
	v_cvt_f32_i32_dpp v13, v13 row_shr:4 row_mask:0xf bank_mask:0xf bound_ctrl:1
	s_delay_alu instid0(VALU_DEP_4) | instskip(SKIP_2) | instid1(VALU_DEP_4)
	v_cvt_f32_i32_dpp v11, v11 row_shr:4 row_mask:0xf bank_mask:0xf bound_ctrl:1
	v_add_f32_e32 v9, v81, v9
	v_cvt_f32_i32_dpp v12, v12 row_shr:4 row_mask:0xf bank_mask:0xf bound_ctrl:1
	v_dual_add_f32 v5, v5, v10 :: v_dual_add_f32 v8, v8, v13
	s_delay_alu instid0(VALU_DEP_4) | instskip(NEXT) | instid1(VALU_DEP_4)
	v_add_f32_e32 v6, v6, v11
	v_cvt_i32_f32_e32 v14, v9
	s_delay_alu instid0(VALU_DEP_3) | instskip(NEXT) | instid1(VALU_DEP_4)
	v_cvt_i32_f32_e32 v10, v5
	v_cvt_i32_f32_e32 v13, v8
	s_delay_alu instid0(VALU_DEP_4) | instskip(NEXT) | instid1(VALU_DEP_4)
	v_cvt_i32_f32_e32 v11, v6
	v_cvt_f32_i32_dpp v14, v14 row_shr:4 row_mask:0xf bank_mask:0xf bound_ctrl:1
	s_delay_alu instid0(VALU_DEP_4) | instskip(NEXT) | instid1(VALU_DEP_4)
	v_cvt_f32_i32_dpp v10, v10 row_shr:2 row_mask:0xf bank_mask:0xf bound_ctrl:1
	v_cvt_f32_i32_dpp v13, v13 row_shr:2 row_mask:0xf bank_mask:0xf bound_ctrl:1
	s_delay_alu instid0(VALU_DEP_4) | instskip(SKIP_1) | instid1(VALU_DEP_3)
	v_cvt_f32_i32_dpp v11, v11 row_shr:2 row_mask:0xf bank_mask:0xf bound_ctrl:1
	v_add_f32_e32 v7, v7, v12
	v_dual_add_f32 v9, v9, v14 :: v_dual_add_f32 v8, v8, v13
	s_delay_alu instid0(VALU_DEP_3) | instskip(NEXT) | instid1(VALU_DEP_3)
	v_add_f32_e32 v6, v6, v11
	v_cvt_i32_f32_e32 v12, v7
	s_delay_alu instid0(VALU_DEP_3) | instskip(NEXT) | instid1(VALU_DEP_4)
	v_cvt_i32_f32_e32 v14, v9
	v_cvt_i32_f32_e32 v13, v8
	s_delay_alu instid0(VALU_DEP_4) | instskip(NEXT) | instid1(VALU_DEP_4)
	v_cvt_i32_f32_e32 v11, v6
	v_cvt_f32_i32_dpp v12, v12 row_shr:2 row_mask:0xf bank_mask:0xf bound_ctrl:1
	s_delay_alu instid0(VALU_DEP_4) | instskip(NEXT) | instid1(VALU_DEP_4)
	v_cvt_f32_i32_dpp v14, v14 row_shr:2 row_mask:0xf bank_mask:0xf bound_ctrl:1
	v_cvt_f32_i32_dpp v13, v13 row_shr:1 row_mask:0xf bank_mask:0xf bound_ctrl:1
	s_delay_alu instid0(VALU_DEP_4) | instskip(NEXT) | instid1(VALU_DEP_4)
	v_cvt_f32_i32_dpp v11, v11 row_shr:1 row_mask:0xf bank_mask:0xf bound_ctrl:1
	v_add_f32_e32 v7, v7, v12
	s_delay_alu instid0(VALU_DEP_3) | instskip(NEXT) | instid1(VALU_DEP_3)
	v_dual_add_f32 v5, v5, v10 :: v_dual_add_f32 v50, v8, v13
	v_add_f32_e32 v48, v6, v11
	v_cvt_i32_f32_e32 v8, v76
	s_delay_alu instid0(VALU_DEP_4)
	v_cvt_i32_f32_e32 v12, v7
	v_cvt_i32_f32_e32 v6, v77
	v_cvt_i32_f32_e32 v10, v5
	ds_bpermute_b32 v56, v60, v48
	v_cvt_f32_i32_dpp v8, v8 row_shr:8 row_mask:0xf bank_mask:0xf bound_ctrl:1
	v_add_f32_e32 v9, v9, v14
	v_cvt_f32_i32_dpp v12, v12 row_shr:1 row_mask:0xf bank_mask:0xf bound_ctrl:1
	v_cvt_f32_i32_dpp v6, v6 row_shr:8 row_mask:0xf bank_mask:0xf bound_ctrl:1
	;; [unrolled: 1-line block ×3, first 2 shown]
	v_add_f32_e32 v8, v76, v8
	v_cvt_i32_f32_e32 v14, v9
	s_delay_alu instid0(VALU_DEP_4) | instskip(SKIP_1) | instid1(VALU_DEP_4)
	v_dual_add_f32 v53, v7, v12 :: v_dual_add_f32 v6, v77, v6
	v_cvt_i32_f32_e32 v7, v75
	v_cvt_i32_f32_e32 v13, v8
	s_delay_alu instid0(VALU_DEP_4)
	v_cvt_f32_i32_dpp v14, v14 row_shr:1 row_mask:0xf bank_mask:0xf bound_ctrl:1
	ds_bpermute_b32 v54, v60, v53
	v_cvt_i32_f32_e32 v11, v6
	v_cvt_f32_i32_dpp v7, v7 row_shr:8 row_mask:0xf bank_mask:0xf bound_ctrl:1
	v_cvt_f32_i32_dpp v13, v13 row_shr:4 row_mask:0xf bank_mask:0xf bound_ctrl:1
	v_add_f32_e32 v37, v9, v14
	v_cvt_i32_f32_e32 v9, v78
	v_cvt_f32_i32_dpp v11, v11 row_shr:4 row_mask:0xf bank_mask:0xf bound_ctrl:1
	s_delay_alu instid0(VALU_DEP_4) | instskip(SKIP_1) | instid1(VALU_DEP_4)
	v_dual_add_f32 v79, v5, v10 :: v_dual_add_f32 v8, v8, v13
	v_cvt_i32_f32_e32 v5, v74
	v_cvt_f32_i32_dpp v9, v9 row_shr:8 row_mask:0xf bank_mask:0xf bound_ctrl:1
	s_delay_alu instid0(VALU_DEP_4)
	v_add_f32_e32 v6, v6, v11
	ds_bpermute_b32 v80, v60, v79
	v_cvt_i32_f32_e32 v13, v8
	v_cvt_f32_i32_dpp v5, v5 row_shr:8 row_mask:0xf bank_mask:0xf bound_ctrl:1
	ds_bpermute_b32 v51, v60, v50
	v_cvt_i32_f32_e32 v11, v6
	ds_bpermute_b32 v38, v60, v37
	v_cvt_f32_i32_dpp v13, v13 row_shr:2 row_mask:0xf bank_mask:0xf bound_ctrl:1
	v_add_f32_e32 v7, v75, v7
	v_cvt_f32_i32_dpp v11, v11 row_shr:2 row_mask:0xf bank_mask:0xf bound_ctrl:1
	s_delay_alu instid0(VALU_DEP_3) | instskip(NEXT) | instid1(VALU_DEP_3)
	v_add_f32_e32 v8, v8, v13
	v_cvt_i32_f32_e32 v12, v7
	s_delay_alu instid0(VALU_DEP_3) | instskip(NEXT) | instid1(VALU_DEP_3)
	v_add_f32_e32 v6, v6, v11
	v_cvt_i32_f32_e32 v13, v8
	s_delay_alu instid0(VALU_DEP_3) | instskip(NEXT) | instid1(VALU_DEP_3)
	v_cvt_f32_i32_dpp v12, v12 row_shr:4 row_mask:0xf bank_mask:0xf bound_ctrl:1
	v_cvt_i32_f32_e32 v11, v6
	s_delay_alu instid0(VALU_DEP_3) | instskip(NEXT) | instid1(VALU_DEP_3)
	v_cvt_f32_i32_dpp v13, v13 row_shr:1 row_mask:0xf bank_mask:0xf bound_ctrl:1
	v_add_f32_e32 v7, v7, v12
	s_delay_alu instid0(VALU_DEP_3) | instskip(NEXT) | instid1(VALU_DEP_3)
	v_cvt_f32_i32_dpp v11, v11 row_shr:1 row_mask:0xf bank_mask:0xf bound_ctrl:1
	v_add_f32_e32 v29, v8, v13
	s_delay_alu instid0(VALU_DEP_3) | instskip(SKIP_1) | instid1(VALU_DEP_2)
	v_cvt_i32_f32_e32 v12, v7
	v_cvt_i32_f32_e32 v8, v69
	v_cvt_f32_i32_dpp v12, v12 row_shr:2 row_mask:0xf bank_mask:0xf bound_ctrl:1
	s_delay_alu instid0(VALU_DEP_2) | instskip(SKIP_2) | instid1(VALU_DEP_4)
	v_cvt_f32_i32_dpp v8, v8 row_shr:8 row_mask:0xf bank_mask:0xf bound_ctrl:1
	v_add_f32_e32 v35, v6, v11
	v_cvt_i32_f32_e32 v6, v70
	v_add_f32_e32 v7, v7, v12
	s_delay_alu instid0(VALU_DEP_4) | instskip(SKIP_4) | instid1(VALU_DEP_3)
	v_add_f32_e32 v8, v69, v8
	ds_bpermute_b32 v36, v60, v35
	v_cvt_f32_i32_dpp v6, v6 row_shr:8 row_mask:0xf bank_mask:0xf bound_ctrl:1
	v_cvt_i32_f32_e32 v12, v7
	v_cvt_i32_f32_e32 v13, v8
	v_add_f32_e32 v6, v70, v6
	s_delay_alu instid0(VALU_DEP_3) | instskip(SKIP_1) | instid1(VALU_DEP_4)
	v_cvt_f32_i32_dpp v12, v12 row_shr:1 row_mask:0xf bank_mask:0xf bound_ctrl:1
	v_add_f32_e32 v5, v74, v5
	v_cvt_f32_i32_dpp v13, v13 row_shr:4 row_mask:0xf bank_mask:0xf bound_ctrl:1
	s_delay_alu instid0(VALU_DEP_4) | instskip(NEXT) | instid1(VALU_DEP_4)
	v_cvt_i32_f32_e32 v11, v6
	v_add_f32_e32 v32, v7, v12
	s_delay_alu instid0(VALU_DEP_4) | instskip(NEXT) | instid1(VALU_DEP_4)
	v_cvt_i32_f32_e32 v10, v5
	v_add_f32_e32 v8, v8, v13
	v_cvt_i32_f32_e32 v7, v73
	v_cvt_f32_i32_dpp v11, v11 row_shr:4 row_mask:0xf bank_mask:0xf bound_ctrl:1
	ds_bpermute_b32 v33, v60, v32
	v_cvt_f32_i32_dpp v10, v10 row_shr:4 row_mask:0xf bank_mask:0xf bound_ctrl:1
	v_cvt_i32_f32_e32 v13, v8
	v_cvt_f32_i32_dpp v7, v7 row_shr:8 row_mask:0xf bank_mask:0xf bound_ctrl:1
	s_delay_alu instid0(VALU_DEP_3) | instskip(NEXT) | instid1(VALU_DEP_3)
	v_dual_add_f32 v6, v6, v11 :: v_dual_add_f32 v5, v5, v10
	v_cvt_f32_i32_dpp v13, v13 row_shr:2 row_mask:0xf bank_mask:0xf bound_ctrl:1
	s_delay_alu instid0(VALU_DEP_3) | instskip(NEXT) | instid1(VALU_DEP_3)
	v_add_f32_e32 v7, v73, v7
	v_cvt_i32_f32_e32 v11, v6
	s_delay_alu instid0(VALU_DEP_4) | instskip(NEXT) | instid1(VALU_DEP_4)
	v_cvt_i32_f32_e32 v10, v5
	v_add_f32_e32 v8, v8, v13
	s_delay_alu instid0(VALU_DEP_4) | instskip(NEXT) | instid1(VALU_DEP_4)
	v_cvt_i32_f32_e32 v12, v7
	v_cvt_f32_i32_dpp v11, v11 row_shr:2 row_mask:0xf bank_mask:0xf bound_ctrl:1
	s_delay_alu instid0(VALU_DEP_4) | instskip(NEXT) | instid1(VALU_DEP_4)
	v_cvt_f32_i32_dpp v10, v10 row_shr:2 row_mask:0xf bank_mask:0xf bound_ctrl:1
	v_cvt_i32_f32_e32 v13, v8
	s_delay_alu instid0(VALU_DEP_4) | instskip(NEXT) | instid1(VALU_DEP_3)
	v_cvt_f32_i32_dpp v12, v12 row_shr:4 row_mask:0xf bank_mask:0xf bound_ctrl:1
	v_dual_add_f32 v6, v6, v11 :: v_dual_add_f32 v5, v5, v10
	s_delay_alu instid0(VALU_DEP_3) | instskip(NEXT) | instid1(VALU_DEP_2)
	v_cvt_f32_i32_dpp v13, v13 row_shr:1 row_mask:0xf bank_mask:0xf bound_ctrl:1
	v_cvt_i32_f32_e32 v11, v6
	s_delay_alu instid0(VALU_DEP_3) | instskip(NEXT) | instid1(VALU_DEP_3)
	v_cvt_i32_f32_e32 v10, v5
	v_add_f32_e32 v17, v8, v13
	v_cvt_i32_f32_e32 v8, v65
	s_delay_alu instid0(VALU_DEP_4) | instskip(NEXT) | instid1(VALU_DEP_4)
	v_cvt_f32_i32_dpp v11, v11 row_shr:1 row_mask:0xf bank_mask:0xf bound_ctrl:1
	v_cvt_f32_i32_dpp v10, v10 row_shr:1 row_mask:0xf bank_mask:0xf bound_ctrl:1
	v_add_f32_e32 v9, v78, v9
	s_delay_alu instid0(VALU_DEP_4) | instskip(NEXT) | instid1(VALU_DEP_4)
	v_cvt_f32_i32_dpp v8, v8 row_shr:8 row_mask:0xf bank_mask:0xf bound_ctrl:1
	v_add_f32_e32 v22, v6, v11
	v_cvt_i32_f32_e32 v6, v67
	v_add_f32_e32 v40, v5, v10
	v_cvt_i32_f32_e32 v14, v9
	v_cvt_i32_f32_e32 v5, v72
	ds_bpermute_b32 v30, v60, v29
	v_cvt_f32_i32_dpp v6, v6 row_shr:8 row_mask:0xf bank_mask:0xf bound_ctrl:1
	ds_bpermute_b32 v49, v60, v40
	v_cvt_f32_i32_dpp v14, v14 row_shr:4 row_mask:0xf bank_mask:0xf bound_ctrl:1
	v_cvt_f32_i32_dpp v5, v5 row_shr:8 row_mask:0xf bank_mask:0xf bound_ctrl:1
	ds_bpermute_b32 v23, v60, v22
	v_add_f32_e32 v6, v67, v6
	v_add_f32_e32 v8, v65, v8
	;; [unrolled: 1-line block ×4, first 2 shown]
	s_delay_alu instid0(VALU_DEP_4) | instskip(NEXT) | instid1(VALU_DEP_4)
	v_cvt_i32_f32_e32 v11, v6
	v_cvt_i32_f32_e32 v15, v8
	s_delay_alu instid0(VALU_DEP_4) | instskip(NEXT) | instid1(VALU_DEP_4)
	v_cvt_i32_f32_e32 v14, v9
	v_cvt_i32_f32_e32 v10, v5
	s_delay_alu instid0(VALU_DEP_4) | instskip(NEXT) | instid1(VALU_DEP_4)
	v_cvt_f32_i32_dpp v11, v11 row_shr:4 row_mask:0xf bank_mask:0xf bound_ctrl:1
	v_cvt_f32_i32_dpp v15, v15 row_shr:4 row_mask:0xf bank_mask:0xf bound_ctrl:1
	s_delay_alu instid0(VALU_DEP_4) | instskip(NEXT) | instid1(VALU_DEP_4)
	v_cvt_f32_i32_dpp v14, v14 row_shr:2 row_mask:0xf bank_mask:0xf bound_ctrl:1
	v_cvt_f32_i32_dpp v10, v10 row_shr:4 row_mask:0xf bank_mask:0xf bound_ctrl:1
	s_delay_alu instid0(VALU_DEP_4) | instskip(NEXT) | instid1(VALU_DEP_3)
	v_dual_add_f32 v7, v7, v12 :: v_dual_add_f32 v6, v6, v11
	v_dual_add_f32 v8, v8, v15 :: v_dual_add_f32 v9, v9, v14
	s_delay_alu instid0(VALU_DEP_3) | instskip(NEXT) | instid1(VALU_DEP_3)
	v_add_f32_e32 v5, v5, v10
	v_cvt_i32_f32_e32 v12, v7
	s_delay_alu instid0(VALU_DEP_4) | instskip(NEXT) | instid1(VALU_DEP_4)
	v_cvt_i32_f32_e32 v11, v6
	v_cvt_i32_f32_e32 v15, v8
	;; [unrolled: 1-line block ×4, first 2 shown]
	v_cvt_f32_i32_dpp v12, v12 row_shr:2 row_mask:0xf bank_mask:0xf bound_ctrl:1
	v_cvt_f32_i32_dpp v11, v11 row_shr:2 row_mask:0xf bank_mask:0xf bound_ctrl:1
	;; [unrolled: 1-line block ×5, first 2 shown]
	s_delay_alu instid0(VALU_DEP_4) | instskip(NEXT) | instid1(VALU_DEP_4)
	v_dual_add_f32 v7, v7, v12 :: v_dual_add_f32 v6, v6, v11
	v_add_f32_e32 v8, v8, v15
	s_delay_alu instid0(VALU_DEP_4)
	v_add_f32_e32 v24, v9, v14
	v_cvt_i32_f32_e32 v9, v71
	v_add_f32_e32 v5, v5, v10
	v_cvt_i32_f32_e32 v12, v7
	v_cvt_i32_f32_e32 v11, v6
	;; [unrolled: 1-line block ×3, first 2 shown]
	v_cvt_f32_i32_dpp v9, v9 row_shr:8 row_mask:0xf bank_mask:0xf bound_ctrl:1
	v_cvt_i32_f32_e32 v10, v5
	v_cvt_f32_i32_dpp v12, v12 row_shr:1 row_mask:0xf bank_mask:0xf bound_ctrl:1
	ds_bpermute_b32 v25, v60, v24
	v_cvt_f32_i32_dpp v11, v11 row_shr:1 row_mask:0xf bank_mask:0xf bound_ctrl:1
	v_add_f32_e32 v9, v71, v9
	v_cvt_f32_i32_dpp v10, v10 row_shr:1 row_mask:0xf bank_mask:0xf bound_ctrl:1
	v_add_f32_e32 v19, v7, v12
	v_cvt_i32_f32_e32 v7, v66
	s_waitcnt vmcnt(0)
	v_cvt_f32_i32_dpp v21, v15 row_shr:1 row_mask:0xf bank_mask:0xf bound_ctrl:1
	v_cvt_i32_f32_e32 v14, v9
	v_add_f32_e32 v27, v5, v10
	v_cvt_i32_f32_e32 v5, v68
	v_cvt_f32_i32_dpp v7, v7 row_shr:8 row_mask:0xf bank_mask:0xf bound_ctrl:1
	v_add_f32_e32 v11, v6, v11
	v_cvt_f32_i32_dpp v14, v14 row_shr:4 row_mask:0xf bank_mask:0xf bound_ctrl:1
	ds_bpermute_b32 v28, v60, v27
	v_cvt_f32_i32_dpp v5, v5 row_shr:8 row_mask:0xf bank_mask:0xf bound_ctrl:1
	ds_bpermute_b32 v20, v60, v19
	v_add_f32_e32 v7, v66, v7
	v_add_f32_e32 v9, v9, v14
	;; [unrolled: 1-line block ×3, first 2 shown]
	s_delay_alu instid0(VALU_DEP_3) | instskip(NEXT) | instid1(VALU_DEP_3)
	v_cvt_i32_f32_e32 v12, v7
	v_cvt_i32_f32_e32 v14, v9
	s_delay_alu instid0(VALU_DEP_3) | instskip(NEXT) | instid1(VALU_DEP_3)
	v_cvt_i32_f32_e32 v10, v5
	v_cvt_f32_i32_dpp v12, v12 row_shr:4 row_mask:0xf bank_mask:0xf bound_ctrl:1
	s_delay_alu instid0(VALU_DEP_3) | instskip(NEXT) | instid1(VALU_DEP_3)
	v_cvt_f32_i32_dpp v14, v14 row_shr:2 row_mask:0xf bank_mask:0xf bound_ctrl:1
	v_cvt_f32_i32_dpp v10, v10 row_shr:4 row_mask:0xf bank_mask:0xf bound_ctrl:1
	s_delay_alu instid0(VALU_DEP_3) | instskip(NEXT) | instid1(VALU_DEP_3)
	v_add_f32_e32 v7, v7, v12
	v_add_f32_e32 v9, v9, v14
	s_delay_alu instid0(VALU_DEP_3) | instskip(NEXT) | instid1(VALU_DEP_3)
	v_add_f32_e32 v5, v5, v10
	v_cvt_i32_f32_e32 v12, v7
	s_delay_alu instid0(VALU_DEP_3) | instskip(NEXT) | instid1(VALU_DEP_3)
	v_cvt_i32_f32_e32 v14, v9
	v_cvt_i32_f32_e32 v10, v5
	s_delay_alu instid0(VALU_DEP_3) | instskip(NEXT) | instid1(VALU_DEP_3)
	v_cvt_f32_i32_dpp v12, v12 row_shr:2 row_mask:0xf bank_mask:0xf bound_ctrl:1
	v_cvt_f32_i32_dpp v14, v14 row_shr:1 row_mask:0xf bank_mask:0xf bound_ctrl:1
	s_delay_alu instid0(VALU_DEP_3) | instskip(NEXT) | instid1(VALU_DEP_3)
	v_cvt_f32_i32_dpp v10, v10 row_shr:2 row_mask:0xf bank_mask:0xf bound_ctrl:1
	v_add_f32_e32 v7, v7, v12
	s_delay_alu instid0(VALU_DEP_3) | instskip(SKIP_1) | instid1(VALU_DEP_4)
	v_add_f32_e32 v13, v9, v14
	v_cvt_i32_f32_e32 v9, v64
	v_add_f32_e32 v5, v5, v10
	s_delay_alu instid0(VALU_DEP_4) | instskip(SKIP_3) | instid1(VALU_DEP_2)
	v_cvt_i32_f32_e32 v12, v7
	ds_bpermute_b32 v14, v60, v13
	v_cvt_f32_i32_dpp v9, v9 row_shr:8 row_mask:0xf bank_mask:0xf bound_ctrl:1
	v_cvt_f32_i32_dpp v12, v12 row_shr:1 row_mask:0xf bank_mask:0xf bound_ctrl:1
	v_add_f32_e32 v9, v64, v9
	s_delay_alu instid0(VALU_DEP_1) | instskip(NEXT) | instid1(VALU_DEP_1)
	v_cvt_i32_f32_e32 v16, v9
	v_cvt_f32_i32_dpp v16, v16 row_shr:4 row_mask:0xf bank_mask:0xf bound_ctrl:1
	s_delay_alu instid0(VALU_DEP_1) | instskip(NEXT) | instid1(VALU_DEP_1)
	v_add_f32_e32 v9, v9, v16
	v_cvt_i32_f32_e32 v16, v9
	s_delay_alu instid0(VALU_DEP_1) | instskip(NEXT) | instid1(VALU_DEP_1)
	v_cvt_f32_i32_dpp v16, v16 row_shr:2 row_mask:0xf bank_mask:0xf bound_ctrl:1
	v_add_f32_e32 v10, v9, v16
	v_cvt_i32_f32_e32 v9, v5
	ds_bpermute_b32 v18, v60, v17
	v_cvt_i32_f32_e32 v16, v10
	v_cvt_f32_i32_dpp v9, v9 row_shr:1 row_mask:0xf bank_mask:0xf bound_ctrl:1
	s_delay_alu instid0(VALU_DEP_2) | instskip(NEXT) | instid1(VALU_DEP_2)
	v_cvt_f32_i32_dpp v16, v16 row_shr:1 row_mask:0xf bank_mask:0xf bound_ctrl:1
	v_add_f32_e32 v15, v5, v9
	v_add_f32_e32 v9, v7, v12
	;; [unrolled: 1-line block ×3, first 2 shown]
	ds_bpermute_b32 v12, v60, v11
	v_add_f32_e32 v5, v10, v16
	ds_bpermute_b32 v16, v60, v15
	ds_bpermute_b32 v10, v60, v9
	;; [unrolled: 1-line block ×4, first 2 shown]
	s_and_saveexec_b32 s5, s0
	s_cbranch_execz .LBB288_167
; %bb.45:                               ;   in Loop: Header=BB288_19 Depth=1
	v_dual_mov_b32 v75, 0 :: v_dual_mov_b32 v74, 0
	v_dual_mov_b32 v73, 0 :: v_dual_mov_b32 v72, 0
	;; [unrolled: 1-line block ×9, first 2 shown]
	v_mov_b32_e32 v31, 0
	v_mov_b32_e32 v21, 0
	s_and_not1_b32 vcc_lo, exec_lo, s25
	s_cbranch_vccnz .LBB288_47
; %bb.46:                               ;   in Loop: Header=BB288_19 Depth=1
	v_mul_hi_u32 v21, v41, v61
	v_mul_hi_u32 v26, v47, v61
	;; [unrolled: 1-line block ×4, first 2 shown]
	v_mov_b32_e32 v78, v43
	v_mov_b32_e32 v94, v43
	v_mul_lo_u32 v21, v21, s18
	v_mul_lo_u32 v26, v26, s18
	;; [unrolled: 1-line block ×4, first 2 shown]
	s_delay_alu instid0(VALU_DEP_4) | instskip(NEXT) | instid1(VALU_DEP_4)
	v_sub_nc_u32_e32 v21, v41, v21
	v_sub_nc_u32_e32 v26, v47, v26
	s_delay_alu instid0(VALU_DEP_4) | instskip(NEXT) | instid1(VALU_DEP_4)
	v_sub_nc_u32_e32 v31, v46, v31
	v_sub_nc_u32_e32 v34, v45, v34
	s_delay_alu instid0(VALU_DEP_4)
	v_subrev_nc_u32_e32 v39, s18, v21
	v_cmp_le_u32_e32 vcc_lo, s18, v21
	v_mov_b32_e32 v68, v43
	v_subrev_nc_u32_e32 v42, s18, v26
	v_subrev_nc_u32_e32 v52, s18, v31
	v_subrev_nc_u32_e32 v55, s18, v34
	v_cndmask_b32_e32 v21, v21, v39, vcc_lo
	v_cmp_le_u32_e32 vcc_lo, s18, v26
	v_mov_b32_e32 v65, v43
	s_delay_alu instid0(VALU_DEP_3) | instskip(SKIP_4) | instid1(VALU_DEP_4)
	v_subrev_nc_u32_e32 v39, s18, v21
	v_cndmask_b32_e32 v26, v26, v42, vcc_lo
	v_cmp_le_u32_e32 vcc_lo, s18, v31
	v_cndmask_b32_e32 v31, v31, v52, vcc_lo
	v_cmp_le_u32_e32 vcc_lo, s18, v34
	v_subrev_nc_u32_e32 v52, s18, v26
	v_cndmask_b32_e32 v34, v34, v55, vcc_lo
	v_cmp_le_u32_e32 vcc_lo, s18, v21
	v_subrev_nc_u32_e32 v55, s18, v31
	s_delay_alu instid0(VALU_DEP_3) | instskip(SKIP_2) | instid1(VALU_DEP_2)
	v_subrev_nc_u32_e32 v57, s18, v34
	v_cndmask_b32_e32 v42, v21, v39, vcc_lo
	v_cmp_le_u32_e32 vcc_lo, s18, v26
	v_lshlrev_b64 v[71:72], 1, v[42:43]
	v_cndmask_b32_e32 v64, v26, v52, vcc_lo
	v_cmp_le_u32_e32 vcc_lo, s18, v31
	v_add_nc_u32_e32 v77, s26, v42
	v_cndmask_b32_e32 v67, v31, v55, vcc_lo
	v_cmp_le_u32_e32 vcc_lo, s18, v34
	v_lshlrev_b64 v[65:66], 1, v[64:65]
	v_dual_mov_b32 v70, v43 :: v_dual_add_nc_u32 v93, s27, v64
	s_delay_alu instid0(VALU_DEP_4)
	v_lshlrev_b64 v[73:74], 1, v[67:68]
	v_cndmask_b32_e32 v69, v34, v57, vcc_lo
	v_add_co_u32 v71, vcc_lo, s12, v71
	v_add_co_ci_u32_e32 v72, vcc_lo, s13, v72, vcc_lo
	v_add_co_u32 v65, vcc_lo, s12, v65
	v_add_co_ci_u32_e32 v66, vcc_lo, s13, v66, vcc_lo
	v_lshlrev_b64 v[75:76], 1, v[69:70]
	v_add_co_u32 v81, vcc_lo, s12, v73
	v_add_co_ci_u32_e32 v82, vcc_lo, s13, v74, vcc_lo
	v_lshlrev_b64 v[73:74], 1, v[77:78]
	v_add_nc_u32_e32 v77, s26, v64
	v_add_co_u32 v83, vcc_lo, s12, v75
	v_add_co_ci_u32_e32 v84, vcc_lo, s13, v76, vcc_lo
	s_delay_alu instid0(VALU_DEP_3) | instskip(SKIP_3) | instid1(VALU_DEP_3)
	v_lshlrev_b64 v[75:76], 1, v[77:78]
	v_add_nc_u32_e32 v77, s26, v67
	v_add_co_u32 v85, vcc_lo, s12, v73
	v_add_co_ci_u32_e32 v86, vcc_lo, s13, v74, vcc_lo
	v_lshlrev_b64 v[73:74], 1, v[77:78]
	v_add_nc_u32_e32 v77, s26, v69
	v_add_co_u32 v87, vcc_lo, s12, v75
	v_add_co_ci_u32_e32 v88, vcc_lo, s13, v76, vcc_lo
	s_delay_alu instid0(VALU_DEP_3) | instskip(SKIP_3) | instid1(VALU_DEP_4)
	v_lshlrev_b64 v[75:76], 1, v[77:78]
	v_add_co_u32 v77, vcc_lo, s12, v73
	v_add_co_ci_u32_e32 v78, vcc_lo, s13, v74, vcc_lo
	v_dual_mov_b32 v74, v43 :: v_dual_add_nc_u32 v73, s27, v42
	v_add_co_u32 v89, vcc_lo, s12, v75
	v_add_co_ci_u32_e32 v90, vcc_lo, s13, v76, vcc_lo
	s_delay_alu instid0(VALU_DEP_3)
	v_lshlrev_b64 v[91:92], 1, v[73:74]
	s_clause 0x7
	global_load_u16 v75, v[71:72], off
	global_load_u16 v74, v[65:66], off
	;; [unrolled: 1-line block ×8, first 2 shown]
	v_dual_mov_b32 v82, v43 :: v_dual_add_nc_u32 v81, s27, v67
	v_mov_b32_e32 v88, v43
	v_mov_b32_e32 v86, v43
	v_lshlrev_b64 v[76:77], 1, v[93:94]
	v_dual_mov_b32 v90, v43 :: v_dual_add_nc_u32 v85, s27, v69
	v_add_co_u32 v83, vcc_lo, s12, v91
	v_lshlrev_b64 v[81:82], 1, v[81:82]
	v_add_nc_u32_e32 v87, s28, v42
	v_add_co_ci_u32_e32 v84, vcc_lo, s13, v92, vcc_lo
	v_mov_b32_e32 v92, v43
	v_add_co_u32 v76, vcc_lo, s12, v76
	v_lshlrev_b64 v[85:86], 1, v[85:86]
	v_add_nc_u32_e32 v89, s28, v64
	v_add_co_ci_u32_e32 v77, vcc_lo, s13, v77, vcc_lo
	v_add_co_u32 v81, vcc_lo, s12, v81
	v_lshlrev_b64 v[87:88], 1, v[87:88]
	v_add_nc_u32_e32 v91, s28, v67
	v_add_co_ci_u32_e32 v82, vcc_lo, s13, v82, vcc_lo
	v_add_co_u32 v85, vcc_lo, s12, v85
	v_lshlrev_b64 v[89:90], 1, v[89:90]
	v_add_nc_u32_e32 v42, s31, v42
	v_add_nc_u32_e32 v93, s28, v69
	v_add_co_ci_u32_e32 v86, vcc_lo, s13, v86, vcc_lo
	v_add_co_u32 v87, vcc_lo, s12, v87
	v_lshlrev_b64 v[91:92], 1, v[91:92]
	v_add_co_ci_u32_e32 v88, vcc_lo, s13, v88, vcc_lo
	v_lshlrev_b64 v[95:96], 1, v[42:43]
	v_add_nc_u32_e32 v42, s31, v64
	v_add_co_u32 v89, vcc_lo, s12, v89
	v_lshlrev_b64 v[93:94], 1, v[93:94]
	v_add_co_ci_u32_e32 v90, vcc_lo, s13, v90, vcc_lo
	v_add_co_u32 v91, vcc_lo, s12, v91
	v_lshlrev_b64 v[64:65], 1, v[42:43]
	v_add_nc_u32_e32 v42, s31, v67
	v_add_co_ci_u32_e32 v92, vcc_lo, s13, v92, vcc_lo
	v_add_co_u32 v93, vcc_lo, s12, v93
	v_add_co_ci_u32_e32 v94, vcc_lo, s13, v94, vcc_lo
	v_add_co_u32 v95, vcc_lo, s12, v95
	v_lshlrev_b64 v[97:98], 1, v[42:43]
	v_add_nc_u32_e32 v42, s31, v69
	v_add_co_ci_u32_e32 v96, vcc_lo, s13, v96, vcc_lo
	v_add_co_u32 v99, vcc_lo, s12, v64
	v_add_co_ci_u32_e32 v100, vcc_lo, s13, v65, vcc_lo
	s_delay_alu instid0(VALU_DEP_4) | instskip(SKIP_2) | instid1(VALU_DEP_3)
	v_lshlrev_b64 v[64:65], 1, v[42:43]
	v_add_co_u32 v97, vcc_lo, s12, v97
	v_add_co_ci_u32_e32 v98, vcc_lo, s13, v98, vcc_lo
	v_add_co_u32 v101, vcc_lo, s12, v64
	s_delay_alu instid0(VALU_DEP_4)
	v_add_co_ci_u32_e32 v102, vcc_lo, s13, v65, vcc_lo
	s_clause 0xb
	global_load_u16 v69, v[83:84], off
	global_load_u16 v67, v[76:77], off
	;; [unrolled: 1-line block ×12, first 2 shown]
.LBB288_47:                             ;   in Loop: Header=BB288_19 Depth=1
	v_cmp_ne_u32_e32 vcc_lo, 0, v1
	s_and_saveexec_b32 s2, vcc_lo
	s_cbranch_execnz .LBB288_67
; %bb.48:                               ;   in Loop: Header=BB288_19 Depth=1
	s_or_b32 exec_lo, exec_lo, s2
	v_cmp_ne_u32_e64 s1, 0, v2
	s_delay_alu instid0(VALU_DEP_1)
	s_and_saveexec_b32 s3, s1
	s_cbranch_execnz .LBB288_72
.LBB288_49:                             ;   in Loop: Header=BB288_19 Depth=1
	s_or_b32 exec_lo, exec_lo, s3
	v_cmp_ne_u32_e64 s2, 0, v3
	s_delay_alu instid0(VALU_DEP_1)
	s_and_saveexec_b32 s4, s2
	s_cbranch_execnz .LBB288_77
.LBB288_50:                             ;   in Loop: Header=BB288_19 Depth=1
	s_or_b32 exec_lo, exec_lo, s4
	v_cmp_ne_u32_e64 s3, 0, v4
	s_delay_alu instid0(VALU_DEP_1)
	s_and_saveexec_b32 s34, s3
	s_cbranch_execnz .LBB288_82
.LBB288_51:                             ;   in Loop: Header=BB288_19 Depth=1
	s_or_b32 exec_lo, exec_lo, s34
	v_add_nc_u32_e32 v42, s11, v41
	s_and_saveexec_b32 s34, vcc_lo
	s_cbranch_execnz .LBB288_87
.LBB288_52:                             ;   in Loop: Header=BB288_19 Depth=1
	s_or_b32 exec_lo, exec_lo, s34
	s_and_saveexec_b32 s34, s1
	s_cbranch_execnz .LBB288_92
.LBB288_53:                             ;   in Loop: Header=BB288_19 Depth=1
	s_or_b32 exec_lo, exec_lo, s34
	s_and_saveexec_b32 s34, s2
	s_cbranch_execnz .LBB288_97
.LBB288_54:                             ;   in Loop: Header=BB288_19 Depth=1
	s_or_b32 exec_lo, exec_lo, s34
	s_and_saveexec_b32 s34, s3
	s_cbranch_execnz .LBB288_102
.LBB288_55:                             ;   in Loop: Header=BB288_19 Depth=1
	s_or_b32 exec_lo, exec_lo, s34
	v_add_nc_u32_e32 v42, s11, v42
	s_and_saveexec_b32 s34, vcc_lo
	s_cbranch_execnz .LBB288_107
.LBB288_56:                             ;   in Loop: Header=BB288_19 Depth=1
	s_or_b32 exec_lo, exec_lo, s34
	s_and_saveexec_b32 s34, s1
	s_cbranch_execnz .LBB288_112
.LBB288_57:                             ;   in Loop: Header=BB288_19 Depth=1
	s_or_b32 exec_lo, exec_lo, s34
	s_and_saveexec_b32 s34, s2
	s_cbranch_execnz .LBB288_117
.LBB288_58:                             ;   in Loop: Header=BB288_19 Depth=1
	s_or_b32 exec_lo, exec_lo, s34
	s_and_saveexec_b32 s34, s3
	s_cbranch_execnz .LBB288_122
.LBB288_59:                             ;   in Loop: Header=BB288_19 Depth=1
	s_or_b32 exec_lo, exec_lo, s34
	v_add_nc_u32_e32 v42, s11, v42
	s_and_saveexec_b32 s34, vcc_lo
	s_cbranch_execnz .LBB288_127
.LBB288_60:                             ;   in Loop: Header=BB288_19 Depth=1
	s_or_b32 exec_lo, exec_lo, s34
	s_and_saveexec_b32 s34, s1
	s_cbranch_execnz .LBB288_132
.LBB288_61:                             ;   in Loop: Header=BB288_19 Depth=1
	s_or_b32 exec_lo, exec_lo, s34
	s_and_saveexec_b32 s34, s2
	s_cbranch_execnz .LBB288_137
.LBB288_62:                             ;   in Loop: Header=BB288_19 Depth=1
	s_or_b32 exec_lo, exec_lo, s34
	s_and_saveexec_b32 s34, s3
	s_cbranch_execnz .LBB288_142
.LBB288_63:                             ;   in Loop: Header=BB288_19 Depth=1
	s_or_b32 exec_lo, exec_lo, s34
	v_add_nc_u32_e32 v42, s11, v42
	s_and_saveexec_b32 s4, vcc_lo
	s_cbranch_execnz .LBB288_147
.LBB288_64:                             ;   in Loop: Header=BB288_19 Depth=1
	s_or_b32 exec_lo, exec_lo, s4
	s_and_saveexec_b32 s4, s1
	s_cbranch_execnz .LBB288_152
.LBB288_65:                             ;   in Loop: Header=BB288_19 Depth=1
	s_or_b32 exec_lo, exec_lo, s4
	s_and_saveexec_b32 s1, s2
	s_cbranch_execnz .LBB288_157
.LBB288_66:                             ;   in Loop: Header=BB288_19 Depth=1
	s_or_b32 exec_lo, exec_lo, s1
	s_delay_alu instid0(SALU_CYCLE_1)
	s_and_b32 exec_lo, exec_lo, s3
	s_cbranch_execnz .LBB288_162
	s_branch .LBB288_167
.LBB288_67:                             ;   in Loop: Header=BB288_19 Depth=1
	s_waitcnt vmcnt(19) lgkmcnt(17)
	v_dual_add_f32 v42, v79, v80 :: v_dual_lshlrev_b32 v75, 16, v75
	s_delay_alu instid0(VALU_DEP_1) | instskip(NEXT) | instid1(VALU_DEP_1)
	v_add_f32_e32 v42, v42, v75
	v_and_b32_e32 v75, 0x7f800000, v42
	s_delay_alu instid0(VALU_DEP_1) | instskip(NEXT) | instid1(VALU_DEP_1)
	v_cmp_ne_u32_e64 s1, 0x7f800000, v75
                                        ; implicit-def: $vgpr75
	s_and_saveexec_b32 s3, s1
	s_delay_alu instid0(SALU_CYCLE_1)
	s_xor_b32 s1, exec_lo, s3
; %bb.68:                               ;   in Loop: Header=BB288_19 Depth=1
	v_bfe_u32 v75, v42, 16, 1
	s_delay_alu instid0(VALU_DEP_1)
	v_add3_u32 v75, v42, v75, 0x7fff
                                        ; implicit-def: $vgpr42
; %bb.69:                               ;   in Loop: Header=BB288_19 Depth=1
	s_and_not1_saveexec_b32 s3, s1
; %bb.70:                               ;   in Loop: Header=BB288_19 Depth=1
	v_and_b32_e32 v75, 0xffff, v42
	v_or_b32_e32 v76, 0x10000, v42
	s_delay_alu instid0(VALU_DEP_2) | instskip(NEXT) | instid1(VALU_DEP_1)
	v_cmp_eq_u32_e64 s1, 0, v75
	v_cndmask_b32_e64 v75, v76, v42, s1
; %bb.71:                               ;   in Loop: Header=BB288_19 Depth=1
	s_or_b32 exec_lo, exec_lo, s3
	v_mov_b32_e32 v42, v43
	s_delay_alu instid0(VALU_DEP_1) | instskip(NEXT) | instid1(VALU_DEP_1)
	v_lshlrev_b64 v[76:77], 1, v[41:42]
	v_add_co_u32 v76, s1, s14, v76
	s_delay_alu instid0(VALU_DEP_1) | instskip(SKIP_3) | instid1(VALU_DEP_1)
	v_add_co_ci_u32_e64 v77, s1, s15, v77, s1
	global_store_d16_hi_b16 v[76:77], v75, off
	s_or_b32 exec_lo, exec_lo, s2
	v_cmp_ne_u32_e64 s1, 0, v2
	s_and_saveexec_b32 s3, s1
	s_cbranch_execz .LBB288_49
.LBB288_72:                             ;   in Loop: Header=BB288_19 Depth=1
	s_waitcnt lgkmcnt(19)
	v_add_f32_e32 v42, v48, v56
	s_waitcnt vmcnt(18)
	v_lshlrev_b32_e32 v48, 16, v74
	s_delay_alu instid0(VALU_DEP_1) | instskip(NEXT) | instid1(VALU_DEP_1)
	v_add_f32_e32 v48, v42, v48
	v_and_b32_e32 v42, 0x7f800000, v48
	s_delay_alu instid0(VALU_DEP_1) | instskip(NEXT) | instid1(VALU_DEP_1)
	v_cmp_ne_u32_e64 s2, 0x7f800000, v42
                                        ; implicit-def: $vgpr42
	s_and_saveexec_b32 s4, s2
	s_delay_alu instid0(SALU_CYCLE_1)
	s_xor_b32 s2, exec_lo, s4
; %bb.73:                               ;   in Loop: Header=BB288_19 Depth=1
	v_bfe_u32 v42, v48, 16, 1
	s_delay_alu instid0(VALU_DEP_1)
	v_add3_u32 v42, v48, v42, 0x7fff
                                        ; implicit-def: $vgpr48
; %bb.74:                               ;   in Loop: Header=BB288_19 Depth=1
	s_and_not1_saveexec_b32 s4, s2
; %bb.75:                               ;   in Loop: Header=BB288_19 Depth=1
	v_and_b32_e32 v42, 0xffff, v48
	v_or_b32_e32 v56, 0x10000, v48
	s_delay_alu instid0(VALU_DEP_2) | instskip(NEXT) | instid1(VALU_DEP_1)
	v_cmp_eq_u32_e64 s2, 0, v42
	v_cndmask_b32_e64 v42, v56, v48, s2
; %bb.76:                               ;   in Loop: Header=BB288_19 Depth=1
	s_or_b32 exec_lo, exec_lo, s4
	v_mov_b32_e32 v48, v43
	s_delay_alu instid0(VALU_DEP_1) | instskip(NEXT) | instid1(VALU_DEP_1)
	v_lshlrev_b64 v[47:48], 1, v[47:48]
	v_add_co_u32 v47, s2, s14, v47
	s_delay_alu instid0(VALU_DEP_1) | instskip(SKIP_3) | instid1(VALU_DEP_1)
	v_add_co_ci_u32_e64 v48, s2, s15, v48, s2
	global_store_d16_hi_b16 v[47:48], v42, off
	s_or_b32 exec_lo, exec_lo, s3
	v_cmp_ne_u32_e64 s2, 0, v3
	s_and_saveexec_b32 s4, s2
	s_cbranch_execz .LBB288_50
.LBB288_77:                             ;   in Loop: Header=BB288_19 Depth=1
	s_waitcnt vmcnt(17) lgkmcnt(18)
	v_dual_add_f32 v42, v53, v54 :: v_dual_lshlrev_b32 v47, 16, v73
	s_delay_alu instid0(VALU_DEP_1) | instskip(NEXT) | instid1(VALU_DEP_1)
	v_add_f32_e32 v47, v42, v47
	v_and_b32_e32 v42, 0x7f800000, v47
	s_delay_alu instid0(VALU_DEP_1) | instskip(NEXT) | instid1(VALU_DEP_1)
	v_cmp_ne_u32_e64 s3, 0x7f800000, v42
                                        ; implicit-def: $vgpr42
	s_and_saveexec_b32 s34, s3
	s_delay_alu instid0(SALU_CYCLE_1)
	s_xor_b32 s3, exec_lo, s34
; %bb.78:                               ;   in Loop: Header=BB288_19 Depth=1
	v_bfe_u32 v42, v47, 16, 1
	s_delay_alu instid0(VALU_DEP_1)
	v_add3_u32 v42, v47, v42, 0x7fff
                                        ; implicit-def: $vgpr47
; %bb.79:                               ;   in Loop: Header=BB288_19 Depth=1
	s_and_not1_saveexec_b32 s34, s3
; %bb.80:                               ;   in Loop: Header=BB288_19 Depth=1
	v_and_b32_e32 v42, 0xffff, v47
	v_or_b32_e32 v48, 0x10000, v47
	s_delay_alu instid0(VALU_DEP_2) | instskip(NEXT) | instid1(VALU_DEP_1)
	v_cmp_eq_u32_e64 s3, 0, v42
	v_cndmask_b32_e64 v42, v48, v47, s3
; %bb.81:                               ;   in Loop: Header=BB288_19 Depth=1
	s_or_b32 exec_lo, exec_lo, s34
	v_mov_b32_e32 v47, v43
	s_delay_alu instid0(VALU_DEP_1) | instskip(NEXT) | instid1(VALU_DEP_1)
	v_lshlrev_b64 v[46:47], 1, v[46:47]
	v_add_co_u32 v46, s3, s14, v46
	s_delay_alu instid0(VALU_DEP_1) | instskip(SKIP_3) | instid1(VALU_DEP_1)
	v_add_co_ci_u32_e64 v47, s3, s15, v47, s3
	global_store_d16_hi_b16 v[46:47], v42, off
	s_or_b32 exec_lo, exec_lo, s4
	v_cmp_ne_u32_e64 s3, 0, v4
	s_and_saveexec_b32 s34, s3
	s_cbranch_execz .LBB288_51
.LBB288_82:                             ;   in Loop: Header=BB288_19 Depth=1
	s_waitcnt lgkmcnt(16)
	v_add_f32_e32 v42, v50, v51
	s_waitcnt vmcnt(16)
	v_lshlrev_b32_e32 v46, 16, v72
	s_delay_alu instid0(VALU_DEP_1) | instskip(NEXT) | instid1(VALU_DEP_1)
	v_add_f32_e32 v46, v42, v46
	v_and_b32_e32 v42, 0x7f800000, v46
	s_delay_alu instid0(VALU_DEP_1) | instskip(NEXT) | instid1(VALU_DEP_1)
	v_cmp_ne_u32_e64 s4, 0x7f800000, v42
                                        ; implicit-def: $vgpr42
	s_and_saveexec_b32 s35, s4
	s_delay_alu instid0(SALU_CYCLE_1)
	s_xor_b32 s4, exec_lo, s35
; %bb.83:                               ;   in Loop: Header=BB288_19 Depth=1
	v_bfe_u32 v42, v46, 16, 1
	s_delay_alu instid0(VALU_DEP_1)
	v_add3_u32 v42, v46, v42, 0x7fff
                                        ; implicit-def: $vgpr46
; %bb.84:                               ;   in Loop: Header=BB288_19 Depth=1
	s_and_not1_saveexec_b32 s35, s4
; %bb.85:                               ;   in Loop: Header=BB288_19 Depth=1
	v_and_b32_e32 v42, 0xffff, v46
	v_or_b32_e32 v47, 0x10000, v46
	s_delay_alu instid0(VALU_DEP_2) | instskip(NEXT) | instid1(VALU_DEP_1)
	v_cmp_eq_u32_e64 s4, 0, v42
	v_cndmask_b32_e64 v42, v47, v46, s4
; %bb.86:                               ;   in Loop: Header=BB288_19 Depth=1
	s_or_b32 exec_lo, exec_lo, s35
	v_mov_b32_e32 v46, v43
	s_delay_alu instid0(VALU_DEP_1) | instskip(NEXT) | instid1(VALU_DEP_1)
	v_lshlrev_b64 v[45:46], 1, v[45:46]
	v_add_co_u32 v45, s4, s14, v45
	s_delay_alu instid0(VALU_DEP_1)
	v_add_co_ci_u32_e64 v46, s4, s15, v46, s4
	global_store_d16_hi_b16 v[45:46], v42, off
	s_or_b32 exec_lo, exec_lo, s34
	v_add_nc_u32_e32 v42, s11, v41
	s_and_saveexec_b32 s34, vcc_lo
	s_cbranch_execz .LBB288_52
.LBB288_87:                             ;   in Loop: Header=BB288_19 Depth=1
	s_waitcnt vmcnt(15) lgkmcnt(15)
	v_dual_add_f32 v37, v37, v38 :: v_dual_lshlrev_b32 v38, 16, v71
	s_delay_alu instid0(VALU_DEP_1) | instskip(NEXT) | instid1(VALU_DEP_1)
	v_add_f32_e32 v38, v37, v38
	v_and_b32_e32 v37, 0x7f800000, v38
	s_delay_alu instid0(VALU_DEP_1) | instskip(NEXT) | instid1(VALU_DEP_1)
	v_cmp_ne_u32_e64 s4, 0x7f800000, v37
                                        ; implicit-def: $vgpr37
	s_and_saveexec_b32 s35, s4
	s_delay_alu instid0(SALU_CYCLE_1)
	s_xor_b32 s4, exec_lo, s35
; %bb.88:                               ;   in Loop: Header=BB288_19 Depth=1
	v_bfe_u32 v37, v38, 16, 1
	s_delay_alu instid0(VALU_DEP_1)
	v_add3_u32 v37, v38, v37, 0x7fff
                                        ; implicit-def: $vgpr38
; %bb.89:                               ;   in Loop: Header=BB288_19 Depth=1
	s_and_not1_saveexec_b32 s35, s4
; %bb.90:                               ;   in Loop: Header=BB288_19 Depth=1
	v_and_b32_e32 v37, 0xffff, v38
	v_or_b32_e32 v45, 0x10000, v38
	s_delay_alu instid0(VALU_DEP_2) | instskip(NEXT) | instid1(VALU_DEP_1)
	v_cmp_eq_u32_e64 s4, 0, v37
	v_cndmask_b32_e64 v37, v45, v38, s4
; %bb.91:                               ;   in Loop: Header=BB288_19 Depth=1
	s_or_b32 exec_lo, exec_lo, s35
	v_lshlrev_b64 v[45:46], 1, v[42:43]
	s_delay_alu instid0(VALU_DEP_1) | instskip(NEXT) | instid1(VALU_DEP_1)
	v_add_co_u32 v45, s4, s14, v45
	v_add_co_ci_u32_e64 v46, s4, s15, v46, s4
	global_store_d16_hi_b16 v[45:46], v37, off
	s_or_b32 exec_lo, exec_lo, s34
	s_and_saveexec_b32 s34, s1
	s_cbranch_execz .LBB288_53
.LBB288_92:                             ;   in Loop: Header=BB288_19 Depth=1
	s_waitcnt vmcnt(14) lgkmcnt(11)
	v_dual_add_f32 v37, v40, v49 :: v_dual_lshlrev_b32 v38, 16, v70
	s_delay_alu instid0(VALU_DEP_1) | instskip(NEXT) | instid1(VALU_DEP_1)
	v_add_f32_e32 v38, v37, v38
	v_and_b32_e32 v37, 0x7f800000, v38
	s_delay_alu instid0(VALU_DEP_1) | instskip(NEXT) | instid1(VALU_DEP_1)
	v_cmp_ne_u32_e64 s4, 0x7f800000, v37
                                        ; implicit-def: $vgpr37
	s_and_saveexec_b32 s35, s4
	s_delay_alu instid0(SALU_CYCLE_1)
	s_xor_b32 s4, exec_lo, s35
; %bb.93:                               ;   in Loop: Header=BB288_19 Depth=1
	v_bfe_u32 v37, v38, 16, 1
	s_delay_alu instid0(VALU_DEP_1)
	v_add3_u32 v37, v38, v37, 0x7fff
                                        ; implicit-def: $vgpr38
; %bb.94:                               ;   in Loop: Header=BB288_19 Depth=1
	s_and_not1_saveexec_b32 s35, s4
; %bb.95:                               ;   in Loop: Header=BB288_19 Depth=1
	v_and_b32_e32 v37, 0xffff, v38
	v_or_b32_e32 v40, 0x10000, v38
	s_delay_alu instid0(VALU_DEP_2) | instskip(NEXT) | instid1(VALU_DEP_1)
	v_cmp_eq_u32_e64 s4, 0, v37
	v_cndmask_b32_e64 v37, v40, v38, s4
; %bb.96:                               ;   in Loop: Header=BB288_19 Depth=1
	s_or_b32 exec_lo, exec_lo, s35
	v_dual_mov_b32 v46, v43 :: v_dual_add_nc_u32 v45, 1, v42
	s_delay_alu instid0(VALU_DEP_1) | instskip(NEXT) | instid1(VALU_DEP_1)
	v_lshlrev_b64 v[45:46], 1, v[45:46]
	v_add_co_u32 v45, s4, s14, v45
	s_delay_alu instid0(VALU_DEP_1)
	v_add_co_ci_u32_e64 v46, s4, s15, v46, s4
	global_store_d16_hi_b16 v[45:46], v37, off
	s_or_b32 exec_lo, exec_lo, s34
	s_and_saveexec_b32 s34, s2
	s_cbranch_execz .LBB288_54
.LBB288_97:                             ;   in Loop: Header=BB288_19 Depth=1
	s_waitcnt lgkmcnt(14)
	v_add_f32_e32 v35, v35, v36
	s_waitcnt vmcnt(13)
	v_lshlrev_b32_e32 v36, 16, v68
	s_delay_alu instid0(VALU_DEP_1) | instskip(NEXT) | instid1(VALU_DEP_1)
	v_add_f32_e32 v36, v35, v36
	v_and_b32_e32 v35, 0x7f800000, v36
	s_delay_alu instid0(VALU_DEP_1) | instskip(NEXT) | instid1(VALU_DEP_1)
	v_cmp_ne_u32_e64 s4, 0x7f800000, v35
                                        ; implicit-def: $vgpr35
	s_and_saveexec_b32 s35, s4
	s_delay_alu instid0(SALU_CYCLE_1)
	s_xor_b32 s4, exec_lo, s35
; %bb.98:                               ;   in Loop: Header=BB288_19 Depth=1
	v_bfe_u32 v35, v36, 16, 1
	s_delay_alu instid0(VALU_DEP_1)
	v_add3_u32 v35, v36, v35, 0x7fff
                                        ; implicit-def: $vgpr36
; %bb.99:                               ;   in Loop: Header=BB288_19 Depth=1
	s_and_not1_saveexec_b32 s35, s4
; %bb.100:                              ;   in Loop: Header=BB288_19 Depth=1
	v_and_b32_e32 v35, 0xffff, v36
	v_or_b32_e32 v37, 0x10000, v36
	s_delay_alu instid0(VALU_DEP_2) | instskip(NEXT) | instid1(VALU_DEP_1)
	v_cmp_eq_u32_e64 s4, 0, v35
	v_cndmask_b32_e64 v35, v37, v36, s4
; %bb.101:                              ;   in Loop: Header=BB288_19 Depth=1
	s_or_b32 exec_lo, exec_lo, s35
	v_dual_mov_b32 v37, v43 :: v_dual_add_nc_u32 v36, 2, v42
	s_delay_alu instid0(VALU_DEP_1) | instskip(NEXT) | instid1(VALU_DEP_1)
	v_lshlrev_b64 v[36:37], 1, v[36:37]
	v_add_co_u32 v36, s4, s14, v36
	s_delay_alu instid0(VALU_DEP_1)
	v_add_co_ci_u32_e64 v37, s4, s15, v37, s4
	global_store_d16_hi_b16 v[36:37], v35, off
	s_or_b32 exec_lo, exec_lo, s34
	s_and_saveexec_b32 s34, s3
	s_cbranch_execz .LBB288_55
.LBB288_102:                            ;   in Loop: Header=BB288_19 Depth=1
	s_waitcnt vmcnt(12) lgkmcnt(13)
	v_dual_add_f32 v32, v32, v33 :: v_dual_lshlrev_b32 v33, 16, v66
	s_delay_alu instid0(VALU_DEP_1) | instskip(NEXT) | instid1(VALU_DEP_1)
	v_add_f32_e32 v33, v32, v33
	v_and_b32_e32 v32, 0x7f800000, v33
	s_delay_alu instid0(VALU_DEP_1) | instskip(NEXT) | instid1(VALU_DEP_1)
	v_cmp_ne_u32_e64 s4, 0x7f800000, v32
                                        ; implicit-def: $vgpr32
	s_and_saveexec_b32 s35, s4
	s_delay_alu instid0(SALU_CYCLE_1)
	s_xor_b32 s4, exec_lo, s35
; %bb.103:                              ;   in Loop: Header=BB288_19 Depth=1
	v_bfe_u32 v32, v33, 16, 1
	s_delay_alu instid0(VALU_DEP_1)
	v_add3_u32 v32, v33, v32, 0x7fff
                                        ; implicit-def: $vgpr33
; %bb.104:                              ;   in Loop: Header=BB288_19 Depth=1
	s_and_not1_saveexec_b32 s35, s4
; %bb.105:                              ;   in Loop: Header=BB288_19 Depth=1
	v_and_b32_e32 v32, 0xffff, v33
	v_or_b32_e32 v35, 0x10000, v33
	s_delay_alu instid0(VALU_DEP_2) | instskip(NEXT) | instid1(VALU_DEP_1)
	v_cmp_eq_u32_e64 s4, 0, v32
	v_cndmask_b32_e64 v32, v35, v33, s4
; %bb.106:                              ;   in Loop: Header=BB288_19 Depth=1
	s_or_b32 exec_lo, exec_lo, s35
	v_dual_mov_b32 v36, v43 :: v_dual_add_nc_u32 v35, 3, v42
	s_delay_alu instid0(VALU_DEP_1) | instskip(NEXT) | instid1(VALU_DEP_1)
	v_lshlrev_b64 v[35:36], 1, v[35:36]
	v_add_co_u32 v35, s4, s14, v35
	s_delay_alu instid0(VALU_DEP_1)
	v_add_co_ci_u32_e64 v36, s4, s15, v36, s4
	global_store_d16_hi_b16 v[35:36], v32, off
	s_or_b32 exec_lo, exec_lo, s34
	v_add_nc_u32_e32 v42, s11, v42
	s_and_saveexec_b32 s34, vcc_lo
	s_cbranch_execz .LBB288_56
.LBB288_107:                            ;   in Loop: Header=BB288_19 Depth=1
	s_waitcnt vmcnt(11) lgkmcnt(12)
	v_dual_add_f32 v29, v29, v30 :: v_dual_lshlrev_b32 v30, 16, v69
	s_delay_alu instid0(VALU_DEP_1) | instskip(NEXT) | instid1(VALU_DEP_1)
	v_add_f32_e32 v30, v29, v30
	v_and_b32_e32 v29, 0x7f800000, v30
	s_delay_alu instid0(VALU_DEP_1) | instskip(NEXT) | instid1(VALU_DEP_1)
	v_cmp_ne_u32_e64 s4, 0x7f800000, v29
                                        ; implicit-def: $vgpr29
	s_and_saveexec_b32 s35, s4
	s_delay_alu instid0(SALU_CYCLE_1)
	s_xor_b32 s4, exec_lo, s35
; %bb.108:                              ;   in Loop: Header=BB288_19 Depth=1
	v_bfe_u32 v29, v30, 16, 1
	s_delay_alu instid0(VALU_DEP_1)
	v_add3_u32 v29, v30, v29, 0x7fff
                                        ; implicit-def: $vgpr30
; %bb.109:                              ;   in Loop: Header=BB288_19 Depth=1
	s_and_not1_saveexec_b32 s35, s4
; %bb.110:                              ;   in Loop: Header=BB288_19 Depth=1
	v_and_b32_e32 v29, 0xffff, v30
	v_or_b32_e32 v32, 0x10000, v30
	s_delay_alu instid0(VALU_DEP_2) | instskip(NEXT) | instid1(VALU_DEP_1)
	v_cmp_eq_u32_e64 s4, 0, v29
	v_cndmask_b32_e64 v29, v32, v30, s4
; %bb.111:                              ;   in Loop: Header=BB288_19 Depth=1
	s_or_b32 exec_lo, exec_lo, s35
	v_lshlrev_b64 v[32:33], 1, v[42:43]
	s_delay_alu instid0(VALU_DEP_1) | instskip(NEXT) | instid1(VALU_DEP_1)
	v_add_co_u32 v32, s4, s14, v32
	v_add_co_ci_u32_e64 v33, s4, s15, v33, s4
	global_store_d16_hi_b16 v[32:33], v29, off
	s_or_b32 exec_lo, exec_lo, s34
	s_and_saveexec_b32 s34, s1
	s_cbranch_execz .LBB288_57
.LBB288_112:                            ;   in Loop: Header=BB288_19 Depth=1
	s_waitcnt vmcnt(10) lgkmcnt(9)
	v_dual_add_f32 v24, v24, v25 :: v_dual_lshlrev_b32 v25, 16, v67
	s_delay_alu instid0(VALU_DEP_1) | instskip(NEXT) | instid1(VALU_DEP_1)
	v_add_f32_e32 v25, v24, v25
	v_and_b32_e32 v24, 0x7f800000, v25
	s_delay_alu instid0(VALU_DEP_1) | instskip(NEXT) | instid1(VALU_DEP_1)
	v_cmp_ne_u32_e64 s4, 0x7f800000, v24
                                        ; implicit-def: $vgpr24
	s_and_saveexec_b32 s35, s4
	s_delay_alu instid0(SALU_CYCLE_1)
	s_xor_b32 s4, exec_lo, s35
; %bb.113:                              ;   in Loop: Header=BB288_19 Depth=1
	v_bfe_u32 v24, v25, 16, 1
	s_delay_alu instid0(VALU_DEP_1)
	v_add3_u32 v24, v25, v24, 0x7fff
                                        ; implicit-def: $vgpr25
; %bb.114:                              ;   in Loop: Header=BB288_19 Depth=1
	s_and_not1_saveexec_b32 s35, s4
; %bb.115:                              ;   in Loop: Header=BB288_19 Depth=1
	v_and_b32_e32 v24, 0xffff, v25
	v_or_b32_e32 v29, 0x10000, v25
	s_delay_alu instid0(VALU_DEP_2) | instskip(NEXT) | instid1(VALU_DEP_1)
	v_cmp_eq_u32_e64 s4, 0, v24
	v_cndmask_b32_e64 v24, v29, v25, s4
; %bb.116:                              ;   in Loop: Header=BB288_19 Depth=1
	s_or_b32 exec_lo, exec_lo, s35
	v_dual_mov_b32 v30, v43 :: v_dual_add_nc_u32 v29, 1, v42
	s_delay_alu instid0(VALU_DEP_1) | instskip(NEXT) | instid1(VALU_DEP_1)
	v_lshlrev_b64 v[29:30], 1, v[29:30]
	v_add_co_u32 v29, s4, s14, v29
	s_delay_alu instid0(VALU_DEP_1)
	v_add_co_ci_u32_e64 v30, s4, s15, v30, s4
	global_store_d16_hi_b16 v[29:30], v24, off
	s_or_b32 exec_lo, exec_lo, s34
	s_and_saveexec_b32 s34, s2
	s_cbranch_execz .LBB288_58
.LBB288_117:                            ;   in Loop: Header=BB288_19 Depth=1
	s_waitcnt vmcnt(9) lgkmcnt(8)
	v_dual_add_f32 v24, v27, v28 :: v_dual_lshlrev_b32 v25, 16, v65
	s_delay_alu instid0(VALU_DEP_1) | instskip(NEXT) | instid1(VALU_DEP_1)
	v_add_f32_e32 v25, v24, v25
	v_and_b32_e32 v24, 0x7f800000, v25
	s_delay_alu instid0(VALU_DEP_1) | instskip(NEXT) | instid1(VALU_DEP_1)
	v_cmp_ne_u32_e64 s4, 0x7f800000, v24
                                        ; implicit-def: $vgpr24
	s_and_saveexec_b32 s35, s4
	s_delay_alu instid0(SALU_CYCLE_1)
	s_xor_b32 s4, exec_lo, s35
; %bb.118:                              ;   in Loop: Header=BB288_19 Depth=1
	v_bfe_u32 v24, v25, 16, 1
	s_delay_alu instid0(VALU_DEP_1)
	v_add3_u32 v24, v25, v24, 0x7fff
                                        ; implicit-def: $vgpr25
; %bb.119:                              ;   in Loop: Header=BB288_19 Depth=1
	s_and_not1_saveexec_b32 s35, s4
; %bb.120:                              ;   in Loop: Header=BB288_19 Depth=1
	v_and_b32_e32 v24, 0xffff, v25
	v_or_b32_e32 v27, 0x10000, v25
	s_delay_alu instid0(VALU_DEP_2) | instskip(NEXT) | instid1(VALU_DEP_1)
	v_cmp_eq_u32_e64 s4, 0, v24
	v_cndmask_b32_e64 v24, v27, v25, s4
; %bb.121:                              ;   in Loop: Header=BB288_19 Depth=1
	s_or_b32 exec_lo, exec_lo, s35
	v_dual_mov_b32 v28, v43 :: v_dual_add_nc_u32 v27, 2, v42
	s_delay_alu instid0(VALU_DEP_1) | instskip(NEXT) | instid1(VALU_DEP_1)
	v_lshlrev_b64 v[27:28], 1, v[27:28]
	v_add_co_u32 v27, s4, s14, v27
	s_delay_alu instid0(VALU_DEP_1)
	v_add_co_ci_u32_e64 v28, s4, s15, v28, s4
	global_store_d16_hi_b16 v[27:28], v24, off
	s_or_b32 exec_lo, exec_lo, s34
	s_and_saveexec_b32 s34, s3
	s_cbranch_execz .LBB288_59
.LBB288_122:                            ;   in Loop: Header=BB288_19 Depth=1
	s_waitcnt vmcnt(8) lgkmcnt(10)
	v_dual_add_f32 v22, v22, v23 :: v_dual_lshlrev_b32 v23, 16, v64
	s_delay_alu instid0(VALU_DEP_1) | instskip(NEXT) | instid1(VALU_DEP_1)
	v_add_f32_e32 v23, v22, v23
	v_and_b32_e32 v22, 0x7f800000, v23
	s_delay_alu instid0(VALU_DEP_1) | instskip(NEXT) | instid1(VALU_DEP_1)
	v_cmp_ne_u32_e64 s4, 0x7f800000, v22
                                        ; implicit-def: $vgpr22
	s_and_saveexec_b32 s35, s4
	s_delay_alu instid0(SALU_CYCLE_1)
	s_xor_b32 s4, exec_lo, s35
; %bb.123:                              ;   in Loop: Header=BB288_19 Depth=1
	v_bfe_u32 v22, v23, 16, 1
	s_delay_alu instid0(VALU_DEP_1)
	v_add3_u32 v22, v23, v22, 0x7fff
                                        ; implicit-def: $vgpr23
; %bb.124:                              ;   in Loop: Header=BB288_19 Depth=1
	s_and_not1_saveexec_b32 s35, s4
; %bb.125:                              ;   in Loop: Header=BB288_19 Depth=1
	v_and_b32_e32 v22, 0xffff, v23
	v_or_b32_e32 v24, 0x10000, v23
	s_delay_alu instid0(VALU_DEP_2) | instskip(NEXT) | instid1(VALU_DEP_1)
	v_cmp_eq_u32_e64 s4, 0, v22
	v_cndmask_b32_e64 v22, v24, v23, s4
; %bb.126:                              ;   in Loop: Header=BB288_19 Depth=1
	s_or_b32 exec_lo, exec_lo, s35
	v_dual_mov_b32 v24, v43 :: v_dual_add_nc_u32 v23, 3, v42
	s_delay_alu instid0(VALU_DEP_1) | instskip(NEXT) | instid1(VALU_DEP_1)
	v_lshlrev_b64 v[23:24], 1, v[23:24]
	v_add_co_u32 v23, s4, s14, v23
	s_delay_alu instid0(VALU_DEP_1)
	v_add_co_ci_u32_e64 v24, s4, s15, v24, s4
	global_store_d16_hi_b16 v[23:24], v22, off
	s_or_b32 exec_lo, exec_lo, s34
	v_add_nc_u32_e32 v42, s11, v42
	s_and_saveexec_b32 s34, vcc_lo
	s_cbranch_execz .LBB288_60
.LBB288_127:                            ;   in Loop: Header=BB288_19 Depth=1
	s_waitcnt vmcnt(7) lgkmcnt(7)
	v_dual_add_f32 v19, v19, v20 :: v_dual_lshlrev_b32 v20, 16, v57
	s_delay_alu instid0(VALU_DEP_1) | instskip(NEXT) | instid1(VALU_DEP_1)
	v_add_f32_e32 v20, v19, v20
	v_and_b32_e32 v19, 0x7f800000, v20
	s_delay_alu instid0(VALU_DEP_1) | instskip(NEXT) | instid1(VALU_DEP_1)
	v_cmp_ne_u32_e64 s4, 0x7f800000, v19
                                        ; implicit-def: $vgpr19
	s_and_saveexec_b32 s35, s4
	s_delay_alu instid0(SALU_CYCLE_1)
	s_xor_b32 s4, exec_lo, s35
; %bb.128:                              ;   in Loop: Header=BB288_19 Depth=1
	v_bfe_u32 v19, v20, 16, 1
	s_delay_alu instid0(VALU_DEP_1)
	v_add3_u32 v19, v20, v19, 0x7fff
                                        ; implicit-def: $vgpr20
; %bb.129:                              ;   in Loop: Header=BB288_19 Depth=1
	s_and_not1_saveexec_b32 s35, s4
; %bb.130:                              ;   in Loop: Header=BB288_19 Depth=1
	v_and_b32_e32 v19, 0xffff, v20
	v_or_b32_e32 v22, 0x10000, v20
	s_delay_alu instid0(VALU_DEP_2) | instskip(NEXT) | instid1(VALU_DEP_1)
	v_cmp_eq_u32_e64 s4, 0, v19
	v_cndmask_b32_e64 v19, v22, v20, s4
; %bb.131:                              ;   in Loop: Header=BB288_19 Depth=1
	s_or_b32 exec_lo, exec_lo, s35
	v_lshlrev_b64 v[22:23], 1, v[42:43]
	s_delay_alu instid0(VALU_DEP_1) | instskip(NEXT) | instid1(VALU_DEP_1)
	v_add_co_u32 v22, s4, s14, v22
	v_add_co_ci_u32_e64 v23, s4, s15, v23, s4
	global_store_d16_hi_b16 v[22:23], v19, off
	s_or_b32 exec_lo, exec_lo, s34
	s_and_saveexec_b32 s34, s1
	s_cbranch_execz .LBB288_61
.LBB288_132:                            ;   in Loop: Header=BB288_19 Depth=1
	s_waitcnt vmcnt(6) lgkmcnt(5)
	v_dual_add_f32 v17, v17, v18 :: v_dual_lshlrev_b32 v18, 16, v55
	s_delay_alu instid0(VALU_DEP_1) | instskip(NEXT) | instid1(VALU_DEP_1)
	v_add_f32_e32 v18, v17, v18
	v_and_b32_e32 v17, 0x7f800000, v18
	s_delay_alu instid0(VALU_DEP_1) | instskip(NEXT) | instid1(VALU_DEP_1)
	v_cmp_ne_u32_e64 s4, 0x7f800000, v17
                                        ; implicit-def: $vgpr17
	s_and_saveexec_b32 s35, s4
	s_delay_alu instid0(SALU_CYCLE_1)
	s_xor_b32 s4, exec_lo, s35
; %bb.133:                              ;   in Loop: Header=BB288_19 Depth=1
	v_bfe_u32 v17, v18, 16, 1
	s_delay_alu instid0(VALU_DEP_1)
	v_add3_u32 v17, v18, v17, 0x7fff
                                        ; implicit-def: $vgpr18
; %bb.134:                              ;   in Loop: Header=BB288_19 Depth=1
	s_and_not1_saveexec_b32 s35, s4
; %bb.135:                              ;   in Loop: Header=BB288_19 Depth=1
	v_and_b32_e32 v17, 0xffff, v18
	v_or_b32_e32 v19, 0x10000, v18
	s_delay_alu instid0(VALU_DEP_2) | instskip(NEXT) | instid1(VALU_DEP_1)
	v_cmp_eq_u32_e64 s4, 0, v17
	v_cndmask_b32_e64 v17, v19, v18, s4
; %bb.136:                              ;   in Loop: Header=BB288_19 Depth=1
	s_or_b32 exec_lo, exec_lo, s35
	v_dual_mov_b32 v19, v43 :: v_dual_add_nc_u32 v18, 1, v42
	s_delay_alu instid0(VALU_DEP_1) | instskip(NEXT) | instid1(VALU_DEP_1)
	v_lshlrev_b64 v[18:19], 1, v[18:19]
	v_add_co_u32 v18, s4, s14, v18
	s_delay_alu instid0(VALU_DEP_1)
	v_add_co_ci_u32_e64 v19, s4, s15, v19, s4
	global_store_d16_hi_b16 v[18:19], v17, off
	s_or_b32 exec_lo, exec_lo, s34
	s_and_saveexec_b32 s34, s2
	s_cbranch_execz .LBB288_62
.LBB288_137:                            ;   in Loop: Header=BB288_19 Depth=1
	s_waitcnt vmcnt(5) lgkmcnt(6)
	v_dual_add_f32 v13, v13, v14 :: v_dual_lshlrev_b32 v14, 16, v52
	s_delay_alu instid0(VALU_DEP_1) | instskip(NEXT) | instid1(VALU_DEP_1)
	v_add_f32_e32 v14, v13, v14
	v_and_b32_e32 v13, 0x7f800000, v14
	s_delay_alu instid0(VALU_DEP_1) | instskip(NEXT) | instid1(VALU_DEP_1)
	v_cmp_ne_u32_e64 s4, 0x7f800000, v13
                                        ; implicit-def: $vgpr13
	s_and_saveexec_b32 s35, s4
	s_delay_alu instid0(SALU_CYCLE_1)
	s_xor_b32 s4, exec_lo, s35
; %bb.138:                              ;   in Loop: Header=BB288_19 Depth=1
	v_bfe_u32 v13, v14, 16, 1
	s_delay_alu instid0(VALU_DEP_1)
	v_add3_u32 v13, v14, v13, 0x7fff
                                        ; implicit-def: $vgpr14
; %bb.139:                              ;   in Loop: Header=BB288_19 Depth=1
	s_and_not1_saveexec_b32 s35, s4
; %bb.140:                              ;   in Loop: Header=BB288_19 Depth=1
	v_and_b32_e32 v13, 0xffff, v14
	v_or_b32_e32 v17, 0x10000, v14
	s_delay_alu instid0(VALU_DEP_2) | instskip(NEXT) | instid1(VALU_DEP_1)
	v_cmp_eq_u32_e64 s4, 0, v13
	v_cndmask_b32_e64 v13, v17, v14, s4
; %bb.141:                              ;   in Loop: Header=BB288_19 Depth=1
	s_or_b32 exec_lo, exec_lo, s35
	s_waitcnt lgkmcnt(5)
	v_dual_mov_b32 v18, v43 :: v_dual_add_nc_u32 v17, 2, v42
	s_delay_alu instid0(VALU_DEP_1) | instskip(NEXT) | instid1(VALU_DEP_1)
	v_lshlrev_b64 v[17:18], 1, v[17:18]
	v_add_co_u32 v17, s4, s14, v17
	s_delay_alu instid0(VALU_DEP_1)
	v_add_co_ci_u32_e64 v18, s4, s15, v18, s4
	global_store_d16_hi_b16 v[17:18], v13, off
	s_or_b32 exec_lo, exec_lo, s34
	s_and_saveexec_b32 s34, s3
	s_cbranch_execz .LBB288_63
.LBB288_142:                            ;   in Loop: Header=BB288_19 Depth=1
	s_waitcnt vmcnt(4) lgkmcnt(3)
	v_dual_add_f32 v13, v15, v16 :: v_dual_lshlrev_b32 v14, 16, v39
	s_delay_alu instid0(VALU_DEP_1) | instskip(NEXT) | instid1(VALU_DEP_1)
	v_add_f32_e32 v14, v13, v14
	v_and_b32_e32 v13, 0x7f800000, v14
	s_delay_alu instid0(VALU_DEP_1) | instskip(NEXT) | instid1(VALU_DEP_1)
	v_cmp_ne_u32_e64 s4, 0x7f800000, v13
                                        ; implicit-def: $vgpr13
	s_and_saveexec_b32 s35, s4
	s_delay_alu instid0(SALU_CYCLE_1)
	s_xor_b32 s4, exec_lo, s35
; %bb.143:                              ;   in Loop: Header=BB288_19 Depth=1
	v_bfe_u32 v13, v14, 16, 1
	s_delay_alu instid0(VALU_DEP_1)
	v_add3_u32 v13, v14, v13, 0x7fff
                                        ; implicit-def: $vgpr14
; %bb.144:                              ;   in Loop: Header=BB288_19 Depth=1
	s_and_not1_saveexec_b32 s35, s4
; %bb.145:                              ;   in Loop: Header=BB288_19 Depth=1
	v_and_b32_e32 v13, 0xffff, v14
	v_or_b32_e32 v15, 0x10000, v14
	s_delay_alu instid0(VALU_DEP_2) | instskip(NEXT) | instid1(VALU_DEP_1)
	v_cmp_eq_u32_e64 s4, 0, v13
	v_cndmask_b32_e64 v13, v15, v14, s4
; %bb.146:                              ;   in Loop: Header=BB288_19 Depth=1
	s_or_b32 exec_lo, exec_lo, s35
	v_dual_mov_b32 v15, v43 :: v_dual_add_nc_u32 v14, 3, v42
	s_delay_alu instid0(VALU_DEP_1) | instskip(NEXT) | instid1(VALU_DEP_1)
	v_lshlrev_b64 v[14:15], 1, v[14:15]
	v_add_co_u32 v14, s4, s14, v14
	s_delay_alu instid0(VALU_DEP_1)
	v_add_co_ci_u32_e64 v15, s4, s15, v15, s4
	global_store_d16_hi_b16 v[14:15], v13, off
	s_or_b32 exec_lo, exec_lo, s34
	v_add_nc_u32_e32 v42, s11, v42
	s_and_saveexec_b32 s4, vcc_lo
	s_cbranch_execz .LBB288_64
.LBB288_147:                            ;   in Loop: Header=BB288_19 Depth=1
	s_waitcnt vmcnt(3) lgkmcnt(4)
	v_dual_add_f32 v11, v11, v12 :: v_dual_lshlrev_b32 v12, 16, v34
	s_delay_alu instid0(VALU_DEP_1) | instskip(NEXT) | instid1(VALU_DEP_1)
	v_add_f32_e32 v12, v11, v12
	v_and_b32_e32 v11, 0x7f800000, v12
	s_delay_alu instid0(VALU_DEP_1) | instskip(SKIP_1) | instid1(SALU_CYCLE_1)
	v_cmp_ne_u32_e32 vcc_lo, 0x7f800000, v11
                                        ; implicit-def: $vgpr11
	s_and_saveexec_b32 s34, vcc_lo
	s_xor_b32 s34, exec_lo, s34
; %bb.148:                              ;   in Loop: Header=BB288_19 Depth=1
	v_bfe_u32 v11, v12, 16, 1
	s_delay_alu instid0(VALU_DEP_1)
	v_add3_u32 v11, v12, v11, 0x7fff
                                        ; implicit-def: $vgpr12
; %bb.149:                              ;   in Loop: Header=BB288_19 Depth=1
	s_and_not1_saveexec_b32 s34, s34
; %bb.150:                              ;   in Loop: Header=BB288_19 Depth=1
	v_and_b32_e32 v11, 0xffff, v12
	v_or_b32_e32 v13, 0x10000, v12
	s_delay_alu instid0(VALU_DEP_2) | instskip(NEXT) | instid1(VALU_DEP_2)
	v_cmp_eq_u32_e32 vcc_lo, 0, v11
	v_cndmask_b32_e32 v11, v13, v12, vcc_lo
; %bb.151:                              ;   in Loop: Header=BB288_19 Depth=1
	s_or_b32 exec_lo, exec_lo, s34
	v_lshlrev_b64 v[12:13], 1, v[42:43]
	s_delay_alu instid0(VALU_DEP_1) | instskip(NEXT) | instid1(VALU_DEP_2)
	v_add_co_u32 v12, vcc_lo, s14, v12
	v_add_co_ci_u32_e32 v13, vcc_lo, s15, v13, vcc_lo
	global_store_d16_hi_b16 v[12:13], v11, off
	s_or_b32 exec_lo, exec_lo, s4
	s_and_saveexec_b32 s4, s1
	s_cbranch_execz .LBB288_65
.LBB288_152:                            ;   in Loop: Header=BB288_19 Depth=1
	s_waitcnt vmcnt(2) lgkmcnt(2)
	v_dual_add_f32 v9, v9, v10 :: v_dual_lshlrev_b32 v10, 16, v31
	s_delay_alu instid0(VALU_DEP_1) | instskip(NEXT) | instid1(VALU_DEP_1)
	v_add_f32_e32 v10, v9, v10
	v_and_b32_e32 v9, 0x7f800000, v10
	s_delay_alu instid0(VALU_DEP_1) | instskip(SKIP_1) | instid1(SALU_CYCLE_1)
	v_cmp_ne_u32_e32 vcc_lo, 0x7f800000, v9
                                        ; implicit-def: $vgpr9
	s_and_saveexec_b32 s1, vcc_lo
	s_xor_b32 s1, exec_lo, s1
; %bb.153:                              ;   in Loop: Header=BB288_19 Depth=1
	v_bfe_u32 v9, v10, 16, 1
	s_delay_alu instid0(VALU_DEP_1)
	v_add3_u32 v9, v10, v9, 0x7fff
                                        ; implicit-def: $vgpr10
; %bb.154:                              ;   in Loop: Header=BB288_19 Depth=1
	s_and_not1_saveexec_b32 s1, s1
; %bb.155:                              ;   in Loop: Header=BB288_19 Depth=1
	v_and_b32_e32 v9, 0xffff, v10
	v_or_b32_e32 v11, 0x10000, v10
	s_delay_alu instid0(VALU_DEP_2) | instskip(NEXT) | instid1(VALU_DEP_2)
	v_cmp_eq_u32_e32 vcc_lo, 0, v9
	v_cndmask_b32_e32 v9, v11, v10, vcc_lo
; %bb.156:                              ;   in Loop: Header=BB288_19 Depth=1
	s_or_b32 exec_lo, exec_lo, s1
	v_dual_mov_b32 v11, v43 :: v_dual_add_nc_u32 v10, 1, v42
	s_delay_alu instid0(VALU_DEP_1) | instskip(NEXT) | instid1(VALU_DEP_1)
	v_lshlrev_b64 v[10:11], 1, v[10:11]
	v_add_co_u32 v10, vcc_lo, s14, v10
	s_delay_alu instid0(VALU_DEP_2)
	v_add_co_ci_u32_e32 v11, vcc_lo, s15, v11, vcc_lo
	global_store_d16_hi_b16 v[10:11], v9, off
	s_or_b32 exec_lo, exec_lo, s4
	s_and_saveexec_b32 s1, s2
	s_cbranch_execz .LBB288_66
.LBB288_157:                            ;   in Loop: Header=BB288_19 Depth=1
	s_waitcnt vmcnt(1) lgkmcnt(1)
	v_dual_add_f32 v7, v7, v8 :: v_dual_lshlrev_b32 v8, 16, v26
	s_delay_alu instid0(VALU_DEP_1) | instskip(NEXT) | instid1(VALU_DEP_1)
	v_add_f32_e32 v8, v7, v8
	v_and_b32_e32 v7, 0x7f800000, v8
	s_delay_alu instid0(VALU_DEP_1) | instskip(SKIP_1) | instid1(SALU_CYCLE_1)
	v_cmp_ne_u32_e32 vcc_lo, 0x7f800000, v7
                                        ; implicit-def: $vgpr7
	s_and_saveexec_b32 s2, vcc_lo
	s_xor_b32 s2, exec_lo, s2
; %bb.158:                              ;   in Loop: Header=BB288_19 Depth=1
	v_bfe_u32 v7, v8, 16, 1
	s_delay_alu instid0(VALU_DEP_1)
	v_add3_u32 v7, v8, v7, 0x7fff
                                        ; implicit-def: $vgpr8
; %bb.159:                              ;   in Loop: Header=BB288_19 Depth=1
	s_and_not1_saveexec_b32 s2, s2
; %bb.160:                              ;   in Loop: Header=BB288_19 Depth=1
	v_and_b32_e32 v7, 0xffff, v8
	v_or_b32_e32 v9, 0x10000, v8
	s_delay_alu instid0(VALU_DEP_2) | instskip(NEXT) | instid1(VALU_DEP_2)
	v_cmp_eq_u32_e32 vcc_lo, 0, v7
	v_cndmask_b32_e32 v7, v9, v8, vcc_lo
; %bb.161:                              ;   in Loop: Header=BB288_19 Depth=1
	s_or_b32 exec_lo, exec_lo, s2
	v_dual_mov_b32 v9, v43 :: v_dual_add_nc_u32 v8, 2, v42
	s_delay_alu instid0(VALU_DEP_1) | instskip(NEXT) | instid1(VALU_DEP_1)
	v_lshlrev_b64 v[8:9], 1, v[8:9]
	v_add_co_u32 v8, vcc_lo, s14, v8
	s_delay_alu instid0(VALU_DEP_2) | instskip(SKIP_2) | instid1(SALU_CYCLE_1)
	v_add_co_ci_u32_e32 v9, vcc_lo, s15, v9, vcc_lo
	global_store_d16_hi_b16 v[8:9], v7, off
	s_or_b32 exec_lo, exec_lo, s1
	s_and_b32 exec_lo, exec_lo, s3
	s_cbranch_execz .LBB288_167
.LBB288_162:                            ;   in Loop: Header=BB288_19 Depth=1
	s_waitcnt vmcnt(0) lgkmcnt(0)
	v_dual_add_f32 v5, v5, v6 :: v_dual_lshlrev_b32 v6, 16, v21
	s_delay_alu instid0(VALU_DEP_1) | instskip(NEXT) | instid1(VALU_DEP_1)
	v_add_f32_e32 v6, v5, v6
	v_and_b32_e32 v5, 0x7f800000, v6
	s_delay_alu instid0(VALU_DEP_1) | instskip(SKIP_1) | instid1(SALU_CYCLE_1)
	v_cmp_ne_u32_e32 vcc_lo, 0x7f800000, v5
                                        ; implicit-def: $vgpr5
	s_and_saveexec_b32 s1, vcc_lo
	s_xor_b32 s1, exec_lo, s1
; %bb.163:                              ;   in Loop: Header=BB288_19 Depth=1
	v_bfe_u32 v5, v6, 16, 1
	s_delay_alu instid0(VALU_DEP_1)
	v_add3_u32 v5, v6, v5, 0x7fff
                                        ; implicit-def: $vgpr6
; %bb.164:                              ;   in Loop: Header=BB288_19 Depth=1
	s_and_not1_saveexec_b32 s1, s1
; %bb.165:                              ;   in Loop: Header=BB288_19 Depth=1
	v_and_b32_e32 v5, 0xffff, v6
	v_or_b32_e32 v7, 0x10000, v6
	s_delay_alu instid0(VALU_DEP_2) | instskip(NEXT) | instid1(VALU_DEP_2)
	v_cmp_eq_u32_e32 vcc_lo, 0, v5
	v_cndmask_b32_e32 v5, v7, v6, vcc_lo
; %bb.166:                              ;   in Loop: Header=BB288_19 Depth=1
	s_or_b32 exec_lo, exec_lo, s1
	v_add_nc_u32_e32 v42, 3, v42
	s_delay_alu instid0(VALU_DEP_1) | instskip(NEXT) | instid1(VALU_DEP_1)
	v_lshlrev_b64 v[6:7], 1, v[42:43]
	v_add_co_u32 v6, vcc_lo, s14, v6
	s_delay_alu instid0(VALU_DEP_2)
	v_add_co_ci_u32_e32 v7, vcc_lo, s15, v7, vcc_lo
	global_store_d16_hi_b16 v[6:7], v5, off
.LBB288_167:                            ;   in Loop: Header=BB288_19 Depth=1
	s_or_b32 exec_lo, exec_lo, s5
	v_add_nc_u32_e32 v41, s20, v41
	s_delay_alu instid0(VALU_DEP_1) | instskip(SKIP_1) | instid1(VALU_DEP_2)
	v_add_nc_u32_e32 v5, 4, v41
	v_cmp_gt_u32_e32 vcc_lo, s11, v41
	v_cmp_le_u32_e64 s1, s11, v5
	s_delay_alu instid0(VALU_DEP_1) | instskip(NEXT) | instid1(SALU_CYCLE_1)
	s_and_b32 s1, vcc_lo, s1
	s_and_saveexec_b32 s34, s1
	s_cbranch_execz .LBB288_18
; %bb.168:                              ;   in Loop: Header=BB288_19 Depth=1
	s_mov_b32 s35, exec_lo
	v_cmpx_ne_u32_e64 s21, v41
	s_cbranch_execz .LBB288_17
; %bb.169:                              ;   in Loop: Header=BB288_19 Depth=1
	v_subrev_nc_u32_e32 v5, s21, v41
	s_mov_b32 s36, 0
	s_mov_b64 s[4:5], 0
	s_delay_alu instid0(VALU_DEP_1)
	v_cmp_lt_u32_e32 vcc_lo, 1, v5
	v_cndmask_b32_e32 v5, 1, v5, vcc_lo
	.p2align	6
.LBB288_170:                            ;   Parent Loop BB288_19 Depth=1
                                        ; =>  This Inner Loop Header: Depth=2
	s_cmp_lg_u32 s4, 3
	s_cselect_b32 vcc_lo, -1, 0
	s_cmp_lg_u32 s4, 2
	v_cndmask_b32_e32 v4, 0, v4, vcc_lo
	s_cselect_b32 s1, -1, 0
	s_cmp_lg_u32 s4, 1
	v_cndmask_b32_e64 v3, 0, v3, s1
	s_cselect_b32 s2, -1, 0
	s_cmp_lg_u32 s4, 0
	v_cndmask_b32_e64 v2, 0, v2, s2
	s_cselect_b32 s3, -1, 0
	s_add_u32 s4, s4, 1
	v_cndmask_b32_e64 v1, 0, v1, s3
	v_cmp_eq_u32_e32 vcc_lo, s4, v5
	s_addc_u32 s5, s5, 0
	s_or_b32 s36, vcc_lo, s36
	s_delay_alu instid0(SALU_CYCLE_1)
	s_and_not1_b32 exec_lo, exec_lo, s36
	s_cbranch_execnz .LBB288_170
; %bb.171:                              ;   in Loop: Header=BB288_19 Depth=1
	s_or_b32 exec_lo, exec_lo, s36
	s_branch .LBB288_17
.LBB288_172:
	s_nop 0
	s_sendmsg sendmsg(MSG_DEALLOC_VGPRS)
	s_endpgm
	.section	.rodata,"a",@progbits
	.p2align	6, 0x0
	.amdhsa_kernel _Z12wvSplitK_hf_I14__hip_bfloat16Li32ELi4ELi16ELi8ELi1ELi5EEviiiiiiPKT_S3_S3_PS1_ii
		.amdhsa_group_segment_fixed_size 65536
		.amdhsa_private_segment_fixed_size 0
		.amdhsa_kernarg_size 64
		.amdhsa_user_sgpr_count 15
		.amdhsa_user_sgpr_dispatch_ptr 0
		.amdhsa_user_sgpr_queue_ptr 0
		.amdhsa_user_sgpr_kernarg_segment_ptr 1
		.amdhsa_user_sgpr_dispatch_id 0
		.amdhsa_user_sgpr_private_segment_size 0
		.amdhsa_wavefront_size32 1
		.amdhsa_uses_dynamic_stack 0
		.amdhsa_enable_private_segment 0
		.amdhsa_system_sgpr_workgroup_id_x 1
		.amdhsa_system_sgpr_workgroup_id_y 0
		.amdhsa_system_sgpr_workgroup_id_z 0
		.amdhsa_system_sgpr_workgroup_info 0
		.amdhsa_system_vgpr_workitem_id 1
		.amdhsa_next_free_vgpr 103
		.amdhsa_next_free_sgpr 37
		.amdhsa_reserve_vcc 1
		.amdhsa_float_round_mode_32 0
		.amdhsa_float_round_mode_16_64 0
		.amdhsa_float_denorm_mode_32 3
		.amdhsa_float_denorm_mode_16_64 3
		.amdhsa_dx10_clamp 1
		.amdhsa_ieee_mode 1
		.amdhsa_fp16_overflow 0
		.amdhsa_workgroup_processor_mode 1
		.amdhsa_memory_ordered 1
		.amdhsa_forward_progress 0
		.amdhsa_shared_vgpr_count 0
		.amdhsa_exception_fp_ieee_invalid_op 0
		.amdhsa_exception_fp_denorm_src 0
		.amdhsa_exception_fp_ieee_div_zero 0
		.amdhsa_exception_fp_ieee_overflow 0
		.amdhsa_exception_fp_ieee_underflow 0
		.amdhsa_exception_fp_ieee_inexact 0
		.amdhsa_exception_int_div_zero 0
	.end_amdhsa_kernel
	.section	.text._Z12wvSplitK_hf_I14__hip_bfloat16Li32ELi4ELi16ELi8ELi1ELi5EEviiiiiiPKT_S3_S3_PS1_ii,"axG",@progbits,_Z12wvSplitK_hf_I14__hip_bfloat16Li32ELi4ELi16ELi8ELi1ELi5EEviiiiiiPKT_S3_S3_PS1_ii,comdat
.Lfunc_end288:
	.size	_Z12wvSplitK_hf_I14__hip_bfloat16Li32ELi4ELi16ELi8ELi1ELi5EEviiiiiiPKT_S3_S3_PS1_ii, .Lfunc_end288-_Z12wvSplitK_hf_I14__hip_bfloat16Li32ELi4ELi16ELi8ELi1ELi5EEviiiiiiPKT_S3_S3_PS1_ii
                                        ; -- End function
	.section	.AMDGPU.csdata,"",@progbits
; Kernel info:
; codeLenInByte = 10752
; NumSgprs: 39
; NumVgprs: 103
; ScratchSize: 0
; MemoryBound: 0
; FloatMode: 240
; IeeeMode: 1
; LDSByteSize: 65536 bytes/workgroup (compile time only)
; SGPRBlocks: 4
; VGPRBlocks: 12
; NumSGPRsForWavesPerEU: 39
; NumVGPRsForWavesPerEU: 103
; Occupancy: 8
; WaveLimiterHint : 0
; COMPUTE_PGM_RSRC2:SCRATCH_EN: 0
; COMPUTE_PGM_RSRC2:USER_SGPR: 15
; COMPUTE_PGM_RSRC2:TRAP_HANDLER: 0
; COMPUTE_PGM_RSRC2:TGID_X_EN: 1
; COMPUTE_PGM_RSRC2:TGID_Y_EN: 0
; COMPUTE_PGM_RSRC2:TGID_Z_EN: 0
; COMPUTE_PGM_RSRC2:TIDIG_COMP_CNT: 1
	.section	.text._Z16wvSplitK_hf_big_I14__hip_bfloat16Li32ELi4ELi16ELi8ELi1ELi5EEviiiiiiPKT_S3_S3_PS1_ii,"axG",@progbits,_Z16wvSplitK_hf_big_I14__hip_bfloat16Li32ELi4ELi16ELi8ELi1ELi5EEviiiiiiPKT_S3_S3_PS1_ii,comdat
	.protected	_Z16wvSplitK_hf_big_I14__hip_bfloat16Li32ELi4ELi16ELi8ELi1ELi5EEviiiiiiPKT_S3_S3_PS1_ii ; -- Begin function _Z16wvSplitK_hf_big_I14__hip_bfloat16Li32ELi4ELi16ELi8ELi1ELi5EEviiiiiiPKT_S3_S3_PS1_ii
	.globl	_Z16wvSplitK_hf_big_I14__hip_bfloat16Li32ELi4ELi16ELi8ELi1ELi5EEviiiiiiPKT_S3_S3_PS1_ii
	.p2align	8
	.type	_Z16wvSplitK_hf_big_I14__hip_bfloat16Li32ELi4ELi16ELi8ELi1ELi5EEviiiiiiPKT_S3_S3_PS1_ii,@function
_Z16wvSplitK_hf_big_I14__hip_bfloat16Li32ELi4ELi16ELi8ELi1ELi5EEviiiiiiPKT_S3_S3_PS1_ii: ; @_Z16wvSplitK_hf_big_I14__hip_bfloat16Li32ELi4ELi16ELi8ELi1ELi5EEviiiiiiPKT_S3_S3_PS1_ii
; %bb.0:
	s_load_b64 s[20:21], s[0:1], 0x38
	v_bfe_u32 v5, v0, 10, 10
	s_mov_b32 s2, exec_lo
	s_waitcnt lgkmcnt(0)
	s_delay_alu instid0(VALU_DEP_1)
	v_cmpx_gt_u32_e64 s20, v5
	s_cbranch_execz .LBB289_158
; %bb.1:
	s_load_b128 s[16:19], s[0:1], 0x0
	s_mul_i32 s15, s15, s20
	s_mov_b32 s4, 1
	v_add_lshl_u32 v41, s15, v5, 2
	s_mov_b32 s5, s4
	s_mov_b32 s6, s4
	;; [unrolled: 1-line block ×3, first 2 shown]
	s_delay_alu instid0(VALU_DEP_1) | instskip(SKIP_2) | instid1(VALU_DEP_2)
	v_add_nc_u32_e32 v1, 4, v41
	s_waitcnt lgkmcnt(0)
	v_cmp_gt_u32_e32 vcc_lo, s19, v41
	v_cmp_le_u32_e64 s2, s19, v1
	v_dual_mov_b32 v1, s4 :: v_dual_mov_b32 v4, s7
	v_dual_mov_b32 v2, s5 :: v_dual_mov_b32 v3, s6
	s_delay_alu instid0(VALU_DEP_3) | instskip(NEXT) | instid1(SALU_CYCLE_1)
	s_and_b32 s2, vcc_lo, s2
	s_and_saveexec_b32 s8, s2
	s_cbranch_execz .LBB289_7
; %bb.2:
	v_dual_mov_b32 v1, s4 :: v_dual_mov_b32 v2, s5
	v_dual_mov_b32 v3, s6 :: v_dual_mov_b32 v4, s7
	s_add_i32 s9, s19, -4
	s_mov_b32 s10, exec_lo
	v_cmpx_ne_u32_e64 s9, v41
	s_cbranch_execz .LBB289_6
; %bb.3:
	v_subrev_nc_u32_e32 v1, s9, v41
	s_mov_b32 s11, 0
	s_mov_b64 s[2:3], 0
	s_mov_b32 s5, s4
	s_mov_b32 s6, s4
	v_cmp_lt_u32_e32 vcc_lo, 1, v1
	s_mov_b32 s7, s4
	v_cndmask_b32_e32 v6, 1, v1, vcc_lo
	.p2align	6
.LBB289_4:                              ; =>This Inner Loop Header: Depth=1
	s_cmp_lg_u32 s2, 3
	s_cselect_b32 s7, s7, 0
	s_cmp_lg_u32 s2, 2
	s_cselect_b32 s6, s6, 0
	;; [unrolled: 2-line block ×4, first 2 shown]
	s_add_u32 s2, s2, 1
	v_dual_mov_b32 v1, s4 :: v_dual_mov_b32 v2, s5
	v_cmp_eq_u32_e32 vcc_lo, s2, v6
	v_dual_mov_b32 v3, s6 :: v_dual_mov_b32 v4, s7
	s_addc_u32 s3, s3, 0
	s_or_b32 s11, vcc_lo, s11
	s_delay_alu instid0(SALU_CYCLE_1)
	s_and_not1_b32 exec_lo, exec_lo, s11
	s_cbranch_execnz .LBB289_4
; %bb.5:
	s_or_b32 exec_lo, exec_lo, s11
	v_mov_b32_e32 v41, s9
.LBB289_6:
	s_or_b32 exec_lo, exec_lo, s10
.LBB289_7:
	s_delay_alu instid0(SALU_CYCLE_1)
	s_or_b32 exec_lo, exec_lo, s8
	s_lshl_b32 s2, s20, 2
	s_abs_i32 s6, s19
	s_abs_i32 s3, s2
	s_mov_b32 s23, 0
	v_cvt_f32_u32_e32 v6, s3
	s_sub_i32 s5, 0, s3
	s_delay_alu instid0(VALU_DEP_1) | instskip(SKIP_2) | instid1(VALU_DEP_1)
	v_rcp_iflag_f32_e32 v6, v6
	s_waitcnt_depctr 0xfff
	v_mul_f32_e32 v6, 0x4f7ffffe, v6
	v_cvt_u32_f32_e32 v6, v6
	s_delay_alu instid0(VALU_DEP_1) | instskip(NEXT) | instid1(VALU_DEP_1)
	v_readfirstlane_b32 s4, v6
	s_mul_i32 s5, s5, s4
	s_delay_alu instid0(SALU_CYCLE_1) | instskip(NEXT) | instid1(SALU_CYCLE_1)
	s_mul_hi_u32 s5, s4, s5
	s_add_i32 s4, s4, s5
	s_ashr_i32 s5, s19, 31
	s_mul_hi_u32 s4, s6, s4
	s_delay_alu instid0(SALU_CYCLE_1) | instskip(NEXT) | instid1(SALU_CYCLE_1)
	s_mul_i32 s4, s4, s3
	s_sub_i32 s4, s6, s4
	s_delay_alu instid0(SALU_CYCLE_1) | instskip(SKIP_2) | instid1(SALU_CYCLE_1)
	s_sub_i32 s6, s4, s3
	s_cmp_ge_u32 s4, s3
	s_cselect_b32 s4, s6, s4
	s_sub_i32 s6, s4, s3
	s_cmp_ge_u32 s4, s3
	s_cselect_b32 s3, s6, s4
	s_add_i32 s2, s2, s19
	s_xor_b32 s3, s3, s5
	s_delay_alu instid0(SALU_CYCLE_1) | instskip(NEXT) | instid1(SALU_CYCLE_1)
	s_sub_i32 s3, s3, s5
	s_sub_i32 s2, s2, s3
	s_cmp_eq_u32 s3, 0
	s_cselect_b32 s22, s19, s2
	s_delay_alu instid0(SALU_CYCLE_1)
	v_cmp_gt_u32_e32 vcc_lo, s22, v41
	s_and_b32 exec_lo, exec_lo, vcc_lo
	s_cbranch_execz .LBB289_158
; %bb.8:
	s_load_b256 s[8:15], s[0:1], 0x10
	s_min_u32 s24, s18, 0x1900
	s_cmp_lg_u32 s16, 0
	s_mul_i32 s2, s21, s20
	s_cselect_b32 s25, -1, 0
	s_cmp_lg_u32 s18, 0
	v_and_b32_e32 v0, 0x3ff, v0
	s_cselect_b32 s21, -1, 0
	s_lshl_b32 s26, s20, 8
	s_add_i32 s27, s16, -8
	s_add_i32 s28, s19, -1
	s_lshl_b32 s29, s2, 2
	s_load_b64 s[6:7], s[0:1], 0x30
	v_dual_mov_b32 v44, 0 :: v_dual_lshlrev_b32 v7, 4, v0
	v_mbcnt_lo_u32_b32 v54, -1, 0
	v_lshlrev_b32_e32 v55, 3, v0
	s_delay_alu instid0(VALU_DEP_3)
	v_lshl_add_u32 v56, v5, 9, v7
	s_waitcnt lgkmcnt(0)
	s_cmp_lg_u64 s[14:15], 0
	s_cselect_b32 s30, -1, 0
	s_abs_i32 s2, s9
	s_add_i32 s31, s19, -4
	v_cvt_f32_u32_e32 v6, s2
	s_sub_i32 s1, 0, s2
	s_sub_i32 s3, 0, s8
	;; [unrolled: 1-line block ×3, first 2 shown]
	s_mul_i32 s9, s24, 6
	v_rcp_iflag_f32_e32 v6, v6
	s_waitcnt_depctr 0xfff
	v_mul_f32_e32 v6, 0x4f7ffffe, v6
	s_delay_alu instid0(VALU_DEP_1) | instskip(NEXT) | instid1(VALU_DEP_1)
	v_cvt_u32_f32_e32 v6, v6
	v_readfirstlane_b32 s0, v6
	v_cvt_f32_u32_e32 v6, s8
	s_delay_alu instid0(VALU_DEP_2) | instskip(NEXT) | instid1(VALU_DEP_1)
	s_mul_i32 s1, s1, s0
	v_rcp_iflag_f32_e32 v6, v6
	s_mul_hi_u32 s1, s0, s1
	s_delay_alu instid0(SALU_CYCLE_1) | instskip(SKIP_3) | instid1(SALU_CYCLE_1)
	s_add_i32 s1, s0, s1
	s_cmp_lt_u32 s2, 2
	v_cmp_eq_u32_e64 s0, 31, v0
	s_cselect_b32 s4, s4, 1
	s_sub_i32 s5, s4, s2
	s_cmp_ge_u32 s4, s2
	s_waitcnt_depctr 0xfff
	v_mul_f32_e32 v0, 0x4f7ffffe, v6
	s_cselect_b32 s33, s5, s4
	s_lshr_b32 s4, s1, 31
	s_mul_i32 s33, s33, s8
	s_mul_i32 s4, s4, s2
	v_cvt_u32_f32_e32 v6, v0
	s_sub_i32 s4, 2, s4
	v_lshl_add_u32 v0, v5, 8, v55
	s_sub_i32 s5, s4, s2
	s_cmp_ge_u32 s4, s2
	v_mul_lo_u32 v8, s3, v6
	s_cselect_b32 s3, s5, s4
	s_mul_hi_u32 s4, s1, 3
	s_sub_i32 s5, s3, s2
	s_cmp_ge_u32 s3, s2
	s_mul_i32 s4, s4, s2
	s_cselect_b32 s34, s5, s3
	s_sub_i32 s3, 3, s4
	v_mul_hi_u32 v5, v6, v8
	s_sub_i32 s4, s3, s2
	s_cmp_ge_u32 s3, s2
	v_mad_u64_u32 v[45:46], null, s18, 3, v[0:1]
	s_cselect_b32 s3, s4, s3
	v_lshl_add_u32 v57, s18, 1, v0
	s_sub_i32 s4, s3, s2
	s_cmp_ge_u32 s3, s2
	v_lshl_add_u32 v58, s18, 2, v0
	s_cselect_b32 s35, s4, s3
	s_lshr_b32 s1, s1, 30
	v_add_nc_u32_e32 v59, s18, v0
	s_mul_i32 s1, s1, s2
	v_add_nc_u32_e32 v60, v6, v5
	s_sub_i32 s1, 4, s1
	s_mul_i32 s34, s34, s8
	s_sub_i32 s3, s1, s2
	s_cmp_ge_u32 s1, s2
	s_mul_i32 s35, s35, s8
	s_cselect_b32 s1, s3, s1
	s_delay_alu instid0(SALU_CYCLE_1)
	s_sub_i32 s3, s1, s2
	s_cmp_ge_u32 s1, s2
	s_cselect_b32 s40, s3, s1
	s_add_u32 s36, s6, 2
	s_addc_u32 s37, s7, 0
	s_lshl_b32 s38, s24, 3
	s_lshl_b32 s20, s20, 9
	;; [unrolled: 1-line block ×3, first 2 shown]
	s_mul_i32 s40, s40, s8
	s_lshl_b32 s41, s24, 1
	s_branch .LBB289_12
.LBB289_9:                              ;   in Loop: Header=BB289_12 Depth=1
	s_or_b32 exec_lo, exec_lo, s44
	v_mov_b32_e32 v41, s31
.LBB289_10:                             ;   in Loop: Header=BB289_12 Depth=1
	s_or_b32 exec_lo, exec_lo, s43
.LBB289_11:                             ;   in Loop: Header=BB289_12 Depth=1
	s_delay_alu instid0(SALU_CYCLE_1) | instskip(NEXT) | instid1(VALU_DEP_1)
	s_or_b32 exec_lo, exec_lo, s42
	v_cmp_le_u32_e32 vcc_lo, s22, v41
	s_or_b32 s23, vcc_lo, s23
	s_delay_alu instid0(SALU_CYCLE_1)
	s_and_not1_b32 exec_lo, exec_lo, s23
	s_cbranch_execz .LBB289_158
.LBB289_12:                             ; =>This Loop Header: Depth=1
                                        ;     Child Loop BB289_16 Depth 2
                                        ;       Child Loop BB289_21 Depth 3
                                        ;     Child Loop BB289_156 Depth 2
	s_waitcnt vmcnt(19)
	v_mov_b32_e32 v42, v44
	s_waitcnt vmcnt(7)
	v_mov_b32_e32 v61, v44
	v_mov_b32_e32 v62, v44
	;; [unrolled: 1-line block ×15, first 2 shown]
	s_waitcnt lgkmcnt(17)
	v_mov_b32_e32 v78, v44
	v_mov_b32_e32 v76, v44
	;; [unrolled: 1-line block ×4, first 2 shown]
	s_and_not1_b32 vcc_lo, exec_lo, s25
	s_mov_b32 s3, 0
	s_cbranch_vccnz .LBB289_27
; %bb.13:                               ;   in Loop: Header=BB289_12 Depth=1
	v_dual_mov_b32 v75, 0 :: v_dual_add_nc_u32 v6, 2, v41
	v_add_nc_u32_e32 v5, 1, v41
	v_add_nc_u32_e32 v7, 3, v41
	s_waitcnt lgkmcnt(4)
	v_min_u32_e32 v8, s28, v41
	v_min_u32_e32 v6, s28, v6
	s_waitcnt lgkmcnt(0)
	v_dual_mov_b32 v10, v44 :: v_dual_mov_b32 v79, 0
	v_cmp_gt_u32_e64 s1, s19, v41
	v_mul_lo_u32 v43, v8, s17
	v_mov_b32_e32 v8, v44
	v_min_u32_e32 v9, s28, v7
	v_mul_lo_u32 v7, v6, s17
	v_mov_b32_e32 v6, v44
	v_min_u32_e32 v5, s28, v5
	v_dual_mov_b32 v76, 0 :: v_dual_mov_b32 v77, 0
	v_mul_lo_u32 v9, v9, s17
	s_waitcnt vmcnt(4)
	v_lshlrev_b64 v[46:47], 1, v[43:44]
	v_mul_lo_u32 v5, v5, s17
	v_lshlrev_b64 v[50:51], 1, v[7:8]
	v_dual_mov_b32 v78, 0 :: v_dual_mov_b32 v71, 0
	v_dual_mov_b32 v73, 0 :: v_dual_mov_b32 v70, 0
	v_lshlrev_b64 v[52:53], 1, v[9:10]
	v_dual_mov_b32 v72, 0 :: v_dual_mov_b32 v69, 0
	v_lshlrev_b64 v[48:49], 1, v[5:6]
	v_dual_mov_b32 v74, 0 :: v_dual_mov_b32 v65, 0
	v_dual_mov_b32 v68, 0 :: v_dual_mov_b32 v67, 0
	;; [unrolled: 1-line block ×4, first 2 shown]
	v_mov_b32_e32 v62, 0
	v_mov_b32_e32 v42, 0
	s_mov_b32 s4, 0
	s_branch .LBB289_16
.LBB289_14:                             ;   in Loop: Header=BB289_16 Depth=2
	s_or_b32 exec_lo, exec_lo, s5
	s_waitcnt vmcnt(3)
	v_and_b32_e32 v80, 0xffff0000, v33
	s_waitcnt lgkmcnt(4)
	v_and_b32_e32 v81, 0xffff0000, v38
	v_and_b32_e32 v82, 0xffff0000, v34
	;; [unrolled: 1-line block ×3, first 2 shown]
	v_lshlrev_b32_e32 v34, 16, v34
	s_waitcnt vmcnt(1)
	v_and_b32_e32 v96, 0xffff0000, v27
	s_waitcnt vmcnt(0)
	v_and_b32_e32 v98, 0xffff0000, v18
	v_dual_mul_f32 v84, v81, v82 :: v_dual_lshlrev_b32 v33, 16, v33
	v_dual_mul_f32 v83, v43, v80 :: v_dual_lshlrev_b32 v38, 16, v38
	v_lshlrev_b32_e32 v37, 16, v37
	v_and_b32_e32 v94, 0xffff0000, v32
	v_lshlrev_b32_e32 v32, 16, v32
	v_lshlrev_b32_e32 v18, 16, v18
	s_delay_alu instid0(VALU_DEP_4) | instskip(NEXT) | instid1(VALU_DEP_1)
	v_dual_fmac_f32 v84, v38, v34 :: v_dual_fmac_f32 v83, v37, v33
	v_add_f32_e32 v75, v75, v83
	s_delay_alu instid0(VALU_DEP_1) | instskip(NEXT) | instid1(VALU_DEP_1)
	v_dual_add_f32 v75, v75, v84 :: v_dual_and_b32 v84, 0xffff0000, v29
	v_dual_mul_f32 v90, v43, v84 :: v_dual_lshlrev_b32 v29, 16, v29
	s_delay_alu instid0(VALU_DEP_1) | instskip(NEXT) | instid1(VALU_DEP_1)
	v_fmac_f32_e32 v90, v37, v29
	v_dual_add_f32 v79, v79, v90 :: v_dual_and_b32 v90, 0xffff0000, v25
	v_lshlrev_b32_e32 v25, 16, v25
	s_delay_alu instid0(VALU_DEP_2) | instskip(NEXT) | instid1(VALU_DEP_1)
	v_mul_f32_e32 v93, v43, v90
	v_fmac_f32_e32 v93, v37, v25
	s_delay_alu instid0(VALU_DEP_1)
	v_dual_add_f32 v76, v76, v93 :: v_dual_and_b32 v85, 0xffff0000, v39
	v_lshlrev_b32_e32 v39, 16, v39
	v_and_b32_e32 v87, 0xffff0000, v40
	v_and_b32_e32 v88, 0xffff0000, v36
	;; [unrolled: 1-line block ×3, first 2 shown]
	v_lshlrev_b32_e32 v35, 16, v35
	v_lshlrev_b32_e32 v40, 16, v40
	v_mul_f32_e32 v93, v85, v96
	v_mul_f32_e32 v89, v87, v88
	;; [unrolled: 1-line block ×3, first 2 shown]
	s_delay_alu instid0(VALU_DEP_1) | instskip(NEXT) | instid1(VALU_DEP_1)
	v_fmac_f32_e32 v83, v39, v35
	v_add_f32_e32 v75, v75, v83
	v_and_b32_e32 v83, 0xffff0000, v30
	v_lshlrev_b32_e32 v36, 16, v36
	s_delay_alu instid0(VALU_DEP_2) | instskip(NEXT) | instid1(VALU_DEP_2)
	v_dual_mul_f32 v91, v81, v83 :: v_dual_lshlrev_b32 v30, 16, v30
	v_fmac_f32_e32 v89, v40, v36
	s_delay_alu instid0(VALU_DEP_2) | instskip(NEXT) | instid1(VALU_DEP_2)
	v_fmac_f32_e32 v91, v38, v30
	v_add_f32_e32 v75, v75, v89
	v_and_b32_e32 v89, 0xffff0000, v31
	v_lshlrev_b32_e32 v31, 16, v31
	s_delay_alu instid0(VALU_DEP_4) | instskip(NEXT) | instid1(VALU_DEP_3)
	v_add_f32_e32 v79, v79, v91
	v_dual_mul_f32 v92, v85, v89 :: v_dual_and_b32 v91, 0xffff0000, v26
	s_delay_alu instid0(VALU_DEP_1) | instskip(NEXT) | instid1(VALU_DEP_2)
	v_dual_mul_f32 v95, v81, v91 :: v_dual_lshlrev_b32 v26, 16, v26
	v_fmac_f32_e32 v92, v39, v31
	v_mul_f32_e32 v97, v87, v94
	s_delay_alu instid0(VALU_DEP_2) | instskip(SKIP_2) | instid1(VALU_DEP_3)
	v_dual_add_f32 v79, v79, v92 :: v_dual_and_b32 v92, 0xffff0000, v17
	v_lshlrev_b32_e32 v17, 16, v17
	v_fmac_f32_e32 v95, v38, v26
	v_mul_f32_e32 v43, v43, v92
	s_delay_alu instid0(VALU_DEP_1) | instskip(SKIP_3) | instid1(VALU_DEP_4)
	v_fmac_f32_e32 v43, v37, v17
	v_mul_f32_e32 v37, v81, v98
	v_and_b32_e32 v81, 0xffff0000, v19
	v_lshlrev_b32_e32 v19, 16, v19
	v_add_f32_e32 v43, v78, v43
	s_waitcnt lgkmcnt(3)
	v_dual_fmac_f32 v37, v38, v18 :: v_dual_and_b32 v38, 0xffff0000, v21
	v_mul_f32_e32 v78, v85, v81
	v_lshlrev_b32_e32 v21, 16, v21
	v_fmac_f32_e32 v97, v40, v32
	s_delay_alu instid0(VALU_DEP_4) | instskip(SKIP_4) | instid1(VALU_DEP_3)
	v_add_f32_e32 v37, v43, v37
	v_and_b32_e32 v43, 0xffff0000, v20
	v_mul_f32_e32 v85, v38, v80
	v_lshlrev_b32_e32 v20, 16, v20
	v_dual_add_f32 v76, v76, v95 :: v_dual_and_b32 v95, 0xffff0000, v28
	v_dual_fmac_f32 v85, v21, v33 :: v_dual_lshlrev_b32 v28, 16, v28
	v_fmac_f32_e32 v78, v39, v19
	s_delay_alu instid0(VALU_DEP_3) | instskip(SKIP_1) | instid1(VALU_DEP_3)
	v_mul_f32_e32 v99, v87, v95
	v_mul_f32_e32 v87, v87, v43
	v_add_f32_e32 v37, v37, v78
	s_delay_alu instid0(VALU_DEP_3) | instskip(NEXT) | instid1(VALU_DEP_3)
	v_fmac_f32_e32 v99, v40, v28
	v_dual_fmac_f32 v87, v40, v20 :: v_dual_add_f32 v40, v77, v85
	v_lshlrev_b32_e32 v27, 16, v27
	s_delay_alu instid0(VALU_DEP_2) | instskip(SKIP_1) | instid1(VALU_DEP_3)
	v_dual_mul_f32 v85, v38, v84 :: v_dual_add_f32 v78, v37, v87
	v_and_b32_e32 v37, 0xffff0000, v24
	v_dual_fmac_f32 v93, v39, v27 :: v_dual_lshlrev_b32 v24, 16, v24
	v_and_b32_e32 v39, 0xffff0000, v22
	v_dual_add_f32 v79, v79, v97 :: v_dual_lshlrev_b32 v22, 16, v22
	s_delay_alu instid0(VALU_DEP_3) | instskip(NEXT) | instid1(VALU_DEP_3)
	v_dual_add_f32 v76, v76, v93 :: v_dual_and_b32 v97, 0xffff0000, v23
	v_mul_f32_e32 v93, v39, v82
	v_lshlrev_b32_e32 v23, 16, v23
	v_fmac_f32_e32 v85, v21, v29
	s_delay_alu instid0(VALU_DEP_4) | instskip(NEXT) | instid1(VALU_DEP_4)
	v_mul_f32_e32 v77, v97, v86
	v_fmac_f32_e32 v93, v22, v34
	s_delay_alu instid0(VALU_DEP_3) | instskip(SKIP_1) | instid1(VALU_DEP_3)
	v_add_f32_e32 v71, v71, v85
	v_mul_f32_e32 v85, v39, v91
	v_dual_fmac_f32 v77, v23, v35 :: v_dual_add_f32 v40, v40, v93
	v_mul_f32_e32 v87, v37, v88
	v_mul_f32_e32 v93, v38, v90
	;; [unrolled: 1-line block ×3, first 2 shown]
	s_delay_alu instid0(VALU_DEP_4) | instskip(NEXT) | instid1(VALU_DEP_4)
	v_dual_fmac_f32 v85, v22, v26 :: v_dual_add_f32 v40, v40, v77
	v_fmac_f32_e32 v87, v24, v36
	s_delay_alu instid0(VALU_DEP_4) | instskip(NEXT) | instid1(VALU_DEP_2)
	v_fmac_f32_e32 v93, v21, v25
	v_dual_add_f32 v77, v40, v87 :: v_dual_mul_f32 v40, v97, v89
	s_delay_alu instid0(VALU_DEP_2) | instskip(SKIP_1) | instid1(VALU_DEP_3)
	v_add_f32_e32 v73, v73, v93
	v_mul_f32_e32 v93, v37, v94
	v_dual_mul_f32 v87, v97, v96 :: v_dual_fmac_f32 v40, v23, v31
	v_fmac_f32_e32 v38, v21, v17
	v_add_f32_e32 v76, v76, v99
	v_mul_f32_e32 v99, v39, v83
	v_fmac_f32_e32 v93, v24, v32
	v_add_f32_e32 v73, v73, v85
	v_fmac_f32_e32 v87, v23, v27
	v_mul_f32_e32 v85, v37, v95
	v_fmac_f32_e32 v99, v22, v30
	v_mul_f32_e32 v39, v39, v98
	s_delay_alu instid0(VALU_DEP_4) | instskip(NEXT) | instid1(VALU_DEP_4)
	v_dual_add_f32 v38, v70, v38 :: v_dual_add_f32 v21, v73, v87
	v_fmac_f32_e32 v85, v24, v28
	s_delay_alu instid0(VALU_DEP_4) | instskip(NEXT) | instid1(VALU_DEP_4)
	v_add_f32_e32 v71, v71, v99
	v_fmac_f32_e32 v39, v22, v18
	s_delay_alu instid0(VALU_DEP_2) | instskip(SKIP_1) | instid1(VALU_DEP_2)
	v_dual_add_f32 v73, v21, v85 :: v_dual_add_f32 v40, v71, v40
	s_waitcnt lgkmcnt(2)
	v_dual_add_f32 v38, v38, v39 :: v_dual_and_b32 v39, 0xffff0000, v14
	s_delay_alu instid0(VALU_DEP_2) | instskip(SKIP_2) | instid1(VALU_DEP_4)
	v_dual_add_f32 v71, v40, v93 :: v_dual_lshlrev_b32 v14, 16, v14
	v_and_b32_e32 v40, 0xffff0000, v13
	v_lshlrev_b32_e32 v13, 16, v13
	v_mul_f32_e32 v85, v39, v83
	s_delay_alu instid0(VALU_DEP_3) | instskip(NEXT) | instid1(VALU_DEP_2)
	v_dual_mul_f32 v87, v39, v91 :: v_dual_mul_f32 v22, v40, v80
	v_fmac_f32_e32 v85, v14, v30
	s_delay_alu instid0(VALU_DEP_2) | instskip(NEXT) | instid1(VALU_DEP_1)
	v_dual_fmac_f32 v87, v14, v26 :: v_dual_fmac_f32 v22, v13, v33
	v_dual_mul_f32 v21, v97, v81 :: v_dual_add_f32 v22, v72, v22
	s_delay_alu instid0(VALU_DEP_1) | instskip(SKIP_2) | instid1(VALU_DEP_3)
	v_fmac_f32_e32 v21, v23, v19
	v_mul_f32_e32 v23, v37, v43
	v_mul_f32_e32 v37, v39, v82
	v_dual_add_f32 v21, v38, v21 :: v_dual_and_b32 v38, 0xffff0000, v15
	s_delay_alu instid0(VALU_DEP_3) | instskip(NEXT) | instid1(VALU_DEP_3)
	v_fmac_f32_e32 v23, v24, v20
	v_fmac_f32_e32 v37, v14, v34
	s_delay_alu instid0(VALU_DEP_3) | instskip(NEXT) | instid1(VALU_DEP_3)
	v_dual_mul_f32 v24, v38, v86 :: v_dual_lshlrev_b32 v15, 16, v15
	v_dual_add_f32 v70, v21, v23 :: v_dual_and_b32 v21, 0xffff0000, v16
	s_delay_alu instid0(VALU_DEP_3) | instskip(NEXT) | instid1(VALU_DEP_3)
	v_dual_mul_f32 v23, v40, v84 :: v_dual_add_f32 v22, v22, v37
	v_fmac_f32_e32 v24, v15, v35
	v_lshlrev_b32_e32 v16, 16, v16
	s_delay_alu instid0(VALU_DEP_4) | instskip(NEXT) | instid1(VALU_DEP_3)
	v_mul_f32_e32 v37, v21, v88
	v_dual_fmac_f32 v23, v13, v29 :: v_dual_add_f32 v22, v22, v24
	v_mul_f32_e32 v24, v40, v90
	s_delay_alu instid0(VALU_DEP_3) | instskip(NEXT) | instid1(VALU_DEP_3)
	v_fmac_f32_e32 v37, v16, v36
	v_add_f32_e32 v23, v74, v23
	v_mul_f32_e32 v74, v38, v89
	s_delay_alu instid0(VALU_DEP_4) | instskip(NEXT) | instid1(VALU_DEP_4)
	v_fmac_f32_e32 v24, v13, v25
	v_add_f32_e32 v72, v22, v37
	s_delay_alu instid0(VALU_DEP_4) | instskip(NEXT) | instid1(VALU_DEP_3)
	v_dual_add_f32 v22, v23, v85 :: v_dual_mul_f32 v37, v40, v92
	v_dual_mul_f32 v40, v21, v94 :: v_dual_add_f32 v23, v68, v24
	v_mul_f32_e32 v24, v38, v96
	v_mul_f32_e32 v38, v38, v81
	s_delay_alu instid0(VALU_DEP_4) | instskip(SKIP_4) | instid1(VALU_DEP_4)
	v_fmac_f32_e32 v37, v13, v17
	v_mul_f32_e32 v13, v39, v98
	v_add_f32_e32 v23, v23, v87
	v_fmac_f32_e32 v24, v15, v27
	v_fmac_f32_e32 v38, v15, v19
	v_dual_fmac_f32 v74, v15, v31 :: v_dual_fmac_f32 v13, v14, v18
	s_waitcnt lgkmcnt(1)
	v_and_b32_e32 v39, 0xffff0000, v9
	v_dual_add_f32 v23, v23, v24 :: v_dual_add_f32 v24, v66, v37
	v_mul_f32_e32 v37, v21, v95
	v_dual_mul_f32 v21, v21, v43 :: v_dual_add_f32 v22, v22, v74
	v_fmac_f32_e32 v40, v16, v32
	s_delay_alu instid0(VALU_DEP_4) | instskip(SKIP_1) | instid1(VALU_DEP_4)
	v_add_f32_e32 v13, v24, v13
	v_lshlrev_b32_e32 v9, 16, v9
	v_fmac_f32_e32 v21, v16, v20
	v_dual_mul_f32 v14, v39, v80 :: v_dual_and_b32 v85, 0xffff0000, v10
	s_delay_alu instid0(VALU_DEP_4) | instskip(SKIP_1) | instid1(VALU_DEP_3)
	v_add_f32_e32 v13, v13, v38
	v_lshlrev_b32_e32 v10, 16, v10
	v_dual_fmac_f32 v14, v9, v33 :: v_dual_and_b32 v15, 0xffff0000, v11
	s_delay_alu instid0(VALU_DEP_4) | instskip(NEXT) | instid1(VALU_DEP_4)
	v_mul_f32_e32 v24, v85, v82
	v_dual_add_f32 v66, v13, v21 :: v_dual_mul_f32 v13, v39, v84
	v_fmac_f32_e32 v37, v16, v28
	v_add_f32_e32 v74, v22, v40
	v_mul_f32_e32 v22, v85, v83
	v_add_f32_e32 v14, v69, v14
	v_dual_fmac_f32 v13, v9, v29 :: v_dual_fmac_f32 v24, v10, v34
	v_dual_add_f32 v68, v23, v37 :: v_dual_lshlrev_b32 v11, 16, v11
	v_dual_mul_f32 v21, v39, v90 :: v_dual_and_b32 v16, 0xffff0000, v12
	s_delay_alu instid0(VALU_DEP_3) | instskip(SKIP_2) | instid1(VALU_DEP_4)
	v_dual_add_f32 v13, v65, v13 :: v_dual_fmac_f32 v22, v10, v30
	v_mul_f32_e32 v37, v15, v89
	v_dual_mul_f32 v69, v15, v86 :: v_dual_add_f32 v14, v14, v24
	v_dual_fmac_f32 v21, v9, v25 :: v_dual_lshlrev_b32 v12, 16, v12
	v_mul_f32_e32 v24, v85, v91
	v_add_f32_e32 v13, v13, v22
	v_dual_fmac_f32 v37, v11, v31 :: v_dual_mul_f32 v22, v16, v94
	v_fmac_f32_e32 v69, v11, v35
	v_mul_f32_e32 v23, v16, v88
	v_dual_add_f32 v21, v67, v21 :: v_dual_fmac_f32 v24, v10, v26
	s_delay_alu instid0(VALU_DEP_4) | instskip(SKIP_1) | instid1(VALU_DEP_3)
	v_dual_mul_f32 v38, v15, v96 :: v_dual_add_f32 v13, v13, v37
	v_fmac_f32_e32 v22, v12, v32
	v_dual_add_f32 v14, v14, v69 :: v_dual_add_f32 v21, v21, v24
	s_delay_alu instid0(VALU_DEP_3) | instskip(SKIP_1) | instid1(VALU_DEP_4)
	v_dual_fmac_f32 v38, v11, v27 :: v_dual_fmac_f32 v23, v12, v36
	v_dual_mul_f32 v24, v16, v95 :: v_dual_mul_f32 v37, v39, v92
	v_add_f32_e32 v65, v13, v22
	s_waitcnt lgkmcnt(0)
	v_and_b32_e32 v13, 0xffff0000, v5
	s_delay_alu instid0(VALU_DEP_3)
	v_dual_add_f32 v21, v21, v38 :: v_dual_fmac_f32 v24, v12, v28
	v_add_f32_e32 v69, v14, v23
	v_fmac_f32_e32 v37, v9, v17
	v_mul_f32_e32 v9, v85, v98
	v_dual_mul_f32 v14, v13, v80 :: v_dual_lshlrev_b32 v5, 16, v5
	v_dual_add_f32 v67, v21, v24 :: v_dual_and_b32 v22, 0xffff0000, v6
	s_delay_alu instid0(VALU_DEP_4) | instskip(NEXT) | instid1(VALU_DEP_4)
	v_add_f32_e32 v21, v64, v37
	v_dual_fmac_f32 v9, v10, v18 :: v_dual_mul_f32 v10, v15, v81
	s_delay_alu instid0(VALU_DEP_4) | instskip(SKIP_2) | instid1(VALU_DEP_4)
	v_fmac_f32_e32 v14, v5, v33
	v_lshlrev_b32_e32 v6, 16, v6
	v_mul_f32_e32 v15, v22, v82
	v_dual_add_f32 v9, v21, v9 :: v_dual_fmac_f32 v10, v11, v19
	s_delay_alu instid0(VALU_DEP_4) | instskip(NEXT) | instid1(VALU_DEP_3)
	v_dual_mul_f32 v11, v16, v43 :: v_dual_add_f32 v14, v63, v14
	v_dual_fmac_f32 v15, v6, v34 :: v_dual_mul_f32 v16, v13, v84
	s_delay_alu instid0(VALU_DEP_3) | instskip(NEXT) | instid1(VALU_DEP_3)
	v_add_f32_e32 v9, v9, v10
	v_dual_fmac_f32 v11, v12, v20 :: v_dual_and_b32 v10, 0xffff0000, v7
	s_delay_alu instid0(VALU_DEP_3) | instskip(NEXT) | instid1(VALU_DEP_4)
	v_add_f32_e32 v12, v14, v15
	v_fmac_f32_e32 v16, v5, v29
	v_mul_f32_e32 v14, v22, v83
	v_lshlrev_b32_e32 v7, 16, v7
	v_mul_f32_e32 v15, v10, v86
	v_mul_f32_e32 v23, v10, v89
	v_add_f32_e32 v16, v62, v16
	v_dual_fmac_f32 v14, v6, v30 :: v_dual_and_b32 v21, 0xffff0000, v8
	s_delay_alu instid0(VALU_DEP_4) | instskip(NEXT) | instid1(VALU_DEP_4)
	v_fmac_f32_e32 v15, v7, v35
	v_dual_fmac_f32 v23, v7, v31 :: v_dual_lshlrev_b32 v8, 16, v8
	s_delay_alu instid0(VALU_DEP_3) | instskip(SKIP_1) | instid1(VALU_DEP_4)
	v_add_f32_e32 v14, v16, v14
	v_mul_f32_e32 v16, v13, v90
	v_dual_mul_f32 v13, v13, v92 :: v_dual_add_f32 v12, v12, v15
	v_dual_mul_f32 v15, v22, v91 :: v_dual_mul_f32 v24, v21, v88
	s_delay_alu instid0(VALU_DEP_3) | instskip(NEXT) | instid1(VALU_DEP_3)
	v_fmac_f32_e32 v16, v5, v25
	v_fmac_f32_e32 v13, v5, v17
	v_mul_f32_e32 v5, v22, v98
	s_delay_alu instid0(VALU_DEP_4) | instskip(SKIP_1) | instid1(VALU_DEP_4)
	v_fmac_f32_e32 v15, v6, v26
	v_mul_f32_e32 v17, v10, v96
	v_dual_add_f32 v16, v61, v16 :: v_dual_add_f32 v13, v42, v13
	s_delay_alu instid0(VALU_DEP_4) | instskip(SKIP_2) | instid1(VALU_DEP_4)
	v_fmac_f32_e32 v5, v6, v18
	v_mul_f32_e32 v6, v10, v81
	v_dual_add_f32 v14, v14, v23 :: v_dual_mul_f32 v23, v21, v94
	v_add_f32_e32 v10, v16, v15
	v_fmac_f32_e32 v17, v7, v27
	v_mul_f32_e32 v15, v21, v95
	v_dual_add_f32 v5, v13, v5 :: v_dual_fmac_f32 v6, v7, v19
	v_dual_mul_f32 v7, v21, v43 :: v_dual_fmac_f32 v24, v8, v36
	s_delay_alu instid0(VALU_DEP_4) | instskip(NEXT) | instid1(VALU_DEP_4)
	v_dual_fmac_f32 v23, v8, v32 :: v_dual_add_f32 v10, v10, v17
	v_fmac_f32_e32 v15, v8, v28
	s_delay_alu instid0(VALU_DEP_4) | instskip(NEXT) | instid1(VALU_DEP_4)
	v_add_f32_e32 v5, v5, v6
	v_dual_fmac_f32 v7, v8, v20 :: v_dual_add_f32 v64, v9, v11
	s_delay_alu instid0(VALU_DEP_4) | instskip(NEXT) | instid1(VALU_DEP_4)
	v_dual_add_f32 v63, v12, v24 :: v_dual_add_f32 v62, v14, v23
	v_add_f32_e32 v61, v10, v15
	s_delay_alu instid0(VALU_DEP_3)
	v_add_f32_e32 v42, v5, v7
.LBB289_15:                             ;   in Loop: Header=BB289_16 Depth=2
	s_or_b32 exec_lo, exec_lo, s2
	s_addk_i32 s4, 0x100
	s_delay_alu instid0(SALU_CYCLE_1)
	s_cmp_ge_u32 s4, s16
	s_cbranch_scc1 .LBB289_27
.LBB289_16:                             ;   Parent Loop BB289_12 Depth=1
                                        ; =>  This Loop Header: Depth=2
                                        ;       Child Loop BB289_21 Depth 3
	s_cmp_eq_u32 s4, 0
	s_cselect_b32 s5, -1, 0
	s_add_i32 s2, s3, s24
	s_delay_alu instid0(SALU_CYCLE_1) | instskip(SKIP_1) | instid1(SALU_CYCLE_1)
	s_cmp_eq_u32 s4, s2
	s_cselect_b32 s42, -1, 0
	s_or_b32 s42, s5, s42
	s_delay_alu instid0(SALU_CYCLE_1)
	s_and_not1_b32 vcc_lo, exec_lo, s42
	s_cbranch_vccz .LBB289_18
; %bb.17:                               ;   in Loop: Header=BB289_16 Depth=2
	s_and_saveexec_b32 s2, s1
	s_cbranch_execz .LBB289_15
	s_branch .LBB289_25
.LBB289_18:                             ;   in Loop: Header=BB289_16 Depth=2
	s_and_b32 s5, s5, exec_lo
	s_cselect_b32 s3, s3, s2
	s_and_not1_b32 vcc_lo, exec_lo, s21
	s_waitcnt vmcnt(0)
	s_waitcnt_vscnt null, 0x0
	s_barrier
	buffer_gl0_inv
	s_cbranch_vccnz .LBB289_24
; %bb.19:                               ;   in Loop: Header=BB289_16 Depth=2
	v_dual_mov_b32 v10, v56 :: v_dual_add_nc_u32 v5, s3, v57
	v_add_nc_u32_e32 v6, s3, v45
	v_add_nc_u32_e32 v7, s3, v58
	;; [unrolled: 1-line block ×4, first 2 shown]
	s_mov_b32 s5, 0
	s_mov_b32 s42, 0
                                        ; implicit-def: $sgpr43
	s_branch .LBB289_21
.LBB289_20:                             ;   in Loop: Header=BB289_21 Depth=3
	s_or_b32 exec_lo, exec_lo, s2
	s_delay_alu instid0(SALU_CYCLE_1) | instskip(NEXT) | instid1(SALU_CYCLE_1)
	s_and_b32 s2, exec_lo, s43
	s_or_b32 s5, s2, s5
	s_delay_alu instid0(SALU_CYCLE_1)
	s_and_not1_b32 exec_lo, exec_lo, s5
	s_cbranch_execz .LBB289_23
.LBB289_21:                             ;   Parent Loop BB289_12 Depth=1
                                        ;     Parent Loop BB289_16 Depth=2
                                        ; =>    This Inner Loop Header: Depth=3
	s_delay_alu instid0(VALU_DEP_1) | instskip(SKIP_2) | instid1(VALU_DEP_2)
	v_add_nc_u32_e32 v43, s42, v9
	v_add_nc_u32_e32 v11, s42, v0
	s_or_b32 s43, s43, exec_lo
	v_cmp_gt_u32_e32 vcc_lo, s18, v43
	s_delay_alu instid0(VALU_DEP_2) | instskip(NEXT) | instid1(VALU_DEP_1)
	v_cmp_gt_u32_e64 s2, s24, v11
	s_and_b32 s44, s2, vcc_lo
	s_delay_alu instid0(SALU_CYCLE_1)
	s_and_saveexec_b32 s2, s44
	s_cbranch_execz .LBB289_20
; %bb.22:                               ;   in Loop: Header=BB289_21 Depth=3
	v_lshlrev_b64 v[11:12], 1, v[43:44]
	v_add_nc_u32_e32 v43, s42, v8
	v_add_nc_u32_e32 v31, s41, v10
	v_add_nc_u32_e32 v32, s39, v10
	s_delay_alu instid0(VALU_DEP_3) | instskip(SKIP_3) | instid1(VALU_DEP_3)
	v_lshlrev_b64 v[13:14], 1, v[43:44]
	v_add_nc_u32_e32 v43, s42, v5
	v_add_co_u32 v11, vcc_lo, s12, v11
	v_add_co_ci_u32_e32 v12, vcc_lo, s13, v12, vcc_lo
	v_lshlrev_b64 v[15:16], 1, v[43:44]
	v_add_nc_u32_e32 v43, s42, v6
	v_add_co_u32 v17, vcc_lo, s12, v13
	v_add_co_ci_u32_e32 v18, vcc_lo, s13, v14, vcc_lo
	s_delay_alu instid0(VALU_DEP_3) | instskip(SKIP_3) | instid1(VALU_DEP_3)
	v_lshlrev_b64 v[23:24], 1, v[43:44]
	v_add_nc_u32_e32 v43, s42, v7
	v_add_co_u32 v19, vcc_lo, s12, v15
	v_add_co_ci_u32_e32 v20, vcc_lo, s13, v16, vcc_lo
	v_lshlrev_b64 v[25:26], 1, v[43:44]
	v_add_co_u32 v23, vcc_lo, s12, v23
	v_add_co_ci_u32_e32 v24, vcc_lo, s13, v24, vcc_lo
	s_clause 0x2
	global_load_b128 v[11:14], v[11:12], off
	global_load_b128 v[15:18], v[17:18], off
	;; [unrolled: 1-line block ×3, first 2 shown]
	v_add_co_u32 v27, vcc_lo, s12, v25
	v_add_co_ci_u32_e32 v28, vcc_lo, s13, v26, vcc_lo
	s_clause 0x1
	global_load_b128 v[23:26], v[23:24], off
	global_load_b128 v[27:30], v[27:28], off
	s_add_i32 s42, s42, s26
	s_waitcnt vmcnt(4)
	ds_store_b128 v10, v[11:14]
	s_waitcnt vmcnt(3)
	ds_store_2addr_b64 v31, v[15:16], v[17:18] offset1:1
	s_waitcnt vmcnt(2)
	ds_store_2addr_b32 v32, v19, v20 offset1:1
	ds_store_2addr_b32 v32, v21, v22 offset0:2 offset1:3
	s_cmp_ge_u32 s42, s24
	v_add_nc_u32_e32 v11, s9, v10
	s_cselect_b32 s44, -1, 0
	v_add_nc_u32_e32 v12, s38, v10
	v_add_nc_u32_e32 v10, s20, v10
	s_and_not1_b32 s43, s43, exec_lo
	s_and_b32 s44, s44, exec_lo
	s_waitcnt vmcnt(1)
	ds_store_2addr_b64 v11, v[23:24], v[25:26] offset1:1
	s_or_b32 s43, s43, s44
	s_waitcnt vmcnt(0)
	ds_store_2addr_b64 v12, v[27:28], v[29:30] offset1:1
	s_branch .LBB289_20
.LBB289_23:                             ;   in Loop: Header=BB289_16 Depth=2
	s_or_b32 exec_lo, exec_lo, s5
.LBB289_24:                             ;   in Loop: Header=BB289_16 Depth=2
	s_waitcnt lgkmcnt(0)
	s_barrier
	buffer_gl0_inv
	s_and_saveexec_b32 s2, s1
	s_cbranch_execz .LBB289_15
.LBB289_25:                             ;   in Loop: Header=BB289_16 Depth=2
	v_add_nc_u32_e32 v80, s4, v55
	v_dual_mov_b32 v16, 0 :: v_dual_mov_b32 v13, 0
	s_waitcnt vmcnt(0)
	v_dual_mov_b32 v14, 0 :: v_dual_mov_b32 v23, 0
	s_delay_alu instid0(VALU_DEP_3) | instskip(SKIP_2) | instid1(VALU_DEP_3)
	v_min_u32_e32 v43, s27, v80
	v_dual_mov_b32 v24, 0 :: v_dual_mov_b32 v21, 0
	v_dual_mov_b32 v22, 0 :: v_dual_mov_b32 v39, 0
	v_lshlrev_b64 v[5:6], 1, v[43:44]
	v_dual_mov_b32 v40, 0 :: v_dual_mov_b32 v37, 0
	v_dual_mov_b32 v38, 0 :: v_dual_mov_b32 v15, 0
	s_delay_alu instid0(VALU_DEP_3) | instskip(NEXT) | instid1(VALU_DEP_4)
	v_add_co_u32 v11, vcc_lo, s10, v5
	v_add_co_ci_u32_e32 v12, vcc_lo, s11, v6, vcc_lo
	s_delay_alu instid0(VALU_DEP_2) | instskip(NEXT) | instid1(VALU_DEP_2)
	v_add_co_u32 v5, vcc_lo, v11, v46
	v_add_co_ci_u32_e32 v6, vcc_lo, v12, v47, vcc_lo
	v_add_co_u32 v7, vcc_lo, v11, v48
	v_add_co_ci_u32_e32 v8, vcc_lo, v12, v49, vcc_lo
	;; [unrolled: 2-line block ×4, first 2 shown]
	s_clause 0x3
	global_load_b128 v[33:36], v[5:6], off slc dlc
	global_load_b128 v[29:32], v[7:8], off slc dlc
	;; [unrolled: 1-line block ×4, first 2 shown]
	v_dual_mov_b32 v8, 0 :: v_dual_mov_b32 v5, 0
	v_mov_b32_e32 v7, 0
	v_cmp_gt_u32_e32 vcc_lo, s16, v80
	v_dual_mov_b32 v6, 0 :: v_dual_mov_b32 v11, 0
	v_dual_mov_b32 v12, 0 :: v_dual_mov_b32 v9, 0
	v_mov_b32_e32 v10, 0
	s_and_saveexec_b32 s5, vcc_lo
	s_cbranch_execz .LBB289_14
; %bb.26:                               ;   in Loop: Header=BB289_16 Depth=2
	v_subrev_nc_u32_e32 v5, s3, v80
	s_delay_alu instid0(VALU_DEP_1) | instskip(NEXT) | instid1(VALU_DEP_1)
	v_lshlrev_b32_e32 v5, 1, v5
	v_add_nc_u32_e32 v6, s41, v5
	s_delay_alu instid0(VALU_DEP_1) | instskip(NEXT) | instid1(VALU_DEP_1)
	v_add_nc_u32_e32 v7, s41, v6
	v_add_nc_u32_e32 v8, s41, v7
	s_delay_alu instid0(VALU_DEP_1)
	v_add_nc_u32_e32 v43, s41, v8
	ds_load_b128 v[37:40], v5
	ds_load_b128 v[21:24], v6
	;; [unrolled: 1-line block ×5, first 2 shown]
	s_branch .LBB289_14
.LBB289_27:                             ;   in Loop: Header=BB289_12 Depth=1
	s_mov_b32 s1, exec_lo
	v_cmpx_le_u32_e64 s19, v41
	s_xor_b32 s1, exec_lo, s1
; %bb.28:                               ;   in Loop: Header=BB289_12 Depth=1
	v_add_nc_u32_e32 v41, s29, v41
                                        ; implicit-def: $vgpr42
                                        ; implicit-def: $vgpr61
                                        ; implicit-def: $vgpr62
                                        ; implicit-def: $vgpr63
                                        ; implicit-def: $vgpr64
                                        ; implicit-def: $vgpr67
                                        ; implicit-def: $vgpr65
                                        ; implicit-def: $vgpr69
                                        ; implicit-def: $vgpr66
                                        ; implicit-def: $vgpr68
                                        ; implicit-def: $vgpr74
                                        ; implicit-def: $vgpr72
                                        ; implicit-def: $vgpr70
                                        ; implicit-def: $vgpr73
                                        ; implicit-def: $vgpr71
                                        ; implicit-def: $vgpr77
                                        ; implicit-def: $vgpr78
                                        ; implicit-def: $vgpr76
                                        ; implicit-def: $vgpr79
                                        ; implicit-def: $vgpr75
; %bb.29:                               ;   in Loop: Header=BB289_12 Depth=1
	s_and_not1_saveexec_b32 s42, s1
	s_cbranch_execz .LBB289_11
; %bb.30:                               ;   in Loop: Header=BB289_12 Depth=1
	v_xor_b32_e32 v5, 16, v54
	v_cvt_i32_f32_e32 v6, v75
	s_waitcnt lgkmcnt(4)
	v_cvt_i32_f32_e32 v8, v76
	v_cvt_i32_f32_e32 v7, v79
	s_waitcnt lgkmcnt(0)
	v_cvt_i32_f32_e32 v10, v77
	v_cmp_gt_i32_e32 vcc_lo, 32, v5
	v_cvt_f32_i32_dpp v6, v6 row_shr:8 row_mask:0xf bank_mask:0xf bound_ctrl:1
	v_cvt_f32_i32_dpp v8, v8 row_shr:8 row_mask:0xf bank_mask:0xf bound_ctrl:1
	;; [unrolled: 1-line block ×4, first 2 shown]
	s_delay_alu instid0(VALU_DEP_4) | instskip(SKIP_1) | instid1(VALU_DEP_3)
	v_dual_cndmask_b32 v5, v54, v5 :: v_dual_add_f32 v6, v75, v6
	v_cvt_i32_f32_e32 v9, v78
	v_dual_add_f32 v7, v79, v7 :: v_dual_add_f32 v10, v77, v10
	s_delay_alu instid0(VALU_DEP_3) | instskip(NEXT) | instid1(VALU_DEP_4)
	v_dual_add_f32 v8, v76, v8 :: v_dual_lshlrev_b32 v5, 2, v5
	v_cvt_i32_f32_e32 v11, v6
	s_delay_alu instid0(VALU_DEP_3)
	v_cvt_i32_f32_e32 v12, v7
	v_cvt_f32_i32_dpp v9, v9 row_shr:8 row_mask:0xf bank_mask:0xf bound_ctrl:1
	v_cvt_i32_f32_e32 v15, v10
	v_cvt_i32_f32_e32 v13, v8
	v_cvt_f32_i32_dpp v11, v11 row_shr:4 row_mask:0xf bank_mask:0xf bound_ctrl:1
	v_cvt_f32_i32_dpp v12, v12 row_shr:4 row_mask:0xf bank_mask:0xf bound_ctrl:1
	s_delay_alu instid0(VALU_DEP_4) | instskip(NEXT) | instid1(VALU_DEP_4)
	v_cvt_f32_i32_dpp v15, v15 row_shr:4 row_mask:0xf bank_mask:0xf bound_ctrl:1
	v_cvt_f32_i32_dpp v13, v13 row_shr:4 row_mask:0xf bank_mask:0xf bound_ctrl:1
	s_delay_alu instid0(VALU_DEP_3) | instskip(NEXT) | instid1(VALU_DEP_2)
	v_dual_add_f32 v6, v6, v11 :: v_dual_add_f32 v7, v7, v12
	v_add_f32_e32 v8, v8, v13
	s_delay_alu instid0(VALU_DEP_2) | instskip(NEXT) | instid1(VALU_DEP_3)
	v_cvt_i32_f32_e32 v11, v6
	v_cvt_i32_f32_e32 v12, v7
	s_delay_alu instid0(VALU_DEP_3) | instskip(NEXT) | instid1(VALU_DEP_3)
	v_cvt_i32_f32_e32 v13, v8
	v_cvt_f32_i32_dpp v11, v11 row_shr:2 row_mask:0xf bank_mask:0xf bound_ctrl:1
	s_delay_alu instid0(VALU_DEP_3) | instskip(SKIP_1) | instid1(VALU_DEP_4)
	v_cvt_f32_i32_dpp v12, v12 row_shr:2 row_mask:0xf bank_mask:0xf bound_ctrl:1
	v_add_f32_e32 v10, v10, v15
	v_cvt_f32_i32_dpp v13, v13 row_shr:2 row_mask:0xf bank_mask:0xf bound_ctrl:1
	s_delay_alu instid0(VALU_DEP_3) | instskip(NEXT) | instid1(VALU_DEP_3)
	v_add_f32_e32 v7, v7, v12
	v_cvt_i32_f32_e32 v15, v10
	s_delay_alu instid0(VALU_DEP_3) | instskip(NEXT) | instid1(VALU_DEP_3)
	v_add_f32_e32 v8, v8, v13
	v_cvt_i32_f32_e32 v12, v7
	s_delay_alu instid0(VALU_DEP_3) | instskip(NEXT) | instid1(VALU_DEP_3)
	v_cvt_f32_i32_dpp v15, v15 row_shr:2 row_mask:0xf bank_mask:0xf bound_ctrl:1
	v_cvt_i32_f32_e32 v13, v8
	s_delay_alu instid0(VALU_DEP_3) | instskip(NEXT) | instid1(VALU_DEP_3)
	v_cvt_f32_i32_dpp v12, v12 row_shr:1 row_mask:0xf bank_mask:0xf bound_ctrl:1
	v_add_f32_e32 v10, v10, v15
	s_delay_alu instid0(VALU_DEP_3) | instskip(NEXT) | instid1(VALU_DEP_3)
	v_cvt_f32_i32_dpp v13, v13 row_shr:1 row_mask:0xf bank_mask:0xf bound_ctrl:1
	v_add_f32_e32 v75, v7, v12
	v_cvt_i32_f32_e32 v7, v71
	s_delay_alu instid0(VALU_DEP_4) | instskip(NEXT) | instid1(VALU_DEP_4)
	v_cvt_i32_f32_e32 v15, v10
	v_add_f32_e32 v51, v8, v13
	v_cvt_i32_f32_e32 v8, v73
	ds_bpermute_b32 v76, v5, v75
	v_cvt_f32_i32_dpp v7, v7 row_shr:8 row_mask:0xf bank_mask:0xf bound_ctrl:1
	v_cvt_f32_i32_dpp v15, v15 row_shr:1 row_mask:0xf bank_mask:0xf bound_ctrl:1
	;; [unrolled: 1-line block ×3, first 2 shown]
	v_add_f32_e32 v9, v78, v9
	s_delay_alu instid0(VALU_DEP_3) | instskip(SKIP_1) | instid1(VALU_DEP_4)
	v_add_f32_e32 v39, v10, v15
	v_cvt_i32_f32_e32 v10, v72
	v_add_f32_e32 v8, v73, v8
	s_delay_alu instid0(VALU_DEP_4) | instskip(NEXT) | instid1(VALU_DEP_3)
	v_cvt_i32_f32_e32 v14, v9
	v_cvt_f32_i32_dpp v10, v10 row_shr:8 row_mask:0xf bank_mask:0xf bound_ctrl:1
	s_delay_alu instid0(VALU_DEP_3) | instskip(NEXT) | instid1(VALU_DEP_3)
	v_cvt_i32_f32_e32 v13, v8
	v_cvt_f32_i32_dpp v14, v14 row_shr:4 row_mask:0xf bank_mask:0xf bound_ctrl:1
	s_delay_alu instid0(VALU_DEP_3) | instskip(NEXT) | instid1(VALU_DEP_3)
	v_add_f32_e32 v10, v72, v10
	v_cvt_f32_i32_dpp v13, v13 row_shr:4 row_mask:0xf bank_mask:0xf bound_ctrl:1
	s_delay_alu instid0(VALU_DEP_3)
	v_add_f32_e32 v9, v9, v14
	v_add_f32_e32 v7, v71, v7
	ds_bpermute_b32 v40, v5, v39
	v_cvt_i32_f32_e32 v15, v10
	v_add_f32_e32 v8, v8, v13
	v_cvt_i32_f32_e32 v14, v9
	v_cvt_i32_f32_e32 v12, v7
	s_delay_alu instid0(VALU_DEP_4) | instskip(NEXT) | instid1(VALU_DEP_4)
	v_cvt_f32_i32_dpp v15, v15 row_shr:4 row_mask:0xf bank_mask:0xf bound_ctrl:1
	v_cvt_i32_f32_e32 v13, v8
	s_delay_alu instid0(VALU_DEP_4)
	v_cvt_f32_i32_dpp v14, v14 row_shr:2 row_mask:0xf bank_mask:0xf bound_ctrl:1
	v_add_f32_e32 v6, v6, v11
	v_cvt_f32_i32_dpp v12, v12 row_shr:4 row_mask:0xf bank_mask:0xf bound_ctrl:1
	v_add_f32_e32 v10, v10, v15
	;; [unrolled: 2-line block ×3, first 2 shown]
	v_cvt_i32_f32_e32 v11, v6
	v_add_f32_e32 v7, v7, v12
	v_cvt_i32_f32_e32 v15, v10
	v_add_f32_e32 v8, v8, v13
	v_cvt_i32_f32_e32 v14, v9
	v_cvt_f32_i32_dpp v11, v11 row_shr:1 row_mask:0xf bank_mask:0xf bound_ctrl:1
	v_cvt_i32_f32_e32 v12, v7
	v_cvt_f32_i32_dpp v15, v15 row_shr:2 row_mask:0xf bank_mask:0xf bound_ctrl:1
	;; [unrolled: 2-line block ×3, first 2 shown]
	v_add_f32_e32 v77, v6, v11
	v_cvt_i32_f32_e32 v11, v74
	v_cvt_f32_i32_dpp v12, v12 row_shr:2 row_mask:0xf bank_mask:0xf bound_ctrl:1
	v_cvt_f32_i32_dpp v13, v13 row_shr:1 row_mask:0xf bank_mask:0xf bound_ctrl:1
	v_add_f32_e32 v6, v9, v14
	v_cvt_i32_f32_e32 v9, v70
	v_cvt_f32_i32_dpp v11, v11 row_shr:8 row_mask:0xf bank_mask:0xf bound_ctrl:1
	ds_bpermute_b32 v78, v5, v77
	ds_bpermute_b32 v52, v5, v51
	ds_bpermute_b32 v49, v5, v6
	v_cvt_f32_i32_dpp v9, v9 row_shr:8 row_mask:0xf bank_mask:0xf bound_ctrl:1
	v_add_f32_e32 v11, v74, v11
	v_add_f32_e32 v10, v10, v15
	s_delay_alu instid0(VALU_DEP_2) | instskip(NEXT) | instid1(VALU_DEP_2)
	v_cvt_i32_f32_e32 v16, v11
	v_cvt_i32_f32_e32 v15, v10
	s_delay_alu instid0(VALU_DEP_2) | instskip(NEXT) | instid1(VALU_DEP_2)
	v_cvt_f32_i32_dpp v16, v16 row_shr:4 row_mask:0xf bank_mask:0xf bound_ctrl:1
	v_cvt_f32_i32_dpp v15, v15 row_shr:1 row_mask:0xf bank_mask:0xf bound_ctrl:1
	s_delay_alu instid0(VALU_DEP_2) | instskip(NEXT) | instid1(VALU_DEP_2)
	v_add_f32_e32 v11, v11, v16
	v_add_f32_e32 v31, v10, v15
	v_cvt_i32_f32_e32 v10, v65
	s_delay_alu instid0(VALU_DEP_3) | instskip(NEXT) | instid1(VALU_DEP_2)
	v_cvt_i32_f32_e32 v16, v11
	v_cvt_f32_i32_dpp v10, v10 row_shr:8 row_mask:0xf bank_mask:0xf bound_ctrl:1
	v_add_f32_e32 v7, v7, v12
	s_delay_alu instid0(VALU_DEP_3) | instskip(NEXT) | instid1(VALU_DEP_3)
	v_cvt_f32_i32_dpp v16, v16 row_shr:2 row_mask:0xf bank_mask:0xf bound_ctrl:1
	v_add_f32_e32 v10, v65, v10
	s_delay_alu instid0(VALU_DEP_3) | instskip(NEXT) | instid1(VALU_DEP_3)
	v_cvt_i32_f32_e32 v12, v7
	v_add_f32_e32 v11, v11, v16
	s_delay_alu instid0(VALU_DEP_3) | instskip(NEXT) | instid1(VALU_DEP_3)
	v_cvt_i32_f32_e32 v15, v10
	v_cvt_f32_i32_dpp v12, v12 row_shr:1 row_mask:0xf bank_mask:0xf bound_ctrl:1
	s_delay_alu instid0(VALU_DEP_3) | instskip(NEXT) | instid1(VALU_DEP_3)
	v_cvt_i32_f32_e32 v16, v11
	v_cvt_f32_i32_dpp v15, v15 row_shr:4 row_mask:0xf bank_mask:0xf bound_ctrl:1
	s_delay_alu instid0(VALU_DEP_3) | instskip(SKIP_1) | instid1(VALU_DEP_4)
	v_add_f32_e32 v47, v7, v12
	v_cvt_i32_f32_e32 v7, v68
	v_cvt_f32_i32_dpp v16, v16 row_shr:1 row_mask:0xf bank_mask:0xf bound_ctrl:1
	v_add_f32_e32 v9, v70, v9
	v_add_f32_e32 v10, v10, v15
	ds_bpermute_b32 v48, v5, v47
	v_cvt_f32_i32_dpp v7, v7 row_shr:8 row_mask:0xf bank_mask:0xf bound_ctrl:1
	v_add_f32_e32 v26, v11, v16
	v_cvt_i32_f32_e32 v14, v9
	v_cvt_i32_f32_e32 v11, v67
	v_cvt_i32_f32_e32 v15, v10
	ds_bpermute_b32 v27, v5, v26
	v_cvt_f32_i32_dpp v14, v14 row_shr:4 row_mask:0xf bank_mask:0xf bound_ctrl:1
	v_cvt_f32_i32_dpp v11, v11 row_shr:8 row_mask:0xf bank_mask:0xf bound_ctrl:1
	;; [unrolled: 1-line block ×3, first 2 shown]
	v_add_f32_e32 v37, v8, v13
	v_cvt_i32_f32_e32 v8, v66
	s_delay_alu instid0(VALU_DEP_3) | instskip(SKIP_4) | instid1(VALU_DEP_3)
	v_dual_add_f32 v9, v9, v14 :: v_dual_add_f32 v10, v10, v15
	ds_bpermute_b32 v38, v5, v37
	v_cvt_f32_i32_dpp v8, v8 row_shr:8 row_mask:0xf bank_mask:0xf bound_ctrl:1
	v_cvt_i32_f32_e32 v14, v9
	v_cvt_i32_f32_e32 v15, v10
	v_add_f32_e32 v8, v66, v8
	s_delay_alu instid0(VALU_DEP_3) | instskip(NEXT) | instid1(VALU_DEP_3)
	v_cvt_f32_i32_dpp v14, v14 row_shr:2 row_mask:0xf bank_mask:0xf bound_ctrl:1
	v_cvt_f32_i32_dpp v15, v15 row_shr:1 row_mask:0xf bank_mask:0xf bound_ctrl:1
	s_delay_alu instid0(VALU_DEP_3) | instskip(NEXT) | instid1(VALU_DEP_3)
	v_cvt_i32_f32_e32 v13, v8
	v_add_f32_e32 v9, v9, v14
	s_delay_alu instid0(VALU_DEP_3) | instskip(SKIP_1) | instid1(VALU_DEP_4)
	v_add_f32_e32 v19, v10, v15
	v_cvt_i32_f32_e32 v10, v61
	v_cvt_f32_i32_dpp v13, v13 row_shr:4 row_mask:0xf bank_mask:0xf bound_ctrl:1
	s_delay_alu instid0(VALU_DEP_4) | instskip(SKIP_4) | instid1(VALU_DEP_3)
	v_cvt_i32_f32_e32 v14, v9
	ds_bpermute_b32 v20, v5, v19
	v_cvt_f32_i32_dpp v10, v10 row_shr:8 row_mask:0xf bank_mask:0xf bound_ctrl:1
	v_add_f32_e32 v8, v8, v13
	v_cvt_f32_i32_dpp v14, v14 row_shr:1 row_mask:0xf bank_mask:0xf bound_ctrl:1
	v_add_f32_e32 v10, v61, v10
	s_delay_alu instid0(VALU_DEP_3) | instskip(NEXT) | instid1(VALU_DEP_3)
	v_cvt_i32_f32_e32 v13, v8
	v_add_f32_e32 v34, v9, v14
	v_cvt_i32_f32_e32 v9, v69
	s_delay_alu instid0(VALU_DEP_4) | instskip(NEXT) | instid1(VALU_DEP_4)
	v_cvt_i32_f32_e32 v17, v10
	v_cvt_f32_i32_dpp v13, v13 row_shr:2 row_mask:0xf bank_mask:0xf bound_ctrl:1
	ds_bpermute_b32 v35, v5, v34
	v_cvt_f32_i32_dpp v9, v9 row_shr:8 row_mask:0xf bank_mask:0xf bound_ctrl:1
	v_cvt_f32_i32_dpp v17, v17 row_shr:4 row_mask:0xf bank_mask:0xf bound_ctrl:1
	v_add_f32_e32 v8, v8, v13
	ds_bpermute_b32 v32, v5, v31
	v_add_f32_e32 v10, v10, v17
	v_cvt_i32_f32_e32 v13, v8
	s_delay_alu instid0(VALU_DEP_2) | instskip(NEXT) | instid1(VALU_DEP_2)
	v_cvt_i32_f32_e32 v17, v10
	v_cvt_f32_i32_dpp v13, v13 row_shr:1 row_mask:0xf bank_mask:0xf bound_ctrl:1
	v_add_f32_e32 v11, v67, v11
	s_delay_alu instid0(VALU_DEP_3) | instskip(NEXT) | instid1(VALU_DEP_3)
	v_cvt_f32_i32_dpp v17, v17 row_shr:2 row_mask:0xf bank_mask:0xf bound_ctrl:1
	v_add_f32_e32 v24, v8, v13
	v_cvt_i32_f32_e32 v8, v63
	s_delay_alu instid0(VALU_DEP_4) | instskip(NEXT) | instid1(VALU_DEP_4)
	v_cvt_i32_f32_e32 v16, v11
	v_add_f32_e32 v10, v10, v17
	ds_bpermute_b32 v25, v5, v24
	v_cvt_f32_i32_dpp v8, v8 row_shr:8 row_mask:0xf bank_mask:0xf bound_ctrl:1
	v_add_f32_e32 v7, v68, v7
	v_cvt_f32_i32_dpp v16, v16 row_shr:4 row_mask:0xf bank_mask:0xf bound_ctrl:1
	v_cvt_i32_f32_e32 v17, v10
	s_delay_alu instid0(VALU_DEP_4) | instskip(NEXT) | instid1(VALU_DEP_4)
	v_add_f32_e32 v8, v63, v8
	v_cvt_i32_f32_e32 v12, v7
	s_delay_alu instid0(VALU_DEP_4)
	v_add_f32_e32 v11, v11, v16
	s_waitcnt vmcnt(0)
	v_cvt_f32_i32_dpp v23, v17 row_shr:1 row_mask:0xf bank_mask:0xf bound_ctrl:1
	v_cvt_i32_f32_e32 v13, v8
	v_cvt_f32_i32_dpp v12, v12 row_shr:4 row_mask:0xf bank_mask:0xf bound_ctrl:1
	v_cvt_i32_f32_e32 v16, v11
	s_delay_alu instid0(VALU_DEP_3) | instskip(NEXT) | instid1(VALU_DEP_3)
	v_cvt_f32_i32_dpp v13, v13 row_shr:4 row_mask:0xf bank_mask:0xf bound_ctrl:1
	v_add_f32_e32 v7, v7, v12
	s_delay_alu instid0(VALU_DEP_3) | instskip(NEXT) | instid1(VALU_DEP_3)
	v_cvt_f32_i32_dpp v16, v16 row_shr:2 row_mask:0xf bank_mask:0xf bound_ctrl:1
	v_add_f32_e32 v8, v8, v13
	s_delay_alu instid0(VALU_DEP_3) | instskip(NEXT) | instid1(VALU_DEP_3)
	v_cvt_i32_f32_e32 v12, v7
	v_add_f32_e32 v11, v11, v16
	s_delay_alu instid0(VALU_DEP_3) | instskip(NEXT) | instid1(VALU_DEP_3)
	v_cvt_i32_f32_e32 v13, v8
	v_cvt_f32_i32_dpp v12, v12 row_shr:2 row_mask:0xf bank_mask:0xf bound_ctrl:1
	s_delay_alu instid0(VALU_DEP_3) | instskip(NEXT) | instid1(VALU_DEP_3)
	v_cvt_i32_f32_e32 v16, v11
	v_cvt_f32_i32_dpp v13, v13 row_shr:2 row_mask:0xf bank_mask:0xf bound_ctrl:1
	s_delay_alu instid0(VALU_DEP_3) | instskip(NEXT) | instid1(VALU_DEP_3)
	v_add_f32_e32 v7, v7, v12
	v_cvt_f32_i32_dpp v16, v16 row_shr:1 row_mask:0xf bank_mask:0xf bound_ctrl:1
	s_delay_alu instid0(VALU_DEP_3) | instskip(NEXT) | instid1(VALU_DEP_3)
	v_add_f32_e32 v8, v8, v13
	v_cvt_i32_f32_e32 v12, v7
	s_delay_alu instid0(VALU_DEP_3) | instskip(SKIP_1) | instid1(VALU_DEP_4)
	v_add_f32_e32 v15, v11, v16
	v_cvt_i32_f32_e32 v11, v42
	v_cvt_i32_f32_e32 v13, v8
	s_delay_alu instid0(VALU_DEP_4)
	v_cvt_f32_i32_dpp v12, v12 row_shr:1 row_mask:0xf bank_mask:0xf bound_ctrl:1
	ds_bpermute_b32 v16, v5, v15
	v_cvt_f32_i32_dpp v11, v11 row_shr:8 row_mask:0xf bank_mask:0xf bound_ctrl:1
	v_cvt_f32_i32_dpp v13, v13 row_shr:1 row_mask:0xf bank_mask:0xf bound_ctrl:1
	v_add_f32_e32 v29, v7, v12
	v_cvt_i32_f32_e32 v7, v64
	s_delay_alu instid0(VALU_DEP_4) | instskip(NEXT) | instid1(VALU_DEP_4)
	v_add_f32_e32 v11, v42, v11
	v_add_f32_e32 v13, v8, v13
	ds_bpermute_b32 v30, v5, v29
	v_cvt_f32_i32_dpp v7, v7 row_shr:8 row_mask:0xf bank_mask:0xf bound_ctrl:1
	v_cvt_i32_f32_e32 v18, v11
	s_delay_alu instid0(VALU_DEP_2) | instskip(NEXT) | instid1(VALU_DEP_2)
	v_add_f32_e32 v7, v64, v7
	v_cvt_f32_i32_dpp v18, v18 row_shr:4 row_mask:0xf bank_mask:0xf bound_ctrl:1
	s_delay_alu instid0(VALU_DEP_2) | instskip(NEXT) | instid1(VALU_DEP_2)
	v_cvt_i32_f32_e32 v12, v7
	v_add_f32_e32 v11, v11, v18
	s_delay_alu instid0(VALU_DEP_2) | instskip(NEXT) | instid1(VALU_DEP_2)
	v_cvt_f32_i32_dpp v12, v12 row_shr:4 row_mask:0xf bank_mask:0xf bound_ctrl:1
	v_cvt_i32_f32_e32 v18, v11
	s_delay_alu instid0(VALU_DEP_2) | instskip(NEXT) | instid1(VALU_DEP_2)
	v_add_f32_e32 v7, v7, v12
	v_cvt_f32_i32_dpp v18, v18 row_shr:2 row_mask:0xf bank_mask:0xf bound_ctrl:1
	v_add_f32_e32 v9, v69, v9
	s_delay_alu instid0(VALU_DEP_3) | instskip(NEXT) | instid1(VALU_DEP_1)
	v_cvt_i32_f32_e32 v12, v7
	v_cvt_f32_i32_dpp v12, v12 row_shr:2 row_mask:0xf bank_mask:0xf bound_ctrl:1
	s_delay_alu instid0(VALU_DEP_1) | instskip(SKIP_2) | instid1(VALU_DEP_3)
	v_add_f32_e32 v7, v7, v12
	v_add_f32_e32 v12, v11, v18
	v_cvt_i32_f32_e32 v14, v9
	v_cvt_i32_f32_e32 v11, v7
	s_delay_alu instid0(VALU_DEP_3) | instskip(NEXT) | instid1(VALU_DEP_3)
	v_cvt_i32_f32_e32 v18, v12
	v_cvt_f32_i32_dpp v14, v14 row_shr:4 row_mask:0xf bank_mask:0xf bound_ctrl:1
	s_delay_alu instid0(VALU_DEP_3) | instskip(NEXT) | instid1(VALU_DEP_3)
	v_cvt_f32_i32_dpp v11, v11 row_shr:1 row_mask:0xf bank_mask:0xf bound_ctrl:1
	v_cvt_f32_i32_dpp v18, v18 row_shr:1 row_mask:0xf bank_mask:0xf bound_ctrl:1
	s_delay_alu instid0(VALU_DEP_3) | instskip(NEXT) | instid1(VALU_DEP_3)
	v_add_f32_e32 v9, v9, v14
	v_add_f32_e32 v17, v7, v11
	s_delay_alu instid0(VALU_DEP_3) | instskip(NEXT) | instid1(VALU_DEP_3)
	v_add_f32_e32 v7, v12, v18
	v_cvt_i32_f32_e32 v14, v9
	ds_bpermute_b32 v18, v5, v17
	ds_bpermute_b32 v8, v5, v7
	v_cvt_f32_i32_dpp v14, v14 row_shr:2 row_mask:0xf bank_mask:0xf bound_ctrl:1
	s_delay_alu instid0(VALU_DEP_1) | instskip(NEXT) | instid1(VALU_DEP_1)
	v_add_f32_e32 v9, v9, v14
	v_cvt_i32_f32_e32 v14, v9
	s_delay_alu instid0(VALU_DEP_1) | instskip(NEXT) | instid1(VALU_DEP_1)
	v_cvt_f32_i32_dpp v14, v14 row_shr:1 row_mask:0xf bank_mask:0xf bound_ctrl:1
	v_add_f32_e32 v21, v9, v14
	v_cvt_i32_f32_e32 v9, v62
	ds_bpermute_b32 v22, v5, v21
	v_cvt_f32_i32_dpp v9, v9 row_shr:8 row_mask:0xf bank_mask:0xf bound_ctrl:1
	s_delay_alu instid0(VALU_DEP_1) | instskip(NEXT) | instid1(VALU_DEP_1)
	v_add_f32_e32 v9, v62, v9
	v_cvt_i32_f32_e32 v14, v9
	s_delay_alu instid0(VALU_DEP_1) | instskip(NEXT) | instid1(VALU_DEP_1)
	v_cvt_f32_i32_dpp v14, v14 row_shr:4 row_mask:0xf bank_mask:0xf bound_ctrl:1
	v_add_f32_e32 v9, v9, v14
	s_delay_alu instid0(VALU_DEP_1) | instskip(NEXT) | instid1(VALU_DEP_1)
	v_cvt_i32_f32_e32 v14, v9
	v_cvt_f32_i32_dpp v14, v14 row_shr:2 row_mask:0xf bank_mask:0xf bound_ctrl:1
	s_delay_alu instid0(VALU_DEP_1) | instskip(NEXT) | instid1(VALU_DEP_1)
	v_add_f32_e32 v9, v9, v14
	v_cvt_i32_f32_e32 v14, v9
	s_delay_alu instid0(VALU_DEP_1) | instskip(NEXT) | instid1(VALU_DEP_1)
	v_cvt_f32_i32_dpp v14, v14 row_shr:1 row_mask:0xf bank_mask:0xf bound_ctrl:1
	v_add_f32_e32 v11, v9, v14
	v_add_f32_e32 v9, v10, v23
	ds_bpermute_b32 v14, v5, v13
	ds_bpermute_b32 v12, v5, v11
	;; [unrolled: 1-line block ×3, first 2 shown]
	s_and_saveexec_b32 s5, s0
	s_cbranch_execz .LBB289_153
; %bb.31:                               ;   in Loop: Header=BB289_12 Depth=1
	v_dual_mov_b32 v42, 0 :: v_dual_add_nc_u32 v43, 2, v41
	v_dual_mov_b32 v72, 0 :: v_dual_add_nc_u32 v5, 3, v41
	v_dual_mov_b32 v71, 0 :: v_dual_mov_b32 v70, 0
	v_dual_mov_b32 v69, 0 :: v_dual_mov_b32 v68, 0
	;; [unrolled: 1-line block ×9, first 2 shown]
	s_and_not1_b32 vcc_lo, exec_lo, s30
	s_cbranch_vccnz .LBB289_33
; %bb.32:                               ;   in Loop: Header=BB289_12 Depth=1
	v_mul_hi_u32 v23, v41, v60
	v_mul_hi_u32 v33, v43, v60
	;; [unrolled: 1-line block ×3, first 2 shown]
	s_delay_alu instid0(VALU_DEP_3) | instskip(NEXT) | instid1(VALU_DEP_3)
	v_mul_lo_u32 v23, v23, s8
	v_mul_lo_u32 v33, v33, s8
	s_delay_alu instid0(VALU_DEP_3) | instskip(NEXT) | instid1(VALU_DEP_3)
	v_mul_lo_u32 v36, v36, s8
	v_sub_nc_u32_e32 v23, v41, v23
	s_delay_alu instid0(VALU_DEP_3) | instskip(NEXT) | instid1(VALU_DEP_3)
	v_sub_nc_u32_e32 v33, v43, v33
	v_sub_nc_u32_e32 v36, v5, v36
	s_delay_alu instid0(VALU_DEP_3) | instskip(SKIP_2) | instid1(VALU_DEP_4)
	v_subrev_nc_u32_e32 v46, s8, v23
	v_cmp_le_u32_e32 vcc_lo, s8, v23
	v_add_nc_u32_e32 v28, 1, v41
	v_subrev_nc_u32_e32 v50, s8, v36
	s_delay_alu instid0(VALU_DEP_4) | instskip(NEXT) | instid1(VALU_DEP_3)
	v_cndmask_b32_e32 v23, v23, v46, vcc_lo
	v_mul_hi_u32 v42, v28, v60
	v_cmp_le_u32_e32 vcc_lo, s8, v33
	s_delay_alu instid0(VALU_DEP_2) | instskip(NEXT) | instid1(VALU_DEP_1)
	v_mul_lo_u32 v42, v42, s8
	v_sub_nc_u32_e32 v28, v28, v42
	v_subrev_nc_u32_e32 v42, s8, v33
	v_mov_b32_e32 v62, v44
	s_delay_alu instid0(VALU_DEP_3) | instskip(NEXT) | instid1(VALU_DEP_3)
	v_subrev_nc_u32_e32 v46, s8, v28
	v_cndmask_b32_e32 v33, v33, v42, vcc_lo
	v_cmp_le_u32_e32 vcc_lo, s8, v36
	v_subrev_nc_u32_e32 v42, s8, v23
	v_cndmask_b32_e32 v36, v36, v50, vcc_lo
	v_cmp_le_u32_e32 vcc_lo, s8, v28
	s_delay_alu instid0(VALU_DEP_2)
	v_subrev_nc_u32_e32 v50, s8, v36
	v_cndmask_b32_e32 v28, v28, v46, vcc_lo
	v_cmp_le_u32_e32 vcc_lo, s8, v23
	v_mov_b32_e32 v64, v44
	v_subrev_nc_u32_e32 v46, s8, v33
	v_cndmask_b32_e32 v61, v23, v42, vcc_lo
	v_cmp_le_u32_e32 vcc_lo, s8, v33
	v_mov_b32_e32 v66, v44
	v_mov_b32_e32 v68, v44
	s_delay_alu instid0(VALU_DEP_4) | instskip(SKIP_4) | instid1(VALU_DEP_4)
	v_dual_mov_b32 v84, v44 :: v_dual_add_nc_u32 v89, s34, v61
	v_cndmask_b32_e32 v65, v33, v46, vcc_lo
	v_cmp_le_u32_e32 vcc_lo, s8, v36
	v_lshlrev_b64 v[69:70], 1, v[61:62]
	v_dual_mov_b32 v88, v44 :: v_dual_add_nc_u32 v81, s33, v61
	v_add_nc_u32_e32 v85, s33, v65
	v_subrev_nc_u32_e32 v23, s8, v28
	v_cndmask_b32_e32 v67, v36, v50, vcc_lo
	v_cmp_le_u32_e32 vcc_lo, s8, v28
	v_lshlrev_b64 v[71:72], 1, v[65:66]
	v_mov_b32_e32 v82, v44
	v_mov_b32_e32 v90, v44
	v_lshlrev_b64 v[73:74], 1, v[67:68]
	v_cndmask_b32_e32 v63, v28, v23, vcc_lo
	v_add_co_u32 v68, vcc_lo, s14, v69
	v_add_co_ci_u32_e32 v69, vcc_lo, s15, v70, vcc_lo
	s_delay_alu instid0(VALU_DEP_3)
	v_lshlrev_b64 v[79:80], 1, v[63:64]
	v_add_nc_u32_e32 v83, s33, v63
	v_add_nc_u32_e32 v87, s33, v67
	v_lshlrev_b64 v[81:82], 1, v[81:82]
	v_dual_mov_b32 v86, v44 :: v_dual_add_nc_u32 v91, s34, v63
	v_add_co_u32 v79, vcc_lo, s14, v79
	v_add_co_ci_u32_e32 v80, vcc_lo, s15, v80, vcc_lo
	v_add_co_u32 v70, vcc_lo, s14, v71
	v_add_co_ci_u32_e32 v71, vcc_lo, s15, v72, vcc_lo
	v_add_co_u32 v73, vcc_lo, s14, v73
	v_lshlrev_b64 v[83:84], 1, v[83:84]
	v_add_co_ci_u32_e32 v74, vcc_lo, s15, v74, vcc_lo
	v_add_co_u32 v81, vcc_lo, s14, v81
	v_lshlrev_b64 v[85:86], 1, v[85:86]
	;; [unrolled: 3-line block ×3, first 2 shown]
	v_add_co_ci_u32_e32 v84, vcc_lo, s15, v84, vcc_lo
	v_add_co_u32 v85, vcc_lo, s14, v85
	v_add_co_ci_u32_e32 v86, vcc_lo, s15, v86, vcc_lo
	s_delay_alu instid0(VALU_DEP_4)
	v_add_co_u32 v87, vcc_lo, s14, v87
	v_mov_b32_e32 v92, v44
	v_add_co_ci_u32_e32 v88, vcc_lo, s15, v88, vcc_lo
	s_clause 0x7
	global_load_u16 v42, v[68:69], off
	global_load_u16 v72, v[79:80], off
	;; [unrolled: 1-line block ×8, first 2 shown]
	v_add_nc_u32_e32 v85, s35, v61
	v_add_nc_u32_e32 v83, s34, v67
	v_lshlrev_b64 v[89:90], 1, v[89:90]
	v_dual_mov_b32 v80, v44 :: v_dual_add_nc_u32 v79, s34, v65
	v_add_nc_u32_e32 v87, s35, v63
	v_lshlrev_b64 v[73:74], 1, v[91:92]
	v_mov_b32_e32 v84, v44
	v_add_co_u32 v81, vcc_lo, s14, v89
	v_add_nc_u32_e32 v89, s35, v65
	v_lshlrev_b64 v[79:80], 1, v[79:80]
	v_dual_mov_b32 v86, v44 :: v_dual_add_nc_u32 v91, s35, v67
	v_add_co_ci_u32_e32 v82, vcc_lo, s15, v90, vcc_lo
	v_add_co_u32 v73, vcc_lo, s14, v73
	v_lshlrev_b64 v[83:84], 1, v[83:84]
	v_dual_mov_b32 v88, v44 :: v_dual_add_nc_u32 v61, s40, v61
	v_add_co_ci_u32_e32 v74, vcc_lo, s15, v74, vcc_lo
	v_add_co_u32 v79, vcc_lo, s14, v79
	;; [unrolled: 4-line block ×3, first 2 shown]
	v_lshlrev_b64 v[87:88], 1, v[87:88]
	v_add_co_ci_u32_e32 v84, vcc_lo, s15, v84, vcc_lo
	v_add_co_u32 v85, vcc_lo, s14, v85
	v_lshlrev_b64 v[89:90], 1, v[89:90]
	v_add_co_ci_u32_e32 v86, vcc_lo, s15, v86, vcc_lo
	v_add_co_u32 v87, vcc_lo, s14, v87
	;; [unrolled: 3-line block ×3, first 2 shown]
	v_lshlrev_b64 v[61:62], 1, v[61:62]
	v_add_co_ci_u32_e32 v90, vcc_lo, s15, v90, vcc_lo
	v_dual_mov_b32 v94, v44 :: v_dual_add_nc_u32 v95, s40, v65
	v_add_co_u32 v91, vcc_lo, s14, v91
	v_mov_b32_e32 v96, v44
	v_add_co_ci_u32_e32 v92, vcc_lo, s15, v92, vcc_lo
	v_add_co_u32 v97, vcc_lo, s14, v61
	v_lshlrev_b64 v[93:94], 1, v[93:94]
	v_add_co_ci_u32_e32 v98, vcc_lo, s15, v62, vcc_lo
	v_lshlrev_b64 v[61:62], 1, v[95:96]
	v_add_nc_u32_e32 v95, s40, v67
	s_delay_alu instid0(VALU_DEP_4) | instskip(SKIP_1) | instid1(VALU_DEP_3)
	v_add_co_u32 v93, vcc_lo, s14, v93
	v_add_co_ci_u32_e32 v94, vcc_lo, s15, v94, vcc_lo
	v_lshlrev_b64 v[95:96], 1, v[95:96]
	v_add_co_u32 v99, vcc_lo, s14, v61
	v_add_co_ci_u32_e32 v100, vcc_lo, s15, v62, vcc_lo
	s_delay_alu instid0(VALU_DEP_3) | instskip(NEXT) | instid1(VALU_DEP_4)
	v_add_co_u32 v95, vcc_lo, s14, v95
	v_add_co_ci_u32_e32 v96, vcc_lo, s15, v96, vcc_lo
	s_clause 0xb
	global_load_u16 v67, v[81:82], off
	global_load_u16 v65, v[73:74], off
	;; [unrolled: 1-line block ×12, first 2 shown]
.LBB289_33:                             ;   in Loop: Header=BB289_12 Depth=1
	v_cmp_ne_u32_e32 vcc_lo, 0, v1
	s_and_saveexec_b32 s2, vcc_lo
	s_cbranch_execnz .LBB289_53
; %bb.34:                               ;   in Loop: Header=BB289_12 Depth=1
	s_or_b32 exec_lo, exec_lo, s2
	v_cmp_ne_u32_e64 s1, 0, v2
	s_delay_alu instid0(VALU_DEP_1)
	s_and_saveexec_b32 s3, s1
	s_cbranch_execnz .LBB289_58
.LBB289_35:                             ;   in Loop: Header=BB289_12 Depth=1
	s_or_b32 exec_lo, exec_lo, s3
	v_cmp_ne_u32_e64 s2, 0, v3
	s_delay_alu instid0(VALU_DEP_1)
	s_and_saveexec_b32 s4, s2
	s_cbranch_execnz .LBB289_63
.LBB289_36:                             ;   in Loop: Header=BB289_12 Depth=1
	s_or_b32 exec_lo, exec_lo, s4
	v_cmp_ne_u32_e64 s3, 0, v4
	s_delay_alu instid0(VALU_DEP_1)
	s_and_saveexec_b32 s43, s3
	s_cbranch_execnz .LBB289_68
.LBB289_37:                             ;   in Loop: Header=BB289_12 Depth=1
	s_or_b32 exec_lo, exec_lo, s43
	v_add_nc_u32_e32 v43, s19, v41
	s_and_saveexec_b32 s43, vcc_lo
	s_cbranch_execnz .LBB289_73
.LBB289_38:                             ;   in Loop: Header=BB289_12 Depth=1
	s_or_b32 exec_lo, exec_lo, s43
	s_and_saveexec_b32 s43, s1
	s_cbranch_execnz .LBB289_78
.LBB289_39:                             ;   in Loop: Header=BB289_12 Depth=1
	s_or_b32 exec_lo, exec_lo, s43
	s_and_saveexec_b32 s43, s2
	s_cbranch_execnz .LBB289_83
.LBB289_40:                             ;   in Loop: Header=BB289_12 Depth=1
	s_or_b32 exec_lo, exec_lo, s43
	s_and_saveexec_b32 s43, s3
	s_cbranch_execnz .LBB289_88
.LBB289_41:                             ;   in Loop: Header=BB289_12 Depth=1
	s_or_b32 exec_lo, exec_lo, s43
	v_add_nc_u32_e32 v43, s19, v43
	s_and_saveexec_b32 s43, vcc_lo
	s_cbranch_execnz .LBB289_93
.LBB289_42:                             ;   in Loop: Header=BB289_12 Depth=1
	s_or_b32 exec_lo, exec_lo, s43
	s_and_saveexec_b32 s43, s1
	s_cbranch_execnz .LBB289_98
.LBB289_43:                             ;   in Loop: Header=BB289_12 Depth=1
	s_or_b32 exec_lo, exec_lo, s43
	s_and_saveexec_b32 s43, s2
	s_cbranch_execnz .LBB289_103
.LBB289_44:                             ;   in Loop: Header=BB289_12 Depth=1
	s_or_b32 exec_lo, exec_lo, s43
	s_and_saveexec_b32 s43, s3
	s_cbranch_execnz .LBB289_108
.LBB289_45:                             ;   in Loop: Header=BB289_12 Depth=1
	s_or_b32 exec_lo, exec_lo, s43
	v_add_nc_u32_e32 v43, s19, v43
	s_and_saveexec_b32 s43, vcc_lo
	s_cbranch_execnz .LBB289_113
.LBB289_46:                             ;   in Loop: Header=BB289_12 Depth=1
	s_or_b32 exec_lo, exec_lo, s43
	s_and_saveexec_b32 s43, s1
	s_cbranch_execnz .LBB289_118
.LBB289_47:                             ;   in Loop: Header=BB289_12 Depth=1
	s_or_b32 exec_lo, exec_lo, s43
	s_and_saveexec_b32 s43, s2
	s_cbranch_execnz .LBB289_123
.LBB289_48:                             ;   in Loop: Header=BB289_12 Depth=1
	s_or_b32 exec_lo, exec_lo, s43
	s_and_saveexec_b32 s43, s3
	s_cbranch_execnz .LBB289_128
.LBB289_49:                             ;   in Loop: Header=BB289_12 Depth=1
	s_or_b32 exec_lo, exec_lo, s43
	v_add_nc_u32_e32 v43, s19, v43
	s_and_saveexec_b32 s4, vcc_lo
	s_cbranch_execnz .LBB289_133
.LBB289_50:                             ;   in Loop: Header=BB289_12 Depth=1
	s_or_b32 exec_lo, exec_lo, s4
	s_and_saveexec_b32 s4, s1
	s_cbranch_execnz .LBB289_138
.LBB289_51:                             ;   in Loop: Header=BB289_12 Depth=1
	s_or_b32 exec_lo, exec_lo, s4
	s_and_saveexec_b32 s1, s2
	s_cbranch_execnz .LBB289_143
.LBB289_52:                             ;   in Loop: Header=BB289_12 Depth=1
	s_or_b32 exec_lo, exec_lo, s1
	s_delay_alu instid0(SALU_CYCLE_1)
	s_and_b32 exec_lo, exec_lo, s3
	s_cbranch_execnz .LBB289_148
	s_branch .LBB289_153
.LBB289_53:                             ;   in Loop: Header=BB289_12 Depth=1
	s_waitcnt lgkmcnt(17)
	v_add_f32_e32 v73, v77, v78
	s_waitcnt vmcnt(19)
	v_lshlrev_b32_e32 v42, 16, v42
	s_delay_alu instid0(VALU_DEP_1) | instskip(NEXT) | instid1(VALU_DEP_1)
	v_add_f32_e32 v42, v73, v42
	v_and_b32_e32 v73, 0x7f800000, v42
	s_delay_alu instid0(VALU_DEP_1) | instskip(NEXT) | instid1(VALU_DEP_1)
	v_cmp_ne_u32_e64 s1, 0x7f800000, v73
                                        ; implicit-def: $vgpr73
	s_and_saveexec_b32 s3, s1
	s_delay_alu instid0(SALU_CYCLE_1)
	s_xor_b32 s1, exec_lo, s3
; %bb.54:                               ;   in Loop: Header=BB289_12 Depth=1
	v_bfe_u32 v73, v42, 16, 1
	s_delay_alu instid0(VALU_DEP_1)
	v_add3_u32 v73, v42, v73, 0x7fff
                                        ; implicit-def: $vgpr42
; %bb.55:                               ;   in Loop: Header=BB289_12 Depth=1
	s_and_not1_saveexec_b32 s3, s1
; %bb.56:                               ;   in Loop: Header=BB289_12 Depth=1
	v_and_b32_e32 v73, 0xffff, v42
	v_or_b32_e32 v74, 0x10000, v42
	s_delay_alu instid0(VALU_DEP_2) | instskip(NEXT) | instid1(VALU_DEP_1)
	v_cmp_eq_u32_e64 s1, 0, v73
	v_cndmask_b32_e64 v73, v74, v42, s1
; %bb.57:                               ;   in Loop: Header=BB289_12 Depth=1
	s_or_b32 exec_lo, exec_lo, s3
	v_mov_b32_e32 v42, v44
	s_delay_alu instid0(VALU_DEP_1) | instskip(NEXT) | instid1(VALU_DEP_1)
	v_lshlrev_b64 v[77:78], 1, v[41:42]
	v_add_co_u32 v77, s1, s6, v77
	s_delay_alu instid0(VALU_DEP_1) | instskip(SKIP_3) | instid1(VALU_DEP_1)
	v_add_co_ci_u32_e64 v78, s1, s7, v78, s1
	global_store_d16_hi_b16 v[77:78], v73, off
	s_or_b32 exec_lo, exec_lo, s2
	v_cmp_ne_u32_e64 s1, 0, v2
	s_and_saveexec_b32 s3, s1
	s_cbranch_execz .LBB289_35
.LBB289_58:                             ;   in Loop: Header=BB289_12 Depth=1
	s_waitcnt vmcnt(19) lgkmcnt(19)
	v_add_f32_e32 v42, v75, v76
	s_waitcnt vmcnt(18)
	v_lshlrev_b32_e32 v72, 16, v72
	s_delay_alu instid0(VALU_DEP_1) | instskip(NEXT) | instid1(VALU_DEP_1)
	v_add_f32_e32 v42, v42, v72
	v_and_b32_e32 v72, 0x7f800000, v42
	s_delay_alu instid0(VALU_DEP_1) | instskip(NEXT) | instid1(VALU_DEP_1)
	v_cmp_ne_u32_e64 s2, 0x7f800000, v72
                                        ; implicit-def: $vgpr72
	s_and_saveexec_b32 s4, s2
	s_delay_alu instid0(SALU_CYCLE_1)
	s_xor_b32 s2, exec_lo, s4
; %bb.59:                               ;   in Loop: Header=BB289_12 Depth=1
	v_bfe_u32 v72, v42, 16, 1
	s_delay_alu instid0(VALU_DEP_1)
	v_add3_u32 v72, v42, v72, 0x7fff
                                        ; implicit-def: $vgpr42
; %bb.60:                               ;   in Loop: Header=BB289_12 Depth=1
	s_and_not1_saveexec_b32 s4, s2
; %bb.61:                               ;   in Loop: Header=BB289_12 Depth=1
	v_and_b32_e32 v72, 0xffff, v42
	v_or_b32_e32 v73, 0x10000, v42
	s_delay_alu instid0(VALU_DEP_2) | instskip(NEXT) | instid1(VALU_DEP_1)
	v_cmp_eq_u32_e64 s2, 0, v72
	v_cndmask_b32_e64 v72, v73, v42, s2
; %bb.62:                               ;   in Loop: Header=BB289_12 Depth=1
	s_or_b32 exec_lo, exec_lo, s4
	v_mov_b32_e32 v42, v44
	s_delay_alu instid0(VALU_DEP_1) | instskip(NEXT) | instid1(VALU_DEP_1)
	v_lshlrev_b64 v[73:74], 1, v[41:42]
	v_add_co_u32 v73, s2, s36, v73
	s_delay_alu instid0(VALU_DEP_1) | instskip(SKIP_3) | instid1(VALU_DEP_1)
	v_add_co_ci_u32_e64 v74, s2, s37, v74, s2
	global_store_d16_hi_b16 v[73:74], v72, off
	s_or_b32 exec_lo, exec_lo, s3
	v_cmp_ne_u32_e64 s2, 0, v3
	s_and_saveexec_b32 s4, s2
	s_cbranch_execz .LBB289_36
.LBB289_63:                             ;   in Loop: Header=BB289_12 Depth=1
	s_waitcnt vmcnt(17) lgkmcnt(16)
	v_dual_add_f32 v42, v51, v52 :: v_dual_lshlrev_b32 v51, 16, v71
	s_delay_alu instid0(VALU_DEP_1) | instskip(NEXT) | instid1(VALU_DEP_1)
	v_add_f32_e32 v51, v42, v51
	v_and_b32_e32 v42, 0x7f800000, v51
	s_delay_alu instid0(VALU_DEP_1) | instskip(NEXT) | instid1(VALU_DEP_1)
	v_cmp_ne_u32_e64 s3, 0x7f800000, v42
                                        ; implicit-def: $vgpr42
	s_and_saveexec_b32 s43, s3
	s_delay_alu instid0(SALU_CYCLE_1)
	s_xor_b32 s3, exec_lo, s43
; %bb.64:                               ;   in Loop: Header=BB289_12 Depth=1
	v_bfe_u32 v42, v51, 16, 1
	s_delay_alu instid0(VALU_DEP_1)
	v_add3_u32 v42, v51, v42, 0x7fff
                                        ; implicit-def: $vgpr51
; %bb.65:                               ;   in Loop: Header=BB289_12 Depth=1
	s_and_not1_saveexec_b32 s43, s3
; %bb.66:                               ;   in Loop: Header=BB289_12 Depth=1
	v_and_b32_e32 v42, 0xffff, v51
	v_or_b32_e32 v52, 0x10000, v51
	s_delay_alu instid0(VALU_DEP_2) | instskip(NEXT) | instid1(VALU_DEP_1)
	v_cmp_eq_u32_e64 s3, 0, v42
	v_cndmask_b32_e64 v42, v52, v51, s3
; %bb.67:                               ;   in Loop: Header=BB289_12 Depth=1
	s_or_b32 exec_lo, exec_lo, s43
	v_lshlrev_b64 v[51:52], 1, v[43:44]
	s_delay_alu instid0(VALU_DEP_1) | instskip(NEXT) | instid1(VALU_DEP_1)
	v_add_co_u32 v51, s3, s6, v51
	v_add_co_ci_u32_e64 v52, s3, s7, v52, s3
	global_store_d16_hi_b16 v[51:52], v42, off
	s_or_b32 exec_lo, exec_lo, s4
	v_cmp_ne_u32_e64 s3, 0, v4
	s_delay_alu instid0(VALU_DEP_1)
	s_and_saveexec_b32 s43, s3
	s_cbranch_execz .LBB289_37
.LBB289_68:                             ;   in Loop: Header=BB289_12 Depth=1
	s_waitcnt lgkmcnt(15)
	v_add_f32_e32 v6, v6, v49
	s_waitcnt vmcnt(16)
	v_lshlrev_b32_e32 v42, 16, v70
	s_delay_alu instid0(VALU_DEP_1) | instskip(NEXT) | instid1(VALU_DEP_1)
	v_add_f32_e32 v6, v6, v42
	v_and_b32_e32 v42, 0x7f800000, v6
	s_delay_alu instid0(VALU_DEP_1) | instskip(NEXT) | instid1(VALU_DEP_1)
	v_cmp_ne_u32_e64 s4, 0x7f800000, v42
                                        ; implicit-def: $vgpr42
	s_and_saveexec_b32 s44, s4
	s_delay_alu instid0(SALU_CYCLE_1)
	s_xor_b32 s4, exec_lo, s44
; %bb.69:                               ;   in Loop: Header=BB289_12 Depth=1
	v_bfe_u32 v42, v6, 16, 1
	s_delay_alu instid0(VALU_DEP_1)
	v_add3_u32 v42, v6, v42, 0x7fff
                                        ; implicit-def: $vgpr6
; %bb.70:                               ;   in Loop: Header=BB289_12 Depth=1
	s_and_not1_saveexec_b32 s44, s4
; %bb.71:                               ;   in Loop: Header=BB289_12 Depth=1
	v_and_b32_e32 v42, 0xffff, v6
	v_or_b32_e32 v43, 0x10000, v6
	s_delay_alu instid0(VALU_DEP_2) | instskip(NEXT) | instid1(VALU_DEP_1)
	v_cmp_eq_u32_e64 s4, 0, v42
	v_cndmask_b32_e64 v42, v43, v6, s4
; %bb.72:                               ;   in Loop: Header=BB289_12 Depth=1
	s_or_b32 exec_lo, exec_lo, s44
	v_mov_b32_e32 v6, v44
	s_delay_alu instid0(VALU_DEP_1) | instskip(NEXT) | instid1(VALU_DEP_1)
	v_lshlrev_b64 v[5:6], 1, v[5:6]
	v_add_co_u32 v5, s4, s6, v5
	s_delay_alu instid0(VALU_DEP_1)
	v_add_co_ci_u32_e64 v6, s4, s7, v6, s4
	global_store_d16_hi_b16 v[5:6], v42, off
	s_or_b32 exec_lo, exec_lo, s43
	v_add_nc_u32_e32 v43, s19, v41
	s_and_saveexec_b32 s43, vcc_lo
	s_cbranch_execz .LBB289_38
.LBB289_73:                             ;   in Loop: Header=BB289_12 Depth=1
	s_waitcnt vmcnt(15) lgkmcnt(18)
	v_dual_add_f32 v5, v39, v40 :: v_dual_lshlrev_b32 v6, 16, v69
	s_delay_alu instid0(VALU_DEP_1) | instskip(NEXT) | instid1(VALU_DEP_1)
	v_add_f32_e32 v6, v5, v6
	v_and_b32_e32 v5, 0x7f800000, v6
	s_delay_alu instid0(VALU_DEP_1) | instskip(NEXT) | instid1(VALU_DEP_1)
	v_cmp_ne_u32_e64 s4, 0x7f800000, v5
                                        ; implicit-def: $vgpr5
	s_and_saveexec_b32 s44, s4
	s_delay_alu instid0(SALU_CYCLE_1)
	s_xor_b32 s4, exec_lo, s44
; %bb.74:                               ;   in Loop: Header=BB289_12 Depth=1
	v_bfe_u32 v5, v6, 16, 1
	s_delay_alu instid0(VALU_DEP_1)
	v_add3_u32 v5, v6, v5, 0x7fff
                                        ; implicit-def: $vgpr6
; %bb.75:                               ;   in Loop: Header=BB289_12 Depth=1
	s_and_not1_saveexec_b32 s44, s4
; %bb.76:                               ;   in Loop: Header=BB289_12 Depth=1
	v_and_b32_e32 v5, 0xffff, v6
	v_or_b32_e32 v39, 0x10000, v6
	s_delay_alu instid0(VALU_DEP_2) | instskip(NEXT) | instid1(VALU_DEP_1)
	v_cmp_eq_u32_e64 s4, 0, v5
	v_cndmask_b32_e64 v5, v39, v6, s4
; %bb.77:                               ;   in Loop: Header=BB289_12 Depth=1
	s_or_b32 exec_lo, exec_lo, s44
	v_lshlrev_b64 v[39:40], 1, v[43:44]
	s_delay_alu instid0(VALU_DEP_1) | instskip(NEXT) | instid1(VALU_DEP_1)
	v_add_co_u32 v39, s4, s6, v39
	v_add_co_ci_u32_e64 v40, s4, s7, v40, s4
	global_store_d16_hi_b16 v[39:40], v5, off
	s_or_b32 exec_lo, exec_lo, s43
	s_and_saveexec_b32 s43, s1
	s_cbranch_execz .LBB289_39
.LBB289_78:                             ;   in Loop: Header=BB289_12 Depth=1
	s_waitcnt lgkmcnt(14)
	v_add_f32_e32 v5, v47, v48
	s_waitcnt vmcnt(14)
	v_lshlrev_b32_e32 v6, 16, v68
	s_delay_alu instid0(VALU_DEP_1) | instskip(NEXT) | instid1(VALU_DEP_1)
	v_add_f32_e32 v6, v5, v6
	v_and_b32_e32 v5, 0x7f800000, v6
	s_delay_alu instid0(VALU_DEP_1) | instskip(NEXT) | instid1(VALU_DEP_1)
	v_cmp_ne_u32_e64 s4, 0x7f800000, v5
                                        ; implicit-def: $vgpr5
	s_and_saveexec_b32 s44, s4
	s_delay_alu instid0(SALU_CYCLE_1)
	s_xor_b32 s4, exec_lo, s44
; %bb.79:                               ;   in Loop: Header=BB289_12 Depth=1
	v_bfe_u32 v5, v6, 16, 1
	s_delay_alu instid0(VALU_DEP_1)
	v_add3_u32 v5, v6, v5, 0x7fff
                                        ; implicit-def: $vgpr6
; %bb.80:                               ;   in Loop: Header=BB289_12 Depth=1
	s_and_not1_saveexec_b32 s44, s4
; %bb.81:                               ;   in Loop: Header=BB289_12 Depth=1
	v_and_b32_e32 v5, 0xffff, v6
	v_or_b32_e32 v39, 0x10000, v6
	s_delay_alu instid0(VALU_DEP_2) | instskip(NEXT) | instid1(VALU_DEP_1)
	v_cmp_eq_u32_e64 s4, 0, v5
	v_cndmask_b32_e64 v5, v39, v6, s4
; %bb.82:                               ;   in Loop: Header=BB289_12 Depth=1
	s_or_b32 exec_lo, exec_lo, s44
	v_dual_mov_b32 v40, v44 :: v_dual_add_nc_u32 v39, 1, v43
	s_delay_alu instid0(VALU_DEP_1) | instskip(NEXT) | instid1(VALU_DEP_1)
	v_lshlrev_b64 v[39:40], 1, v[39:40]
	v_add_co_u32 v39, s4, s6, v39
	s_delay_alu instid0(VALU_DEP_1)
	v_add_co_ci_u32_e64 v40, s4, s7, v40, s4
	global_store_d16_hi_b16 v[39:40], v5, off
	s_or_b32 exec_lo, exec_lo, s43
	s_and_saveexec_b32 s43, s2
	s_cbranch_execz .LBB289_40
.LBB289_83:                             ;   in Loop: Header=BB289_12 Depth=1
	s_waitcnt lgkmcnt(12)
	v_add_f32_e32 v5, v37, v38
	s_waitcnt vmcnt(13)
	v_lshlrev_b32_e32 v6, 16, v66
	s_delay_alu instid0(VALU_DEP_1) | instskip(NEXT) | instid1(VALU_DEP_1)
	v_add_f32_e32 v6, v5, v6
	v_and_b32_e32 v5, 0x7f800000, v6
	s_delay_alu instid0(VALU_DEP_1) | instskip(NEXT) | instid1(VALU_DEP_1)
	v_cmp_ne_u32_e64 s4, 0x7f800000, v5
                                        ; implicit-def: $vgpr5
	s_and_saveexec_b32 s44, s4
	s_delay_alu instid0(SALU_CYCLE_1)
	s_xor_b32 s4, exec_lo, s44
; %bb.84:                               ;   in Loop: Header=BB289_12 Depth=1
	v_bfe_u32 v5, v6, 16, 1
	s_delay_alu instid0(VALU_DEP_1)
	v_add3_u32 v5, v6, v5, 0x7fff
                                        ; implicit-def: $vgpr6
; %bb.85:                               ;   in Loop: Header=BB289_12 Depth=1
	s_and_not1_saveexec_b32 s44, s4
; %bb.86:                               ;   in Loop: Header=BB289_12 Depth=1
	v_and_b32_e32 v5, 0xffff, v6
	v_or_b32_e32 v37, 0x10000, v6
	s_delay_alu instid0(VALU_DEP_2) | instskip(NEXT) | instid1(VALU_DEP_1)
	v_cmp_eq_u32_e64 s4, 0, v5
	v_cndmask_b32_e64 v5, v37, v6, s4
; %bb.87:                               ;   in Loop: Header=BB289_12 Depth=1
	s_or_b32 exec_lo, exec_lo, s44
	v_dual_mov_b32 v38, v44 :: v_dual_add_nc_u32 v37, 2, v43
	s_delay_alu instid0(VALU_DEP_1) | instskip(NEXT) | instid1(VALU_DEP_1)
	v_lshlrev_b64 v[37:38], 1, v[37:38]
	v_add_co_u32 v37, s4, s6, v37
	s_delay_alu instid0(VALU_DEP_1)
	v_add_co_ci_u32_e64 v38, s4, s7, v38, s4
	global_store_d16_hi_b16 v[37:38], v5, off
	s_or_b32 exec_lo, exec_lo, s43
	s_and_saveexec_b32 s43, s3
	s_cbranch_execz .LBB289_41
.LBB289_88:                             ;   in Loop: Header=BB289_12 Depth=1
	s_waitcnt vmcnt(12) lgkmcnt(10)
	v_dual_add_f32 v5, v34, v35 :: v_dual_lshlrev_b32 v6, 16, v64
	s_delay_alu instid0(VALU_DEP_1) | instskip(NEXT) | instid1(VALU_DEP_1)
	v_add_f32_e32 v6, v5, v6
	v_and_b32_e32 v5, 0x7f800000, v6
	s_delay_alu instid0(VALU_DEP_1) | instskip(NEXT) | instid1(VALU_DEP_1)
	v_cmp_ne_u32_e64 s4, 0x7f800000, v5
                                        ; implicit-def: $vgpr5
	s_and_saveexec_b32 s44, s4
	s_delay_alu instid0(SALU_CYCLE_1)
	s_xor_b32 s4, exec_lo, s44
; %bb.89:                               ;   in Loop: Header=BB289_12 Depth=1
	v_bfe_u32 v5, v6, 16, 1
	s_delay_alu instid0(VALU_DEP_1)
	v_add3_u32 v5, v6, v5, 0x7fff
                                        ; implicit-def: $vgpr6
; %bb.90:                               ;   in Loop: Header=BB289_12 Depth=1
	s_and_not1_saveexec_b32 s44, s4
; %bb.91:                               ;   in Loop: Header=BB289_12 Depth=1
	v_and_b32_e32 v5, 0xffff, v6
	v_or_b32_e32 v34, 0x10000, v6
	s_delay_alu instid0(VALU_DEP_2) | instskip(NEXT) | instid1(VALU_DEP_1)
	v_cmp_eq_u32_e64 s4, 0, v5
	v_cndmask_b32_e64 v5, v34, v6, s4
; %bb.92:                               ;   in Loop: Header=BB289_12 Depth=1
	s_or_b32 exec_lo, exec_lo, s44
	v_dual_mov_b32 v35, v44 :: v_dual_add_nc_u32 v34, 3, v43
	s_delay_alu instid0(VALU_DEP_1) | instskip(NEXT) | instid1(VALU_DEP_1)
	v_lshlrev_b64 v[34:35], 1, v[34:35]
	v_add_co_u32 v34, s4, s6, v34
	s_delay_alu instid0(VALU_DEP_1)
	v_add_co_ci_u32_e64 v35, s4, s7, v35, s4
	global_store_d16_hi_b16 v[34:35], v5, off
	s_or_b32 exec_lo, exec_lo, s43
	v_add_nc_u32_e32 v43, s19, v43
	s_and_saveexec_b32 s43, vcc_lo
	s_cbranch_execz .LBB289_42
.LBB289_93:                             ;   in Loop: Header=BB289_12 Depth=1
	s_waitcnt vmcnt(11) lgkmcnt(9)
	v_dual_add_f32 v5, v31, v32 :: v_dual_lshlrev_b32 v6, 16, v67
	s_delay_alu instid0(VALU_DEP_1) | instskip(NEXT) | instid1(VALU_DEP_1)
	v_add_f32_e32 v6, v5, v6
	v_and_b32_e32 v5, 0x7f800000, v6
	s_delay_alu instid0(VALU_DEP_1) | instskip(NEXT) | instid1(VALU_DEP_1)
	v_cmp_ne_u32_e64 s4, 0x7f800000, v5
                                        ; implicit-def: $vgpr5
	s_and_saveexec_b32 s44, s4
	s_delay_alu instid0(SALU_CYCLE_1)
	s_xor_b32 s4, exec_lo, s44
; %bb.94:                               ;   in Loop: Header=BB289_12 Depth=1
	v_bfe_u32 v5, v6, 16, 1
	s_delay_alu instid0(VALU_DEP_1)
	v_add3_u32 v5, v6, v5, 0x7fff
                                        ; implicit-def: $vgpr6
; %bb.95:                               ;   in Loop: Header=BB289_12 Depth=1
	s_and_not1_saveexec_b32 s44, s4
; %bb.96:                               ;   in Loop: Header=BB289_12 Depth=1
	v_and_b32_e32 v5, 0xffff, v6
	v_or_b32_e32 v31, 0x10000, v6
	s_delay_alu instid0(VALU_DEP_2) | instskip(NEXT) | instid1(VALU_DEP_1)
	v_cmp_eq_u32_e64 s4, 0, v5
	v_cndmask_b32_e64 v5, v31, v6, s4
; %bb.97:                               ;   in Loop: Header=BB289_12 Depth=1
	s_or_b32 exec_lo, exec_lo, s44
	v_lshlrev_b64 v[31:32], 1, v[43:44]
	s_delay_alu instid0(VALU_DEP_1) | instskip(NEXT) | instid1(VALU_DEP_1)
	v_add_co_u32 v31, s4, s6, v31
	v_add_co_ci_u32_e64 v32, s4, s7, v32, s4
	global_store_d16_hi_b16 v[31:32], v5, off
	s_or_b32 exec_lo, exec_lo, s43
	s_and_saveexec_b32 s43, s1
	s_cbranch_execz .LBB289_43
.LBB289_98:                             ;   in Loop: Header=BB289_12 Depth=1
	s_waitcnt vmcnt(10) lgkmcnt(13)
	v_dual_add_f32 v5, v26, v27 :: v_dual_lshlrev_b32 v6, 16, v65
	s_delay_alu instid0(VALU_DEP_1) | instskip(NEXT) | instid1(VALU_DEP_1)
	v_add_f32_e32 v6, v5, v6
	v_and_b32_e32 v5, 0x7f800000, v6
	s_delay_alu instid0(VALU_DEP_1) | instskip(NEXT) | instid1(VALU_DEP_1)
	v_cmp_ne_u32_e64 s4, 0x7f800000, v5
                                        ; implicit-def: $vgpr5
	s_and_saveexec_b32 s44, s4
	s_delay_alu instid0(SALU_CYCLE_1)
	s_xor_b32 s4, exec_lo, s44
; %bb.99:                               ;   in Loop: Header=BB289_12 Depth=1
	v_bfe_u32 v5, v6, 16, 1
	s_delay_alu instid0(VALU_DEP_1)
	v_add3_u32 v5, v6, v5, 0x7fff
                                        ; implicit-def: $vgpr6
; %bb.100:                              ;   in Loop: Header=BB289_12 Depth=1
	s_and_not1_saveexec_b32 s44, s4
; %bb.101:                              ;   in Loop: Header=BB289_12 Depth=1
	v_and_b32_e32 v5, 0xffff, v6
	v_or_b32_e32 v26, 0x10000, v6
	s_delay_alu instid0(VALU_DEP_2) | instskip(NEXT) | instid1(VALU_DEP_1)
	v_cmp_eq_u32_e64 s4, 0, v5
	v_cndmask_b32_e64 v5, v26, v6, s4
; %bb.102:                              ;   in Loop: Header=BB289_12 Depth=1
	s_or_b32 exec_lo, exec_lo, s44
	v_dual_mov_b32 v27, v44 :: v_dual_add_nc_u32 v26, 1, v43
	s_delay_alu instid0(VALU_DEP_1) | instskip(NEXT) | instid1(VALU_DEP_1)
	v_lshlrev_b64 v[26:27], 1, v[26:27]
	v_add_co_u32 v26, s4, s6, v26
	s_delay_alu instid0(VALU_DEP_1)
	v_add_co_ci_u32_e64 v27, s4, s7, v27, s4
	global_store_d16_hi_b16 v[26:27], v5, off
	s_or_b32 exec_lo, exec_lo, s43
	s_and_saveexec_b32 s43, s2
	s_cbranch_execz .LBB289_44
.LBB289_103:                            ;   in Loop: Header=BB289_12 Depth=1
	s_waitcnt vmcnt(9) lgkmcnt(6)
	v_dual_add_f32 v5, v29, v30 :: v_dual_lshlrev_b32 v6, 16, v63
	s_delay_alu instid0(VALU_DEP_1) | instskip(NEXT) | instid1(VALU_DEP_1)
	v_add_f32_e32 v6, v5, v6
	v_and_b32_e32 v5, 0x7f800000, v6
	s_delay_alu instid0(VALU_DEP_1) | instskip(NEXT) | instid1(VALU_DEP_1)
	v_cmp_ne_u32_e64 s4, 0x7f800000, v5
                                        ; implicit-def: $vgpr5
	s_and_saveexec_b32 s44, s4
	s_delay_alu instid0(SALU_CYCLE_1)
	s_xor_b32 s4, exec_lo, s44
; %bb.104:                              ;   in Loop: Header=BB289_12 Depth=1
	v_bfe_u32 v5, v6, 16, 1
	s_delay_alu instid0(VALU_DEP_1)
	v_add3_u32 v5, v6, v5, 0x7fff
                                        ; implicit-def: $vgpr6
; %bb.105:                              ;   in Loop: Header=BB289_12 Depth=1
	s_and_not1_saveexec_b32 s44, s4
; %bb.106:                              ;   in Loop: Header=BB289_12 Depth=1
	v_and_b32_e32 v5, 0xffff, v6
	v_or_b32_e32 v26, 0x10000, v6
	s_delay_alu instid0(VALU_DEP_2) | instskip(NEXT) | instid1(VALU_DEP_1)
	v_cmp_eq_u32_e64 s4, 0, v5
	v_cndmask_b32_e64 v5, v26, v6, s4
; %bb.107:                              ;   in Loop: Header=BB289_12 Depth=1
	s_or_b32 exec_lo, exec_lo, s44
	v_dual_mov_b32 v27, v44 :: v_dual_add_nc_u32 v26, 2, v43
	s_delay_alu instid0(VALU_DEP_1) | instskip(NEXT) | instid1(VALU_DEP_1)
	v_lshlrev_b64 v[26:27], 1, v[26:27]
	v_add_co_u32 v26, s4, s6, v26
	s_delay_alu instid0(VALU_DEP_1)
	v_add_co_ci_u32_e64 v27, s4, s7, v27, s4
	global_store_d16_hi_b16 v[26:27], v5, off
	s_or_b32 exec_lo, exec_lo, s43
	s_and_saveexec_b32 s43, s3
	s_cbranch_execz .LBB289_45
.LBB289_108:                            ;   in Loop: Header=BB289_12 Depth=1
	s_waitcnt vmcnt(8) lgkmcnt(8)
	v_dual_add_f32 v5, v24, v25 :: v_dual_lshlrev_b32 v6, 16, v62
	s_delay_alu instid0(VALU_DEP_1) | instskip(NEXT) | instid1(VALU_DEP_1)
	v_add_f32_e32 v6, v5, v6
	v_and_b32_e32 v5, 0x7f800000, v6
	s_delay_alu instid0(VALU_DEP_1) | instskip(NEXT) | instid1(VALU_DEP_1)
	v_cmp_ne_u32_e64 s4, 0x7f800000, v5
                                        ; implicit-def: $vgpr5
	s_and_saveexec_b32 s44, s4
	s_delay_alu instid0(SALU_CYCLE_1)
	s_xor_b32 s4, exec_lo, s44
; %bb.109:                              ;   in Loop: Header=BB289_12 Depth=1
	v_bfe_u32 v5, v6, 16, 1
	s_delay_alu instid0(VALU_DEP_1)
	v_add3_u32 v5, v6, v5, 0x7fff
                                        ; implicit-def: $vgpr6
; %bb.110:                              ;   in Loop: Header=BB289_12 Depth=1
	s_and_not1_saveexec_b32 s44, s4
; %bb.111:                              ;   in Loop: Header=BB289_12 Depth=1
	v_and_b32_e32 v5, 0xffff, v6
	v_or_b32_e32 v24, 0x10000, v6
	s_delay_alu instid0(VALU_DEP_2) | instskip(NEXT) | instid1(VALU_DEP_1)
	v_cmp_eq_u32_e64 s4, 0, v5
	v_cndmask_b32_e64 v5, v24, v6, s4
; %bb.112:                              ;   in Loop: Header=BB289_12 Depth=1
	s_or_b32 exec_lo, exec_lo, s44
	v_dual_mov_b32 v25, v44 :: v_dual_add_nc_u32 v24, 3, v43
	s_delay_alu instid0(VALU_DEP_1) | instskip(NEXT) | instid1(VALU_DEP_1)
	v_lshlrev_b64 v[24:25], 1, v[24:25]
	v_add_co_u32 v24, s4, s6, v24
	s_delay_alu instid0(VALU_DEP_1)
	v_add_co_ci_u32_e64 v25, s4, s7, v25, s4
	global_store_d16_hi_b16 v[24:25], v5, off
	s_or_b32 exec_lo, exec_lo, s43
	v_add_nc_u32_e32 v43, s19, v43
	s_and_saveexec_b32 s43, vcc_lo
	s_cbranch_execz .LBB289_46
.LBB289_113:                            ;   in Loop: Header=BB289_12 Depth=1
	s_waitcnt vmcnt(7) lgkmcnt(3)
	v_dual_add_f32 v5, v21, v22 :: v_dual_lshlrev_b32 v6, 16, v61
	s_delay_alu instid0(VALU_DEP_1) | instskip(NEXT) | instid1(VALU_DEP_1)
	v_add_f32_e32 v6, v5, v6
	v_and_b32_e32 v5, 0x7f800000, v6
	s_delay_alu instid0(VALU_DEP_1) | instskip(NEXT) | instid1(VALU_DEP_1)
	v_cmp_ne_u32_e64 s4, 0x7f800000, v5
                                        ; implicit-def: $vgpr5
	s_and_saveexec_b32 s44, s4
	s_delay_alu instid0(SALU_CYCLE_1)
	s_xor_b32 s4, exec_lo, s44
; %bb.114:                              ;   in Loop: Header=BB289_12 Depth=1
	v_bfe_u32 v5, v6, 16, 1
	s_delay_alu instid0(VALU_DEP_1)
	v_add3_u32 v5, v6, v5, 0x7fff
                                        ; implicit-def: $vgpr6
; %bb.115:                              ;   in Loop: Header=BB289_12 Depth=1
	s_and_not1_saveexec_b32 s44, s4
; %bb.116:                              ;   in Loop: Header=BB289_12 Depth=1
	v_and_b32_e32 v5, 0xffff, v6
	v_or_b32_e32 v21, 0x10000, v6
	s_delay_alu instid0(VALU_DEP_2) | instskip(NEXT) | instid1(VALU_DEP_1)
	v_cmp_eq_u32_e64 s4, 0, v5
	v_cndmask_b32_e64 v5, v21, v6, s4
; %bb.117:                              ;   in Loop: Header=BB289_12 Depth=1
	s_or_b32 exec_lo, exec_lo, s44
	v_lshlrev_b64 v[21:22], 1, v[43:44]
	s_delay_alu instid0(VALU_DEP_1) | instskip(NEXT) | instid1(VALU_DEP_1)
	v_add_co_u32 v21, s4, s6, v21
	v_add_co_ci_u32_e64 v22, s4, s7, v22, s4
	global_store_d16_hi_b16 v[21:22], v5, off
	s_or_b32 exec_lo, exec_lo, s43
	s_and_saveexec_b32 s43, s1
	s_cbranch_execz .LBB289_47
.LBB289_118:                            ;   in Loop: Header=BB289_12 Depth=1
	s_waitcnt vmcnt(6) lgkmcnt(11)
	v_dual_add_f32 v5, v19, v20 :: v_dual_lshlrev_b32 v6, 16, v53
	s_delay_alu instid0(VALU_DEP_1) | instskip(NEXT) | instid1(VALU_DEP_1)
	v_add_f32_e32 v6, v5, v6
	v_and_b32_e32 v5, 0x7f800000, v6
	s_delay_alu instid0(VALU_DEP_1) | instskip(NEXT) | instid1(VALU_DEP_1)
	v_cmp_ne_u32_e64 s4, 0x7f800000, v5
                                        ; implicit-def: $vgpr5
	s_and_saveexec_b32 s44, s4
	s_delay_alu instid0(SALU_CYCLE_1)
	s_xor_b32 s4, exec_lo, s44
; %bb.119:                              ;   in Loop: Header=BB289_12 Depth=1
	v_bfe_u32 v5, v6, 16, 1
	s_delay_alu instid0(VALU_DEP_1)
	v_add3_u32 v5, v6, v5, 0x7fff
                                        ; implicit-def: $vgpr6
; %bb.120:                              ;   in Loop: Header=BB289_12 Depth=1
	s_and_not1_saveexec_b32 s44, s4
; %bb.121:                              ;   in Loop: Header=BB289_12 Depth=1
	v_and_b32_e32 v5, 0xffff, v6
	v_or_b32_e32 v19, 0x10000, v6
	s_delay_alu instid0(VALU_DEP_2) | instskip(NEXT) | instid1(VALU_DEP_1)
	v_cmp_eq_u32_e64 s4, 0, v5
	v_cndmask_b32_e64 v5, v19, v6, s4
; %bb.122:                              ;   in Loop: Header=BB289_12 Depth=1
	s_or_b32 exec_lo, exec_lo, s44
	v_dual_mov_b32 v20, v44 :: v_dual_add_nc_u32 v19, 1, v43
	s_delay_alu instid0(VALU_DEP_1) | instskip(NEXT) | instid1(VALU_DEP_1)
	v_lshlrev_b64 v[19:20], 1, v[19:20]
	v_add_co_u32 v19, s4, s6, v19
	s_delay_alu instid0(VALU_DEP_1)
	v_add_co_ci_u32_e64 v20, s4, s7, v20, s4
	global_store_d16_hi_b16 v[19:20], v5, off
	s_or_b32 exec_lo, exec_lo, s43
	s_and_saveexec_b32 s43, s2
	s_cbranch_execz .LBB289_48
.LBB289_123:                            ;   in Loop: Header=BB289_12 Depth=1
	s_waitcnt vmcnt(5) lgkmcnt(7)
	v_dual_add_f32 v5, v15, v16 :: v_dual_lshlrev_b32 v6, 16, v50
	s_delay_alu instid0(VALU_DEP_1) | instskip(NEXT) | instid1(VALU_DEP_1)
	v_add_f32_e32 v6, v5, v6
	v_and_b32_e32 v5, 0x7f800000, v6
	s_delay_alu instid0(VALU_DEP_1) | instskip(NEXT) | instid1(VALU_DEP_1)
	v_cmp_ne_u32_e64 s4, 0x7f800000, v5
                                        ; implicit-def: $vgpr5
	s_and_saveexec_b32 s44, s4
	s_delay_alu instid0(SALU_CYCLE_1)
	s_xor_b32 s4, exec_lo, s44
; %bb.124:                              ;   in Loop: Header=BB289_12 Depth=1
	v_bfe_u32 v5, v6, 16, 1
	s_delay_alu instid0(VALU_DEP_1)
	v_add3_u32 v5, v6, v5, 0x7fff
                                        ; implicit-def: $vgpr6
; %bb.125:                              ;   in Loop: Header=BB289_12 Depth=1
	s_and_not1_saveexec_b32 s44, s4
; %bb.126:                              ;   in Loop: Header=BB289_12 Depth=1
	v_and_b32_e32 v5, 0xffff, v6
	v_or_b32_e32 v15, 0x10000, v6
	s_delay_alu instid0(VALU_DEP_2) | instskip(NEXT) | instid1(VALU_DEP_1)
	v_cmp_eq_u32_e64 s4, 0, v5
	v_cndmask_b32_e64 v5, v15, v6, s4
; %bb.127:                              ;   in Loop: Header=BB289_12 Depth=1
	s_or_b32 exec_lo, exec_lo, s44
	v_dual_mov_b32 v16, v44 :: v_dual_add_nc_u32 v15, 2, v43
	s_delay_alu instid0(VALU_DEP_1) | instskip(NEXT) | instid1(VALU_DEP_1)
	v_lshlrev_b64 v[15:16], 1, v[15:16]
	v_add_co_u32 v15, s4, s6, v15
	s_delay_alu instid0(VALU_DEP_1)
	v_add_co_ci_u32_e64 v16, s4, s7, v16, s4
	global_store_d16_hi_b16 v[15:16], v5, off
	s_or_b32 exec_lo, exec_lo, s43
	s_and_saveexec_b32 s43, s3
	s_cbranch_execz .LBB289_49
.LBB289_128:                            ;   in Loop: Header=BB289_12 Depth=1
	s_waitcnt lgkmcnt(5)
	v_add_f32_e32 v5, v17, v18
	s_waitcnt vmcnt(4)
	v_lshlrev_b32_e32 v6, 16, v46
	s_delay_alu instid0(VALU_DEP_1) | instskip(NEXT) | instid1(VALU_DEP_1)
	v_add_f32_e32 v6, v5, v6
	v_and_b32_e32 v5, 0x7f800000, v6
	s_delay_alu instid0(VALU_DEP_1) | instskip(NEXT) | instid1(VALU_DEP_1)
	v_cmp_ne_u32_e64 s4, 0x7f800000, v5
                                        ; implicit-def: $vgpr5
	s_and_saveexec_b32 s44, s4
	s_delay_alu instid0(SALU_CYCLE_1)
	s_xor_b32 s4, exec_lo, s44
; %bb.129:                              ;   in Loop: Header=BB289_12 Depth=1
	v_bfe_u32 v5, v6, 16, 1
	s_delay_alu instid0(VALU_DEP_1)
	v_add3_u32 v5, v6, v5, 0x7fff
                                        ; implicit-def: $vgpr6
; %bb.130:                              ;   in Loop: Header=BB289_12 Depth=1
	s_and_not1_saveexec_b32 s44, s4
; %bb.131:                              ;   in Loop: Header=BB289_12 Depth=1
	v_and_b32_e32 v5, 0xffff, v6
	v_or_b32_e32 v15, 0x10000, v6
	s_delay_alu instid0(VALU_DEP_2) | instskip(NEXT) | instid1(VALU_DEP_1)
	v_cmp_eq_u32_e64 s4, 0, v5
	v_cndmask_b32_e64 v5, v15, v6, s4
; %bb.132:                              ;   in Loop: Header=BB289_12 Depth=1
	s_or_b32 exec_lo, exec_lo, s44
	v_dual_mov_b32 v16, v44 :: v_dual_add_nc_u32 v15, 3, v43
	s_delay_alu instid0(VALU_DEP_1) | instskip(NEXT) | instid1(VALU_DEP_1)
	v_lshlrev_b64 v[15:16], 1, v[15:16]
	v_add_co_u32 v15, s4, s6, v15
	s_delay_alu instid0(VALU_DEP_1)
	v_add_co_ci_u32_e64 v16, s4, s7, v16, s4
	global_store_d16_hi_b16 v[15:16], v5, off
	s_or_b32 exec_lo, exec_lo, s43
	v_add_nc_u32_e32 v43, s19, v43
	s_and_saveexec_b32 s4, vcc_lo
	s_cbranch_execz .LBB289_50
.LBB289_133:                            ;   in Loop: Header=BB289_12 Depth=1
	s_waitcnt vmcnt(3) lgkmcnt(2)
	v_dual_add_f32 v5, v13, v14 :: v_dual_lshlrev_b32 v6, 16, v36
	s_delay_alu instid0(VALU_DEP_1) | instskip(NEXT) | instid1(VALU_DEP_1)
	v_add_f32_e32 v6, v5, v6
	v_and_b32_e32 v5, 0x7f800000, v6
	s_delay_alu instid0(VALU_DEP_1) | instskip(SKIP_1) | instid1(SALU_CYCLE_1)
	v_cmp_ne_u32_e32 vcc_lo, 0x7f800000, v5
                                        ; implicit-def: $vgpr5
	s_and_saveexec_b32 s43, vcc_lo
	s_xor_b32 s43, exec_lo, s43
; %bb.134:                              ;   in Loop: Header=BB289_12 Depth=1
	v_bfe_u32 v5, v6, 16, 1
	s_delay_alu instid0(VALU_DEP_1)
	v_add3_u32 v5, v6, v5, 0x7fff
                                        ; implicit-def: $vgpr6
; %bb.135:                              ;   in Loop: Header=BB289_12 Depth=1
	s_and_not1_saveexec_b32 s43, s43
; %bb.136:                              ;   in Loop: Header=BB289_12 Depth=1
	v_and_b32_e32 v5, 0xffff, v6
	v_or_b32_e32 v13, 0x10000, v6
	s_delay_alu instid0(VALU_DEP_2) | instskip(NEXT) | instid1(VALU_DEP_2)
	v_cmp_eq_u32_e32 vcc_lo, 0, v5
	v_cndmask_b32_e32 v5, v13, v6, vcc_lo
; %bb.137:                              ;   in Loop: Header=BB289_12 Depth=1
	s_or_b32 exec_lo, exec_lo, s43
	v_lshlrev_b64 v[13:14], 1, v[43:44]
	s_delay_alu instid0(VALU_DEP_1) | instskip(NEXT) | instid1(VALU_DEP_2)
	v_add_co_u32 v13, vcc_lo, s6, v13
	v_add_co_ci_u32_e32 v14, vcc_lo, s7, v14, vcc_lo
	global_store_d16_hi_b16 v[13:14], v5, off
	s_or_b32 exec_lo, exec_lo, s4
	s_and_saveexec_b32 s4, s1
	s_cbranch_execz .LBB289_51
.LBB289_138:                            ;   in Loop: Header=BB289_12 Depth=1
	s_waitcnt vmcnt(2) lgkmcnt(1)
	v_dual_add_f32 v5, v11, v12 :: v_dual_lshlrev_b32 v6, 16, v33
	s_delay_alu instid0(VALU_DEP_1) | instskip(NEXT) | instid1(VALU_DEP_1)
	v_add_f32_e32 v6, v5, v6
	v_and_b32_e32 v5, 0x7f800000, v6
	s_delay_alu instid0(VALU_DEP_1) | instskip(SKIP_1) | instid1(SALU_CYCLE_1)
	v_cmp_ne_u32_e32 vcc_lo, 0x7f800000, v5
                                        ; implicit-def: $vgpr5
	s_and_saveexec_b32 s1, vcc_lo
	s_xor_b32 s1, exec_lo, s1
; %bb.139:                              ;   in Loop: Header=BB289_12 Depth=1
	v_bfe_u32 v5, v6, 16, 1
	s_delay_alu instid0(VALU_DEP_1)
	v_add3_u32 v5, v6, v5, 0x7fff
                                        ; implicit-def: $vgpr6
; %bb.140:                              ;   in Loop: Header=BB289_12 Depth=1
	s_and_not1_saveexec_b32 s1, s1
; %bb.141:                              ;   in Loop: Header=BB289_12 Depth=1
	v_and_b32_e32 v5, 0xffff, v6
	v_or_b32_e32 v11, 0x10000, v6
	s_delay_alu instid0(VALU_DEP_2) | instskip(NEXT) | instid1(VALU_DEP_2)
	v_cmp_eq_u32_e32 vcc_lo, 0, v5
	v_cndmask_b32_e32 v5, v11, v6, vcc_lo
; %bb.142:                              ;   in Loop: Header=BB289_12 Depth=1
	s_or_b32 exec_lo, exec_lo, s1
	v_dual_mov_b32 v12, v44 :: v_dual_add_nc_u32 v11, 1, v43
	s_delay_alu instid0(VALU_DEP_1) | instskip(NEXT) | instid1(VALU_DEP_1)
	v_lshlrev_b64 v[11:12], 1, v[11:12]
	v_add_co_u32 v11, vcc_lo, s6, v11
	s_delay_alu instid0(VALU_DEP_2)
	v_add_co_ci_u32_e32 v12, vcc_lo, s7, v12, vcc_lo
	global_store_d16_hi_b16 v[11:12], v5, off
	s_or_b32 exec_lo, exec_lo, s4
	s_and_saveexec_b32 s1, s2
	s_cbranch_execz .LBB289_52
.LBB289_143:                            ;   in Loop: Header=BB289_12 Depth=1
	s_waitcnt vmcnt(1) lgkmcnt(0)
	v_dual_add_f32 v5, v9, v10 :: v_dual_lshlrev_b32 v6, 16, v28
	s_delay_alu instid0(VALU_DEP_1) | instskip(NEXT) | instid1(VALU_DEP_1)
	v_add_f32_e32 v6, v5, v6
	v_and_b32_e32 v5, 0x7f800000, v6
	s_delay_alu instid0(VALU_DEP_1) | instskip(SKIP_1) | instid1(SALU_CYCLE_1)
	v_cmp_ne_u32_e32 vcc_lo, 0x7f800000, v5
                                        ; implicit-def: $vgpr5
	s_and_saveexec_b32 s2, vcc_lo
	s_xor_b32 s2, exec_lo, s2
; %bb.144:                              ;   in Loop: Header=BB289_12 Depth=1
	v_bfe_u32 v5, v6, 16, 1
	s_delay_alu instid0(VALU_DEP_1)
	v_add3_u32 v5, v6, v5, 0x7fff
                                        ; implicit-def: $vgpr6
; %bb.145:                              ;   in Loop: Header=BB289_12 Depth=1
	s_and_not1_saveexec_b32 s2, s2
; %bb.146:                              ;   in Loop: Header=BB289_12 Depth=1
	v_and_b32_e32 v5, 0xffff, v6
	v_or_b32_e32 v9, 0x10000, v6
	s_delay_alu instid0(VALU_DEP_2) | instskip(NEXT) | instid1(VALU_DEP_2)
	v_cmp_eq_u32_e32 vcc_lo, 0, v5
	v_cndmask_b32_e32 v5, v9, v6, vcc_lo
; %bb.147:                              ;   in Loop: Header=BB289_12 Depth=1
	s_or_b32 exec_lo, exec_lo, s2
	v_dual_mov_b32 v10, v44 :: v_dual_add_nc_u32 v9, 2, v43
	s_delay_alu instid0(VALU_DEP_1) | instskip(NEXT) | instid1(VALU_DEP_1)
	v_lshlrev_b64 v[9:10], 1, v[9:10]
	v_add_co_u32 v9, vcc_lo, s6, v9
	s_delay_alu instid0(VALU_DEP_2) | instskip(SKIP_2) | instid1(SALU_CYCLE_1)
	v_add_co_ci_u32_e32 v10, vcc_lo, s7, v10, vcc_lo
	global_store_d16_hi_b16 v[9:10], v5, off
	s_or_b32 exec_lo, exec_lo, s1
	s_and_b32 exec_lo, exec_lo, s3
	s_cbranch_execz .LBB289_153
.LBB289_148:                            ;   in Loop: Header=BB289_12 Depth=1
	s_waitcnt vmcnt(0) lgkmcnt(4)
	v_dual_add_f32 v5, v7, v8 :: v_dual_lshlrev_b32 v6, 16, v23
	s_delay_alu instid0(VALU_DEP_1) | instskip(NEXT) | instid1(VALU_DEP_1)
	v_add_f32_e32 v6, v5, v6
	v_and_b32_e32 v5, 0x7f800000, v6
	s_delay_alu instid0(VALU_DEP_1) | instskip(SKIP_1) | instid1(SALU_CYCLE_1)
	v_cmp_ne_u32_e32 vcc_lo, 0x7f800000, v5
                                        ; implicit-def: $vgpr5
	s_and_saveexec_b32 s1, vcc_lo
	s_xor_b32 s1, exec_lo, s1
; %bb.149:                              ;   in Loop: Header=BB289_12 Depth=1
	v_bfe_u32 v5, v6, 16, 1
	s_delay_alu instid0(VALU_DEP_1)
	v_add3_u32 v5, v6, v5, 0x7fff
                                        ; implicit-def: $vgpr6
; %bb.150:                              ;   in Loop: Header=BB289_12 Depth=1
	s_and_not1_saveexec_b32 s1, s1
; %bb.151:                              ;   in Loop: Header=BB289_12 Depth=1
	v_and_b32_e32 v5, 0xffff, v6
	v_or_b32_e32 v7, 0x10000, v6
	s_delay_alu instid0(VALU_DEP_2) | instskip(NEXT) | instid1(VALU_DEP_2)
	v_cmp_eq_u32_e32 vcc_lo, 0, v5
	v_cndmask_b32_e32 v5, v7, v6, vcc_lo
; %bb.152:                              ;   in Loop: Header=BB289_12 Depth=1
	s_or_b32 exec_lo, exec_lo, s1
	v_add_nc_u32_e32 v43, 3, v43
	s_delay_alu instid0(VALU_DEP_1) | instskip(NEXT) | instid1(VALU_DEP_1)
	v_lshlrev_b64 v[6:7], 1, v[43:44]
	v_add_co_u32 v6, vcc_lo, s6, v6
	s_delay_alu instid0(VALU_DEP_2)
	v_add_co_ci_u32_e32 v7, vcc_lo, s7, v7, vcc_lo
	global_store_d16_hi_b16 v[6:7], v5, off
.LBB289_153:                            ;   in Loop: Header=BB289_12 Depth=1
	s_or_b32 exec_lo, exec_lo, s5
	v_add_nc_u32_e32 v41, s29, v41
	s_delay_alu instid0(VALU_DEP_1) | instskip(SKIP_1) | instid1(VALU_DEP_2)
	v_add_nc_u32_e32 v5, 4, v41
	v_cmp_gt_u32_e32 vcc_lo, s19, v41
	v_cmp_le_u32_e64 s1, s19, v5
	s_delay_alu instid0(VALU_DEP_1) | instskip(NEXT) | instid1(SALU_CYCLE_1)
	s_and_b32 s1, vcc_lo, s1
	s_and_saveexec_b32 s43, s1
	s_cbranch_execz .LBB289_10
; %bb.154:                              ;   in Loop: Header=BB289_12 Depth=1
	s_mov_b32 s44, exec_lo
	v_cmpx_ne_u32_e64 s31, v41
	s_cbranch_execz .LBB289_9
; %bb.155:                              ;   in Loop: Header=BB289_12 Depth=1
	v_subrev_nc_u32_e32 v5, s31, v41
	s_mov_b32 s45, 0
	s_mov_b64 s[4:5], 0
	s_delay_alu instid0(VALU_DEP_1)
	v_cmp_lt_u32_e32 vcc_lo, 1, v5
	v_cndmask_b32_e32 v5, 1, v5, vcc_lo
	.p2align	6
.LBB289_156:                            ;   Parent Loop BB289_12 Depth=1
                                        ; =>  This Inner Loop Header: Depth=2
	s_cmp_lg_u32 s4, 3
	s_cselect_b32 vcc_lo, -1, 0
	s_cmp_lg_u32 s4, 2
	v_cndmask_b32_e32 v4, 0, v4, vcc_lo
	s_cselect_b32 s1, -1, 0
	s_cmp_lg_u32 s4, 1
	v_cndmask_b32_e64 v3, 0, v3, s1
	s_cselect_b32 s2, -1, 0
	s_cmp_lg_u32 s4, 0
	v_cndmask_b32_e64 v2, 0, v2, s2
	s_cselect_b32 s3, -1, 0
	s_add_u32 s4, s4, 1
	v_cndmask_b32_e64 v1, 0, v1, s3
	v_cmp_eq_u32_e32 vcc_lo, s4, v5
	s_addc_u32 s5, s5, 0
	s_or_b32 s45, vcc_lo, s45
	s_delay_alu instid0(SALU_CYCLE_1)
	s_and_not1_b32 exec_lo, exec_lo, s45
	s_cbranch_execnz .LBB289_156
; %bb.157:                              ;   in Loop: Header=BB289_12 Depth=1
	s_or_b32 exec_lo, exec_lo, s45
	s_branch .LBB289_9
.LBB289_158:
	s_nop 0
	s_sendmsg sendmsg(MSG_DEALLOC_VGPRS)
	s_endpgm
	.section	.rodata,"a",@progbits
	.p2align	6, 0x0
	.amdhsa_kernel _Z16wvSplitK_hf_big_I14__hip_bfloat16Li32ELi4ELi16ELi8ELi1ELi5EEviiiiiiPKT_S3_S3_PS1_ii
		.amdhsa_group_segment_fixed_size 65536
		.amdhsa_private_segment_fixed_size 0
		.amdhsa_kernarg_size 64
		.amdhsa_user_sgpr_count 15
		.amdhsa_user_sgpr_dispatch_ptr 0
		.amdhsa_user_sgpr_queue_ptr 0
		.amdhsa_user_sgpr_kernarg_segment_ptr 1
		.amdhsa_user_sgpr_dispatch_id 0
		.amdhsa_user_sgpr_private_segment_size 0
		.amdhsa_wavefront_size32 1
		.amdhsa_uses_dynamic_stack 0
		.amdhsa_enable_private_segment 0
		.amdhsa_system_sgpr_workgroup_id_x 1
		.amdhsa_system_sgpr_workgroup_id_y 0
		.amdhsa_system_sgpr_workgroup_id_z 0
		.amdhsa_system_sgpr_workgroup_info 0
		.amdhsa_system_vgpr_workitem_id 1
		.amdhsa_next_free_vgpr 101
		.amdhsa_next_free_sgpr 46
		.amdhsa_reserve_vcc 1
		.amdhsa_float_round_mode_32 0
		.amdhsa_float_round_mode_16_64 0
		.amdhsa_float_denorm_mode_32 3
		.amdhsa_float_denorm_mode_16_64 3
		.amdhsa_dx10_clamp 1
		.amdhsa_ieee_mode 1
		.amdhsa_fp16_overflow 0
		.amdhsa_workgroup_processor_mode 1
		.amdhsa_memory_ordered 1
		.amdhsa_forward_progress 0
		.amdhsa_shared_vgpr_count 0
		.amdhsa_exception_fp_ieee_invalid_op 0
		.amdhsa_exception_fp_denorm_src 0
		.amdhsa_exception_fp_ieee_div_zero 0
		.amdhsa_exception_fp_ieee_overflow 0
		.amdhsa_exception_fp_ieee_underflow 0
		.amdhsa_exception_fp_ieee_inexact 0
		.amdhsa_exception_int_div_zero 0
	.end_amdhsa_kernel
	.section	.text._Z16wvSplitK_hf_big_I14__hip_bfloat16Li32ELi4ELi16ELi8ELi1ELi5EEviiiiiiPKT_S3_S3_PS1_ii,"axG",@progbits,_Z16wvSplitK_hf_big_I14__hip_bfloat16Li32ELi4ELi16ELi8ELi1ELi5EEviiiiiiPKT_S3_S3_PS1_ii,comdat
.Lfunc_end289:
	.size	_Z16wvSplitK_hf_big_I14__hip_bfloat16Li32ELi4ELi16ELi8ELi1ELi5EEviiiiiiPKT_S3_S3_PS1_ii, .Lfunc_end289-_Z16wvSplitK_hf_big_I14__hip_bfloat16Li32ELi4ELi16ELi8ELi1ELi5EEviiiiiiPKT_S3_S3_PS1_ii
                                        ; -- End function
	.section	.AMDGPU.csdata,"",@progbits
; Kernel info:
; codeLenInByte = 10644
; NumSgprs: 48
; NumVgprs: 101
; ScratchSize: 0
; MemoryBound: 0
; FloatMode: 240
; IeeeMode: 1
; LDSByteSize: 65536 bytes/workgroup (compile time only)
; SGPRBlocks: 5
; VGPRBlocks: 12
; NumSGPRsForWavesPerEU: 48
; NumVGPRsForWavesPerEU: 101
; Occupancy: 8
; WaveLimiterHint : 0
; COMPUTE_PGM_RSRC2:SCRATCH_EN: 0
; COMPUTE_PGM_RSRC2:USER_SGPR: 15
; COMPUTE_PGM_RSRC2:TRAP_HANDLER: 0
; COMPUTE_PGM_RSRC2:TGID_X_EN: 1
; COMPUTE_PGM_RSRC2:TGID_Y_EN: 0
; COMPUTE_PGM_RSRC2:TGID_Z_EN: 0
; COMPUTE_PGM_RSRC2:TIDIG_COMP_CNT: 1
	.section	.text._Z16wvSplitK_hf_sml_I14__hip_bfloat16Li32ELi4ELi16ELi8ELi2ELi5EEviiiiiiPKT_S3_S3_PS1_ii,"axG",@progbits,_Z16wvSplitK_hf_sml_I14__hip_bfloat16Li32ELi4ELi16ELi8ELi2ELi5EEviiiiiiPKT_S3_S3_PS1_ii,comdat
	.protected	_Z16wvSplitK_hf_sml_I14__hip_bfloat16Li32ELi4ELi16ELi8ELi2ELi5EEviiiiiiPKT_S3_S3_PS1_ii ; -- Begin function _Z16wvSplitK_hf_sml_I14__hip_bfloat16Li32ELi4ELi16ELi8ELi2ELi5EEviiiiiiPKT_S3_S3_PS1_ii
	.globl	_Z16wvSplitK_hf_sml_I14__hip_bfloat16Li32ELi4ELi16ELi8ELi2ELi5EEviiiiiiPKT_S3_S3_PS1_ii
	.p2align	8
	.type	_Z16wvSplitK_hf_sml_I14__hip_bfloat16Li32ELi4ELi16ELi8ELi2ELi5EEviiiiiiPKT_S3_S3_PS1_ii,@function
_Z16wvSplitK_hf_sml_I14__hip_bfloat16Li32ELi4ELi16ELi8ELi2ELi5EEviiiiiiPKT_S3_S3_PS1_ii: ; @_Z16wvSplitK_hf_sml_I14__hip_bfloat16Li32ELi4ELi16ELi8ELi2ELi5EEviiiiiiPKT_S3_S3_PS1_ii
; %bb.0:
	s_load_b128 s[4:7], s[0:1], 0x0
	v_and_b32_e32 v1, 0x3ff, v0
	v_bfe_u32 v0, v0, 10, 10
	s_mov_b32 s8, exec_lo
	s_delay_alu instid0(VALU_DEP_2) | instskip(NEXT) | instid1(VALU_DEP_1)
	v_lshlrev_b32_e32 v83, 3, v1
	v_lshl_add_u32 v3, v0, 8, v83
	s_waitcnt lgkmcnt(0)
	s_mul_i32 s2, s6, 5
	s_delay_alu instid0(SALU_CYCLE_1)
	s_min_u32 s9, s2, 0x8000
	s_delay_alu instid0(VALU_DEP_1) | instid1(SALU_CYCLE_1)
	v_cmpx_gt_u32_e64 s9, v3
	s_cbranch_execz .LBB290_9
; %bb.1:
	s_load_b64 s[2:3], s[0:1], 0x20
	v_lshlrev_b32_e32 v2, 1, v3
	v_add_nc_u32_e32 v8, 0x1000, v3
	s_mov_b32 s10, exec_lo
	s_waitcnt lgkmcnt(0)
	global_load_b128 v[4:7], v2, s[2:3]
	s_waitcnt vmcnt(0)
	ds_store_b128 v2, v[4:7]
	v_cmpx_gt_u32_e64 s9, v8
	s_xor_b32 s10, exec_lo, s10
	s_cbranch_execz .LBB290_9
; %bb.2:
	v_add_co_u32 v4, s2, s2, v2
	s_delay_alu instid0(VALU_DEP_1) | instskip(SKIP_1) | instid1(VALU_DEP_3)
	v_add_co_ci_u32_e64 v5, null, s3, 0, s2
	v_add_nc_u32_e32 v10, 0x2000, v3
	v_add_co_u32 v6, vcc_lo, 0x2000, v4
	s_delay_alu instid0(VALU_DEP_3)
	v_add_co_ci_u32_e32 v7, vcc_lo, 0, v5, vcc_lo
	s_mov_b32 s2, exec_lo
	global_load_b128 v[6:9], v[6:7], off
	s_waitcnt vmcnt(0)
	ds_store_b128 v2, v[6:9] offset:8192
	v_cmpx_gt_u32_e64 s9, v10
	s_xor_b32 s2, exec_lo, s2
	s_cbranch_execz .LBB290_9
; %bb.3:
	v_add_co_u32 v6, vcc_lo, 0x4000, v4
	v_add_co_ci_u32_e32 v7, vcc_lo, 0, v5, vcc_lo
	v_add_nc_u32_e32 v10, 0x3000, v3
	s_mov_b32 s2, exec_lo
	global_load_b128 v[6:9], v[6:7], off
	s_waitcnt vmcnt(0)
	ds_store_b128 v2, v[6:9] offset:16384
	v_cmpx_gt_u32_e64 s9, v10
	s_xor_b32 s2, exec_lo, s2
	s_cbranch_execz .LBB290_9
; %bb.4:
	v_add_co_u32 v6, vcc_lo, 0x6000, v4
	v_add_co_ci_u32_e32 v7, vcc_lo, 0, v5, vcc_lo
	v_add_nc_u32_e32 v10, 0x4000, v3
	s_mov_b32 s2, exec_lo
	global_load_b128 v[6:9], v[6:7], off
	s_waitcnt vmcnt(0)
	ds_store_b128 v2, v[6:9] offset:24576
	v_cmpx_gt_u32_e64 s9, v10
	s_xor_b32 s2, exec_lo, s2
	s_cbranch_execz .LBB290_9
; %bb.5:
	v_add_co_u32 v6, vcc_lo, 0x8000, v4
	v_add_co_ci_u32_e32 v7, vcc_lo, 0, v5, vcc_lo
	v_add_nc_u32_e32 v10, 0x5000, v3
	s_mov_b32 s2, exec_lo
	global_load_b128 v[6:9], v[6:7], off
	s_waitcnt vmcnt(0)
	ds_store_b128 v2, v[6:9] offset:32768
	v_cmpx_gt_u32_e64 s9, v10
	s_xor_b32 s2, exec_lo, s2
	s_cbranch_execz .LBB290_9
; %bb.6:
	v_add_co_u32 v6, vcc_lo, 0xa000, v4
	v_add_co_ci_u32_e32 v7, vcc_lo, 0, v5, vcc_lo
	v_add_nc_u32_e32 v10, 0x6000, v3
	s_mov_b32 s2, exec_lo
	global_load_b128 v[6:9], v[6:7], off
	s_waitcnt vmcnt(0)
	ds_store_b128 v2, v[6:9] offset:40960
	v_cmpx_gt_u32_e64 s9, v10
	s_xor_b32 s2, exec_lo, s2
	s_cbranch_execz .LBB290_9
; %bb.7:
	v_add_co_u32 v6, vcc_lo, 0xc000, v4
	v_add_co_ci_u32_e32 v7, vcc_lo, 0, v5, vcc_lo
	v_add_nc_u32_e32 v3, 0x7000, v3
	s_mov_b32 s2, exec_lo
	global_load_b128 v[6:9], v[6:7], off
	s_waitcnt vmcnt(0)
	ds_store_b128 v2, v[6:9] offset:49152
	v_cmpx_gt_u32_e64 s9, v3
	s_xor_b32 s2, exec_lo, s2
	s_cbranch_execz .LBB290_9
; %bb.8:
	v_add_co_u32 v3, vcc_lo, 0xe000, v4
	v_add_co_ci_u32_e32 v4, vcc_lo, 0, v5, vcc_lo
	global_load_b128 v[3:6], v[3:4], off
	s_waitcnt vmcnt(0)
	ds_store_b128 v2, v[3:6] offset:57344
.LBB290_9:
	s_or_b32 exec_lo, exec_lo, s8
	s_load_b64 s[16:17], s[0:1], 0x38
	s_waitcnt lgkmcnt(0)
	s_barrier
	buffer_gl0_inv
	s_mov_b32 s2, exec_lo
	v_cmpx_gt_u32_e64 s16, v0
	s_cbranch_execz .LBB290_104
; %bb.10:
	s_load_b64 s[2:3], s[0:1], 0x10
	s_mul_i32 s15, s15, s16
	s_delay_alu instid0(SALU_CYCLE_1) | instskip(NEXT) | instid1(VALU_DEP_1)
	v_add_lshl_u32 v64, s15, v0, 2
	v_cmp_gt_u32_e32 vcc_lo, s7, v64
	s_and_b32 exec_lo, exec_lo, vcc_lo
	s_cbranch_execz .LBB290_104
; %bb.11:
	s_clause 0x1
	s_load_b128 s[8:11], s[0:1], 0x28
	s_load_b64 s[12:13], s[0:1], 0x18
	s_cmp_lg_u32 s4, 0
	s_mul_i32 s0, s16, s17
	s_cselect_b32 s1, -1, 0
	s_add_i32 s14, s4, -8
	s_add_i32 s15, s7, -1
	s_waitcnt lgkmcnt(0)
	v_cvt_f32_u32_e32 v2, s2
	v_lshlrev_b32_e32 v84, 4, v1
	v_mov_b32_e32 v66, 0
	s_cmp_lg_u64 s[8:9], 0
	s_cselect_b32 s18, -1, 0
	s_abs_i32 s21, s3
	s_lshl_b32 s16, s0, 2
	v_cvt_f32_u32_e32 v0, s21
	s_sub_i32 s19, 0, s21
	s_sub_i32 s20, 0, s2
	s_mov_b32 s3, 0
	s_delay_alu instid0(VALU_DEP_1) | instskip(SKIP_2) | instid1(VALU_DEP_1)
	v_rcp_iflag_f32_e32 v0, v0
	s_waitcnt_depctr 0xfff
	v_mul_f32_e32 v0, 0x4f7ffffe, v0
	v_cvt_u32_f32_e32 v0, v0
	s_delay_alu instid0(VALU_DEP_1) | instskip(SKIP_2) | instid1(VALU_DEP_2)
	v_readfirstlane_b32 s17, v0
	v_rcp_iflag_f32_e32 v0, v2
	v_mbcnt_lo_u32_b32 v2, -1, 0
	s_mul_i32 s19, s19, s17
	s_delay_alu instid0(SALU_CYCLE_1)
	s_mul_hi_u32 s0, s17, s19
	s_sub_i32 s19, 1, s21
	s_add_i32 s22, s17, s0
	s_cmp_lt_u32 s21, 2
	s_waitcnt_depctr 0xfff
	v_mul_f32_e32 v0, 0x4f7ffffe, v0
	s_cselect_b32 s17, s19, 1
	v_cmp_eq_u32_e64 s0, 31, v1
	s_sub_i32 s19, s17, s21
	s_cmp_ge_u32 s17, s21
	v_cvt_u32_f32_e32 v0, v0
	s_cselect_b32 s19, s19, s17
	s_lshr_b32 s17, s22, 31
	v_xor_b32_e32 v3, 16, v2
	s_mul_i32 s17, s17, s21
	v_mul_lo_u32 v1, s20, v0
	s_sub_i32 s17, 2, s17
	s_mul_hi_u32 s20, s22, 3
	s_sub_i32 s23, s17, s21
	s_cmp_ge_u32 s17, s21
	s_mul_i32 s20, s20, s21
	s_cselect_b32 s17, s23, s17
	v_cmp_gt_i32_e32 vcc_lo, 32, v3
	s_sub_i32 s23, s17, s21
	s_cmp_ge_u32 s17, s21
	v_mul_hi_u32 v1, v0, v1
	s_cselect_b32 s23, s23, s17
	s_sub_i32 s20, 3, s20
	v_cndmask_b32_e32 v2, v2, v3, vcc_lo
	s_sub_i32 s24, s20, s21
	s_cmp_ge_u32 s20, s21
	s_mul_i32 s17, s6, 6
	s_cselect_b32 s20, s24, s20
	v_lshlrev_b32_e32 v85, 2, v2
	s_sub_i32 s24, s20, s21
	s_cmp_ge_u32 s20, s21
	v_add_nc_u32_e32 v86, v0, v1
	s_cselect_b32 s24, s24, s20
	s_lshr_b32 s20, s22, 30
	s_mul_i32 s19, s19, s2
	s_mul_i32 s20, s20, s21
	s_delay_alu instid0(SALU_CYCLE_1) | instskip(NEXT) | instid1(SALU_CYCLE_1)
	s_sub_i32 s20, 4, s20
	s_sub_i32 s22, s20, s21
	s_cmp_ge_u32 s20, s21
	s_cselect_b32 s22, s22, s20
	s_mul_i32 s20, s23, s2
	s_sub_i32 s23, s22, s21
	s_cmp_ge_u32 s22, s21
	s_mul_i32 s21, s24, s2
	s_cselect_b32 s24, s23, s22
	s_lshl_b32 s22, s6, 3
	s_lshl_b32 s23, s6, 2
	s_mul_i32 s24, s24, s2
	s_lshl_b32 s6, s6, 1
	s_branch .LBB290_14
.LBB290_12:                             ;   in Loop: Header=BB290_14 Depth=1
	s_or_b32 exec_lo, exec_lo, s26
	global_store_d16_hi_b16 v[0:1], v3, off offset:6
.LBB290_13:                             ;   in Loop: Header=BB290_14 Depth=1
	s_or_b32 exec_lo, exec_lo, s25
	v_add_nc_u32_e32 v64, s16, v64
	s_delay_alu instid0(VALU_DEP_1) | instskip(SKIP_1) | instid1(SALU_CYCLE_1)
	v_cmp_le_u32_e32 vcc_lo, s7, v64
	s_or_b32 s3, vcc_lo, s3
	s_and_not1_b32 exec_lo, exec_lo, s3
	s_cbranch_execz .LBB290_104
.LBB290_14:                             ; =>This Loop Header: Depth=1
                                        ;     Child Loop BB290_18 Depth 2
	v_mov_b32_e32 v88, v66
	v_mov_b32_e32 v89, v66
	;; [unrolled: 1-line block ×20, first 2 shown]
	s_and_not1_b32 vcc_lo, exec_lo, s1
	s_cbranch_vccnz .LBB290_21
; %bb.15:                               ;   in Loop: Header=BB290_14 Depth=1
	v_or_b32_e32 v0, 1, v64
	s_waitcnt lgkmcnt(16)
	v_or_b32_e32 v1, 2, v64
	v_or_b32_e32 v2, 3, v64
	s_waitcnt lgkmcnt(3)
	v_min_u32_e32 v3, s15, v64
	s_waitcnt lgkmcnt(0)
	v_dual_mov_b32 v5, v66 :: v_dual_mov_b32 v98, 0
	v_min_u32_e32 v0, s15, v0
	v_min_u32_e32 v1, s15, v1
	v_min_u32_e32 v4, s15, v2
	v_mul_lo_u32 v65, v3, s5
	v_dual_mov_b32 v3, v66 :: v_dual_mov_b32 v106, 0
	v_mul_lo_u32 v0, v0, s5
	v_mul_lo_u32 v2, v1, s5
	;; [unrolled: 1-line block ×3, first 2 shown]
	v_dual_mov_b32 v1, v66 :: v_dual_mov_b32 v104, 0
	v_lshlrev_b64 v[67:68], 1, v[65:66]
	v_dual_mov_b32 v103, 0 :: v_dual_mov_b32 v100, 0
	s_delay_alu instid0(VALU_DEP_3)
	v_lshlrev_b64 v[69:70], 1, v[0:1]
	v_lshlrev_b64 v[71:72], 1, v[2:3]
	;; [unrolled: 1-line block ×3, first 2 shown]
	v_dual_mov_b32 v87, v84 :: v_dual_mov_b32 v102, 0
	v_dual_mov_b32 v107, 0 :: v_dual_mov_b32 v96, 0
	;; [unrolled: 1-line block ×6, first 2 shown]
	v_mov_b32_e32 v95, 0
	v_mov_b32_e32 v93, 0
	;; [unrolled: 1-line block ×4, first 2 shown]
	s_mov_b32 s25, 0
	s_branch .LBB290_18
.LBB290_16:                             ;   in Loop: Header=BB290_18 Depth=2
	s_or_b32 exec_lo, exec_lo, s27
.LBB290_17:                             ;   in Loop: Header=BB290_18 Depth=2
	s_delay_alu instid0(SALU_CYCLE_1)
	s_or_b32 exec_lo, exec_lo, s26
	s_waitcnt lgkmcnt(1)
	v_and_b32_e32 v116, 0xffff0000, v63
	v_lshlrev_b32_e32 v63, 16, v63
	s_waitcnt vmcnt(5)
	v_lshlrev_b32_e32 v125, 16, v49
	v_and_b32_e32 v118, 0xffff0000, v59
	v_and_b32_e32 v117, 0xffff0000, v53
	v_lshlrev_b32_e32 v53, 16, v53
	v_and_b32_e32 v112, 0xffff0000, v62
	v_lshlrev_b32_e32 v122, 16, v48
	v_lshlrev_b32_e32 v59, 16, v59
	v_dual_mul_f32 v121, v116, v118 :: v_dual_and_b32 v108, 0xffff0000, v56
	v_and_b32_e32 v109, 0xffff0000, v61
	v_and_b32_e32 v113, 0xffff0000, v58
	s_delay_alu instid0(VALU_DEP_3)
	v_dual_fmac_f32 v121, v63, v59 :: v_dual_lshlrev_b32 v58, 16, v58
	v_and_b32_e32 v120, 0xffff0000, v54
	v_lshlrev_b32_e32 v62, 16, v62
	v_and_b32_e32 v111, 0xffff0000, v57
	v_and_b32_e32 v65, 0xffff0000, v60
	;; [unrolled: 1-line block ×4, first 2 shown]
	v_add_nc_u32_e32 v87, 0x400, v87
	v_mul_f32_e32 v114, v109, v111
	v_mul_f32_e32 v110, v65, v108
	v_dual_mul_f32 v119, v109, v117 :: v_dual_lshlrev_b32 v56, 16, v56
	v_lshlrev_b32_e32 v61, 16, v61
	v_lshlrev_b32_e32 v57, 16, v57
	v_dual_mul_f32 v49, v109, v123 :: v_dual_lshlrev_b32 v54, 16, v54
	s_addk_i32 s25, 0x200
	s_delay_alu instid0(VALU_DEP_2) | instskip(SKIP_2) | instid1(VALU_DEP_1)
	v_fmac_f32_e32 v114, v61, v57
	v_lshlrev_b32_e32 v60, 16, v60
	s_cmp_ge_u32 s25, s4
	v_dual_fmac_f32 v110, v60, v56 :: v_dual_fmac_f32 v119, v61, v53
	s_delay_alu instid0(VALU_DEP_1) | instskip(NEXT) | instid1(VALU_DEP_1)
	v_add_f32_e32 v103, v103, v110
	v_dual_add_f32 v103, v103, v114 :: v_dual_lshlrev_b32 v114, 16, v52
	v_mul_f32_e32 v52, v65, v115
	s_delay_alu instid0(VALU_DEP_1) | instskip(NEXT) | instid1(VALU_DEP_1)
	v_fmac_f32_e32 v52, v60, v114
	v_add_f32_e32 v52, v107, v52
	v_mul_f32_e32 v107, v112, v120
	v_mul_f32_e32 v110, v112, v113
	s_delay_alu instid0(VALU_DEP_2) | instskip(NEXT) | instid1(VALU_DEP_1)
	v_dual_add_f32 v52, v52, v119 :: v_dual_fmac_f32 v107, v62, v54
	v_dual_fmac_f32 v110, v62, v58 :: v_dual_add_f32 v107, v52, v107
	s_delay_alu instid0(VALU_DEP_1) | instskip(SKIP_1) | instid1(VALU_DEP_2)
	v_dual_add_f32 v103, v103, v110 :: v_dual_and_b32 v110, 0xffff0000, v48
	v_and_b32_e32 v119, 0xffff0000, v55
	v_dual_add_f32 v52, v103, v121 :: v_dual_lshlrev_b32 v55, 16, v55
	s_delay_alu instid0(VALU_DEP_3) | instskip(NEXT) | instid1(VALU_DEP_1)
	v_mul_f32_e32 v48, v65, v110
	v_fmac_f32_e32 v48, v60, v122
	s_delay_alu instid0(VALU_DEP_1) | instskip(NEXT) | instid1(VALU_DEP_1)
	v_dual_add_f32 v103, v105, v48 :: v_dual_mul_f32 v124, v116, v119
	v_dual_fmac_f32 v124, v63, v55 :: v_dual_fmac_f32 v49, v61, v125
	s_delay_alu instid0(VALU_DEP_1)
	v_add_f32_e32 v48, v107, v124
	s_waitcnt vmcnt(4)
	v_and_b32_e32 v107, 0xffff0000, v40
	v_and_b32_e32 v105, 0xffff0000, v50
	v_dual_add_f32 v49, v103, v49 :: v_dual_lshlrev_b32 v50, 16, v50
	v_lshlrev_b32_e32 v124, 16, v40
	v_and_b32_e32 v103, 0xffff0000, v51
	s_delay_alu instid0(VALU_DEP_1) | instskip(SKIP_1) | instid1(VALU_DEP_1)
	v_mul_f32_e32 v126, v116, v103
	v_dual_mul_f32 v40, v65, v107 :: v_dual_mul_f32 v121, v112, v105
	v_dual_fmac_f32 v121, v62, v50 :: v_dual_fmac_f32 v40, v60, v124
	v_lshlrev_b32_e32 v51, 16, v51
	s_delay_alu instid0(VALU_DEP_2) | instskip(NEXT) | instid1(VALU_DEP_2)
	v_dual_add_f32 v49, v49, v121 :: v_dual_add_f32 v40, v104, v40
	v_dual_fmac_f32 v126, v63, v51 :: v_dual_and_b32 v65, 0xffff0000, v41
	v_lshlrev_b32_e32 v60, 16, v41
	s_delay_alu instid0(VALU_DEP_2) | instskip(NEXT) | instid1(VALU_DEP_3)
	v_mul_f32_e32 v41, v109, v65
	v_add_f32_e32 v49, v49, v126
	s_delay_alu instid0(VALU_DEP_2) | instskip(NEXT) | instid1(VALU_DEP_1)
	v_fmac_f32_e32 v41, v61, v60
	v_dual_add_f32 v40, v40, v41 :: v_dual_and_b32 v109, 0xffff0000, v42
	s_delay_alu instid0(VALU_DEP_1) | instskip(SKIP_2) | instid1(VALU_DEP_1)
	v_dual_mul_f32 v104, v112, v109 :: v_dual_lshlrev_b32 v41, 16, v44
	v_lshlrev_b32_e32 v61, 16, v42
	v_and_b32_e32 v42, 0xffff0000, v44
	v_mul_f32_e32 v44, v42, v108
	s_delay_alu instid0(VALU_DEP_1) | instskip(NEXT) | instid1(VALU_DEP_4)
	v_fmac_f32_e32 v44, v41, v56
	v_fmac_f32_e32 v104, v62, v61
	v_and_b32_e32 v62, 0xffff0000, v45
	s_delay_alu instid0(VALU_DEP_2) | instskip(SKIP_3) | instid1(VALU_DEP_3)
	v_dual_add_f32 v40, v40, v104 :: v_dual_lshlrev_b32 v45, 16, v45
	v_and_b32_e32 v112, 0xffff0000, v43
	v_lshlrev_b32_e32 v121, 16, v43
	v_and_b32_e32 v104, 0xffff0000, v46
	v_mul_f32_e32 v116, v116, v112
	s_delay_alu instid0(VALU_DEP_1) | instskip(SKIP_2) | instid1(VALU_DEP_3)
	v_dual_fmac_f32 v116, v63, v121 :: v_dual_mul_f32 v63, v42, v115
	v_mul_f32_e32 v43, v62, v111
	v_add_f32_e32 v44, v106, v44
	v_dual_mul_f32 v106, v104, v113 :: v_dual_fmac_f32 v63, v41, v114
	s_delay_alu instid0(VALU_DEP_3) | instskip(NEXT) | instid1(VALU_DEP_2)
	v_dual_fmac_f32 v43, v45, v57 :: v_dual_lshlrev_b32 v46, 16, v46
	v_add_f32_e32 v63, v101, v63
	s_delay_alu instid0(VALU_DEP_2) | instskip(SKIP_3) | instid1(VALU_DEP_3)
	v_add_f32_e32 v43, v44, v43
	v_dual_mul_f32 v101, v104, v120 :: v_dual_and_b32 v44, 0xffff0000, v47
	v_dual_mul_f32 v126, v62, v117 :: v_dual_lshlrev_b32 v47, 16, v47
	v_add_f32_e32 v116, v40, v116
	v_mul_f32_e32 v127, v44, v118
	v_fmac_f32_e32 v106, v46, v58
	v_mul_f32_e32 v40, v62, v123
	v_fmac_f32_e32 v101, v46, v54
	s_delay_alu instid0(VALU_DEP_4) | instskip(NEXT) | instid1(VALU_DEP_4)
	v_dual_mul_f32 v62, v62, v65 :: v_dual_fmac_f32 v127, v47, v59
	v_dual_fmac_f32 v126, v45, v53 :: v_dual_add_f32 v43, v43, v106
	v_mul_f32_e32 v106, v42, v110
	v_mul_f32_e32 v42, v42, v107
	s_delay_alu instid0(VALU_DEP_3) | instskip(NEXT) | instid1(VALU_DEP_3)
	v_dual_fmac_f32 v40, v45, v125 :: v_dual_add_f32 v63, v63, v126
	v_dual_add_f32 v43, v43, v127 :: v_dual_fmac_f32 v106, v41, v122
	v_dual_fmac_f32 v62, v45, v60 :: v_dual_mul_f32 v45, v104, v109
	s_delay_alu instid0(VALU_DEP_3) | instskip(NEXT) | instid1(VALU_DEP_3)
	v_add_f32_e32 v63, v63, v101
	v_dual_mul_f32 v101, v44, v119 :: v_dual_add_f32 v98, v98, v106
	v_mul_f32_e32 v106, v104, v105
	s_delay_alu instid0(VALU_DEP_4) | instskip(NEXT) | instid1(VALU_DEP_3)
	v_dual_fmac_f32 v42, v41, v124 :: v_dual_fmac_f32 v45, v46, v61
	v_dual_fmac_f32 v101, v47, v55 :: v_dual_add_f32 v40, v98, v40
	v_mul_f32_e32 v98, v44, v103
	s_delay_alu instid0(VALU_DEP_2) | instskip(NEXT) | instid1(VALU_DEP_4)
	v_dual_fmac_f32 v106, v46, v50 :: v_dual_add_f32 v41, v63, v101
	v_dual_add_f32 v42, v99, v42 :: v_dual_and_b32 v63, 0xffff0000, v81
	v_mul_f32_e32 v44, v44, v112
	s_delay_alu instid0(VALU_DEP_4) | instskip(NEXT) | instid1(VALU_DEP_3)
	v_dual_fmac_f32 v98, v47, v51 :: v_dual_and_b32 v99, 0xffff0000, v82
	v_add_f32_e32 v42, v42, v62
	s_delay_alu instid0(VALU_DEP_3) | instskip(SKIP_3) | instid1(VALU_DEP_4)
	v_dual_fmac_f32 v44, v47, v121 :: v_dual_and_b32 v47, 0xffff0000, v79
	v_lshlrev_b32_e32 v79, 16, v79
	v_dual_mul_f32 v81, v63, v108 :: v_dual_lshlrev_b32 v62, 16, v81
	v_add_f32_e32 v40, v40, v106
	v_dual_add_f32 v42, v42, v45 :: v_dual_mul_f32 v101, v47, v120
	v_lshlrev_b32_e32 v45, 16, v82
	s_delay_alu instid0(VALU_DEP_4) | instskip(NEXT) | instid1(VALU_DEP_4)
	v_dual_fmac_f32 v81, v62, v56 :: v_dual_mul_f32 v82, v99, v111
	v_add_f32_e32 v46, v40, v98
	s_delay_alu instid0(VALU_DEP_4) | instskip(NEXT) | instid1(VALU_DEP_3)
	v_dual_fmac_f32 v101, v79, v54 :: v_dual_add_f32 v42, v42, v44
	v_add_f32_e32 v40, v100, v81
	s_delay_alu instid0(VALU_DEP_4) | instskip(SKIP_2) | instid1(VALU_DEP_3)
	v_fmac_f32_e32 v82, v45, v57
	v_mul_f32_e32 v81, v47, v113
	v_mul_f32_e32 v98, v99, v117
	v_add_f32_e32 v40, v40, v82
	s_delay_alu instid0(VALU_DEP_3) | instskip(NEXT) | instid1(VALU_DEP_1)
	v_fmac_f32_e32 v81, v79, v58
	v_dual_add_f32 v40, v40, v81 :: v_dual_mul_f32 v81, v63, v110
	s_delay_alu instid0(VALU_DEP_1) | instskip(NEXT) | instid1(VALU_DEP_1)
	v_fmac_f32_e32 v81, v62, v122
	v_dual_add_f32 v81, v96, v81 :: v_dual_mul_f32 v44, v63, v115
	v_mul_f32_e32 v63, v63, v107
	v_mul_f32_e32 v96, v47, v105
	v_dual_mul_f32 v47, v47, v109 :: v_dual_and_b32 v82, 0xffff0000, v80
	s_delay_alu instid0(VALU_DEP_4) | instskip(NEXT) | instid1(VALU_DEP_4)
	v_fmac_f32_e32 v44, v62, v114
	v_dual_fmac_f32 v63, v62, v124 :: v_dual_mul_f32 v62, v99, v65
	v_lshlrev_b32_e32 v80, 16, v80
	v_fmac_f32_e32 v96, v79, v50
	v_fmac_f32_e32 v47, v79, v61
	s_delay_alu instid0(VALU_DEP_4) | instskip(SKIP_2) | instid1(VALU_DEP_3)
	v_dual_add_f32 v63, v94, v63 :: v_dual_fmac_f32 v62, v45, v60
	v_dual_mul_f32 v100, v82, v118 :: v_dual_and_b32 v79, 0xffff0000, v37
	v_add_f32_e32 v44, v102, v44
	v_add_f32_e32 v62, v63, v62
	v_fmac_f32_e32 v98, v45, v53
	s_delay_alu instid0(VALU_DEP_4) | instskip(SKIP_1) | instid1(VALU_DEP_4)
	v_fmac_f32_e32 v100, v80, v59
	v_mul_f32_e32 v94, v79, v111
	v_dual_add_f32 v47, v62, v47 :: v_dual_lshlrev_b32 v62, 16, v37
	s_delay_alu instid0(VALU_DEP_4) | instskip(NEXT) | instid1(VALU_DEP_2)
	v_add_f32_e32 v98, v44, v98
	v_fmac_f32_e32 v94, v62, v57
	v_add_f32_e32 v44, v40, v100
	v_mul_f32_e32 v100, v99, v123
	s_delay_alu instid0(VALU_DEP_4) | instskip(NEXT) | instid1(VALU_DEP_2)
	v_add_f32_e32 v40, v98, v101
	v_fmac_f32_e32 v100, v45, v125
	s_delay_alu instid0(VALU_DEP_1) | instskip(NEXT) | instid1(VALU_DEP_1)
	v_add_f32_e32 v81, v81, v100
	v_add_f32_e32 v45, v81, v96
	v_and_b32_e32 v81, 0xffff0000, v36
	v_lshlrev_b32_e32 v36, 16, v36
	s_delay_alu instid0(VALU_DEP_2) | instskip(SKIP_1) | instid1(VALU_DEP_2)
	v_dual_mul_f32 v98, v82, v103 :: v_dual_mul_f32 v63, v81, v108
	v_mul_f32_e32 v102, v82, v119
	v_fmac_f32_e32 v98, v80, v51
	v_mul_f32_e32 v82, v82, v112
	s_delay_alu instid0(VALU_DEP_4) | instskip(NEXT) | instid1(VALU_DEP_2)
	v_dual_mul_f32 v96, v81, v115 :: v_dual_fmac_f32 v63, v36, v56
	v_dual_add_f32 v45, v45, v98 :: v_dual_fmac_f32 v82, v80, v121
	s_delay_alu instid0(VALU_DEP_2) | instskip(NEXT) | instid1(VALU_DEP_2)
	v_dual_fmac_f32 v96, v36, v114 :: v_dual_add_f32 v63, v97, v63
	v_dual_fmac_f32 v102, v80, v55 :: v_dual_add_f32 v37, v47, v82
	s_delay_alu instid0(VALU_DEP_2) | instskip(NEXT) | instid1(VALU_DEP_3)
	v_dual_add_f32 v63, v63, v94 :: v_dual_and_b32 v82, 0xffff0000, v39
	v_add_f32_e32 v94, v95, v96
	v_dual_mul_f32 v39, v81, v110 :: v_dual_lshlrev_b32 v96, 16, v39
	v_dual_mul_f32 v81, v81, v107 :: v_dual_and_b32 v80, 0xffff0000, v38
	v_dual_mul_f32 v47, v79, v117 :: v_dual_lshlrev_b32 v38, 16, v38
	s_delay_alu instid0(VALU_DEP_2) | instskip(SKIP_1) | instid1(VALU_DEP_3)
	v_mul_f32_e32 v97, v80, v113
	v_mul_f32_e32 v95, v80, v120
	v_fmac_f32_e32 v47, v62, v53
	s_delay_alu instid0(VALU_DEP_3) | instskip(NEXT) | instid1(VALU_DEP_2)
	v_fmac_f32_e32 v97, v38, v58
	v_dual_add_f32 v40, v40, v102 :: v_dual_add_f32 v47, v94, v47
	s_delay_alu instid0(VALU_DEP_4) | instskip(NEXT) | instid1(VALU_DEP_3)
	v_fmac_f32_e32 v95, v38, v54
	v_add_f32_e32 v63, v63, v97
	v_mul_f32_e32 v97, v80, v105
	v_fmac_f32_e32 v81, v36, v124
	s_delay_alu instid0(VALU_DEP_4) | instskip(SKIP_1) | instid1(VALU_DEP_3)
	v_add_f32_e32 v47, v47, v95
	v_fmac_f32_e32 v39, v36, v122
	v_add_f32_e32 v81, v92, v81
	v_mul_f32_e32 v95, v82, v119
	v_mul_f32_e32 v94, v79, v123
	s_delay_alu instid0(VALU_DEP_4) | instskip(NEXT) | instid1(VALU_DEP_3)
	v_dual_mul_f32 v98, v82, v118 :: v_dual_add_f32 v93, v93, v39
	v_fmac_f32_e32 v95, v96, v55
	s_delay_alu instid0(VALU_DEP_1) | instskip(SKIP_3) | instid1(VALU_DEP_3)
	v_add_f32_e32 v36, v47, v95
	v_mul_f32_e32 v47, v79, v65
	v_mul_f32_e32 v79, v82, v103
	v_fmac_f32_e32 v97, v38, v50
	v_fmac_f32_e32 v47, v62, v60
	s_waitcnt lgkmcnt(0)
	s_delay_alu instid0(VALU_DEP_3) | instskip(NEXT) | instid1(VALU_DEP_2)
	v_dual_fmac_f32 v79, v96, v51 :: v_dual_and_b32 v92, 0xffff0000, v32
	v_add_f32_e32 v47, v81, v47
	v_and_b32_e32 v81, 0xffff0000, v33
	v_fmac_f32_e32 v94, v62, v125
	v_mul_f32_e32 v62, v80, v109
	v_lshlrev_b32_e32 v80, 16, v32
	v_mul_f32_e32 v32, v92, v108
	s_delay_alu instid0(VALU_DEP_1) | instskip(SKIP_1) | instid1(VALU_DEP_1)
	v_fmac_f32_e32 v32, v80, v56
	v_dual_mul_f32 v33, v81, v111 :: v_dual_lshlrev_b32 v56, 16, v33
	v_dual_add_f32 v32, v91, v32 :: v_dual_fmac_f32 v33, v56, v57
	v_dual_fmac_f32 v62, v38, v61 :: v_dual_lshlrev_b32 v57, 16, v34
	v_fmac_f32_e32 v98, v96, v59
	s_delay_alu instid0(VALU_DEP_3) | instskip(NEXT) | instid1(VALU_DEP_3)
	v_add_f32_e32 v33, v32, v33
	v_add_f32_e32 v47, v47, v62
	s_delay_alu instid0(VALU_DEP_3) | instskip(SKIP_1) | instid1(VALU_DEP_1)
	v_add_f32_e32 v39, v63, v98
	v_add_f32_e32 v63, v93, v94
	;; [unrolled: 1-line block ×3, first 2 shown]
	s_delay_alu instid0(VALU_DEP_1) | instskip(SKIP_2) | instid1(VALU_DEP_3)
	v_dual_add_f32 v38, v63, v79 :: v_dual_mul_f32 v63, v82, v112
	v_and_b32_e32 v79, 0xffff0000, v35
	v_lshlrev_b32_e32 v35, 16, v35
	v_fmac_f32_e32 v63, v96, v121
	s_delay_alu instid0(VALU_DEP_1) | instskip(SKIP_2) | instid1(VALU_DEP_2)
	v_dual_add_f32 v32, v47, v63 :: v_dual_mul_f32 v47, v81, v117
	v_and_b32_e32 v62, 0xffff0000, v34
	v_mul_f32_e32 v82, v92, v115
	v_dual_mul_f32 v63, v92, v107 :: v_dual_mul_f32 v34, v62, v113
	s_delay_alu instid0(VALU_DEP_2) | instskip(NEXT) | instid1(VALU_DEP_2)
	v_fmac_f32_e32 v82, v80, v114
	v_dual_fmac_f32 v63, v80, v124 :: v_dual_fmac_f32 v34, v57, v58
	v_mul_f32_e32 v58, v79, v118
	s_delay_alu instid0(VALU_DEP_1) | instskip(SKIP_2) | instid1(VALU_DEP_2)
	v_dual_fmac_f32 v58, v35, v59 :: v_dual_add_f32 v59, v90, v82
	v_fmac_f32_e32 v47, v56, v53
	v_mul_f32_e32 v53, v62, v120
	v_add_f32_e32 v47, v59, v47
	v_mul_f32_e32 v59, v62, v105
	v_add_f32_e32 v33, v33, v34
	v_mul_f32_e32 v34, v92, v110
	v_fmac_f32_e32 v53, v57, v54
	s_delay_alu instid0(VALU_DEP_4) | instskip(NEXT) | instid1(VALU_DEP_4)
	v_fmac_f32_e32 v59, v57, v50
	v_add_f32_e32 v33, v33, v58
	s_delay_alu instid0(VALU_DEP_4) | instskip(NEXT) | instid1(VALU_DEP_4)
	v_fmac_f32_e32 v34, v80, v122
	v_dual_mul_f32 v58, v81, v123 :: v_dual_add_f32 v47, v47, v53
	s_delay_alu instid0(VALU_DEP_2) | instskip(NEXT) | instid1(VALU_DEP_2)
	v_add_f32_e32 v34, v89, v34
	v_fmac_f32_e32 v58, v56, v125
	s_delay_alu instid0(VALU_DEP_1) | instskip(NEXT) | instid1(VALU_DEP_1)
	v_dual_mul_f32 v54, v79, v119 :: v_dual_add_f32 v53, v34, v58
	v_dual_fmac_f32 v54, v35, v55 :: v_dual_mul_f32 v55, v62, v109
	s_delay_alu instid0(VALU_DEP_1) | instskip(NEXT) | instid1(VALU_DEP_2)
	v_dual_add_f32 v53, v53, v59 :: v_dual_add_f32 v34, v47, v54
	v_fmac_f32_e32 v55, v57, v61
	v_mul_f32_e32 v47, v79, v103
	v_dual_add_f32 v54, v88, v63 :: v_dual_and_b32 v59, 0xffff0000, v30
	s_waitcnt vmcnt(2)
	v_and_b32_e32 v61, 0xffff0000, v20
	s_delay_alu instid0(VALU_DEP_3)
	v_dual_fmac_f32 v47, v35, v51 :: v_dual_lshlrev_b32 v20, 16, v20
	v_dual_mul_f32 v50, v81, v65 :: v_dual_and_b32 v51, 0xffff0000, v28
	v_lshlrev_b32_e32 v28, 16, v28
	s_waitcnt vmcnt(0)
	v_and_b32_e32 v88, 0xffff0000, v9
	v_lshlrev_b32_e32 v9, 16, v9
	v_dual_mul_f32 v63, v51, v61 :: v_dual_fmac_f32 v50, v56, v60
	v_and_b32_e32 v60, 0xffff0000, v26
	s_delay_alu instid0(VALU_DEP_2)
	v_add_f32_e32 v50, v54, v50
	v_lshlrev_b32_e32 v54, 16, v24
	v_and_b32_e32 v56, 0xffff0000, v24
	v_dual_add_f32 v24, v53, v47 :: v_dual_and_b32 v47, 0xffff0000, v29
	v_and_b32_e32 v53, 0xffff0000, v25
	v_lshlrev_b32_e32 v25, 16, v25
	s_delay_alu instid0(VALU_DEP_4) | instskip(SKIP_1) | instid1(VALU_DEP_4)
	v_mul_f32_e32 v57, v51, v56
	v_dual_add_f32 v50, v50, v55 :: v_dual_lshlrev_b32 v29, 16, v29
	v_dual_mul_f32 v55, v47, v53 :: v_dual_lshlrev_b32 v26, 16, v26
	v_fmac_f32_e32 v63, v28, v20
	s_delay_alu instid0(VALU_DEP_2) | instskip(SKIP_1) | instid1(VALU_DEP_3)
	v_fmac_f32_e32 v55, v29, v25
	v_fmac_f32_e32 v57, v28, v54
	v_add_f32_e32 v48, v48, v63
	s_delay_alu instid0(VALU_DEP_2) | instskip(SKIP_1) | instid1(VALU_DEP_1)
	v_dual_add_f32 v52, v52, v57 :: v_dual_mul_f32 v57, v59, v60
	v_dual_mul_f32 v58, v79, v112 :: v_dual_and_b32 v79, 0xffff0000, v23
	v_dual_fmac_f32 v58, v35, v121 :: v_dual_add_f32 v35, v52, v55
	v_and_b32_e32 v55, 0xffff0000, v27
	v_lshlrev_b32_e32 v30, 16, v30
	v_and_b32_e32 v52, 0xffff0000, v31
	s_delay_alu instid0(VALU_DEP_4) | instskip(NEXT) | instid1(VALU_DEP_2)
	v_dual_add_f32 v50, v50, v58 :: v_dual_lshlrev_b32 v31, 16, v31
	v_dual_fmac_f32 v57, v30, v26 :: v_dual_mul_f32 v62, v52, v55
	v_dual_mul_f32 v82, v52, v79 :: v_dual_and_b32 v81, 0xffff0000, v18
	s_delay_alu instid0(VALU_DEP_2) | instskip(SKIP_3) | instid1(VALU_DEP_3)
	v_dual_add_f32 v35, v35, v57 :: v_dual_lshlrev_b32 v18, 16, v18
	v_and_b32_e32 v57, 0xffff0000, v21
	v_lshlrev_b32_e32 v27, 16, v27
	v_lshlrev_b32_e32 v21, 16, v21
	v_mul_f32_e32 v58, v47, v57
	s_delay_alu instid0(VALU_DEP_3) | instskip(NEXT) | instid1(VALU_DEP_1)
	v_fmac_f32_e32 v62, v31, v27
	v_dual_fmac_f32 v58, v29, v21 :: v_dual_add_f32 v103, v35, v62
	v_and_b32_e32 v35, 0xffff0000, v22
	v_and_b32_e32 v62, 0xffff0000, v16
	s_delay_alu instid0(VALU_DEP_2) | instskip(NEXT) | instid1(VALU_DEP_2)
	v_dual_add_f32 v48, v48, v58 :: v_dual_mul_f32 v63, v59, v35
	v_dual_mul_f32 v65, v51, v62 :: v_dual_lshlrev_b32 v16, 16, v16
	s_delay_alu instid0(VALU_DEP_1) | instskip(NEXT) | instid1(VALU_DEP_1)
	v_dual_fmac_f32 v65, v28, v16 :: v_dual_lshlrev_b32 v22, 16, v22
	v_dual_fmac_f32 v63, v30, v22 :: v_dual_and_b32 v58, 0xffff0000, v17
	v_lshlrev_b32_e32 v17, 16, v17
	s_delay_alu instid0(VALU_DEP_2) | instskip(SKIP_1) | instid1(VALU_DEP_4)
	v_dual_add_f32 v49, v49, v65 :: v_dual_mul_f32 v80, v47, v58
	v_lshlrev_b32_e32 v23, 16, v23
	v_dual_mul_f32 v65, v59, v81 :: v_dual_add_f32 v48, v48, v63
	s_delay_alu instid0(VALU_DEP_3) | instskip(NEXT) | instid1(VALU_DEP_2)
	v_dual_fmac_f32 v80, v29, v17 :: v_dual_and_b32 v63, 0xffff0000, v8
	v_dual_fmac_f32 v82, v31, v23 :: v_dual_fmac_f32 v65, v30, v18
	s_delay_alu instid0(VALU_DEP_2) | instskip(NEXT) | instid1(VALU_DEP_3)
	v_dual_mul_f32 v51, v51, v63 :: v_dual_lshlrev_b32 v8, 16, v8
	v_dual_add_f32 v49, v49, v80 :: v_dual_and_b32 v80, 0xffff0000, v19
	v_lshlrev_b32_e32 v19, 16, v19
	s_delay_alu instid0(VALU_DEP_4) | instskip(NEXT) | instid1(VALU_DEP_4)
	v_add_f32_e32 v107, v48, v82
	v_fmac_f32_e32 v51, v28, v8
	v_mul_f32_e32 v28, v47, v88
	v_dual_mul_f32 v89, v52, v80 :: v_dual_and_b32 v48, 0xffff0000, v10
	v_dual_add_f32 v49, v49, v65 :: v_dual_lshlrev_b32 v10, 16, v10
	s_delay_alu instid0(VALU_DEP_2) | instskip(SKIP_1) | instid1(VALU_DEP_1)
	v_dual_fmac_f32 v28, v29, v9 :: v_dual_fmac_f32 v89, v31, v19
	v_add_f32_e32 v47, v116, v51
	v_add_f32_e32 v28, v47, v28
	v_and_b32_e32 v29, 0xffff0000, v12
	v_and_b32_e32 v47, 0xffff0000, v11
	v_dual_add_f32 v105, v49, v89 :: v_dual_lshlrev_b32 v12, 16, v12
	v_mul_f32_e32 v49, v59, v48
	v_lshlrev_b32_e32 v11, 16, v11
	s_delay_alu instid0(VALU_DEP_2) | instskip(SKIP_1) | instid1(VALU_DEP_2)
	v_dual_mul_f32 v52, v52, v47 :: v_dual_fmac_f32 v49, v30, v10
	v_and_b32_e32 v30, 0xffff0000, v13
	v_dual_fmac_f32 v52, v31, v11 :: v_dual_lshlrev_b32 v13, 16, v13
	s_delay_alu instid0(VALU_DEP_3) | instskip(NEXT) | instid1(VALU_DEP_1)
	v_dual_add_f32 v28, v28, v49 :: v_dual_mul_f32 v51, v29, v56
	v_add_f32_e32 v104, v28, v52
	s_delay_alu instid0(VALU_DEP_4) | instskip(SKIP_1) | instid1(VALU_DEP_2)
	v_dual_mul_f32 v59, v30, v53 :: v_dual_and_b32 v28, 0xffff0000, v15
	v_lshlrev_b32_e32 v15, 16, v15
	v_mul_f32_e32 v52, v28, v55
	v_fmac_f32_e32 v51, v12, v54
	s_delay_alu instid0(VALU_DEP_2) | instskip(NEXT) | instid1(VALU_DEP_2)
	v_dual_fmac_f32 v59, v13, v25 :: v_dual_fmac_f32 v52, v15, v27
	v_add_f32_e32 v31, v43, v51
	v_mul_f32_e32 v51, v29, v61
	s_delay_alu instid0(VALU_DEP_2) | instskip(NEXT) | instid1(VALU_DEP_2)
	v_add_f32_e32 v31, v31, v59
	v_fmac_f32_e32 v51, v12, v20
	v_mul_f32_e32 v59, v29, v62
	v_mul_f32_e32 v29, v29, v63
	s_delay_alu instid0(VALU_DEP_3) | instskip(NEXT) | instid1(VALU_DEP_3)
	v_add_f32_e32 v41, v41, v51
	v_fmac_f32_e32 v59, v12, v16
	v_mul_f32_e32 v51, v30, v58
	s_delay_alu instid0(VALU_DEP_2) | instskip(NEXT) | instid1(VALU_DEP_2)
	v_dual_fmac_f32 v29, v12, v8 :: v_dual_add_f32 v46, v46, v59
	v_fmac_f32_e32 v51, v13, v17
	v_and_b32_e32 v49, 0xffff0000, v14
	s_delay_alu instid0(VALU_DEP_3) | instskip(NEXT) | instid1(VALU_DEP_2)
	v_dual_add_f32 v29, v42, v29 :: v_dual_lshlrev_b32 v14, 16, v14
	v_dual_add_f32 v46, v46, v51 :: v_dual_mul_f32 v43, v49, v60
	s_delay_alu instid0(VALU_DEP_1) | instskip(NEXT) | instid1(VALU_DEP_1)
	v_fmac_f32_e32 v43, v14, v26
	v_add_f32_e32 v31, v31, v43
	v_mul_f32_e32 v43, v30, v57
	v_mul_f32_e32 v30, v30, v88
	s_delay_alu instid0(VALU_DEP_2) | instskip(NEXT) | instid1(VALU_DEP_2)
	v_dual_add_f32 v106, v31, v52 :: v_dual_fmac_f32 v43, v13, v21
	v_fmac_f32_e32 v30, v13, v9
	v_mul_f32_e32 v31, v49, v35
	v_dual_mul_f32 v52, v28, v79 :: v_dual_lshlrev_b32 v13, 16, v77
	s_delay_alu instid0(VALU_DEP_3) | instskip(SKIP_1) | instid1(VALU_DEP_4)
	v_add_f32_e32 v29, v29, v30
	v_and_b32_e32 v30, 0xffff0000, v78
	v_fmac_f32_e32 v31, v14, v22
	s_delay_alu instid0(VALU_DEP_2) | instskip(SKIP_1) | instid1(VALU_DEP_2)
	v_dual_mul_f32 v42, v30, v53 :: v_dual_add_f32 v41, v41, v43
	v_mul_f32_e32 v43, v49, v81
	v_add_f32_e32 v31, v41, v31
	s_delay_alu instid0(VALU_DEP_2) | instskip(NEXT) | instid1(VALU_DEP_1)
	v_fmac_f32_e32 v43, v14, v18
	v_dual_mul_f32 v41, v28, v80 :: v_dual_add_f32 v12, v46, v43
	s_delay_alu instid0(VALU_DEP_1) | instskip(NEXT) | instid1(VALU_DEP_1)
	v_dual_fmac_f32 v41, v15, v19 :: v_dual_mul_f32 v46, v30, v57
	v_add_f32_e32 v98, v12, v41
	v_dual_mul_f32 v12, v49, v48 :: v_dual_mul_f32 v49, v30, v58
	s_delay_alu instid0(VALU_DEP_1) | instskip(SKIP_3) | instid1(VALU_DEP_4)
	v_fmac_f32_e32 v12, v14, v10
	v_mul_f32_e32 v14, v28, v47
	v_fmac_f32_e32 v52, v15, v23
	v_lshlrev_b32_e32 v28, 16, v78
	v_add_f32_e32 v12, v29, v12
	s_delay_alu instid0(VALU_DEP_4) | instskip(NEXT) | instid1(VALU_DEP_4)
	v_fmac_f32_e32 v14, v15, v11
	v_add_f32_e32 v101, v31, v52
	s_delay_alu instid0(VALU_DEP_4) | instskip(SKIP_1) | instid1(VALU_DEP_4)
	v_dual_fmac_f32 v46, v28, v21 :: v_dual_and_b32 v29, 0xffff0000, v75
	v_fmac_f32_e32 v42, v28, v25
	v_dual_add_f32 v99, v12, v14 :: v_dual_and_b32 v12, 0xffff0000, v76
	v_and_b32_e32 v31, 0xffff0000, v77
	s_delay_alu instid0(VALU_DEP_4) | instskip(NEXT) | instid1(VALU_DEP_2)
	v_mul_f32_e32 v43, v29, v60
	v_mul_f32_e32 v41, v31, v56
	s_delay_alu instid0(VALU_DEP_1) | instskip(NEXT) | instid1(VALU_DEP_1)
	v_dual_mul_f32 v14, v31, v61 :: v_dual_fmac_f32 v41, v13, v54
	v_dual_fmac_f32 v14, v13, v20 :: v_dual_add_f32 v15, v44, v41
	s_delay_alu instid0(VALU_DEP_1) | instskip(SKIP_1) | instid1(VALU_DEP_3)
	v_dual_add_f32 v14, v40, v14 :: v_dual_lshlrev_b32 v41, 16, v75
	v_mul_f32_e32 v40, v29, v35
	v_dual_mul_f32 v44, v12, v55 :: v_dual_add_f32 v15, v15, v42
	v_lshlrev_b32_e32 v42, 16, v76
	s_delay_alu instid0(VALU_DEP_4) | instskip(NEXT) | instid1(VALU_DEP_4)
	v_add_f32_e32 v14, v14, v46
	v_fmac_f32_e32 v40, v41, v22
	s_delay_alu instid0(VALU_DEP_3) | instskip(NEXT) | instid1(VALU_DEP_2)
	v_fmac_f32_e32 v44, v42, v27
	v_add_f32_e32 v14, v14, v40
	v_mul_f32_e32 v40, v12, v79
	s_delay_alu instid0(VALU_DEP_1) | instskip(NEXT) | instid1(VALU_DEP_1)
	v_fmac_f32_e32 v40, v42, v23
	v_dual_add_f32 v102, v14, v40 :: v_dual_fmac_f32 v43, v41, v26
	v_and_b32_e32 v14, 0xffff0000, v7
	v_lshlrev_b32_e32 v7, 16, v7
	v_fmac_f32_e32 v49, v28, v17
	s_delay_alu instid0(VALU_DEP_4) | instskip(SKIP_2) | instid1(VALU_DEP_3)
	v_add_f32_e32 v15, v15, v43
	v_mul_f32_e32 v43, v31, v62
	v_mul_f32_e32 v31, v31, v63
	v_add_f32_e32 v100, v15, v44
	s_delay_alu instid0(VALU_DEP_3) | instskip(NEXT) | instid1(VALU_DEP_3)
	v_fmac_f32_e32 v43, v13, v16
	v_fmac_f32_e32 v31, v13, v8
	v_mul_f32_e32 v13, v30, v88
	v_and_b32_e32 v30, 0xffff0000, v4
	s_delay_alu instid0(VALU_DEP_4) | instskip(NEXT) | instid1(VALU_DEP_4)
	v_dual_add_f32 v15, v45, v43 :: v_dual_lshlrev_b32 v4, 16, v4
	v_add_f32_e32 v31, v37, v31
	s_delay_alu instid0(VALU_DEP_3) | instskip(SKIP_3) | instid1(VALU_DEP_4)
	v_dual_fmac_f32 v13, v28, v9 :: v_dual_mul_f32 v28, v30, v56
	v_mul_f32_e32 v43, v29, v81
	v_mul_f32_e32 v29, v29, v48
	;; [unrolled: 1-line block ×3, first 2 shown]
	v_dual_add_f32 v13, v31, v13 :: v_dual_mul_f32 v12, v12, v47
	v_fmac_f32_e32 v28, v4, v54
	s_delay_alu instid0(VALU_DEP_2) | instskip(NEXT) | instid1(VALU_DEP_1)
	v_dual_fmac_f32 v29, v41, v10 :: v_dual_fmac_f32 v12, v42, v11
	v_dual_add_f32 v28, v39, v28 :: v_dual_add_f32 v13, v13, v29
	s_delay_alu instid0(VALU_DEP_1) | instskip(SKIP_1) | instid1(VALU_DEP_1)
	v_add_f32_e32 v94, v13, v12
	v_mul_f32_e32 v12, v30, v61
	v_fmac_f32_e32 v12, v4, v20
	s_delay_alu instid0(VALU_DEP_1) | instskip(SKIP_2) | instid1(VALU_DEP_2)
	v_dual_add_f32 v12, v36, v12 :: v_dual_fmac_f32 v43, v41, v18
	v_and_b32_e32 v41, 0xffff0000, v6
	v_lshlrev_b32_e32 v6, 16, v6
	v_dual_mul_f32 v36, v41, v35 :: v_dual_add_f32 v15, v15, v49
	s_delay_alu instid0(VALU_DEP_1) | instskip(NEXT) | instid1(VALU_DEP_2)
	v_dual_mul_f32 v39, v41, v60 :: v_dual_fmac_f32 v36, v6, v22
	v_add_f32_e32 v15, v15, v43
	v_and_b32_e32 v43, 0xffff0000, v5
	v_lshlrev_b32_e32 v5, 16, v5
	s_delay_alu instid0(VALU_DEP_4) | instskip(NEXT) | instid1(VALU_DEP_3)
	v_fmac_f32_e32 v39, v6, v26
	v_mul_f32_e32 v31, v43, v53
	s_delay_alu instid0(VALU_DEP_1) | instskip(NEXT) | instid1(VALU_DEP_1)
	v_fmac_f32_e32 v31, v5, v25
	v_add_f32_e32 v28, v28, v31
	s_delay_alu instid0(VALU_DEP_1) | instskip(NEXT) | instid1(VALU_DEP_1)
	v_dual_add_f32 v13, v28, v39 :: v_dual_mul_f32 v28, v43, v57
	v_fmac_f32_e32 v28, v5, v21
	s_delay_alu instid0(VALU_DEP_1) | instskip(SKIP_1) | instid1(VALU_DEP_2)
	v_add_f32_e32 v12, v12, v28
	v_mul_f32_e32 v28, v14, v79
	v_add_f32_e32 v12, v12, v36
	s_delay_alu instid0(VALU_DEP_2) | instskip(NEXT) | instid1(VALU_DEP_1)
	v_fmac_f32_e32 v28, v7, v23
	v_dual_add_f32 v95, v12, v28 :: v_dual_and_b32 v28, 0xffff0000, v1
	v_dual_fmac_f32 v37, v42, v19 :: v_dual_and_b32 v12, 0xffff0000, v0
	v_dual_mul_f32 v29, v14, v55 :: v_dual_lshlrev_b32 v0, 16, v0
	v_lshlrev_b32_e32 v1, 16, v1
	s_delay_alu instid0(VALU_DEP_3) | instskip(NEXT) | instid1(VALU_DEP_1)
	v_dual_add_f32 v96, v15, v37 :: v_dual_mul_f32 v15, v30, v62
	v_dual_mul_f32 v30, v30, v63 :: v_dual_fmac_f32 v15, v4, v16
	s_delay_alu instid0(VALU_DEP_1) | instskip(NEXT) | instid1(VALU_DEP_2)
	v_dual_fmac_f32 v30, v4, v8 :: v_dual_mul_f32 v31, v43, v58
	v_dual_mul_f32 v4, v43, v88 :: v_dual_add_f32 v15, v38, v15
	s_delay_alu instid0(VALU_DEP_2) | instskip(NEXT) | instid1(VALU_DEP_2)
	v_fmac_f32_e32 v31, v5, v17
	v_fmac_f32_e32 v4, v5, v9
	v_mul_f32_e32 v37, v41, v81
	v_mul_f32_e32 v5, v41, v48
	s_delay_alu instid0(VALU_DEP_4) | instskip(SKIP_1) | instid1(VALU_DEP_4)
	v_add_f32_e32 v15, v15, v31
	v_mul_f32_e32 v31, v14, v80
	v_fmac_f32_e32 v37, v6, v18
	s_delay_alu instid0(VALU_DEP_4) | instskip(SKIP_2) | instid1(VALU_DEP_1)
	v_fmac_f32_e32 v5, v6, v10
	v_mul_f32_e32 v6, v14, v47
	v_mul_f32_e32 v14, v12, v61
	v_dual_add_f32 v15, v15, v37 :: v_dual_fmac_f32 v14, v0, v20
	v_and_b32_e32 v20, 0xffff0000, v3
	s_delay_alu instid0(VALU_DEP_2) | instskip(SKIP_3) | instid1(VALU_DEP_3)
	v_dual_add_f32 v14, v34, v14 :: v_dual_lshlrev_b32 v3, 16, v3
	v_fmac_f32_e32 v31, v7, v19
	v_fmac_f32_e32 v29, v7, v27
	;; [unrolled: 1-line block ×3, first 2 shown]
	v_add_f32_e32 v93, v15, v31
	v_add_f32_e32 v15, v32, v30
	s_delay_alu instid0(VALU_DEP_1) | instskip(NEXT) | instid1(VALU_DEP_1)
	v_add_f32_e32 v4, v15, v4
	v_dual_add_f32 v4, v4, v5 :: v_dual_and_b32 v5, 0xffff0000, v2
	v_dual_add_f32 v97, v13, v29 :: v_dual_lshlrev_b32 v2, 16, v2
	v_mul_f32_e32 v13, v12, v56
	v_mul_f32_e32 v29, v28, v53
	s_delay_alu instid0(VALU_DEP_4) | instskip(NEXT) | instid1(VALU_DEP_3)
	v_dual_mul_f32 v15, v5, v60 :: v_dual_add_f32 v92, v4, v6
	v_fmac_f32_e32 v13, v0, v54
	s_delay_alu instid0(VALU_DEP_3) | instskip(NEXT) | instid1(VALU_DEP_3)
	v_fmac_f32_e32 v29, v1, v25
	v_fmac_f32_e32 v15, v2, v26
	v_mul_f32_e32 v25, v20, v55
	s_delay_alu instid0(VALU_DEP_4) | instskip(NEXT) | instid1(VALU_DEP_2)
	v_add_f32_e32 v13, v33, v13
	v_fmac_f32_e32 v25, v3, v27
	s_delay_alu instid0(VALU_DEP_2) | instskip(SKIP_1) | instid1(VALU_DEP_2)
	v_add_f32_e32 v7, v13, v29
	v_mul_f32_e32 v13, v28, v57
	v_add_f32_e32 v7, v7, v15
	s_delay_alu instid0(VALU_DEP_2) | instskip(SKIP_2) | instid1(VALU_DEP_4)
	v_fmac_f32_e32 v13, v1, v21
	v_mul_f32_e32 v21, v5, v35
	v_mul_f32_e32 v15, v28, v58
	v_add_f32_e32 v91, v7, v25
	s_delay_alu instid0(VALU_DEP_4) | instskip(NEXT) | instid1(VALU_DEP_4)
	v_dual_add_f32 v13, v14, v13 :: v_dual_mul_f32 v14, v12, v62
	v_dual_fmac_f32 v21, v2, v22 :: v_dual_mul_f32 v12, v12, v63
	s_delay_alu instid0(VALU_DEP_2) | instskip(NEXT) | instid1(VALU_DEP_2)
	v_fmac_f32_e32 v14, v0, v16
	v_dual_mul_f32 v16, v20, v79 :: v_dual_add_f32 v13, v13, v21
	s_delay_alu instid0(VALU_DEP_3) | instskip(SKIP_1) | instid1(VALU_DEP_4)
	v_fmac_f32_e32 v12, v0, v8
	v_mul_f32_e32 v0, v28, v88
	v_add_f32_e32 v8, v24, v14
	s_delay_alu instid0(VALU_DEP_4) | instskip(SKIP_2) | instid1(VALU_DEP_3)
	v_fmac_f32_e32 v16, v3, v23
	v_mul_f32_e32 v14, v5, v81
	v_add_f32_e32 v12, v50, v12
	v_add_f32_e32 v90, v13, v16
	v_fmac_f32_e32 v15, v1, v17
	v_fmac_f32_e32 v0, v1, v9
	v_dual_mul_f32 v1, v5, v48 :: v_dual_fmac_f32 v14, v2, v18
	s_delay_alu instid0(VALU_DEP_3) | instskip(SKIP_1) | instid1(VALU_DEP_3)
	v_add_f32_e32 v5, v8, v15
	v_mul_f32_e32 v8, v20, v80
	v_dual_add_f32 v0, v12, v0 :: v_dual_fmac_f32 v1, v2, v10
	s_delay_alu instid0(VALU_DEP_3) | instskip(NEXT) | instid1(VALU_DEP_3)
	v_dual_mul_f32 v2, v20, v47 :: v_dual_add_f32 v5, v5, v14
	v_fmac_f32_e32 v8, v3, v19
	s_delay_alu instid0(VALU_DEP_3) | instskip(NEXT) | instid1(VALU_DEP_2)
	v_add_f32_e32 v0, v0, v1
	v_dual_fmac_f32 v2, v3, v11 :: v_dual_add_f32 v89, v5, v8
	s_delay_alu instid0(VALU_DEP_1)
	v_add_f32_e32 v88, v0, v2
	s_cbranch_scc1 .LBB290_21
.LBB290_18:                             ;   Parent Loop BB290_14 Depth=1
                                        ; =>  This Inner Loop Header: Depth=2
	v_add_nc_u32_e32 v12, s25, v83
	v_dual_mov_b32 v76, 0 :: v_dual_mov_b32 v15, 0
	v_dual_mov_b32 v78, 0 :: v_dual_mov_b32 v13, 0
	s_delay_alu instid0(VALU_DEP_3) | instskip(SKIP_3) | instid1(VALU_DEP_4)
	v_min_u32_e32 v65, s14, v12
	v_add_nc_u32_e32 v108, 0x100, v12
	v_dual_mov_b32 v14, 0 :: v_dual_mov_b32 v31, 0
	v_dual_mov_b32 v30, 0 :: v_dual_mov_b32 v35, 0
	v_lshlrev_b64 v[0:1], 1, v[65:66]
	s_delay_alu instid0(VALU_DEP_4) | instskip(SKIP_2) | instid1(VALU_DEP_4)
	v_min_u32_e32 v65, s14, v108
	v_dual_mov_b32 v28, 0 :: v_dual_mov_b32 v33, 0
	v_dual_mov_b32 v34, 0 :: v_dual_mov_b32 v39, 0
	v_add_co_u32 v8, vcc_lo, s12, v0
	v_add_co_ci_u32_e32 v9, vcc_lo, s13, v1, vcc_lo
	v_lshlrev_b64 v[0:1], 1, v[65:66]
	s_delay_alu instid0(VALU_DEP_3) | instskip(NEXT) | instid1(VALU_DEP_3)
	v_add_co_u32 v2, vcc_lo, v8, v67
	v_add_co_ci_u32_e32 v3, vcc_lo, v9, v68, vcc_lo
	v_add_co_u32 v4, vcc_lo, v8, v69
	v_add_co_ci_u32_e32 v5, vcc_lo, v9, v70, vcc_lo
	;; [unrolled: 2-line block ×5, first 2 shown]
	s_clause 0x1
	global_load_b128 v[56:59], v[2:3], off slc dlc
	global_load_b128 v[52:55], v[4:5], off slc dlc
	v_add_co_u32 v2, vcc_lo, v10, v67
	v_add_co_ci_u32_e32 v3, vcc_lo, v11, v68, vcc_lo
	v_add_co_u32 v4, vcc_lo, v10, v69
	v_add_co_ci_u32_e32 v5, vcc_lo, v11, v70, vcc_lo
	;; [unrolled: 2-line block ×4, first 2 shown]
	s_clause 0x5
	global_load_b128 v[48:51], v[6:7], off slc dlc
	global_load_b128 v[40:43], v[0:1], off slc dlc
	;; [unrolled: 1-line block ×6, first 2 shown]
	v_mov_b32_e32 v3, 0
	v_cmp_gt_u32_e32 vcc_lo, s4, v12
	v_dual_mov_b32 v2, 0 :: v_dual_mov_b32 v7, 0
	v_dual_mov_b32 v1, 0 :: v_dual_mov_b32 v0, 0
	;; [unrolled: 1-line block ×13, first 2 shown]
	v_mov_b32_e32 v60, 0
	s_and_saveexec_b32 s26, vcc_lo
	s_cbranch_execz .LBB290_17
; %bb.19:                               ;   in Loop: Header=BB290_18 Depth=2
	v_dual_mov_b32 v28, 0 :: v_dual_add_nc_u32 v111, s6, v87
	v_dual_mov_b32 v30, 0 :: v_dual_add_nc_u32 v109, s23, v87
	;; [unrolled: 1-line block ×4, first 2 shown]
	ds_load_b128 v[44:47], v111
	ds_load_2addr_b32 v[81:82], v109 offset1:1
	ds_load_2addr_b32 v[79:80], v109 offset0:2 offset1:3
	ds_load_b128 v[36:39], v110
	ds_load_b128 v[60:63], v87
	ds_load_2addr_b64 v[32:35], v65 offset1:1
	v_cmp_gt_u32_e32 vcc_lo, s4, v108
	v_dual_mov_b32 v31, 0 :: v_dual_mov_b32 v14, 0
	v_dual_mov_b32 v13, 0 :: v_dual_mov_b32 v78, 0
	;; [unrolled: 1-line block ×7, first 2 shown]
	v_mov_b32_e32 v1, 0
	v_mov_b32_e32 v3, 0
	s_and_saveexec_b32 s27, vcc_lo
	s_cbranch_execz .LBB290_16
; %bb.20:                               ;   in Loop: Header=BB290_18 Depth=2
	ds_load_b128 v[12:15], v111 offset:512
	ds_load_2addr_b32 v[77:78], v109 offset0:128 offset1:129
	ds_load_2addr_b32 v[75:76], v109 offset0:130 offset1:131
	ds_load_b128 v[4:7], v110 offset:512
	ds_load_b128 v[28:31], v87 offset:512
	ds_load_2addr_b64 v[0:3], v65 offset0:64 offset1:65
	s_branch .LBB290_16
.LBB290_21:                             ;   in Loop: Header=BB290_14 Depth=1
	; sched_barrier mask(0x00000000)
	s_waitcnt lgkmcnt(16)
	v_cvt_i32_f32_e32 v1, v107
	v_cvt_i32_f32_e32 v2, v105
	v_cvt_i32_f32_e32 v0, v103
	s_waitcnt lgkmcnt(3)
	v_cvt_i32_f32_e32 v3, v104
	v_cvt_i32_f32_e32 v4, v106
	v_cvt_f32_i32_dpp v1, v1 row_shr:8 row_mask:0xf bank_mask:0xf bound_ctrl:1
	v_cvt_f32_i32_dpp v2, v2 row_shr:8 row_mask:0xf bank_mask:0xf bound_ctrl:1
	;; [unrolled: 1-line block ×5, first 2 shown]
	s_delay_alu instid0(VALU_DEP_4) | instskip(NEXT) | instid1(VALU_DEP_3)
	v_dual_add_f32 v1, v107, v1 :: v_dual_add_f32 v2, v105, v2
	v_dual_add_f32 v0, v103, v0 :: v_dual_add_f32 v3, v104, v3
	s_delay_alu instid0(VALU_DEP_2) | instskip(SKIP_1) | instid1(VALU_DEP_3)
	v_cvt_i32_f32_e32 v6, v1
	s_waitcnt lgkmcnt(1)
	v_cvt_i32_f32_e32 v7, v2
	s_waitcnt lgkmcnt(0)
	v_cvt_i32_f32_e32 v5, v0
	v_cvt_i32_f32_e32 v8, v3
	v_cvt_f32_i32_dpp v6, v6 row_shr:4 row_mask:0xf bank_mask:0xf bound_ctrl:1
	v_add_f32_e32 v4, v106, v4
	v_cvt_f32_i32_dpp v7, v7 row_shr:4 row_mask:0xf bank_mask:0xf bound_ctrl:1
	v_cvt_f32_i32_dpp v5, v5 row_shr:4 row_mask:0xf bank_mask:0xf bound_ctrl:1
	;; [unrolled: 1-line block ×3, first 2 shown]
	v_add_f32_e32 v1, v1, v6
	v_cvt_i32_f32_e32 v9, v4
	s_delay_alu instid0(VALU_DEP_3) | instskip(NEXT) | instid1(VALU_DEP_3)
	v_dual_add_f32 v0, v0, v5 :: v_dual_add_f32 v3, v3, v8
	v_cvt_i32_f32_e32 v6, v1
	s_delay_alu instid0(VALU_DEP_3) | instskip(NEXT) | instid1(VALU_DEP_3)
	v_cvt_f32_i32_dpp v9, v9 row_shr:4 row_mask:0xf bank_mask:0xf bound_ctrl:1
	v_cvt_i32_f32_e32 v5, v0
	s_delay_alu instid0(VALU_DEP_4) | instskip(NEXT) | instid1(VALU_DEP_4)
	v_cvt_i32_f32_e32 v8, v3
	v_cvt_f32_i32_dpp v6, v6 row_shr:2 row_mask:0xf bank_mask:0xf bound_ctrl:1
	v_add_f32_e32 v2, v2, v7
	s_delay_alu instid0(VALU_DEP_4) | instskip(NEXT) | instid1(VALU_DEP_4)
	v_cvt_f32_i32_dpp v5, v5 row_shr:2 row_mask:0xf bank_mask:0xf bound_ctrl:1
	v_cvt_f32_i32_dpp v8, v8 row_shr:2 row_mask:0xf bank_mask:0xf bound_ctrl:1
	s_delay_alu instid0(VALU_DEP_4) | instskip(NEXT) | instid1(VALU_DEP_4)
	v_add_f32_e32 v1, v1, v6
	v_cvt_i32_f32_e32 v7, v2
	s_delay_alu instid0(VALU_DEP_3) | instskip(NEXT) | instid1(VALU_DEP_3)
	v_dual_add_f32 v4, v4, v9 :: v_dual_add_f32 v3, v3, v8
	v_cvt_i32_f32_e32 v6, v1
	s_delay_alu instid0(VALU_DEP_3) | instskip(NEXT) | instid1(VALU_DEP_3)
	v_cvt_f32_i32_dpp v7, v7 row_shr:2 row_mask:0xf bank_mask:0xf bound_ctrl:1
	v_cvt_i32_f32_e32 v9, v4
	s_delay_alu instid0(VALU_DEP_4) | instskip(NEXT) | instid1(VALU_DEP_4)
	v_cvt_i32_f32_e32 v8, v3
	v_cvt_f32_i32_dpp v6, v6 row_shr:1 row_mask:0xf bank_mask:0xf bound_ctrl:1
	s_delay_alu instid0(VALU_DEP_4) | instskip(NEXT) | instid1(VALU_DEP_4)
	v_add_f32_e32 v2, v2, v7
	v_cvt_f32_i32_dpp v9, v9 row_shr:2 row_mask:0xf bank_mask:0xf bound_ctrl:1
	s_delay_alu instid0(VALU_DEP_4) | instskip(NEXT) | instid1(VALU_DEP_3)
	v_cvt_f32_i32_dpp v8, v8 row_shr:1 row_mask:0xf bank_mask:0xf bound_ctrl:1
	v_cvt_i32_f32_e32 v7, v2
	s_delay_alu instid0(VALU_DEP_2) | instskip(SKIP_1) | instid1(VALU_DEP_3)
	v_dual_add_f32 v4, v4, v9 :: v_dual_add_f32 v35, v3, v8
	v_cvt_i32_f32_e32 v3, v98
	v_cvt_f32_i32_dpp v7, v7 row_shr:1 row_mask:0xf bank_mask:0xf bound_ctrl:1
	v_add_f32_e32 v0, v0, v5
	s_delay_alu instid0(VALU_DEP_4)
	v_cvt_i32_f32_e32 v9, v4
	ds_bpermute_b32 v36, v85, v35
	v_cvt_f32_i32_dpp v3, v3 row_shr:8 row_mask:0xf bank_mask:0xf bound_ctrl:1
	v_add_f32_e32 v39, v2, v7
	v_cvt_i32_f32_e32 v5, v0
	v_cvt_i32_f32_e32 v2, v101
	v_cvt_f32_i32_dpp v9, v9 row_shr:1 row_mask:0xf bank_mask:0xf bound_ctrl:1
	v_add_f32_e32 v3, v98, v3
	ds_bpermute_b32 v41, v85, v39
	v_cvt_f32_i32_dpp v5, v5 row_shr:1 row_mask:0xf bank_mask:0xf bound_ctrl:1
	v_cvt_f32_i32_dpp v2, v2 row_shr:8 row_mask:0xf bank_mask:0xf bound_ctrl:1
	v_cvt_i32_f32_e32 v8, v3
	s_delay_alu instid0(VALU_DEP_3)
	v_add_f32_e32 v43, v0, v5
	v_cvt_i32_f32_e32 v5, v100
	v_add_f32_e32 v0, v1, v6
	v_cvt_i32_f32_e32 v6, v102
	v_cvt_f32_i32_dpp v8, v8 row_shr:4 row_mask:0xf bank_mask:0xf bound_ctrl:1
	v_add_f32_e32 v30, v4, v9
	v_cvt_f32_i32_dpp v5, v5 row_shr:8 row_mask:0xf bank_mask:0xf bound_ctrl:1
	v_add_f32_e32 v2, v101, v2
	v_cvt_i32_f32_e32 v4, v99
	v_cvt_f32_i32_dpp v6, v6 row_shr:8 row_mask:0xf bank_mask:0xf bound_ctrl:1
	ds_bpermute_b32 v44, v85, v43
	v_add_f32_e32 v5, v100, v5
	v_cvt_i32_f32_e32 v7, v2
	v_cvt_f32_i32_dpp v4, v4 row_shr:8 row_mask:0xf bank_mask:0xf bound_ctrl:1
	v_add_f32_e32 v3, v3, v8
	ds_bpermute_b32 v1, v85, v0
	v_cvt_i32_f32_e32 v10, v5
	v_cvt_f32_i32_dpp v7, v7 row_shr:4 row_mask:0xf bank_mask:0xf bound_ctrl:1
	ds_bpermute_b32 v31, v85, v30
	v_cvt_i32_f32_e32 v8, v3
	v_cvt_f32_i32_dpp v10, v10 row_shr:4 row_mask:0xf bank_mask:0xf bound_ctrl:1
	v_add_f32_e32 v4, v99, v4
	s_delay_alu instid0(VALU_DEP_3) | instskip(SKIP_1) | instid1(VALU_DEP_4)
	v_cvt_f32_i32_dpp v8, v8 row_shr:2 row_mask:0xf bank_mask:0xf bound_ctrl:1
	v_add_f32_e32 v6, v102, v6
	v_add_f32_e32 v5, v5, v10
	s_delay_alu instid0(VALU_DEP_4) | instskip(NEXT) | instid1(VALU_DEP_4)
	v_cvt_i32_f32_e32 v9, v4
	v_add_f32_e32 v3, v3, v8
	s_delay_alu instid0(VALU_DEP_4) | instskip(NEXT) | instid1(VALU_DEP_4)
	v_cvt_i32_f32_e32 v11, v6
	v_cvt_i32_f32_e32 v10, v5
	s_delay_alu instid0(VALU_DEP_4) | instskip(NEXT) | instid1(VALU_DEP_4)
	v_cvt_f32_i32_dpp v9, v9 row_shr:4 row_mask:0xf bank_mask:0xf bound_ctrl:1
	v_cvt_i32_f32_e32 v8, v3
	s_delay_alu instid0(VALU_DEP_4) | instskip(NEXT) | instid1(VALU_DEP_4)
	v_cvt_f32_i32_dpp v11, v11 row_shr:4 row_mask:0xf bank_mask:0xf bound_ctrl:1
	v_cvt_f32_i32_dpp v10, v10 row_shr:2 row_mask:0xf bank_mask:0xf bound_ctrl:1
	v_add_f32_e32 v2, v2, v7
	s_delay_alu instid0(VALU_DEP_4) | instskip(NEXT) | instid1(VALU_DEP_3)
	v_cvt_f32_i32_dpp v8, v8 row_shr:1 row_mask:0xf bank_mask:0xf bound_ctrl:1
	v_add_f32_e32 v5, v5, v10
	s_delay_alu instid0(VALU_DEP_3) | instskip(NEXT) | instid1(VALU_DEP_2)
	v_cvt_i32_f32_e32 v7, v2
	v_cvt_i32_f32_e32 v10, v5
	s_delay_alu instid0(VALU_DEP_2) | instskip(NEXT) | instid1(VALU_DEP_2)
	v_cvt_f32_i32_dpp v7, v7 row_shr:2 row_mask:0xf bank_mask:0xf bound_ctrl:1
	v_cvt_f32_i32_dpp v10, v10 row_shr:1 row_mask:0xf bank_mask:0xf bound_ctrl:1
	s_delay_alu instid0(VALU_DEP_1) | instskip(SKIP_1) | instid1(VALU_DEP_1)
	v_add_f32_e32 v22, v5, v10
	v_cvt_i32_f32_e32 v5, v95
	v_cvt_f32_i32_dpp v5, v5 row_shr:8 row_mask:0xf bank_mask:0xf bound_ctrl:1
	s_delay_alu instid0(VALU_DEP_1) | instskip(NEXT) | instid1(VALU_DEP_1)
	v_dual_add_f32 v2, v2, v7 :: v_dual_add_f32 v5, v95, v5
	v_cvt_i32_f32_e32 v7, v2
	s_delay_alu instid0(VALU_DEP_2) | instskip(NEXT) | instid1(VALU_DEP_2)
	v_cvt_i32_f32_e32 v10, v5
	v_cvt_f32_i32_dpp v7, v7 row_shr:1 row_mask:0xf bank_mask:0xf bound_ctrl:1
	v_add_f32_e32 v4, v4, v9
	s_delay_alu instid0(VALU_DEP_3) | instskip(NEXT) | instid1(VALU_DEP_3)
	v_cvt_f32_i32_dpp v10, v10 row_shr:4 row_mask:0xf bank_mask:0xf bound_ctrl:1
	v_add_f32_e32 v37, v2, v7
	s_delay_alu instid0(VALU_DEP_3)
	v_cvt_i32_f32_e32 v9, v4
	v_add_f32_e32 v32, v3, v8
	v_cvt_i32_f32_e32 v3, v94
	v_add_f32_e32 v5, v5, v10
	v_cvt_i32_f32_e32 v2, v96
	v_cvt_f32_i32_dpp v9, v9 row_shr:2 row_mask:0xf bank_mask:0xf bound_ctrl:1
	ds_bpermute_b32 v38, v85, v37
	v_cvt_f32_i32_dpp v3, v3 row_shr:8 row_mask:0xf bank_mask:0xf bound_ctrl:1
	v_cvt_i32_f32_e32 v10, v5
	v_cvt_f32_i32_dpp v2, v2 row_shr:8 row_mask:0xf bank_mask:0xf bound_ctrl:1
	v_add_f32_e32 v4, v4, v9
	ds_bpermute_b32 v33, v85, v32
	v_add_f32_e32 v3, v94, v3
	v_cvt_f32_i32_dpp v10, v10 row_shr:2 row_mask:0xf bank_mask:0xf bound_ctrl:1
	v_cvt_i32_f32_e32 v9, v4
	s_delay_alu instid0(VALU_DEP_3) | instskip(NEXT) | instid1(VALU_DEP_3)
	v_cvt_i32_f32_e32 v8, v3
	v_add_f32_e32 v5, v5, v10
	s_delay_alu instid0(VALU_DEP_3) | instskip(SKIP_1) | instid1(VALU_DEP_4)
	v_cvt_f32_i32_dpp v9, v9 row_shr:1 row_mask:0xf bank_mask:0xf bound_ctrl:1
	v_add_f32_e32 v6, v6, v11
	v_cvt_f32_i32_dpp v8, v8 row_shr:4 row_mask:0xf bank_mask:0xf bound_ctrl:1
	s_delay_alu instid0(VALU_DEP_4) | instskip(NEXT) | instid1(VALU_DEP_4)
	v_cvt_i32_f32_e32 v10, v5
	v_add_f32_e32 v27, v4, v9
	s_delay_alu instid0(VALU_DEP_4) | instskip(NEXT) | instid1(VALU_DEP_4)
	v_cvt_i32_f32_e32 v11, v6
	v_add_f32_e32 v3, v3, v8
	v_cvt_i32_f32_e32 v4, v97
	v_cvt_f32_i32_dpp v10, v10 row_shr:1 row_mask:0xf bank_mask:0xf bound_ctrl:1
	ds_bpermute_b32 v28, v85, v27
	v_cvt_f32_i32_dpp v11, v11 row_shr:2 row_mask:0xf bank_mask:0xf bound_ctrl:1
	v_cvt_i32_f32_e32 v8, v3
	v_cvt_f32_i32_dpp v4, v4 row_shr:8 row_mask:0xf bank_mask:0xf bound_ctrl:1
	v_add_f32_e32 v12, v5, v10
	v_cvt_i32_f32_e32 v5, v89
	v_add_f32_e32 v6, v6, v11
	v_cvt_f32_i32_dpp v8, v8 row_shr:2 row_mask:0xf bank_mask:0xf bound_ctrl:1
	ds_bpermute_b32 v13, v85, v12
	v_cvt_f32_i32_dpp v5, v5 row_shr:8 row_mask:0xf bank_mask:0xf bound_ctrl:1
	v_cvt_i32_f32_e32 v11, v6
	v_add_f32_e32 v3, v3, v8
	ds_bpermute_b32 v23, v85, v22
	v_add_f32_e32 v5, v89, v5
	v_cvt_f32_i32_dpp v11, v11 row_shr:1 row_mask:0xf bank_mask:0xf bound_ctrl:1
	v_cvt_i32_f32_e32 v8, v3
	s_delay_alu instid0(VALU_DEP_3) | instskip(NEXT) | instid1(VALU_DEP_3)
	v_cvt_i32_f32_e32 v14, v5
	v_add_f32_e32 v18, v6, v11
	s_delay_alu instid0(VALU_DEP_3) | instskip(SKIP_1) | instid1(VALU_DEP_4)
	v_cvt_f32_i32_dpp v8, v8 row_shr:1 row_mask:0xf bank_mask:0xf bound_ctrl:1
	v_cvt_i32_f32_e32 v6, v93
	v_cvt_f32_i32_dpp v14, v14 row_shr:4 row_mask:0xf bank_mask:0xf bound_ctrl:1
	ds_bpermute_b32 v19, v85, v18
	v_add_f32_e32 v20, v3, v8
	v_cvt_i32_f32_e32 v3, v91
	v_cvt_f32_i32_dpp v6, v6 row_shr:8 row_mask:0xf bank_mask:0xf bound_ctrl:1
	v_add_f32_e32 v5, v5, v14
	ds_bpermute_b32 v21, v85, v20
	v_cvt_f32_i32_dpp v3, v3 row_shr:8 row_mask:0xf bank_mask:0xf bound_ctrl:1
	v_add_f32_e32 v2, v96, v2
	v_add_f32_e32 v6, v93, v6
	v_cvt_i32_f32_e32 v14, v5
	s_delay_alu instid0(VALU_DEP_4) | instskip(NEXT) | instid1(VALU_DEP_4)
	v_add_f32_e32 v3, v91, v3
	v_cvt_i32_f32_e32 v7, v2
	s_delay_alu instid0(VALU_DEP_4) | instskip(NEXT) | instid1(VALU_DEP_4)
	v_cvt_i32_f32_e32 v11, v6
	v_cvt_f32_i32_dpp v14, v14 row_shr:2 row_mask:0xf bank_mask:0xf bound_ctrl:1
	s_delay_alu instid0(VALU_DEP_4) | instskip(NEXT) | instid1(VALU_DEP_4)
	v_cvt_i32_f32_e32 v10, v3
	v_cvt_f32_i32_dpp v7, v7 row_shr:4 row_mask:0xf bank_mask:0xf bound_ctrl:1
	s_delay_alu instid0(VALU_DEP_4) | instskip(NEXT) | instid1(VALU_DEP_4)
	v_cvt_f32_i32_dpp v11, v11 row_shr:4 row_mask:0xf bank_mask:0xf bound_ctrl:1
	v_add_f32_e32 v5, v5, v14
	s_delay_alu instid0(VALU_DEP_4) | instskip(SKIP_2) | instid1(VALU_DEP_4)
	v_cvt_f32_i32_dpp v10, v10 row_shr:4 row_mask:0xf bank_mask:0xf bound_ctrl:1
	v_add_f32_e32 v4, v97, v4
	v_add_f32_e32 v2, v2, v7
	v_cvt_i32_f32_e32 v14, v5
	s_delay_alu instid0(VALU_DEP_4) | instskip(NEXT) | instid1(VALU_DEP_4)
	v_add_f32_e32 v3, v3, v10
	v_cvt_i32_f32_e32 v9, v4
	s_delay_alu instid0(VALU_DEP_4) | instskip(NEXT) | instid1(VALU_DEP_4)
	v_cvt_i32_f32_e32 v7, v2
	v_cvt_f32_i32_dpp v26, v14 row_shr:1 row_mask:0xf bank_mask:0xf bound_ctrl:1
	s_delay_alu instid0(VALU_DEP_4) | instskip(NEXT) | instid1(VALU_DEP_4)
	v_cvt_i32_f32_e32 v10, v3
	v_cvt_f32_i32_dpp v9, v9 row_shr:4 row_mask:0xf bank_mask:0xf bound_ctrl:1
	s_delay_alu instid0(VALU_DEP_4) | instskip(NEXT) | instid1(VALU_DEP_3)
	v_cvt_f32_i32_dpp v7, v7 row_shr:2 row_mask:0xf bank_mask:0xf bound_ctrl:1
	v_cvt_f32_i32_dpp v10, v10 row_shr:2 row_mask:0xf bank_mask:0xf bound_ctrl:1
	v_add_f32_e32 v6, v6, v11
	s_delay_alu instid0(VALU_DEP_4) | instskip(NEXT) | instid1(VALU_DEP_3)
	v_add_f32_e32 v4, v4, v9
	v_dual_add_f32 v2, v2, v7 :: v_dual_add_f32 v3, v3, v10
	s_delay_alu instid0(VALU_DEP_3) | instskip(NEXT) | instid1(VALU_DEP_3)
	v_cvt_i32_f32_e32 v11, v6
	v_cvt_i32_f32_e32 v9, v4
	s_delay_alu instid0(VALU_DEP_3) | instskip(NEXT) | instid1(VALU_DEP_4)
	v_cvt_i32_f32_e32 v7, v2
	v_cvt_i32_f32_e32 v10, v3
	s_delay_alu instid0(VALU_DEP_4) | instskip(NEXT) | instid1(VALU_DEP_4)
	v_cvt_f32_i32_dpp v11, v11 row_shr:2 row_mask:0xf bank_mask:0xf bound_ctrl:1
	v_cvt_f32_i32_dpp v9, v9 row_shr:2 row_mask:0xf bank_mask:0xf bound_ctrl:1
	s_delay_alu instid0(VALU_DEP_4) | instskip(NEXT) | instid1(VALU_DEP_4)
	v_cvt_f32_i32_dpp v7, v7 row_shr:1 row_mask:0xf bank_mask:0xf bound_ctrl:1
	v_cvt_f32_i32_dpp v10, v10 row_shr:1 row_mask:0xf bank_mask:0xf bound_ctrl:1
	s_delay_alu instid0(VALU_DEP_4) | instskip(NEXT) | instid1(VALU_DEP_3)
	v_add_f32_e32 v6, v6, v11
	v_add_f32_e32 v24, v2, v7
	v_cvt_i32_f32_e32 v2, v92
	s_delay_alu instid0(VALU_DEP_4) | instskip(NEXT) | instid1(VALU_DEP_4)
	v_add_f32_e32 v10, v3, v10
	v_cvt_i32_f32_e32 v11, v6
	ds_bpermute_b32 v25, v85, v24
	v_cvt_f32_i32_dpp v2, v2 row_shr:8 row_mask:0xf bank_mask:0xf bound_ctrl:1
	v_cvt_f32_i32_dpp v11, v11 row_shr:1 row_mask:0xf bank_mask:0xf bound_ctrl:1
	s_delay_alu instid0(VALU_DEP_2) | instskip(NEXT) | instid1(VALU_DEP_2)
	v_add_f32_e32 v2, v92, v2
	v_add_f32_e32 v8, v6, v11
	v_cvt_i32_f32_e32 v6, v88
	s_delay_alu instid0(VALU_DEP_3) | instskip(NEXT) | instid1(VALU_DEP_2)
	v_cvt_i32_f32_e32 v7, v2
	v_cvt_f32_i32_dpp v6, v6 row_shr:8 row_mask:0xf bank_mask:0xf bound_ctrl:1
	s_delay_alu instid0(VALU_DEP_2) | instskip(NEXT) | instid1(VALU_DEP_2)
	v_cvt_f32_i32_dpp v7, v7 row_shr:4 row_mask:0xf bank_mask:0xf bound_ctrl:1
	v_add_f32_e32 v6, v88, v6
	s_delay_alu instid0(VALU_DEP_2) | instskip(NEXT) | instid1(VALU_DEP_2)
	v_add_f32_e32 v2, v2, v7
	v_cvt_i32_f32_e32 v15, v6
	s_delay_alu instid0(VALU_DEP_2) | instskip(NEXT) | instid1(VALU_DEP_2)
	v_cvt_i32_f32_e32 v7, v2
	v_cvt_f32_i32_dpp v15, v15 row_shr:4 row_mask:0xf bank_mask:0xf bound_ctrl:1
	s_delay_alu instid0(VALU_DEP_2) | instskip(NEXT) | instid1(VALU_DEP_2)
	v_cvt_f32_i32_dpp v7, v7 row_shr:2 row_mask:0xf bank_mask:0xf bound_ctrl:1
	v_add_f32_e32 v6, v6, v15
	s_delay_alu instid0(VALU_DEP_2) | instskip(NEXT) | instid1(VALU_DEP_2)
	v_add_f32_e32 v2, v2, v7
	v_cvt_i32_f32_e32 v15, v6
	s_delay_alu instid0(VALU_DEP_1) | instskip(NEXT) | instid1(VALU_DEP_1)
	v_cvt_f32_i32_dpp v15, v15 row_shr:2 row_mask:0xf bank_mask:0xf bound_ctrl:1
	v_dual_add_f32 v4, v4, v9 :: v_dual_add_f32 v7, v6, v15
	s_delay_alu instid0(VALU_DEP_1) | instskip(SKIP_1) | instid1(VALU_DEP_3)
	v_cvt_i32_f32_e32 v9, v4
	v_cvt_i32_f32_e32 v6, v2
	;; [unrolled: 1-line block ×3, first 2 shown]
	s_delay_alu instid0(VALU_DEP_3) | instskip(NEXT) | instid1(VALU_DEP_3)
	v_cvt_f32_i32_dpp v9, v9 row_shr:1 row_mask:0xf bank_mask:0xf bound_ctrl:1
	v_cvt_f32_i32_dpp v6, v6 row_shr:1 row_mask:0xf bank_mask:0xf bound_ctrl:1
	s_delay_alu instid0(VALU_DEP_3) | instskip(NEXT) | instid1(VALU_DEP_3)
	v_cvt_f32_i32_dpp v15, v15 row_shr:1 row_mask:0xf bank_mask:0xf bound_ctrl:1
	v_add_f32_e32 v16, v4, v9
	v_cvt_i32_f32_e32 v4, v90
	s_delay_alu instid0(VALU_DEP_4)
	v_add_f32_e32 v14, v2, v6
	ds_bpermute_b32 v9, v85, v8
	v_add_f32_e32 v2, v7, v15
	ds_bpermute_b32 v17, v85, v16
	v_cvt_f32_i32_dpp v4, v4 row_shr:8 row_mask:0xf bank_mask:0xf bound_ctrl:1
	ds_bpermute_b32 v15, v85, v14
	ds_bpermute_b32 v3, v85, v2
	v_add_f32_e32 v4, v90, v4
	s_delay_alu instid0(VALU_DEP_1) | instskip(NEXT) | instid1(VALU_DEP_1)
	v_cvt_i32_f32_e32 v11, v4
	v_cvt_f32_i32_dpp v11, v11 row_shr:4 row_mask:0xf bank_mask:0xf bound_ctrl:1
	s_delay_alu instid0(VALU_DEP_1) | instskip(NEXT) | instid1(VALU_DEP_1)
	v_add_f32_e32 v4, v4, v11
	v_cvt_i32_f32_e32 v11, v4
	s_delay_alu instid0(VALU_DEP_1) | instskip(NEXT) | instid1(VALU_DEP_1)
	v_cvt_f32_i32_dpp v11, v11 row_shr:2 row_mask:0xf bank_mask:0xf bound_ctrl:1
	v_add_f32_e32 v4, v4, v11
	s_delay_alu instid0(VALU_DEP_1) | instskip(NEXT) | instid1(VALU_DEP_1)
	v_cvt_i32_f32_e32 v11, v4
	v_cvt_f32_i32_dpp v11, v11 row_shr:1 row_mask:0xf bank_mask:0xf bound_ctrl:1
	s_delay_alu instid0(VALU_DEP_1)
	v_add_f32_e32 v6, v4, v11
	v_add_f32_e32 v4, v5, v26
	ds_bpermute_b32 v11, v85, v10
	ds_bpermute_b32 v7, v85, v6
	;; [unrolled: 1-line block ×3, first 2 shown]
	s_and_saveexec_b32 s25, s0
	s_cbranch_execz .LBB290_13
; %bb.22:                               ;   in Loop: Header=BB290_14 Depth=1
	v_dual_mov_b32 v59, 0 :: v_dual_mov_b32 v58, 0
	v_dual_mov_b32 v57, 0 :: v_dual_mov_b32 v56, 0
	;; [unrolled: 1-line block ×9, first 2 shown]
	v_mov_b32_e32 v34, 0
	v_mov_b32_e32 v26, 0
	s_and_not1_b32 vcc_lo, exec_lo, s18
	s_cbranch_vccnz .LBB290_24
; %bb.23:                               ;   in Loop: Header=BB290_14 Depth=1
	v_mul_hi_u32 v26, v64, v86
	v_or_b32_e32 v29, 1, v64
	v_or_b32_e32 v34, 2, v64
	;; [unrolled: 1-line block ×3, first 2 shown]
	v_mov_b32_e32 v60, v66
	v_mov_b32_e32 v62, v66
	v_mul_hi_u32 v42, v29, v86
	v_mul_hi_u32 v45, v34, v86
	v_mul_lo_u32 v26, v26, s2
	v_mul_hi_u32 v46, v40, v86
	v_mov_b32_e32 v78, v66
	v_mov_b32_e32 v63, v66
	v_mul_lo_u32 v42, v42, s2
	v_mul_lo_u32 v45, v45, s2
	v_sub_nc_u32_e32 v26, v64, v26
	v_mul_lo_u32 v47, v46, s2
	s_delay_alu instid0(VALU_DEP_2) | instskip(SKIP_4) | instid1(VALU_DEP_4)
	v_subrev_nc_u32_e32 v49, s2, v26
	v_sub_nc_u32_e32 v29, v29, v42
	v_cmp_le_u32_e32 vcc_lo, s2, v26
	v_sub_nc_u32_e32 v34, v34, v45
	v_sub_nc_u32_e32 v40, v40, v47
	v_subrev_nc_u32_e32 v42, s2, v29
	v_cndmask_b32_e32 v26, v26, v49, vcc_lo
	v_cmp_le_u32_e32 vcc_lo, s2, v29
	v_mov_b32_e32 v46, v66
	v_subrev_nc_u32_e32 v45, s2, v34
	v_subrev_nc_u32_e32 v47, s2, v40
	;; [unrolled: 1-line block ×3, first 2 shown]
	v_cndmask_b32_e32 v29, v29, v42, vcc_lo
	v_cmp_le_u32_e32 vcc_lo, s2, v34
	s_delay_alu instid0(VALU_DEP_2)
	v_subrev_nc_u32_e32 v42, s2, v29
	v_cndmask_b32_e32 v34, v34, v45, vcc_lo
	v_cmp_le_u32_e32 vcc_lo, s2, v40
	v_cndmask_b32_e32 v40, v40, v47, vcc_lo
	v_cmp_le_u32_e32 vcc_lo, s2, v26
	v_cndmask_b32_e32 v65, v26, v49, vcc_lo
	v_cmp_le_u32_e32 vcc_lo, s2, v29
	v_mov_b32_e32 v48, v66
	v_subrev_nc_u32_e32 v26, s2, v34
	v_subrev_nc_u32_e32 v49, s2, v40
	v_lshlrev_b64 v[51:52], 1, v[65:66]
	v_cndmask_b32_e32 v45, v29, v42, vcc_lo
	v_cmp_le_u32_e32 vcc_lo, s2, v34
	v_add_nc_u32_e32 v59, s19, v65
	s_delay_alu instid0(VALU_DEP_3) | instskip(SKIP_4) | instid1(VALU_DEP_4)
	v_lshlrev_b64 v[53:54], 1, v[45:46]
	v_cndmask_b32_e32 v47, v34, v26, vcc_lo
	v_cmp_le_u32_e32 vcc_lo, s2, v40
	v_dual_mov_b32 v50, v66 :: v_dual_add_nc_u32 v61, s19, v45
	v_lshlrev_b64 v[59:60], 1, v[59:60]
	v_lshlrev_b64 v[55:56], 1, v[47:48]
	v_cndmask_b32_e32 v49, v40, v49, vcc_lo
	v_add_co_u32 v51, vcc_lo, s8, v51
	v_add_co_ci_u32_e32 v52, vcc_lo, s9, v52, vcc_lo
	v_add_co_u32 v53, vcc_lo, s8, v53
	s_delay_alu instid0(VALU_DEP_4) | instskip(SKIP_3) | instid1(VALU_DEP_4)
	v_lshlrev_b64 v[57:58], 1, v[49:50]
	v_add_co_ci_u32_e32 v54, vcc_lo, s9, v54, vcc_lo
	v_add_co_u32 v55, vcc_lo, s8, v55
	v_add_co_ci_u32_e32 v56, vcc_lo, s9, v56, vcc_lo
	v_add_co_u32 v67, vcc_lo, s8, v57
	v_add_co_ci_u32_e32 v68, vcc_lo, s9, v58, vcc_lo
	v_lshlrev_b64 v[57:58], 1, v[61:62]
	v_add_nc_u32_e32 v61, s19, v47
	v_add_co_u32 v69, vcc_lo, s8, v59
	v_add_co_ci_u32_e32 v70, vcc_lo, s9, v60, vcc_lo
	s_delay_alu instid0(VALU_DEP_3) | instskip(SKIP_3) | instid1(VALU_DEP_3)
	v_lshlrev_b64 v[59:60], 1, v[61:62]
	v_add_nc_u32_e32 v61, s19, v49
	v_add_co_u32 v71, vcc_lo, s8, v57
	v_add_co_ci_u32_e32 v72, vcc_lo, s9, v58, vcc_lo
	v_lshlrev_b64 v[57:58], 1, v[61:62]
	v_add_co_u32 v61, vcc_lo, s8, v59
	v_add_co_ci_u32_e32 v62, vcc_lo, s9, v60, vcc_lo
	v_dual_mov_b32 v60, v66 :: v_dual_add_nc_u32 v59, s20, v65
	v_add_nc_u32_e32 v77, s20, v45
	v_add_co_u32 v73, vcc_lo, s8, v57
	v_add_co_ci_u32_e32 v74, vcc_lo, s9, v58, vcc_lo
	s_delay_alu instid0(VALU_DEP_4)
	v_lshlrev_b64 v[75:76], 1, v[59:60]
	s_clause 0x7
	global_load_u16 v59, v[51:52], off
	global_load_u16 v58, v[53:54], off
	;; [unrolled: 1-line block ×8, first 2 shown]
	v_mov_b32_e32 v70, v66
	v_add_nc_u32_e32 v62, s20, v47
	v_lshlrev_b64 v[60:61], 1, v[77:78]
	v_dual_mov_b32 v72, v66 :: v_dual_add_nc_u32 v69, s20, v49
	v_add_co_u32 v67, vcc_lo, s8, v75
	s_delay_alu instid0(VALU_DEP_4)
	v_lshlrev_b64 v[62:63], 1, v[62:63]
	v_dual_mov_b32 v74, v66 :: v_dual_add_nc_u32 v71, s21, v65
	v_add_co_ci_u32_e32 v68, vcc_lo, s9, v76, vcc_lo
	v_add_co_u32 v60, vcc_lo, s8, v60
	v_lshlrev_b64 v[69:70], 1, v[69:70]
	v_dual_mov_b32 v76, v66 :: v_dual_add_nc_u32 v73, s21, v45
	v_add_co_ci_u32_e32 v61, vcc_lo, s9, v61, vcc_lo
	v_add_co_u32 v62, vcc_lo, s8, v62
	v_lshlrev_b64 v[71:72], 1, v[71:72]
	v_add_nc_u32_e32 v75, s21, v47
	v_add_co_ci_u32_e32 v63, vcc_lo, s9, v63, vcc_lo
	v_add_co_u32 v69, vcc_lo, s8, v69
	v_lshlrev_b64 v[73:74], 1, v[73:74]
	v_add_nc_u32_e32 v65, s24, v65
	v_add_nc_u32_e32 v77, s21, v49
	v_add_co_ci_u32_e32 v70, vcc_lo, s9, v70, vcc_lo
	v_add_co_u32 v71, vcc_lo, s8, v71
	v_lshlrev_b64 v[75:76], 1, v[75:76]
	v_add_co_ci_u32_e32 v72, vcc_lo, s9, v72, vcc_lo
	v_lshlrev_b64 v[79:80], 1, v[65:66]
	v_add_nc_u32_e32 v65, s24, v45
	v_add_co_u32 v73, vcc_lo, s8, v73
	v_lshlrev_b64 v[77:78], 1, v[77:78]
	v_add_co_ci_u32_e32 v74, vcc_lo, s9, v74, vcc_lo
	v_add_co_u32 v75, vcc_lo, s8, v75
	v_lshlrev_b64 v[45:46], 1, v[65:66]
	v_add_nc_u32_e32 v65, s24, v47
	v_add_co_ci_u32_e32 v76, vcc_lo, s9, v76, vcc_lo
	v_add_co_u32 v77, vcc_lo, s8, v77
	v_add_co_ci_u32_e32 v78, vcc_lo, s9, v78, vcc_lo
	v_add_co_u32 v79, vcc_lo, s8, v79
	v_lshlrev_b64 v[47:48], 1, v[65:66]
	v_add_nc_u32_e32 v65, s24, v49
	v_add_co_ci_u32_e32 v80, vcc_lo, s9, v80, vcc_lo
	v_add_co_u32 v81, vcc_lo, s8, v45
	v_add_co_ci_u32_e32 v82, vcc_lo, s9, v46, vcc_lo
	s_delay_alu instid0(VALU_DEP_4) | instskip(SKIP_2) | instid1(VALU_DEP_3)
	v_lshlrev_b64 v[45:46], 1, v[65:66]
	v_add_co_u32 v87, vcc_lo, s8, v47
	v_add_co_ci_u32_e32 v88, vcc_lo, s9, v48, vcc_lo
	v_add_co_u32 v89, vcc_lo, s8, v45
	s_delay_alu instid0(VALU_DEP_4)
	v_add_co_ci_u32_e32 v90, vcc_lo, s9, v46, vcc_lo
	s_clause 0xb
	global_load_u16 v53, v[67:68], off
	global_load_u16 v51, v[60:61], off
	global_load_u16 v49, v[62:63], off
	global_load_u16 v48, v[69:70], off
	global_load_u16 v47, v[71:72], off
	global_load_u16 v46, v[73:74], off
	global_load_u16 v45, v[75:76], off
	global_load_u16 v42, v[77:78], off
	global_load_u16 v40, v[79:80], off
	global_load_u16 v34, v[81:82], off
	global_load_u16 v29, v[87:88], off
	global_load_u16 v26, v[89:90], off
.LBB290_24:                             ;   in Loop: Header=BB290_14 Depth=1
	s_waitcnt vmcnt(19) lgkmcnt(17)
	v_dual_add_f32 v43, v43, v44 :: v_dual_lshlrev_b32 v44, 16, v59
	s_delay_alu instid0(VALU_DEP_1) | instskip(NEXT) | instid1(VALU_DEP_1)
	v_add_f32_e32 v44, v43, v44
	v_and_b32_e32 v43, 0x7f800000, v44
	s_delay_alu instid0(VALU_DEP_1) | instskip(SKIP_1) | instid1(SALU_CYCLE_1)
	v_cmp_ne_u32_e32 vcc_lo, 0x7f800000, v43
                                        ; implicit-def: $vgpr43
	s_and_saveexec_b32 s26, vcc_lo
	s_xor_b32 s26, exec_lo, s26
; %bb.25:                               ;   in Loop: Header=BB290_14 Depth=1
	v_bfe_u32 v43, v44, 16, 1
	s_delay_alu instid0(VALU_DEP_1)
	v_add3_u32 v43, v44, v43, 0x7fff
                                        ; implicit-def: $vgpr44
; %bb.26:                               ;   in Loop: Header=BB290_14 Depth=1
	s_and_not1_saveexec_b32 s26, s26
; %bb.27:                               ;   in Loop: Header=BB290_14 Depth=1
	v_and_b32_e32 v43, 0xffff, v44
	v_or_b32_e32 v59, 0x10000, v44
	s_delay_alu instid0(VALU_DEP_2) | instskip(NEXT) | instid1(VALU_DEP_2)
	v_cmp_eq_u32_e32 vcc_lo, 0, v43
	v_cndmask_b32_e32 v43, v59, v44, vcc_lo
; %bb.28:                               ;   in Loop: Header=BB290_14 Depth=1
	s_or_b32 exec_lo, exec_lo, s26
	s_waitcnt vmcnt(18) lgkmcnt(16)
	v_dual_add_f32 v0, v0, v1 :: v_dual_lshlrev_b32 v1, 16, v58
	v_mov_b32_e32 v65, v66
	s_mov_b32 s26, exec_lo
	s_delay_alu instid0(VALU_DEP_2) | instskip(NEXT) | instid1(VALU_DEP_2)
	v_add_f32_e32 v44, v0, v1
	v_lshlrev_b64 v[0:1], 1, v[64:65]
	s_delay_alu instid0(VALU_DEP_2) | instskip(NEXT) | instid1(VALU_DEP_2)
	v_and_b32_e32 v58, 0x7f800000, v44
	v_add_co_u32 v0, vcc_lo, s10, v0
	s_delay_alu instid0(VALU_DEP_3)
	v_add_co_ci_u32_e32 v1, vcc_lo, s11, v1, vcc_lo
	global_store_d16_hi_b16 v[0:1], v43, off
                                        ; implicit-def: $vgpr43
	v_cmpx_ne_u32_e32 0x7f800000, v58
	s_xor_b32 s26, exec_lo, s26
; %bb.29:                               ;   in Loop: Header=BB290_14 Depth=1
	v_bfe_u32 v43, v44, 16, 1
	s_delay_alu instid0(VALU_DEP_1)
	v_add3_u32 v43, v44, v43, 0x7fff
                                        ; implicit-def: $vgpr44
; %bb.30:                               ;   in Loop: Header=BB290_14 Depth=1
	s_and_not1_saveexec_b32 s26, s26
; %bb.31:                               ;   in Loop: Header=BB290_14 Depth=1
	v_and_b32_e32 v43, 0xffff, v44
	v_or_b32_e32 v58, 0x10000, v44
	s_delay_alu instid0(VALU_DEP_2) | instskip(NEXT) | instid1(VALU_DEP_2)
	v_cmp_eq_u32_e32 vcc_lo, 0, v43
	v_cndmask_b32_e32 v43, v58, v44, vcc_lo
; %bb.32:                               ;   in Loop: Header=BB290_14 Depth=1
	s_or_b32 exec_lo, exec_lo, s26
	v_add_f32_e32 v39, v39, v41
	s_waitcnt vmcnt(17)
	v_lshlrev_b32_e32 v41, 16, v57
	global_store_d16_hi_b16 v[0:1], v43, off offset:2
	v_add_f32_e32 v41, v39, v41
	s_delay_alu instid0(VALU_DEP_1) | instskip(NEXT) | instid1(VALU_DEP_1)
	v_and_b32_e32 v39, 0x7f800000, v41
	v_cmp_ne_u32_e32 vcc_lo, 0x7f800000, v39
                                        ; implicit-def: $vgpr39
	s_and_saveexec_b32 s26, vcc_lo
	s_delay_alu instid0(SALU_CYCLE_1)
	s_xor_b32 s26, exec_lo, s26
; %bb.33:                               ;   in Loop: Header=BB290_14 Depth=1
	v_bfe_u32 v39, v41, 16, 1
	s_delay_alu instid0(VALU_DEP_1)
	v_add3_u32 v39, v41, v39, 0x7fff
                                        ; implicit-def: $vgpr41
; %bb.34:                               ;   in Loop: Header=BB290_14 Depth=1
	s_and_not1_saveexec_b32 s26, s26
; %bb.35:                               ;   in Loop: Header=BB290_14 Depth=1
	v_and_b32_e32 v39, 0xffff, v41
	v_or_b32_e32 v43, 0x10000, v41
	s_delay_alu instid0(VALU_DEP_2) | instskip(NEXT) | instid1(VALU_DEP_2)
	v_cmp_eq_u32_e32 vcc_lo, 0, v39
	v_cndmask_b32_e32 v39, v43, v41, vcc_lo
; %bb.36:                               ;   in Loop: Header=BB290_14 Depth=1
	s_or_b32 exec_lo, exec_lo, s26
	v_add_f32_e32 v35, v35, v36
	s_waitcnt vmcnt(16)
	v_lshlrev_b32_e32 v36, 16, v56
	global_store_d16_hi_b16 v[0:1], v39, off offset:4
	v_add_f32_e32 v36, v35, v36
	s_delay_alu instid0(VALU_DEP_1) | instskip(NEXT) | instid1(VALU_DEP_1)
	v_and_b32_e32 v35, 0x7f800000, v36
	v_cmp_ne_u32_e32 vcc_lo, 0x7f800000, v35
                                        ; implicit-def: $vgpr35
	s_and_saveexec_b32 s26, vcc_lo
	s_delay_alu instid0(SALU_CYCLE_1)
	s_xor_b32 s26, exec_lo, s26
; %bb.37:                               ;   in Loop: Header=BB290_14 Depth=1
	v_bfe_u32 v35, v36, 16, 1
	s_delay_alu instid0(VALU_DEP_1)
	v_add3_u32 v35, v36, v35, 0x7fff
                                        ; implicit-def: $vgpr36
; %bb.38:                               ;   in Loop: Header=BB290_14 Depth=1
	s_and_not1_saveexec_b32 s26, s26
; %bb.39:                               ;   in Loop: Header=BB290_14 Depth=1
	v_and_b32_e32 v35, 0xffff, v36
	v_or_b32_e32 v39, 0x10000, v36
	s_delay_alu instid0(VALU_DEP_2) | instskip(NEXT) | instid1(VALU_DEP_2)
	v_cmp_eq_u32_e32 vcc_lo, 0, v35
	v_cndmask_b32_e32 v35, v39, v36, vcc_lo
; %bb.40:                               ;   in Loop: Header=BB290_14 Depth=1
	s_or_b32 exec_lo, exec_lo, s26
	s_waitcnt lgkmcnt(15)
	v_add_f32_e32 v30, v30, v31
	s_waitcnt vmcnt(15)
	v_lshlrev_b32_e32 v31, 16, v55
	s_mov_b32 s26, exec_lo
	global_store_d16_hi_b16 v[0:1], v35, off offset:6
                                        ; implicit-def: $vgpr0
	v_add_f32_e32 v30, v30, v31
	s_delay_alu instid0(VALU_DEP_1) | instskip(NEXT) | instid1(VALU_DEP_1)
	v_and_b32_e32 v31, 0x7f800000, v30
	v_cmpx_ne_u32_e32 0x7f800000, v31
	s_xor_b32 s26, exec_lo, s26
; %bb.41:                               ;   in Loop: Header=BB290_14 Depth=1
	v_bfe_u32 v0, v30, 16, 1
	s_delay_alu instid0(VALU_DEP_1)
	v_add3_u32 v0, v30, v0, 0x7fff
                                        ; implicit-def: $vgpr30
; %bb.42:                               ;   in Loop: Header=BB290_14 Depth=1
	s_and_not1_saveexec_b32 s26, s26
; %bb.43:                               ;   in Loop: Header=BB290_14 Depth=1
	v_and_b32_e32 v0, 0xffff, v30
	v_or_b32_e32 v1, 0x10000, v30
	s_delay_alu instid0(VALU_DEP_2) | instskip(NEXT) | instid1(VALU_DEP_2)
	v_cmp_eq_u32_e32 vcc_lo, 0, v0
	v_cndmask_b32_e32 v0, v1, v30, vcc_lo
; %bb.44:                               ;   in Loop: Header=BB290_14 Depth=1
	s_or_b32 exec_lo, exec_lo, s26
	s_waitcnt lgkmcnt(14)
	v_add_f32_e32 v1, v37, v38
	s_waitcnt vmcnt(14)
	v_lshlrev_b32_e32 v30, 16, v54
	v_add_nc_u32_e32 v65, s7, v64
	s_mov_b32 s26, exec_lo
	s_delay_alu instid0(VALU_DEP_2) | instskip(NEXT) | instid1(VALU_DEP_2)
	v_add_f32_e32 v1, v1, v30
	v_lshlrev_b64 v[30:31], 1, v[65:66]
	s_delay_alu instid0(VALU_DEP_2) | instskip(NEXT) | instid1(VALU_DEP_2)
	v_and_b32_e32 v35, 0x7f800000, v1
	v_add_co_u32 v30, vcc_lo, s10, v30
	s_delay_alu instid0(VALU_DEP_3)
	v_add_co_ci_u32_e32 v31, vcc_lo, s11, v31, vcc_lo
	global_store_d16_hi_b16 v[30:31], v0, off
                                        ; implicit-def: $vgpr0
	v_cmpx_ne_u32_e32 0x7f800000, v35
	s_xor_b32 s26, exec_lo, s26
; %bb.45:                               ;   in Loop: Header=BB290_14 Depth=1
	v_bfe_u32 v0, v1, 16, 1
	s_delay_alu instid0(VALU_DEP_1)
	v_add3_u32 v0, v1, v0, 0x7fff
                                        ; implicit-def: $vgpr1
; %bb.46:                               ;   in Loop: Header=BB290_14 Depth=1
	s_and_not1_saveexec_b32 s26, s26
; %bb.47:                               ;   in Loop: Header=BB290_14 Depth=1
	v_and_b32_e32 v0, 0xffff, v1
	v_or_b32_e32 v30, 0x10000, v1
	s_delay_alu instid0(VALU_DEP_2) | instskip(NEXT) | instid1(VALU_DEP_2)
	v_cmp_eq_u32_e32 vcc_lo, 0, v0
	v_cndmask_b32_e32 v0, v30, v1, vcc_lo
; %bb.48:                               ;   in Loop: Header=BB290_14 Depth=1
	s_or_b32 exec_lo, exec_lo, s26
	v_dual_mov_b32 v31, v66 :: v_dual_add_nc_u32 v30, 1, v65
	s_waitcnt vmcnt(13) lgkmcnt(13)
	v_dual_add_f32 v1, v32, v33 :: v_dual_lshlrev_b32 v32, 16, v52
	s_mov_b32 s26, exec_lo
	s_delay_alu instid0(VALU_DEP_2) | instskip(NEXT) | instid1(VALU_DEP_2)
	v_lshlrev_b64 v[30:31], 1, v[30:31]
	v_add_f32_e32 v1, v1, v32
	s_delay_alu instid0(VALU_DEP_2) | instskip(NEXT) | instid1(VALU_DEP_2)
	v_add_co_u32 v30, vcc_lo, s10, v30
	v_and_b32_e32 v32, 0x7f800000, v1
	s_delay_alu instid0(VALU_DEP_4)
	v_add_co_ci_u32_e32 v31, vcc_lo, s11, v31, vcc_lo
	global_store_d16_hi_b16 v[30:31], v0, off
                                        ; implicit-def: $vgpr0
	v_cmpx_ne_u32_e32 0x7f800000, v32
	s_xor_b32 s26, exec_lo, s26
; %bb.49:                               ;   in Loop: Header=BB290_14 Depth=1
	v_bfe_u32 v0, v1, 16, 1
	s_delay_alu instid0(VALU_DEP_1)
	v_add3_u32 v0, v1, v0, 0x7fff
                                        ; implicit-def: $vgpr1
; %bb.50:                               ;   in Loop: Header=BB290_14 Depth=1
	s_and_not1_saveexec_b32 s26, s26
; %bb.51:                               ;   in Loop: Header=BB290_14 Depth=1
	v_and_b32_e32 v0, 0xffff, v1
	v_or_b32_e32 v30, 0x10000, v1
	s_delay_alu instid0(VALU_DEP_2) | instskip(NEXT) | instid1(VALU_DEP_2)
	v_cmp_eq_u32_e32 vcc_lo, 0, v0
	v_cndmask_b32_e32 v0, v30, v1, vcc_lo
; %bb.52:                               ;   in Loop: Header=BB290_14 Depth=1
	s_or_b32 exec_lo, exec_lo, s26
	s_waitcnt vmcnt(12) lgkmcnt(12)
	v_dual_add_f32 v1, v27, v28 :: v_dual_lshlrev_b32 v30, 16, v50
	v_dual_mov_b32 v28, v66 :: v_dual_add_nc_u32 v27, 2, v65
	s_mov_b32 s26, exec_lo
	s_delay_alu instid0(VALU_DEP_2) | instskip(NEXT) | instid1(VALU_DEP_2)
	v_add_f32_e32 v1, v1, v30
	v_lshlrev_b64 v[27:28], 1, v[27:28]
	s_delay_alu instid0(VALU_DEP_2) | instskip(NEXT) | instid1(VALU_DEP_2)
	v_and_b32_e32 v30, 0x7f800000, v1
	v_add_co_u32 v27, vcc_lo, s10, v27
	s_delay_alu instid0(VALU_DEP_3)
	v_add_co_ci_u32_e32 v28, vcc_lo, s11, v28, vcc_lo
	global_store_d16_hi_b16 v[27:28], v0, off
                                        ; implicit-def: $vgpr0
	v_cmpx_ne_u32_e32 0x7f800000, v30
	s_xor_b32 s26, exec_lo, s26
; %bb.53:                               ;   in Loop: Header=BB290_14 Depth=1
	v_bfe_u32 v0, v1, 16, 1
	s_delay_alu instid0(VALU_DEP_1)
	v_add3_u32 v0, v1, v0, 0x7fff
                                        ; implicit-def: $vgpr1
; %bb.54:                               ;   in Loop: Header=BB290_14 Depth=1
	s_and_not1_saveexec_b32 s26, s26
; %bb.55:                               ;   in Loop: Header=BB290_14 Depth=1
	v_and_b32_e32 v0, 0xffff, v1
	v_or_b32_e32 v27, 0x10000, v1
	s_delay_alu instid0(VALU_DEP_2) | instskip(NEXT) | instid1(VALU_DEP_2)
	v_cmp_eq_u32_e32 vcc_lo, 0, v0
	v_cndmask_b32_e32 v0, v27, v1, vcc_lo
; %bb.56:                               ;   in Loop: Header=BB290_14 Depth=1
	s_or_b32 exec_lo, exec_lo, s26
	s_waitcnt lgkmcnt(10)
	v_dual_add_f32 v1, v22, v23 :: v_dual_add_nc_u32 v22, 3, v65
	v_mov_b32_e32 v23, v66
	s_waitcnt vmcnt(11)
	v_lshlrev_b32_e32 v27, 16, v53
	s_mov_b32 s26, exec_lo
	s_delay_alu instid0(VALU_DEP_2) | instskip(NEXT) | instid1(VALU_DEP_2)
	v_lshlrev_b64 v[22:23], 1, v[22:23]
	v_add_f32_e32 v1, v1, v27
	s_delay_alu instid0(VALU_DEP_1) | instskip(NEXT) | instid1(VALU_DEP_3)
	v_and_b32_e32 v27, 0x7f800000, v1
	v_add_co_u32 v22, vcc_lo, s10, v22
	s_delay_alu instid0(VALU_DEP_4)
	v_add_co_ci_u32_e32 v23, vcc_lo, s11, v23, vcc_lo
	global_store_d16_hi_b16 v[22:23], v0, off
                                        ; implicit-def: $vgpr22
	v_cmpx_ne_u32_e32 0x7f800000, v27
	s_xor_b32 s26, exec_lo, s26
; %bb.57:                               ;   in Loop: Header=BB290_14 Depth=1
	v_bfe_u32 v0, v1, 16, 1
	s_delay_alu instid0(VALU_DEP_1)
	v_add3_u32 v22, v1, v0, 0x7fff
                                        ; implicit-def: $vgpr1
; %bb.58:                               ;   in Loop: Header=BB290_14 Depth=1
	s_and_not1_saveexec_b32 s26, s26
; %bb.59:                               ;   in Loop: Header=BB290_14 Depth=1
	v_and_b32_e32 v0, 0xffff, v1
	v_or_b32_e32 v22, 0x10000, v1
	s_delay_alu instid0(VALU_DEP_2) | instskip(NEXT) | instid1(VALU_DEP_2)
	v_cmp_eq_u32_e32 vcc_lo, 0, v0
	v_cndmask_b32_e32 v22, v22, v1, vcc_lo
; %bb.60:                               ;   in Loop: Header=BB290_14 Depth=1
	s_or_b32 exec_lo, exec_lo, s26
	s_waitcnt lgkmcnt(9)
	v_dual_add_f32 v0, v18, v19 :: v_dual_add_nc_u32 v65, s7, v65
	s_waitcnt vmcnt(10)
	v_lshlrev_b32_e32 v1, 16, v51
	s_delay_alu instid0(VALU_DEP_1) | instskip(NEXT) | instid1(VALU_DEP_3)
	v_add_f32_e32 v18, v0, v1
	v_lshlrev_b64 v[0:1], 1, v[65:66]
	s_delay_alu instid0(VALU_DEP_2) | instskip(NEXT) | instid1(VALU_DEP_2)
	v_and_b32_e32 v19, 0x7f800000, v18
	v_add_co_u32 v0, vcc_lo, s10, v0
	s_delay_alu instid0(VALU_DEP_3) | instskip(NEXT) | instid1(VALU_DEP_3)
	v_add_co_ci_u32_e32 v1, vcc_lo, s11, v1, vcc_lo
	v_cmp_ne_u32_e32 vcc_lo, 0x7f800000, v19
                                        ; implicit-def: $vgpr19
	global_store_d16_hi_b16 v[0:1], v22, off
	s_and_saveexec_b32 s26, vcc_lo
	s_delay_alu instid0(SALU_CYCLE_1)
	s_xor_b32 s26, exec_lo, s26
; %bb.61:                               ;   in Loop: Header=BB290_14 Depth=1
	v_bfe_u32 v19, v18, 16, 1
	s_delay_alu instid0(VALU_DEP_1)
	v_add3_u32 v19, v18, v19, 0x7fff
                                        ; implicit-def: $vgpr18
; %bb.62:                               ;   in Loop: Header=BB290_14 Depth=1
	s_and_not1_saveexec_b32 s26, s26
; %bb.63:                               ;   in Loop: Header=BB290_14 Depth=1
	v_and_b32_e32 v19, 0xffff, v18
	v_or_b32_e32 v22, 0x10000, v18
	s_delay_alu instid0(VALU_DEP_2) | instskip(NEXT) | instid1(VALU_DEP_2)
	v_cmp_eq_u32_e32 vcc_lo, 0, v19
	v_cndmask_b32_e32 v19, v22, v18, vcc_lo
; %bb.64:                               ;   in Loop: Header=BB290_14 Depth=1
	s_or_b32 exec_lo, exec_lo, s26
	s_waitcnt lgkmcnt(7)
	v_add_f32_e32 v18, v24, v25
	s_waitcnt vmcnt(9)
	v_lshlrev_b32_e32 v22, 16, v49
	s_mov_b32 s26, exec_lo
	global_store_d16_hi_b16 v[0:1], v19, off offset:2
                                        ; implicit-def: $vgpr0
	v_add_f32_e32 v18, v18, v22
	s_delay_alu instid0(VALU_DEP_1) | instskip(NEXT) | instid1(VALU_DEP_1)
	v_and_b32_e32 v22, 0x7f800000, v18
	v_cmpx_ne_u32_e32 0x7f800000, v22
	s_xor_b32 s26, exec_lo, s26
; %bb.65:                               ;   in Loop: Header=BB290_14 Depth=1
	v_bfe_u32 v0, v18, 16, 1
	s_delay_alu instid0(VALU_DEP_1)
	v_add3_u32 v0, v18, v0, 0x7fff
                                        ; implicit-def: $vgpr18
; %bb.66:                               ;   in Loop: Header=BB290_14 Depth=1
	s_and_not1_saveexec_b32 s26, s26
; %bb.67:                               ;   in Loop: Header=BB290_14 Depth=1
	v_and_b32_e32 v0, 0xffff, v18
	v_or_b32_e32 v1, 0x10000, v18
	s_delay_alu instid0(VALU_DEP_2) | instskip(NEXT) | instid1(VALU_DEP_2)
	v_cmp_eq_u32_e32 vcc_lo, 0, v0
	v_cndmask_b32_e32 v0, v1, v18, vcc_lo
; %bb.68:                               ;   in Loop: Header=BB290_14 Depth=1
	s_or_b32 exec_lo, exec_lo, s26
	v_dual_mov_b32 v19, v66 :: v_dual_add_nc_u32 v18, 2, v65
	s_waitcnt vmcnt(8)
	v_dual_add_f32 v1, v20, v21 :: v_dual_lshlrev_b32 v20, 16, v48
	s_mov_b32 s26, exec_lo
	s_delay_alu instid0(VALU_DEP_2) | instskip(NEXT) | instid1(VALU_DEP_2)
	v_lshlrev_b64 v[18:19], 1, v[18:19]
	v_add_f32_e32 v1, v1, v20
	s_delay_alu instid0(VALU_DEP_2) | instskip(NEXT) | instid1(VALU_DEP_2)
	v_add_co_u32 v18, vcc_lo, s10, v18
	v_and_b32_e32 v20, 0x7f800000, v1
	s_delay_alu instid0(VALU_DEP_4)
	v_add_co_ci_u32_e32 v19, vcc_lo, s11, v19, vcc_lo
	global_store_d16_hi_b16 v[18:19], v0, off
                                        ; implicit-def: $vgpr0
	v_cmpx_ne_u32_e32 0x7f800000, v20
	s_xor_b32 s26, exec_lo, s26
; %bb.69:                               ;   in Loop: Header=BB290_14 Depth=1
	v_bfe_u32 v0, v1, 16, 1
	s_delay_alu instid0(VALU_DEP_1)
	v_add3_u32 v0, v1, v0, 0x7fff
                                        ; implicit-def: $vgpr1
; %bb.70:                               ;   in Loop: Header=BB290_14 Depth=1
	s_and_not1_saveexec_b32 s26, s26
; %bb.71:                               ;   in Loop: Header=BB290_14 Depth=1
	v_and_b32_e32 v0, 0xffff, v1
	v_or_b32_e32 v18, 0x10000, v1
	s_delay_alu instid0(VALU_DEP_2) | instskip(NEXT) | instid1(VALU_DEP_2)
	v_cmp_eq_u32_e32 vcc_lo, 0, v0
	v_cndmask_b32_e32 v0, v18, v1, vcc_lo
; %bb.72:                               ;   in Loop: Header=BB290_14 Depth=1
	s_or_b32 exec_lo, exec_lo, s26
	s_waitcnt vmcnt(7) lgkmcnt(5)
	v_dual_add_f32 v1, v16, v17 :: v_dual_lshlrev_b32 v18, 16, v47
	v_dual_mov_b32 v17, v66 :: v_dual_add_nc_u32 v16, 3, v65
	s_mov_b32 s26, exec_lo
	s_delay_alu instid0(VALU_DEP_2) | instskip(NEXT) | instid1(VALU_DEP_2)
	v_add_f32_e32 v1, v1, v18
	v_lshlrev_b64 v[16:17], 1, v[16:17]
	s_delay_alu instid0(VALU_DEP_2) | instskip(NEXT) | instid1(VALU_DEP_2)
	v_and_b32_e32 v18, 0x7f800000, v1
	v_add_co_u32 v16, vcc_lo, s10, v16
	s_delay_alu instid0(VALU_DEP_3)
	v_add_co_ci_u32_e32 v17, vcc_lo, s11, v17, vcc_lo
	global_store_d16_hi_b16 v[16:17], v0, off
                                        ; implicit-def: $vgpr0
	v_cmpx_ne_u32_e32 0x7f800000, v18
	s_xor_b32 s26, exec_lo, s26
; %bb.73:                               ;   in Loop: Header=BB290_14 Depth=1
	v_bfe_u32 v0, v1, 16, 1
	s_delay_alu instid0(VALU_DEP_1)
	v_add3_u32 v0, v1, v0, 0x7fff
                                        ; implicit-def: $vgpr1
; %bb.74:                               ;   in Loop: Header=BB290_14 Depth=1
	s_and_not1_saveexec_b32 s26, s26
; %bb.75:                               ;   in Loop: Header=BB290_14 Depth=1
	v_and_b32_e32 v0, 0xffff, v1
	v_or_b32_e32 v16, 0x10000, v1
	s_delay_alu instid0(VALU_DEP_2) | instskip(NEXT) | instid1(VALU_DEP_2)
	v_cmp_eq_u32_e32 vcc_lo, 0, v0
	v_cndmask_b32_e32 v0, v16, v1, vcc_lo
; %bb.76:                               ;   in Loop: Header=BB290_14 Depth=1
	s_or_b32 exec_lo, exec_lo, s26
	s_waitcnt vmcnt(6)
	v_dual_add_f32 v1, v12, v13 :: v_dual_lshlrev_b32 v12, 16, v46
	v_add_nc_u32_e32 v65, s7, v65
	s_mov_b32 s26, exec_lo
	s_delay_alu instid0(VALU_DEP_2) | instskip(NEXT) | instid1(VALU_DEP_2)
	v_add_f32_e32 v1, v1, v12
	v_lshlrev_b64 v[12:13], 1, v[65:66]
	s_delay_alu instid0(VALU_DEP_2) | instskip(NEXT) | instid1(VALU_DEP_2)
	v_and_b32_e32 v16, 0x7f800000, v1
	v_add_co_u32 v12, vcc_lo, s10, v12
	s_delay_alu instid0(VALU_DEP_3)
	v_add_co_ci_u32_e32 v13, vcc_lo, s11, v13, vcc_lo
	global_store_d16_hi_b16 v[12:13], v0, off
                                        ; implicit-def: $vgpr0
	v_cmpx_ne_u32_e32 0x7f800000, v16
	s_xor_b32 s26, exec_lo, s26
; %bb.77:                               ;   in Loop: Header=BB290_14 Depth=1
	v_bfe_u32 v0, v1, 16, 1
	s_delay_alu instid0(VALU_DEP_1)
	v_add3_u32 v0, v1, v0, 0x7fff
                                        ; implicit-def: $vgpr1
; %bb.78:                               ;   in Loop: Header=BB290_14 Depth=1
	s_and_not1_saveexec_b32 s26, s26
; %bb.79:                               ;   in Loop: Header=BB290_14 Depth=1
	v_and_b32_e32 v0, 0xffff, v1
	v_or_b32_e32 v12, 0x10000, v1
	s_delay_alu instid0(VALU_DEP_2) | instskip(NEXT) | instid1(VALU_DEP_2)
	v_cmp_eq_u32_e32 vcc_lo, 0, v0
	v_cndmask_b32_e32 v0, v12, v1, vcc_lo
; %bb.80:                               ;   in Loop: Header=BB290_14 Depth=1
	s_or_b32 exec_lo, exec_lo, s26
	v_add_f32_e32 v1, v8, v9
	v_dual_mov_b32 v9, v66 :: v_dual_add_nc_u32 v8, 1, v65
	s_waitcnt vmcnt(5)
	v_lshlrev_b32_e32 v12, 16, v45
	s_mov_b32 s26, exec_lo
	s_delay_alu instid0(VALU_DEP_2) | instskip(NEXT) | instid1(VALU_DEP_2)
	v_lshlrev_b64 v[8:9], 1, v[8:9]
	v_add_f32_e32 v1, v1, v12
	s_delay_alu instid0(VALU_DEP_1) | instskip(NEXT) | instid1(VALU_DEP_3)
	v_and_b32_e32 v12, 0x7f800000, v1
	v_add_co_u32 v8, vcc_lo, s10, v8
	s_delay_alu instid0(VALU_DEP_4)
	v_add_co_ci_u32_e32 v9, vcc_lo, s11, v9, vcc_lo
	global_store_d16_hi_b16 v[8:9], v0, off
                                        ; implicit-def: $vgpr0
	v_cmpx_ne_u32_e32 0x7f800000, v12
	s_xor_b32 s26, exec_lo, s26
; %bb.81:                               ;   in Loop: Header=BB290_14 Depth=1
	v_bfe_u32 v0, v1, 16, 1
	s_delay_alu instid0(VALU_DEP_1)
	v_add3_u32 v0, v1, v0, 0x7fff
                                        ; implicit-def: $vgpr1
; %bb.82:                               ;   in Loop: Header=BB290_14 Depth=1
	s_and_not1_saveexec_b32 s26, s26
; %bb.83:                               ;   in Loop: Header=BB290_14 Depth=1
	v_and_b32_e32 v0, 0xffff, v1
	v_or_b32_e32 v8, 0x10000, v1
	s_delay_alu instid0(VALU_DEP_2) | instskip(NEXT) | instid1(VALU_DEP_2)
	v_cmp_eq_u32_e32 vcc_lo, 0, v0
	v_cndmask_b32_e32 v0, v8, v1, vcc_lo
; %bb.84:                               ;   in Loop: Header=BB290_14 Depth=1
	s_or_b32 exec_lo, exec_lo, s26
	s_waitcnt lgkmcnt(4)
	v_dual_add_f32 v1, v14, v15 :: v_dual_add_nc_u32 v8, 2, v65
	s_waitcnt vmcnt(4)
	v_dual_mov_b32 v9, v66 :: v_dual_lshlrev_b32 v12, 16, v42
	s_mov_b32 s26, exec_lo
	s_delay_alu instid0(VALU_DEP_1) | instskip(NEXT) | instid1(VALU_DEP_2)
	v_add_f32_e32 v1, v1, v12
	v_lshlrev_b64 v[8:9], 1, v[8:9]
	s_delay_alu instid0(VALU_DEP_2) | instskip(NEXT) | instid1(VALU_DEP_2)
	v_and_b32_e32 v12, 0x7f800000, v1
	v_add_co_u32 v8, vcc_lo, s10, v8
	s_delay_alu instid0(VALU_DEP_3)
	v_add_co_ci_u32_e32 v9, vcc_lo, s11, v9, vcc_lo
	global_store_d16_hi_b16 v[8:9], v0, off
                                        ; implicit-def: $vgpr0
	v_cmpx_ne_u32_e32 0x7f800000, v12
	s_xor_b32 s26, exec_lo, s26
; %bb.85:                               ;   in Loop: Header=BB290_14 Depth=1
	v_bfe_u32 v0, v1, 16, 1
	s_delay_alu instid0(VALU_DEP_1)
	v_add3_u32 v0, v1, v0, 0x7fff
                                        ; implicit-def: $vgpr1
; %bb.86:                               ;   in Loop: Header=BB290_14 Depth=1
	s_and_not1_saveexec_b32 s26, s26
; %bb.87:                               ;   in Loop: Header=BB290_14 Depth=1
	v_and_b32_e32 v0, 0xffff, v1
	v_or_b32_e32 v8, 0x10000, v1
	s_delay_alu instid0(VALU_DEP_2) | instskip(NEXT) | instid1(VALU_DEP_2)
	v_cmp_eq_u32_e32 vcc_lo, 0, v0
	v_cndmask_b32_e32 v0, v8, v1, vcc_lo
; %bb.88:                               ;   in Loop: Header=BB290_14 Depth=1
	s_or_b32 exec_lo, exec_lo, s26
	s_waitcnt lgkmcnt(2)
	v_dual_add_f32 v1, v10, v11 :: v_dual_add_nc_u32 v8, 3, v65
	s_waitcnt vmcnt(3)
	v_dual_mov_b32 v9, v66 :: v_dual_lshlrev_b32 v10, 16, v40
	s_mov_b32 s26, exec_lo
	s_delay_alu instid0(VALU_DEP_1) | instskip(NEXT) | instid1(VALU_DEP_2)
	v_add_f32_e32 v1, v1, v10
	v_lshlrev_b64 v[8:9], 1, v[8:9]
	s_delay_alu instid0(VALU_DEP_2) | instskip(NEXT) | instid1(VALU_DEP_2)
	v_and_b32_e32 v10, 0x7f800000, v1
	v_add_co_u32 v8, vcc_lo, s10, v8
	s_delay_alu instid0(VALU_DEP_3)
	v_add_co_ci_u32_e32 v9, vcc_lo, s11, v9, vcc_lo
	global_store_d16_hi_b16 v[8:9], v0, off
                                        ; implicit-def: $vgpr8
	v_cmpx_ne_u32_e32 0x7f800000, v10
	s_xor_b32 s26, exec_lo, s26
; %bb.89:                               ;   in Loop: Header=BB290_14 Depth=1
	v_bfe_u32 v0, v1, 16, 1
	s_delay_alu instid0(VALU_DEP_1)
	v_add3_u32 v8, v1, v0, 0x7fff
                                        ; implicit-def: $vgpr1
; %bb.90:                               ;   in Loop: Header=BB290_14 Depth=1
	s_and_not1_saveexec_b32 s26, s26
; %bb.91:                               ;   in Loop: Header=BB290_14 Depth=1
	v_and_b32_e32 v0, 0xffff, v1
	v_or_b32_e32 v8, 0x10000, v1
	s_delay_alu instid0(VALU_DEP_2) | instskip(NEXT) | instid1(VALU_DEP_2)
	v_cmp_eq_u32_e32 vcc_lo, 0, v0
	v_cndmask_b32_e32 v8, v8, v1, vcc_lo
; %bb.92:                               ;   in Loop: Header=BB290_14 Depth=1
	s_or_b32 exec_lo, exec_lo, s26
	s_waitcnt vmcnt(2) lgkmcnt(1)
	v_dual_add_f32 v0, v6, v7 :: v_dual_lshlrev_b32 v1, 16, v34
	v_add_nc_u32_e32 v65, s7, v65
	s_delay_alu instid0(VALU_DEP_2) | instskip(NEXT) | instid1(VALU_DEP_2)
	v_add_f32_e32 v6, v0, v1
	v_lshlrev_b64 v[0:1], 1, v[65:66]
	s_delay_alu instid0(VALU_DEP_2) | instskip(NEXT) | instid1(VALU_DEP_2)
	v_and_b32_e32 v7, 0x7f800000, v6
	v_add_co_u32 v0, vcc_lo, s10, v0
	s_delay_alu instid0(VALU_DEP_3) | instskip(NEXT) | instid1(VALU_DEP_3)
	v_add_co_ci_u32_e32 v1, vcc_lo, s11, v1, vcc_lo
	v_cmp_ne_u32_e32 vcc_lo, 0x7f800000, v7
                                        ; implicit-def: $vgpr7
	global_store_d16_hi_b16 v[0:1], v8, off
	s_and_saveexec_b32 s26, vcc_lo
	s_delay_alu instid0(SALU_CYCLE_1)
	s_xor_b32 s26, exec_lo, s26
; %bb.93:                               ;   in Loop: Header=BB290_14 Depth=1
	v_bfe_u32 v7, v6, 16, 1
	s_delay_alu instid0(VALU_DEP_1)
	v_add3_u32 v7, v6, v7, 0x7fff
                                        ; implicit-def: $vgpr6
; %bb.94:                               ;   in Loop: Header=BB290_14 Depth=1
	s_and_not1_saveexec_b32 s26, s26
; %bb.95:                               ;   in Loop: Header=BB290_14 Depth=1
	v_and_b32_e32 v7, 0xffff, v6
	v_or_b32_e32 v8, 0x10000, v6
	s_delay_alu instid0(VALU_DEP_2) | instskip(NEXT) | instid1(VALU_DEP_2)
	v_cmp_eq_u32_e32 vcc_lo, 0, v7
	v_cndmask_b32_e32 v7, v8, v6, vcc_lo
; %bb.96:                               ;   in Loop: Header=BB290_14 Depth=1
	s_or_b32 exec_lo, exec_lo, s26
	s_waitcnt lgkmcnt(0)
	v_add_f32_e32 v4, v4, v5
	s_waitcnt vmcnt(1)
	v_lshlrev_b32_e32 v5, 16, v29
	global_store_d16_hi_b16 v[0:1], v7, off offset:2
	v_add_f32_e32 v5, v4, v5
	s_delay_alu instid0(VALU_DEP_1) | instskip(NEXT) | instid1(VALU_DEP_1)
	v_and_b32_e32 v4, 0x7f800000, v5
	v_cmp_ne_u32_e32 vcc_lo, 0x7f800000, v4
                                        ; implicit-def: $vgpr4
	s_and_saveexec_b32 s26, vcc_lo
	s_delay_alu instid0(SALU_CYCLE_1)
	s_xor_b32 s26, exec_lo, s26
; %bb.97:                               ;   in Loop: Header=BB290_14 Depth=1
	v_bfe_u32 v4, v5, 16, 1
	s_delay_alu instid0(VALU_DEP_1)
	v_add3_u32 v4, v5, v4, 0x7fff
                                        ; implicit-def: $vgpr5
; %bb.98:                               ;   in Loop: Header=BB290_14 Depth=1
	s_and_not1_saveexec_b32 s26, s26
; %bb.99:                               ;   in Loop: Header=BB290_14 Depth=1
	v_and_b32_e32 v4, 0xffff, v5
	v_or_b32_e32 v6, 0x10000, v5
	s_delay_alu instid0(VALU_DEP_2) | instskip(NEXT) | instid1(VALU_DEP_2)
	v_cmp_eq_u32_e32 vcc_lo, 0, v4
	v_cndmask_b32_e32 v4, v6, v5, vcc_lo
; %bb.100:                              ;   in Loop: Header=BB290_14 Depth=1
	s_or_b32 exec_lo, exec_lo, s26
	s_waitcnt vmcnt(0)
	v_dual_add_f32 v2, v2, v3 :: v_dual_lshlrev_b32 v3, 16, v26
	global_store_d16_hi_b16 v[0:1], v4, off offset:4
	v_add_f32_e32 v2, v2, v3
	s_delay_alu instid0(VALU_DEP_1) | instskip(NEXT) | instid1(VALU_DEP_1)
	v_and_b32_e32 v3, 0x7f800000, v2
	v_cmp_ne_u32_e32 vcc_lo, 0x7f800000, v3
                                        ; implicit-def: $vgpr3
	s_and_saveexec_b32 s26, vcc_lo
	s_delay_alu instid0(SALU_CYCLE_1)
	s_xor_b32 s26, exec_lo, s26
; %bb.101:                              ;   in Loop: Header=BB290_14 Depth=1
	v_bfe_u32 v3, v2, 16, 1
	s_delay_alu instid0(VALU_DEP_1)
	v_add3_u32 v3, v2, v3, 0x7fff
                                        ; implicit-def: $vgpr2
; %bb.102:                              ;   in Loop: Header=BB290_14 Depth=1
	s_and_not1_saveexec_b32 s26, s26
	s_cbranch_execz .LBB290_12
; %bb.103:                              ;   in Loop: Header=BB290_14 Depth=1
	v_and_b32_e32 v3, 0xffff, v2
	v_or_b32_e32 v4, 0x10000, v2
	s_delay_alu instid0(VALU_DEP_2) | instskip(NEXT) | instid1(VALU_DEP_2)
	v_cmp_eq_u32_e32 vcc_lo, 0, v3
	v_cndmask_b32_e32 v3, v4, v2, vcc_lo
	s_branch .LBB290_12
.LBB290_104:
	s_nop 0
	s_sendmsg sendmsg(MSG_DEALLOC_VGPRS)
	s_endpgm
	.section	.rodata,"a",@progbits
	.p2align	6, 0x0
	.amdhsa_kernel _Z16wvSplitK_hf_sml_I14__hip_bfloat16Li32ELi4ELi16ELi8ELi2ELi5EEviiiiiiPKT_S3_S3_PS1_ii
		.amdhsa_group_segment_fixed_size 65536
		.amdhsa_private_segment_fixed_size 0
		.amdhsa_kernarg_size 64
		.amdhsa_user_sgpr_count 15
		.amdhsa_user_sgpr_dispatch_ptr 0
		.amdhsa_user_sgpr_queue_ptr 0
		.amdhsa_user_sgpr_kernarg_segment_ptr 1
		.amdhsa_user_sgpr_dispatch_id 0
		.amdhsa_user_sgpr_private_segment_size 0
		.amdhsa_wavefront_size32 1
		.amdhsa_uses_dynamic_stack 0
		.amdhsa_enable_private_segment 0
		.amdhsa_system_sgpr_workgroup_id_x 1
		.amdhsa_system_sgpr_workgroup_id_y 0
		.amdhsa_system_sgpr_workgroup_id_z 0
		.amdhsa_system_sgpr_workgroup_info 0
		.amdhsa_system_vgpr_workitem_id 1
		.amdhsa_next_free_vgpr 128
		.amdhsa_next_free_sgpr 28
		.amdhsa_reserve_vcc 1
		.amdhsa_float_round_mode_32 0
		.amdhsa_float_round_mode_16_64 0
		.amdhsa_float_denorm_mode_32 3
		.amdhsa_float_denorm_mode_16_64 3
		.amdhsa_dx10_clamp 1
		.amdhsa_ieee_mode 1
		.amdhsa_fp16_overflow 0
		.amdhsa_workgroup_processor_mode 1
		.amdhsa_memory_ordered 1
		.amdhsa_forward_progress 0
		.amdhsa_shared_vgpr_count 0
		.amdhsa_exception_fp_ieee_invalid_op 0
		.amdhsa_exception_fp_denorm_src 0
		.amdhsa_exception_fp_ieee_div_zero 0
		.amdhsa_exception_fp_ieee_overflow 0
		.amdhsa_exception_fp_ieee_underflow 0
		.amdhsa_exception_fp_ieee_inexact 0
		.amdhsa_exception_int_div_zero 0
	.end_amdhsa_kernel
	.section	.text._Z16wvSplitK_hf_sml_I14__hip_bfloat16Li32ELi4ELi16ELi8ELi2ELi5EEviiiiiiPKT_S3_S3_PS1_ii,"axG",@progbits,_Z16wvSplitK_hf_sml_I14__hip_bfloat16Li32ELi4ELi16ELi8ELi2ELi5EEviiiiiiPKT_S3_S3_PS1_ii,comdat
.Lfunc_end290:
	.size	_Z16wvSplitK_hf_sml_I14__hip_bfloat16Li32ELi4ELi16ELi8ELi2ELi5EEviiiiiiPKT_S3_S3_PS1_ii, .Lfunc_end290-_Z16wvSplitK_hf_sml_I14__hip_bfloat16Li32ELi4ELi16ELi8ELi2ELi5EEviiiiiiPKT_S3_S3_PS1_ii
                                        ; -- End function
	.section	.AMDGPU.csdata,"",@progbits
; Kernel info:
; codeLenInByte = 10852
; NumSgprs: 30
; NumVgprs: 128
; ScratchSize: 0
; MemoryBound: 0
; FloatMode: 240
; IeeeMode: 1
; LDSByteSize: 65536 bytes/workgroup (compile time only)
; SGPRBlocks: 3
; VGPRBlocks: 15
; NumSGPRsForWavesPerEU: 30
; NumVGPRsForWavesPerEU: 128
; Occupancy: 8
; WaveLimiterHint : 0
; COMPUTE_PGM_RSRC2:SCRATCH_EN: 0
; COMPUTE_PGM_RSRC2:USER_SGPR: 15
; COMPUTE_PGM_RSRC2:TRAP_HANDLER: 0
; COMPUTE_PGM_RSRC2:TGID_X_EN: 1
; COMPUTE_PGM_RSRC2:TGID_Y_EN: 0
; COMPUTE_PGM_RSRC2:TGID_Z_EN: 0
; COMPUTE_PGM_RSRC2:TIDIG_COMP_CNT: 1
	.section	.text._Z12wvSplitK_hf_I14__hip_bfloat16Li32ELi4ELi16ELi8ELi2ELi5EEviiiiiiPKT_S3_S3_PS1_ii,"axG",@progbits,_Z12wvSplitK_hf_I14__hip_bfloat16Li32ELi4ELi16ELi8ELi2ELi5EEviiiiiiPKT_S3_S3_PS1_ii,comdat
	.protected	_Z12wvSplitK_hf_I14__hip_bfloat16Li32ELi4ELi16ELi8ELi2ELi5EEviiiiiiPKT_S3_S3_PS1_ii ; -- Begin function _Z12wvSplitK_hf_I14__hip_bfloat16Li32ELi4ELi16ELi8ELi2ELi5EEviiiiiiPKT_S3_S3_PS1_ii
	.globl	_Z12wvSplitK_hf_I14__hip_bfloat16Li32ELi4ELi16ELi8ELi2ELi5EEviiiiiiPKT_S3_S3_PS1_ii
	.p2align	8
	.type	_Z12wvSplitK_hf_I14__hip_bfloat16Li32ELi4ELi16ELi8ELi2ELi5EEviiiiiiPKT_S3_S3_PS1_ii,@function
_Z12wvSplitK_hf_I14__hip_bfloat16Li32ELi4ELi16ELi8ELi2ELi5EEviiiiiiPKT_S3_S3_PS1_ii: ; @_Z12wvSplitK_hf_I14__hip_bfloat16Li32ELi4ELi16ELi8ELi2ELi5EEviiiiiiPKT_S3_S3_PS1_ii
; %bb.0:
	s_clause 0x1
	s_load_b64 s[20:21], s[0:1], 0x38
	s_load_b128 s[8:11], s[0:1], 0x0
	v_bfe_u32 v5, v0, 10, 10
	s_clause 0x1
	s_load_b64 s[16:17], s[0:1], 0x20
	s_load_b64 s[18:19], s[0:1], 0x10
	s_mov_b32 s4, 1
	s_delay_alu instid0(SALU_CYCLE_1) | instskip(SKIP_4) | instid1(SALU_CYCLE_1)
	s_mov_b32 s5, s4
	s_mov_b32 s6, s4
	;; [unrolled: 1-line block ×3, first 2 shown]
	s_waitcnt lgkmcnt(0)
	s_mul_i32 s15, s15, s20
	v_add_lshl_u32 v77, s15, v5, 2
	s_delay_alu instid0(VALU_DEP_1) | instskip(SKIP_1) | instid1(VALU_DEP_2)
	v_add_nc_u32_e32 v1, 4, v77
	v_cmp_gt_u32_e32 vcc_lo, s11, v77
	v_cmp_le_u32_e64 s2, s11, v1
	v_dual_mov_b32 v1, s4 :: v_dual_mov_b32 v4, s7
	v_dual_mov_b32 v2, s5 :: v_dual_mov_b32 v3, s6
	s_delay_alu instid0(VALU_DEP_3) | instskip(NEXT) | instid1(SALU_CYCLE_1)
	s_and_b32 s2, vcc_lo, s2
	s_and_saveexec_b32 s12, s2
	s_cbranch_execz .LBB291_6
; %bb.1:
	v_dual_mov_b32 v1, s4 :: v_dual_mov_b32 v2, s5
	v_dual_mov_b32 v3, s6 :: v_dual_mov_b32 v4, s7
	s_add_i32 s13, s11, -4
	s_mov_b32 s14, exec_lo
	v_cmpx_ne_u32_e64 s13, v77
	s_cbranch_execz .LBB291_5
; %bb.2:
	v_subrev_nc_u32_e32 v1, s13, v77
	s_mov_b32 s15, 0
	s_mov_b64 s[2:3], 0
	s_mov_b32 s5, s4
	s_mov_b32 s6, s4
	v_cmp_lt_u32_e32 vcc_lo, 1, v1
	s_mov_b32 s7, s4
	v_cndmask_b32_e32 v6, 1, v1, vcc_lo
	.p2align	6
.LBB291_3:                              ; =>This Inner Loop Header: Depth=1
	s_cmp_lg_u32 s2, 3
	s_cselect_b32 s7, s7, 0
	s_cmp_lg_u32 s2, 2
	s_cselect_b32 s6, s6, 0
	;; [unrolled: 2-line block ×4, first 2 shown]
	s_add_u32 s2, s2, 1
	v_dual_mov_b32 v1, s4 :: v_dual_mov_b32 v2, s5
	v_cmp_eq_u32_e32 vcc_lo, s2, v6
	v_dual_mov_b32 v3, s6 :: v_dual_mov_b32 v4, s7
	s_addc_u32 s3, s3, 0
	s_or_b32 s15, vcc_lo, s15
	s_delay_alu instid0(SALU_CYCLE_1)
	s_and_not1_b32 exec_lo, exec_lo, s15
	s_cbranch_execnz .LBB291_3
; %bb.4:
	s_or_b32 exec_lo, exec_lo, s15
	v_mov_b32_e32 v77, s13
.LBB291_5:
	s_or_b32 exec_lo, exec_lo, s14
.LBB291_6:
	s_delay_alu instid0(SALU_CYCLE_1) | instskip(SKIP_2) | instid1(SALU_CYCLE_1)
	s_or_b32 exec_lo, exec_lo, s12
	v_and_b32_e32 v6, 0x3ff, v0
	s_mul_i32 s2, s10, 5
	s_min_u32 s3, s2, 0x8000
	s_mov_b32 s2, exec_lo
	s_delay_alu instid0(VALU_DEP_1) | instskip(NEXT) | instid1(VALU_DEP_1)
	v_lshlrev_b32_e32 v0, 3, v6
	v_lshl_add_u32 v8, v5, 8, v0
	s_delay_alu instid0(VALU_DEP_1)
	v_cmpx_gt_u32_e64 s3, v8
	s_cbranch_execz .LBB291_15
; %bb.7:
	v_lshlrev_b32_e32 v7, 1, v8
	v_add_nc_u32_e32 v13, 0x1000, v8
	s_mov_b32 s4, exec_lo
	global_load_b128 v[9:12], v7, s[16:17]
	s_waitcnt vmcnt(0)
	ds_store_b128 v7, v[9:12]
	v_cmpx_gt_u32_e64 s3, v13
	s_xor_b32 s4, exec_lo, s4
	s_cbranch_execz .LBB291_15
; %bb.8:
	v_add_co_u32 v9, s4, s16, v7
	s_delay_alu instid0(VALU_DEP_1) | instskip(SKIP_1) | instid1(VALU_DEP_3)
	v_add_co_ci_u32_e64 v10, null, s17, 0, s4
	v_add_nc_u32_e32 v15, 0x2000, v8
	v_add_co_u32 v11, vcc_lo, 0x2000, v9
	s_delay_alu instid0(VALU_DEP_3)
	v_add_co_ci_u32_e32 v12, vcc_lo, 0, v10, vcc_lo
	s_mov_b32 s4, exec_lo
	global_load_b128 v[11:14], v[11:12], off
	s_waitcnt vmcnt(0)
	ds_store_b128 v7, v[11:14] offset:8192
	v_cmpx_gt_u32_e64 s3, v15
	s_xor_b32 s4, exec_lo, s4
	s_cbranch_execz .LBB291_15
; %bb.9:
	v_add_co_u32 v11, vcc_lo, 0x4000, v9
	v_add_co_ci_u32_e32 v12, vcc_lo, 0, v10, vcc_lo
	v_add_nc_u32_e32 v15, 0x3000, v8
	s_mov_b32 s4, exec_lo
	global_load_b128 v[11:14], v[11:12], off
	s_waitcnt vmcnt(0)
	ds_store_b128 v7, v[11:14] offset:16384
	v_cmpx_gt_u32_e64 s3, v15
	s_xor_b32 s4, exec_lo, s4
	s_cbranch_execz .LBB291_15
; %bb.10:
	v_add_co_u32 v11, vcc_lo, 0x6000, v9
	v_add_co_ci_u32_e32 v12, vcc_lo, 0, v10, vcc_lo
	v_add_nc_u32_e32 v15, 0x4000, v8
	;; [unrolled: 11-line block ×5, first 2 shown]
	global_load_b128 v[11:14], v[11:12], off
	v_cmp_gt_u32_e32 vcc_lo, s3, v8
	s_waitcnt vmcnt(0)
	ds_store_b128 v7, v[11:14] offset:49152
	s_and_saveexec_b32 s3, vcc_lo
	s_delay_alu instid0(SALU_CYCLE_1)
	s_xor_b32 s3, exec_lo, s3
	s_cbranch_execz .LBB291_15
; %bb.14:
	v_add_co_u32 v8, vcc_lo, 0xe000, v9
	v_add_co_ci_u32_e32 v9, vcc_lo, 0, v10, vcc_lo
	global_load_b128 v[8:11], v[8:9], off
	s_waitcnt vmcnt(0)
	ds_store_b128 v7, v[8:11] offset:57344
.LBB291_15:
	s_or_b32 exec_lo, exec_lo, s2
	v_cmp_gt_u32_e32 vcc_lo, s20, v5
	v_cmp_gt_u32_e64 s2, s11, v77
	s_waitcnt lgkmcnt(0)
	s_barrier
	buffer_gl0_inv
	s_and_b32 s2, vcc_lo, s2
	s_delay_alu instid0(SALU_CYCLE_1)
	s_and_saveexec_b32 s3, s2
	s_cbranch_execz .LBB291_194
; %bb.16:
	s_clause 0x1
	s_load_b128 s[12:15], s[0:1], 0x28
	s_load_b64 s[6:7], s[0:1], 0x18
	s_cmp_lg_u32 s8, 0
	s_mul_i32 s0, s20, s21
	s_cselect_b32 s22, -1, 0
	s_add_i32 s23, s8, -8
	s_add_i32 s24, s11, -1
	v_mbcnt_lo_u32_b32 v7, -1, 0
	v_cvt_f32_u32_e32 v8, s18
	v_mad_u64_u32 v[80:81], null, s10, 3, v[0:1]
	v_add_nc_u32_e32 v101, s10, v0
	s_mul_i32 s33, s10, 6
	v_lshlrev_b32_e32 v100, 4, v6
	s_waitcnt lgkmcnt(0)
	s_cmp_lg_u64 s[12:13], 0
	s_cselect_b32 s25, -1, 0
	s_abs_i32 s1, s19
	s_lshl_b32 s20, s0, 2
	v_cvt_f32_u32_e32 v5, s1
	s_sub_i32 s0, 0, s1
	s_add_i32 s21, s11, -4
	s_lshl_b32 s26, s10, 1
	s_sub_i32 s3, 0, s18
	v_rcp_iflag_f32_e32 v5, v5
	s_sub_i32 s4, 1, s1
	v_add_nc_u32_e32 v103, s26, v0
	s_mov_b32 s19, 0
	s_waitcnt_depctr 0xfff
	v_mul_f32_e32 v5, 0x4f7ffffe, v5
	s_delay_alu instid0(VALU_DEP_1) | instskip(NEXT) | instid1(VALU_DEP_1)
	v_cvt_u32_f32_e32 v5, v5
	v_readfirstlane_b32 s2, v5
	v_rcp_iflag_f32_e32 v5, v8
	s_delay_alu instid0(VALU_DEP_1) | instskip(NEXT) | instid1(SALU_CYCLE_1)
	s_mul_i32 s0, s0, s2
	s_mul_hi_u32 s0, s2, s0
	s_delay_alu instid0(SALU_CYCLE_1)
	s_add_i32 s2, s2, s0
	s_cmp_lt_u32 s1, 2
	v_cmp_eq_u32_e64 s0, 31, v6
	s_cselect_b32 s4, s4, 1
	v_xor_b32_e32 v6, 16, v7
	s_sub_i32 s5, s4, s1
	s_cmp_ge_u32 s4, s1
	s_cselect_b32 s27, s5, s4
	s_lshr_b32 s4, s2, 31
	v_cmp_gt_i32_e32 vcc_lo, 32, v6
	s_mul_i32 s4, s4, s1
	v_mov_b32_e32 v79, 0
	s_sub_i32 s4, 2, s4
	s_mul_i32 s27, s27, s18
	s_waitcnt_depctr 0xfff
	v_dual_cndmask_b32 v6, v7, v6 :: v_dual_mul_f32 v5, 0x4f7ffffe, v5
	s_sub_i32 s5, s4, s1
	s_cmp_ge_u32 s4, s1
	s_delay_alu instid0(VALU_DEP_1)
	v_lshlrev_b32_e32 v102, 2, v6
	s_cselect_b32 s4, s5, s4
	s_mul_hi_u32 s5, s2, 3
	v_cvt_u32_f32_e32 v5, v5
	s_sub_i32 s28, s4, s1
	s_cmp_ge_u32 s4, s1
	s_mul_i32 s5, s5, s1
	s_cselect_b32 s28, s28, s4
	s_sub_i32 s4, 3, s5
	v_mul_lo_u32 v8, s3, v5
	s_sub_i32 s3, s4, s1
	s_cmp_ge_u32 s4, s1
	s_mul_i32 s28, s28, s18
	s_cselect_b32 s3, s3, s4
	s_delay_alu instid0(SALU_CYCLE_1) | instskip(SKIP_1) | instid1(VALU_DEP_1)
	s_sub_i32 s4, s3, s1
	s_cmp_ge_u32 s3, s1
	v_mul_hi_u32 v7, v5, v8
	s_cselect_b32 s30, s4, s3
	s_lshr_b32 s2, s2, 30
	s_mul_i32 s30, s30, s18
	s_mul_i32 s2, s2, s1
	s_delay_alu instid0(SALU_CYCLE_1) | instskip(NEXT) | instid1(SALU_CYCLE_1)
	s_sub_i32 s2, 4, s2
	s_sub_i32 s3, s2, s1
	s_cmp_ge_u32 s2, s1
	v_add_nc_u32_e32 v104, v5, v7
	s_cselect_b32 s2, s3, s2
	s_delay_alu instid0(SALU_CYCLE_1)
	s_sub_i32 s3, s2, s1
	s_cmp_ge_u32 s2, s1
	s_cselect_b32 s31, s3, s2
	s_lshl_b32 s29, s10, 2
	s_mul_i32 s31, s31, s18
	v_add_nc_u32_e32 v105, s29, v0
	s_lshl_b32 s10, s10, 3
	s_branch .LBB291_19
.LBB291_17:                             ;   in Loop: Header=BB291_19 Depth=1
	s_or_b32 exec_lo, exec_lo, s35
	v_mov_b32_e32 v77, s21
.LBB291_18:                             ;   in Loop: Header=BB291_19 Depth=1
	s_or_b32 exec_lo, exec_lo, s34
	s_delay_alu instid0(VALU_DEP_1) | instskip(SKIP_1) | instid1(SALU_CYCLE_1)
	v_cmp_le_u32_e32 vcc_lo, s11, v77
	s_or_b32 s19, vcc_lo, s19
	s_and_not1_b32 exec_lo, exec_lo, s19
	s_cbranch_execz .LBB291_194
.LBB291_19:                             ; =>This Loop Header: Depth=1
                                        ;     Child Loop BB291_24 Depth 2
                                        ;     Child Loop BB291_192 Depth 2
	v_dual_mov_b32 v106, v79 :: v_dual_add_nc_u32 v83, 1, v77
	v_dual_mov_b32 v107, v79 :: v_dual_add_nc_u32 v82, 2, v77
	;; [unrolled: 1-line block ×3, first 2 shown]
	v_mov_b32_e32 v109, v79
	v_mov_b32_e32 v115, v79
	;; [unrolled: 1-line block ×17, first 2 shown]
	s_and_not1_b32 vcc_lo, exec_lo, s22
	s_cbranch_vccnz .LBB291_66
; %bb.20:                               ;   in Loop: Header=BB291_19 Depth=1
	v_min_u32_e32 v5, s24, v77
	s_waitcnt lgkmcnt(0)
	v_min_u32_e32 v6, s24, v83
	v_min_u32_e32 v7, s24, v82
	v_min_u32_e32 v8, s24, v81
	v_dual_mov_b32 v10, v79 :: v_dual_mov_b32 v125, 0
	v_mul_lo_u32 v78, v5, s9
	v_mul_lo_u32 v5, v6, s9
	;; [unrolled: 1-line block ×4, first 2 shown]
	v_dual_mov_b32 v6, v79 :: v_dual_mov_b32 v123, 0
	v_dual_mov_b32 v8, v79 :: v_dual_mov_b32 v121, v100
	v_lshlrev_b64 v[84:85], 1, v[78:79]
	s_delay_alu instid0(VALU_DEP_3) | instskip(SKIP_1) | instid1(VALU_DEP_4)
	v_lshlrev_b64 v[86:87], 1, v[5:6]
	v_dual_mov_b32 v126, 0 :: v_dual_mov_b32 v117, 0
	v_lshlrev_b64 v[88:89], 1, v[7:8]
	v_lshlrev_b64 v[90:91], 1, v[9:10]
	v_dual_mov_b32 v124, 0 :: v_dual_mov_b32 v119, 0
	v_dual_mov_b32 v122, 0 :: v_dual_mov_b32 v113, 0
	;; [unrolled: 1-line block ×6, first 2 shown]
	v_mov_b32_e32 v112, 0
	v_mov_b32_e32 v110, 0
	;; [unrolled: 1-line block ×4, first 2 shown]
	s_mov_b32 s1, 0
	s_branch .LBB291_24
.LBB291_21:                             ;   in Loop: Header=BB291_24 Depth=2
	s_or_b32 exec_lo, exec_lo, s4
.LBB291_22:                             ;   in Loop: Header=BB291_24 Depth=2
	s_delay_alu instid0(SALU_CYCLE_1)
	s_or_b32 exec_lo, exec_lo, s3
.LBB291_23:                             ;   in Loop: Header=BB291_24 Depth=2
	s_delay_alu instid0(SALU_CYCLE_1)
	s_or_b32 exec_lo, exec_lo, s2
	s_waitcnt vmcnt(0) lgkmcnt(0)
	v_lshlrev_b32_e32 v132, 16, v70
	v_and_b32_e32 v131, 0xffff0000, v70
	v_and_b32_e32 v92, 0xffff0000, v62
	;; [unrolled: 1-line block ×4, first 2 shown]
	v_lshlrev_b32_e32 v135, 16, v72
	s_addk_i32 s1, 0x200
	v_mul_f32_e32 v94, v131, v92
	v_lshlrev_b32_e32 v134, 16, v71
	v_and_b32_e32 v70, 0xffff0000, v63
	v_and_b32_e32 v78, 0xffff0000, v61
	v_lshlrev_b32_e32 v71, 16, v57
	s_cmp_ge_u32 s1, s8
	s_delay_alu instid0(VALU_DEP_3) | instskip(NEXT) | instid1(VALU_DEP_3)
	v_dual_mul_f32 v95, v133, v70 :: v_dual_and_b32 v128, 0xffff0000, v49
	v_dual_mul_f32 v93, v129, v78 :: v_dual_lshlrev_b32 v130, 16, v69
	v_lshlrev_b32_e32 v69, 16, v61
	v_lshlrev_b32_e32 v61, 16, v62
	s_delay_alu instid0(VALU_DEP_4) | instskip(SKIP_1) | instid1(VALU_DEP_4)
	v_dual_mul_f32 v139, v129, v128 :: v_dual_lshlrev_b32 v62, 16, v63
	v_and_b32_e32 v140, 0xffff0000, v73
	v_dual_fmac_f32 v93, v130, v69 :: v_dual_and_b32 v146, 0xffff0000, v76
	v_lshlrev_b32_e32 v145, 16, v75
	v_and_b32_e32 v142, 0xffff0000, v74
	v_add_nc_u32_e32 v121, 0x400, v121
	s_delay_alu instid0(VALU_DEP_4) | instskip(SKIP_4) | instid1(VALU_DEP_1)
	v_add_f32_e32 v63, v123, v93
	v_and_b32_e32 v93, 0xffff0000, v57
	v_lshlrev_b32_e32 v57, 16, v64
	v_and_b32_e32 v123, 0xffff0000, v72
	v_and_b32_e32 v72, 0xffff0000, v64
	v_mul_f32_e32 v64, v123, v72
	v_fmac_f32_e32 v94, v132, v61
	s_delay_alu instid0(VALU_DEP_1) | instskip(SKIP_2) | instid1(VALU_DEP_2)
	v_add_f32_e32 v96, v63, v94
	v_and_b32_e32 v94, 0xffff0000, v58
	v_lshlrev_b32_e32 v58, 16, v58
	v_dual_mul_f32 v98, v131, v94 :: v_dual_and_b32 v63, 0xffff0000, v59
	s_delay_alu instid0(VALU_DEP_1) | instskip(SKIP_1) | instid1(VALU_DEP_1)
	v_dual_mul_f32 v99, v133, v63 :: v_dual_fmac_f32 v98, v132, v58
	v_mul_f32_e32 v97, v129, v93
	v_fmac_f32_e32 v97, v130, v71
	s_delay_alu instid0(VALU_DEP_1) | instskip(SKIP_1) | instid1(VALU_DEP_2)
	v_add_f32_e32 v97, v126, v97
	v_fmac_f32_e32 v95, v134, v62
	v_dual_add_f32 v97, v97, v98 :: v_dual_and_b32 v98, 0xffff0000, v55
	v_lshlrev_b32_e32 v59, 16, v59
	s_delay_alu instid0(VALU_DEP_3) | instskip(NEXT) | instid1(VALU_DEP_2)
	v_dual_add_f32 v95, v96, v95 :: v_dual_and_b32 v96, 0xffff0000, v53
	v_dual_mul_f32 v138, v133, v98 :: v_dual_fmac_f32 v99, v134, v59
	s_delay_alu instid0(VALU_DEP_2) | instskip(NEXT) | instid1(VALU_DEP_2)
	v_mul_f32_e32 v127, v129, v96
	v_add_f32_e32 v136, v97, v99
	v_dual_fmac_f32 v64, v135, v57 :: v_dual_lshlrev_b32 v99, 16, v55
	s_delay_alu instid0(VALU_DEP_1) | instskip(SKIP_3) | instid1(VALU_DEP_3)
	v_add_f32_e32 v126, v95, v64
	v_lshlrev_b32_e32 v64, 16, v53
	v_and_b32_e32 v95, 0xffff0000, v60
	v_lshlrev_b32_e32 v53, 16, v60
	v_dual_fmac_f32 v127, v130, v64 :: v_dual_lshlrev_b32 v60, 16, v54
	s_delay_alu instid0(VALU_DEP_1) | instskip(NEXT) | instid1(VALU_DEP_1)
	v_dual_add_f32 v124, v124, v127 :: v_dual_and_b32 v97, 0xffff0000, v54
	v_mul_f32_e32 v54, v131, v97
	s_delay_alu instid0(VALU_DEP_1) | instskip(NEXT) | instid1(VALU_DEP_1)
	v_fmac_f32_e32 v54, v132, v60
	v_dual_add_f32 v124, v124, v54 :: v_dual_mul_f32 v137, v123, v95
	v_and_b32_e32 v54, 0xffff0000, v56
	v_lshlrev_b32_e32 v127, 16, v49
	v_and_b32_e32 v55, 0xffff0000, v51
	v_and_b32_e32 v129, 0xffff0000, v50
	v_lshlrev_b32_e32 v50, 16, v50
	v_dual_mul_f32 v56, v123, v54 :: v_dual_lshlrev_b32 v49, 16, v56
	s_delay_alu instid0(VALU_DEP_3) | instskip(SKIP_1) | instid1(VALU_DEP_2)
	v_dual_fmac_f32 v139, v130, v127 :: v_dual_mul_f32 v130, v131, v129
	v_fmac_f32_e32 v138, v134, v99
	v_dual_fmac_f32 v130, v132, v50 :: v_dual_add_f32 v125, v125, v139
	s_delay_alu instid0(VALU_DEP_4) | instskip(NEXT) | instid1(VALU_DEP_3)
	v_fmac_f32_e32 v56, v135, v49
	v_add_f32_e32 v124, v124, v138
	v_dual_mul_f32 v132, v133, v55 :: v_dual_fmac_f32 v137, v135, v53
	v_lshlrev_b32_e32 v51, 16, v51
	v_add_f32_e32 v125, v125, v130
	s_delay_alu instid0(VALU_DEP_4) | instskip(NEXT) | instid1(VALU_DEP_4)
	v_dual_add_f32 v124, v124, v56 :: v_dual_and_b32 v131, 0xffff0000, v45
	v_add_f32_e32 v136, v136, v137
	s_delay_alu instid0(VALU_DEP_4) | instskip(NEXT) | instid1(VALU_DEP_3)
	v_fmac_f32_e32 v132, v134, v51
	v_dual_mul_f32 v45, v140, v131 :: v_dual_lshlrev_b32 v56, 16, v45
	v_and_b32_e32 v139, 0xffff0000, v25
	s_delay_alu instid0(VALU_DEP_3) | instskip(SKIP_3) | instid1(VALU_DEP_4)
	v_dual_add_f32 v125, v125, v132 :: v_dual_and_b32 v132, 0xffff0000, v46
	v_lshlrev_b32_e32 v141, 16, v73
	v_and_b32_e32 v73, 0xffff0000, v52
	v_lshlrev_b32_e32 v130, 16, v52
	v_mul_f32_e32 v52, v142, v132
	s_delay_alu instid0(VALU_DEP_4) | instskip(NEXT) | instid1(VALU_DEP_1)
	v_fmac_f32_e32 v45, v141, v56
	v_add_f32_e32 v126, v126, v45
	v_mul_f32_e32 v123, v123, v73
	v_lshlrev_b32_e32 v143, 16, v74
	v_and_b32_e32 v144, 0xffff0000, v75
	v_lshlrev_b32_e32 v45, 16, v47
	v_lshlrev_b32_e32 v74, 16, v46
	v_dual_fmac_f32 v123, v135, v130 :: v_dual_and_b32 v46, 0xffff0000, v47
	v_and_b32_e32 v75, 0xffff0000, v33
	v_lshlrev_b32_e32 v47, 16, v48
	s_delay_alu instid0(VALU_DEP_3) | instskip(NEXT) | instid1(VALU_DEP_4)
	v_mul_f32_e32 v133, v144, v46
	v_add_f32_e32 v125, v125, v123
	s_delay_alu instid0(VALU_DEP_2) | instskip(NEXT) | instid1(VALU_DEP_1)
	v_dual_fmac_f32 v133, v145, v45 :: v_dual_fmac_f32 v52, v143, v74
	v_add_f32_e32 v126, v126, v52
	v_and_b32_e32 v52, 0xffff0000, v48
	v_dual_mul_f32 v33, v140, v75 :: v_dual_lshlrev_b32 v48, 16, v33
	s_delay_alu instid0(VALU_DEP_3) | instskip(NEXT) | instid1(VALU_DEP_3)
	v_add_f32_e32 v126, v126, v133
	v_dual_mul_f32 v134, v146, v52 :: v_dual_and_b32 v133, 0xffff0000, v34
	v_lshlrev_b32_e32 v147, 16, v76
	s_delay_alu instid0(VALU_DEP_4) | instskip(NEXT) | instid1(VALU_DEP_3)
	v_dual_fmac_f32 v33, v141, v48 :: v_dual_lshlrev_b32 v76, 16, v34
	v_mul_f32_e32 v34, v142, v133
	s_delay_alu instid0(VALU_DEP_3) | instskip(NEXT) | instid1(VALU_DEP_1)
	v_fmac_f32_e32 v134, v147, v47
	v_dual_add_f32 v123, v126, v134 :: v_dual_and_b32 v134, 0xffff0000, v35
	s_delay_alu instid0(VALU_DEP_4) | instskip(NEXT) | instid1(VALU_DEP_2)
	v_dual_add_f32 v126, v136, v33 :: v_dual_lshlrev_b32 v137, 16, v35
	v_dual_mul_f32 v136, v144, v134 :: v_dual_and_b32 v35, 0xffff0000, v36
	s_delay_alu instid0(VALU_DEP_1) | instskip(SKIP_1) | instid1(VALU_DEP_3)
	v_mul_f32_e32 v149, v146, v35
	v_dual_fmac_f32 v34, v143, v76 :: v_dual_and_b32 v135, 0xffff0000, v29
	v_fmac_f32_e32 v136, v145, v137
	v_lshlrev_b32_e32 v33, 16, v29
	s_delay_alu instid0(VALU_DEP_3) | instskip(NEXT) | instid1(VALU_DEP_4)
	v_dual_mul_f32 v138, v140, v135 :: v_dual_lshlrev_b32 v29, 16, v36
	v_add_f32_e32 v126, v126, v34
	v_and_b32_e32 v34, 0xffff0000, v30
	s_delay_alu instid0(VALU_DEP_3) | instskip(NEXT) | instid1(VALU_DEP_4)
	v_dual_fmac_f32 v149, v147, v29 :: v_dual_and_b32 v36, 0xffff0000, v31
	v_dual_fmac_f32 v138, v141, v33 :: v_dual_lshlrev_b32 v31, 16, v31
	s_delay_alu instid0(VALU_DEP_3) | instskip(SKIP_1) | instid1(VALU_DEP_3)
	v_mul_f32_e32 v148, v142, v34
	v_mul_f32_e32 v140, v140, v139
	v_add_f32_e32 v124, v124, v138
	v_lshlrev_b32_e32 v138, 16, v25
	s_delay_alu instid0(VALU_DEP_1) | instskip(NEXT) | instid1(VALU_DEP_1)
	v_dual_fmac_f32 v140, v141, v138 :: v_dual_lshlrev_b32 v25, 16, v32
	v_add_f32_e32 v125, v125, v140
	v_add_f32_e32 v126, v126, v136
	v_and_b32_e32 v136, 0xffff0000, v32
	v_and_b32_e32 v32, 0xffff0000, v26
	s_delay_alu instid0(VALU_DEP_1) | instskip(NEXT) | instid1(VALU_DEP_1)
	v_dual_mul_f32 v141, v142, v32 :: v_dual_lshlrev_b32 v30, 16, v30
	v_fmac_f32_e32 v148, v143, v30
	v_and_b32_e32 v142, 0xffff0000, v37
	v_and_b32_e32 v140, 0xffff0000, v27
	v_lshlrev_b32_e32 v27, 16, v27
	s_delay_alu instid0(VALU_DEP_4) | instskip(SKIP_1) | instid1(VALU_DEP_1)
	v_dual_add_f32 v124, v124, v148 :: v_dual_lshlrev_b32 v37, 16, v37
	v_lshlrev_b32_e32 v26, 16, v26
	v_dual_mul_f32 v150, v144, v36 :: v_dual_fmac_f32 v141, v143, v26
	s_delay_alu instid0(VALU_DEP_1) | instskip(NEXT) | instid1(VALU_DEP_2)
	v_dual_fmac_f32 v150, v145, v31 :: v_dual_mul_f32 v143, v144, v140
	v_add_f32_e32 v125, v125, v141
	v_and_b32_e32 v141, 0xffff0000, v28
	s_delay_alu instid0(VALU_DEP_3) | instskip(SKIP_2) | instid1(VALU_DEP_3)
	v_dual_fmac_f32 v143, v145, v27 :: v_dual_mul_f32 v148, v146, v136
	v_and_b32_e32 v145, 0xffff0000, v38
	v_lshlrev_b32_e32 v28, 16, v28
	v_dual_mul_f32 v146, v146, v141 :: v_dual_add_f32 v125, v125, v143
	v_dual_add_f32 v124, v124, v150 :: v_dual_and_b32 v143, 0xffff0000, v39
	s_delay_alu instid0(VALU_DEP_2) | instskip(SKIP_2) | instid1(VALU_DEP_2)
	v_dual_fmac_f32 v146, v147, v28 :: v_dual_lshlrev_b32 v39, 16, v39
	v_fmac_f32_e32 v148, v147, v25
	v_mul_f32_e32 v147, v142, v93
	v_dual_add_f32 v125, v125, v146 :: v_dual_add_f32 v124, v124, v148
	s_delay_alu instid0(VALU_DEP_2) | instskip(SKIP_1) | instid1(VALU_DEP_2)
	v_dual_fmac_f32 v147, v37, v71 :: v_dual_add_f32 v126, v126, v149
	v_mul_f32_e32 v149, v142, v96
	v_add_f32_e32 v117, v117, v147
	v_mul_f32_e32 v147, v145, v97
	s_delay_alu instid0(VALU_DEP_3) | instskip(SKIP_1) | instid1(VALU_DEP_1)
	v_dual_fmac_f32 v149, v37, v64 :: v_dual_mul_f32 v144, v142, v78
	v_mul_f32_e32 v142, v142, v128
	v_fmac_f32_e32 v142, v37, v127
	s_delay_alu instid0(VALU_DEP_1)
	v_add_f32_e32 v118, v118, v142
	v_and_b32_e32 v142, 0xffff0000, v65
	v_and_b32_e32 v146, 0xffff0000, v40
	v_lshlrev_b32_e32 v40, 16, v40
	v_add_f32_e32 v120, v120, v149
	v_dual_mul_f32 v148, v145, v92 :: v_dual_lshlrev_b32 v65, 16, v65
	s_delay_alu instid0(VALU_DEP_4) | instskip(NEXT) | instid1(VALU_DEP_1)
	v_dual_mul_f32 v149, v146, v95 :: v_dual_lshlrev_b32 v38, 16, v38
	v_fmac_f32_e32 v149, v40, v53
	s_delay_alu instid0(VALU_DEP_2) | instskip(NEXT) | instid1(VALU_DEP_1)
	v_dual_fmac_f32 v144, v37, v69 :: v_dual_fmac_f32 v147, v38, v60
	v_add_f32_e32 v122, v122, v144
	s_delay_alu instid0(VALU_DEP_2) | instskip(SKIP_1) | instid1(VALU_DEP_2)
	v_dual_add_f32 v120, v120, v147 :: v_dual_mul_f32 v147, v146, v54
	v_fmac_f32_e32 v148, v38, v61
	v_dual_fmac_f32 v147, v40, v49 :: v_dual_mul_f32 v144, v143, v70
	s_delay_alu instid0(VALU_DEP_2) | instskip(SKIP_1) | instid1(VALU_DEP_3)
	v_add_f32_e32 v122, v122, v148
	v_mul_f32_e32 v148, v146, v72
	v_fmac_f32_e32 v144, v39, v62
	s_delay_alu instid0(VALU_DEP_2) | instskip(NEXT) | instid1(VALU_DEP_2)
	v_fmac_f32_e32 v148, v40, v57
	v_add_f32_e32 v122, v122, v144
	v_mul_f32_e32 v144, v145, v94
	s_delay_alu instid0(VALU_DEP_1) | instskip(NEXT) | instid1(VALU_DEP_1)
	v_fmac_f32_e32 v144, v38, v58
	v_dual_add_f32 v117, v117, v144 :: v_dual_mul_f32 v144, v143, v98
	s_delay_alu instid0(VALU_DEP_1) | instskip(NEXT) | instid1(VALU_DEP_1)
	v_fmac_f32_e32 v144, v39, v99
	v_dual_add_f32 v37, v120, v144 :: v_dual_mul_f32 v120, v145, v129
	v_mul_f32_e32 v145, v142, v135
	s_delay_alu instid0(VALU_DEP_2) | instskip(NEXT) | instid1(VALU_DEP_1)
	v_dual_add_f32 v37, v37, v147 :: v_dual_fmac_f32 v120, v38, v50
	v_dual_fmac_f32 v145, v65, v33 :: v_dual_add_f32 v118, v118, v120
	v_and_b32_e32 v120, 0xffff0000, v66
	v_mul_f32_e32 v38, v143, v55
	s_delay_alu instid0(VALU_DEP_3) | instskip(NEXT) | instid1(VALU_DEP_3)
	v_dual_add_f32 v37, v37, v145 :: v_dual_lshlrev_b32 v66, 16, v66
	v_mul_f32_e32 v144, v120, v132
	s_delay_alu instid0(VALU_DEP_3) | instskip(NEXT) | instid1(VALU_DEP_1)
	v_fmac_f32_e32 v38, v39, v51
	v_add_f32_e32 v38, v118, v38
	v_and_b32_e32 v118, 0xffff0000, v67
	v_dual_add_f32 v122, v122, v148 :: v_dual_lshlrev_b32 v67, 16, v67
	v_mul_f32_e32 v148, v143, v63
	v_mul_f32_e32 v143, v142, v131
	s_delay_alu instid0(VALU_DEP_2) | instskip(NEXT) | instid1(VALU_DEP_2)
	v_dual_fmac_f32 v148, v39, v59 :: v_dual_mul_f32 v39, v146, v73
	v_dual_fmac_f32 v143, v65, v56 :: v_dual_mul_f32 v146, v120, v133
	s_delay_alu instid0(VALU_DEP_2) | instskip(NEXT) | instid1(VALU_DEP_2)
	v_add_f32_e32 v117, v117, v148
	v_dual_fmac_f32 v39, v40, v130 :: v_dual_add_f32 v40, v122, v143
	v_mul_f32_e32 v122, v118, v46
	v_mul_f32_e32 v143, v142, v75
	s_delay_alu instid0(VALU_DEP_3) | instskip(SKIP_4) | instid1(VALU_DEP_2)
	v_dual_add_f32 v117, v117, v149 :: v_dual_add_f32 v38, v38, v39
	v_and_b32_e32 v39, 0xffff0000, v68
	v_lshlrev_b32_e32 v68, 16, v68
	v_fmac_f32_e32 v144, v66, v74
	v_dual_fmac_f32 v122, v67, v45 :: v_dual_fmac_f32 v143, v65, v48
	v_dual_mul_f32 v145, v39, v35 :: v_dual_add_f32 v40, v40, v144
	s_delay_alu instid0(VALU_DEP_2) | instskip(SKIP_1) | instid1(VALU_DEP_3)
	v_dual_mul_f32 v144, v39, v52 :: v_dual_add_f32 v117, v117, v143
	v_mul_f32_e32 v143, v120, v34
	v_add_f32_e32 v40, v40, v122
	s_delay_alu instid0(VALU_DEP_2) | instskip(NEXT) | instid1(VALU_DEP_1)
	v_dual_fmac_f32 v144, v68, v47 :: v_dual_fmac_f32 v143, v66, v30
	v_add_f32_e32 v122, v40, v144
	s_delay_alu instid0(VALU_DEP_2) | instskip(SKIP_2) | instid1(VALU_DEP_2)
	v_dual_mul_f32 v144, v118, v36 :: v_dual_add_f32 v37, v37, v143
	v_dual_mul_f32 v143, v39, v136 :: v_dual_mul_f32 v40, v118, v134
	v_mul_f32_e32 v39, v39, v141
	v_dual_fmac_f32 v144, v67, v31 :: v_dual_fmac_f32 v143, v68, v25
	s_delay_alu instid0(VALU_DEP_1) | instskip(SKIP_1) | instid1(VALU_DEP_1)
	v_dual_fmac_f32 v40, v67, v137 :: v_dual_add_f32 v37, v37, v144
	v_mul_f32_e32 v142, v142, v139
	v_dual_fmac_f32 v142, v65, v138 :: v_dual_mul_f32 v65, v120, v32
	s_delay_alu instid0(VALU_DEP_3) | instskip(NEXT) | instid1(VALU_DEP_1)
	v_dual_add_f32 v120, v37, v143 :: v_dual_mul_f32 v37, v118, v140
	v_dual_add_f32 v38, v38, v142 :: v_dual_fmac_f32 v37, v67, v27
	s_delay_alu instid0(VALU_DEP_3) | instskip(NEXT) | instid1(VALU_DEP_1)
	v_fmac_f32_e32 v65, v66, v26
	v_dual_add_f32 v38, v38, v65 :: v_dual_and_b32 v65, 0xffff0000, v18
	s_delay_alu instid0(VALU_DEP_1) | instskip(NEXT) | instid1(VALU_DEP_2)
	v_dual_add_f32 v37, v38, v37 :: v_dual_lshlrev_b32 v18, 16, v18
	v_mul_f32_e32 v67, v65, v92
	s_delay_alu instid0(VALU_DEP_1) | instskip(SKIP_1) | instid1(VALU_DEP_1)
	v_fmac_f32_e32 v67, v18, v61
	v_fmac_f32_e32 v39, v68, v28
	v_dual_fmac_f32 v145, v68, v29 :: v_dual_add_f32 v118, v37, v39
	v_and_b32_e32 v37, 0xffff0000, v20
	v_lshlrev_b32_e32 v20, 16, v20
	v_fmac_f32_e32 v146, v66, v76
	v_and_b32_e32 v38, 0xffff0000, v19
	v_lshlrev_b32_e32 v19, 16, v19
	s_delay_alu instid0(VALU_DEP_3) | instskip(NEXT) | instid1(VALU_DEP_3)
	v_add_f32_e32 v117, v117, v146
	v_mul_f32_e32 v68, v38, v70
	s_delay_alu instid0(VALU_DEP_2) | instskip(NEXT) | instid1(VALU_DEP_1)
	v_add_f32_e32 v40, v117, v40
	v_dual_fmac_f32 v68, v19, v62 :: v_dual_add_f32 v117, v40, v145
	v_and_b32_e32 v40, 0xffff0000, v17
	s_delay_alu instid0(VALU_DEP_1) | instskip(SKIP_1) | instid1(VALU_DEP_2)
	v_dual_mul_f32 v66, v40, v78 :: v_dual_lshlrev_b32 v17, 16, v17
	v_mul_f32_e32 v39, v40, v93
	v_fmac_f32_e32 v66, v17, v69
	s_delay_alu instid0(VALU_DEP_1) | instskip(NEXT) | instid1(VALU_DEP_1)
	v_dual_fmac_f32 v39, v17, v71 :: v_dual_add_f32 v66, v119, v66
	v_dual_add_f32 v39, v116, v39 :: v_dual_mul_f32 v116, v65, v97
	s_delay_alu instid0(VALU_DEP_2) | instskip(NEXT) | instid1(VALU_DEP_1)
	v_dual_add_f32 v66, v66, v67 :: v_dual_mul_f32 v67, v37, v72
	v_add_f32_e32 v66, v66, v68
	s_delay_alu instid0(VALU_DEP_2) | instskip(NEXT) | instid1(VALU_DEP_4)
	v_dual_mul_f32 v68, v65, v94 :: v_dual_fmac_f32 v67, v20, v57
	v_dual_mul_f32 v65, v65, v129 :: v_dual_fmac_f32 v116, v18, v60
	s_delay_alu instid0(VALU_DEP_2) | instskip(NEXT) | instid1(VALU_DEP_3)
	v_fmac_f32_e32 v68, v18, v58
	v_add_f32_e32 v66, v66, v67
	v_mul_f32_e32 v67, v38, v63
	s_delay_alu instid0(VALU_DEP_4) | instskip(NEXT) | instid1(VALU_DEP_4)
	v_fmac_f32_e32 v65, v18, v50
	v_dual_mul_f32 v18, v38, v55 :: v_dual_add_f32 v39, v39, v68
	s_delay_alu instid0(VALU_DEP_3) | instskip(SKIP_1) | instid1(VALU_DEP_3)
	v_dual_mul_f32 v68, v38, v98 :: v_dual_fmac_f32 v67, v19, v59
	v_lshlrev_b32_e32 v38, 16, v41
	v_fmac_f32_e32 v18, v19, v51
	s_delay_alu instid0(VALU_DEP_3) | instskip(NEXT) | instid1(VALU_DEP_4)
	v_fmac_f32_e32 v68, v19, v99
	v_add_f32_e32 v39, v39, v67
	v_mul_f32_e32 v67, v37, v54
	v_mul_f32_e32 v119, v40, v96
	v_dual_mul_f32 v40, v40, v128 :: v_dual_mul_f32 v19, v37, v73
	s_delay_alu instid0(VALU_DEP_2) | instskip(NEXT) | instid1(VALU_DEP_2)
	v_fmac_f32_e32 v119, v17, v64
	v_fmac_f32_e32 v40, v17, v127
	s_delay_alu instid0(VALU_DEP_2) | instskip(SKIP_2) | instid1(VALU_DEP_3)
	v_add_f32_e32 v113, v113, v119
	v_mul_f32_e32 v119, v37, v95
	v_lshlrev_b32_e32 v37, 16, v42
	v_add_f32_e32 v113, v113, v116
	s_delay_alu instid0(VALU_DEP_1) | instskip(NEXT) | instid1(VALU_DEP_1)
	v_dual_add_f32 v17, v113, v68 :: v_dual_and_b32 v68, 0xffff0000, v41
	v_mul_f32_e32 v41, v68, v131
	v_fmac_f32_e32 v67, v20, v49
	v_fmac_f32_e32 v119, v20, v53
	;; [unrolled: 1-line block ×3, first 2 shown]
	s_delay_alu instid0(VALU_DEP_4) | instskip(NEXT) | instid1(VALU_DEP_4)
	v_fmac_f32_e32 v41, v38, v56
	v_add_f32_e32 v17, v17, v67
	v_mul_f32_e32 v67, v68, v135
	s_delay_alu instid0(VALU_DEP_3) | instskip(SKIP_1) | instid1(VALU_DEP_3)
	v_dual_add_f32 v39, v39, v119 :: v_dual_add_f32 v20, v66, v41
	v_lshlrev_b32_e32 v41, 16, v43
	v_dual_fmac_f32 v67, v38, v33 :: v_dual_add_f32 v40, v111, v40
	v_mul_f32_e32 v66, v68, v75
	s_delay_alu instid0(VALU_DEP_2) | instskip(NEXT) | instid1(VALU_DEP_2)
	v_dual_add_f32 v17, v17, v67 :: v_dual_add_f32 v40, v40, v65
	v_dual_fmac_f32 v66, v38, v48 :: v_dual_and_b32 v65, 0xffff0000, v42
	s_delay_alu instid0(VALU_DEP_2) | instskip(NEXT) | instid1(VALU_DEP_2)
	v_add_f32_e32 v18, v40, v18
	v_mul_f32_e32 v42, v65, v132
	s_delay_alu instid0(VALU_DEP_3) | instskip(NEXT) | instid1(VALU_DEP_3)
	v_dual_add_f32 v39, v39, v66 :: v_dual_and_b32 v40, 0xffff0000, v43
	v_add_f32_e32 v18, v18, v19
	s_delay_alu instid0(VALU_DEP_3) | instskip(NEXT) | instid1(VALU_DEP_3)
	v_fmac_f32_e32 v42, v37, v74
	v_mul_f32_e32 v43, v40, v46
	s_delay_alu instid0(VALU_DEP_2) | instskip(NEXT) | instid1(VALU_DEP_2)
	v_dual_add_f32 v20, v20, v42 :: v_dual_and_b32 v19, 0xffff0000, v44
	v_dual_fmac_f32 v43, v41, v45 :: v_dual_lshlrev_b32 v42, 16, v44
	s_delay_alu instid0(VALU_DEP_2) | instskip(NEXT) | instid1(VALU_DEP_2)
	v_mul_f32_e32 v44, v19, v52
	v_dual_add_f32 v20, v20, v43 :: v_dual_mul_f32 v43, v65, v133
	s_delay_alu instid0(VALU_DEP_1) | instskip(NEXT) | instid1(VALU_DEP_1)
	v_dual_fmac_f32 v44, v42, v47 :: v_dual_fmac_f32 v43, v37, v76
	v_add_f32_e32 v119, v20, v44
	v_mul_f32_e32 v20, v40, v134
	v_mul_f32_e32 v44, v19, v35
	s_delay_alu instid0(VALU_DEP_2) | instskip(NEXT) | instid1(VALU_DEP_2)
	v_dual_add_f32 v39, v39, v43 :: v_dual_fmac_f32 v20, v41, v137
	v_fmac_f32_e32 v44, v42, v29
	s_delay_alu instid0(VALU_DEP_2) | instskip(SKIP_2) | instid1(VALU_DEP_3)
	v_add_f32_e32 v20, v39, v20
	v_mul_f32_e32 v39, v19, v136
	v_dual_mul_f32 v19, v19, v141 :: v_dual_mul_f32 v66, v65, v34
	v_add_f32_e32 v116, v20, v44
	v_and_b32_e32 v20, 0xffff0000, v9
	s_delay_alu instid0(VALU_DEP_3) | instskip(SKIP_1) | instid1(VALU_DEP_2)
	v_dual_fmac_f32 v66, v37, v30 :: v_dual_lshlrev_b32 v9, 16, v9
	v_fmac_f32_e32 v39, v42, v25
	v_dual_add_f32 v17, v17, v66 :: v_dual_mul_f32 v66, v68, v139
	s_delay_alu instid0(VALU_DEP_1) | instskip(SKIP_1) | instid1(VALU_DEP_2)
	v_fmac_f32_e32 v66, v38, v138
	v_mul_f32_e32 v38, v65, v32
	v_add_f32_e32 v18, v18, v66
	s_delay_alu instid0(VALU_DEP_2) | instskip(SKIP_1) | instid1(VALU_DEP_2)
	v_fmac_f32_e32 v38, v37, v26
	v_mul_f32_e32 v37, v20, v78
	v_dual_mul_f32 v43, v40, v36 :: v_dual_add_f32 v18, v18, v38
	s_delay_alu instid0(VALU_DEP_1) | instskip(NEXT) | instid1(VALU_DEP_3)
	v_dual_fmac_f32 v43, v41, v31 :: v_dual_and_b32 v38, 0xffff0000, v10
	v_dual_fmac_f32 v37, v9, v69 :: v_dual_lshlrev_b32 v10, 16, v10
	s_delay_alu instid0(VALU_DEP_2) | instskip(NEXT) | instid1(VALU_DEP_2)
	v_add_f32_e32 v17, v17, v43
	v_add_f32_e32 v37, v114, v37
	s_delay_alu instid0(VALU_DEP_2) | instskip(SKIP_2) | instid1(VALU_DEP_2)
	v_add_f32_e32 v113, v17, v39
	v_mul_f32_e32 v17, v40, v140
	v_mul_f32_e32 v39, v38, v92
	v_fmac_f32_e32 v17, v41, v27
	v_fmac_f32_e32 v19, v42, v28
	s_delay_alu instid0(VALU_DEP_3) | instskip(NEXT) | instid1(VALU_DEP_3)
	v_fmac_f32_e32 v39, v10, v61
	v_dual_add_f32 v17, v18, v17 :: v_dual_and_b32 v18, 0xffff0000, v11
	v_lshlrev_b32_e32 v11, 16, v11
	s_delay_alu instid0(VALU_DEP_3) | instskip(NEXT) | instid1(VALU_DEP_3)
	v_add_f32_e32 v37, v37, v39
	v_add_f32_e32 v111, v17, v19
	s_delay_alu instid0(VALU_DEP_4) | instskip(SKIP_1) | instid1(VALU_DEP_2)
	v_dual_mul_f32 v40, v18, v70 :: v_dual_and_b32 v17, 0xffff0000, v12
	v_dual_mul_f32 v19, v20, v93 :: v_dual_lshlrev_b32 v12, 16, v12
	v_dual_mul_f32 v39, v17, v72 :: v_dual_fmac_f32 v40, v11, v62
	s_delay_alu instid0(VALU_DEP_2) | instskip(NEXT) | instid1(VALU_DEP_2)
	v_fmac_f32_e32 v19, v9, v71
	v_fmac_f32_e32 v39, v12, v57
	s_delay_alu instid0(VALU_DEP_3) | instskip(NEXT) | instid1(VALU_DEP_3)
	v_add_f32_e32 v37, v37, v40
	v_add_f32_e32 v19, v112, v19
	v_mul_f32_e32 v40, v20, v96
	s_delay_alu instid0(VALU_DEP_3) | instskip(NEXT) | instid1(VALU_DEP_2)
	v_dual_mul_f32 v20, v20, v128 :: v_dual_add_f32 v37, v37, v39
	v_fmac_f32_e32 v40, v9, v64
	s_delay_alu instid0(VALU_DEP_1) | instskip(SKIP_2) | instid1(VALU_DEP_2)
	v_add_f32_e32 v39, v110, v40
	v_mul_f32_e32 v41, v38, v94
	v_mul_f32_e32 v43, v38, v97
	v_fmac_f32_e32 v41, v10, v58
	s_delay_alu instid0(VALU_DEP_2) | instskip(NEXT) | instid1(VALU_DEP_2)
	v_fmac_f32_e32 v43, v10, v60
	v_dual_mul_f32 v40, v18, v98 :: v_dual_add_f32 v19, v19, v41
	v_mul_f32_e32 v41, v17, v95
	v_mul_f32_e32 v42, v18, v63
	s_delay_alu instid0(VALU_DEP_4) | instskip(SKIP_3) | instid1(VALU_DEP_1)
	v_add_f32_e32 v39, v39, v43
	v_dual_fmac_f32 v20, v9, v127 :: v_dual_mul_f32 v9, v38, v129
	v_and_b32_e32 v38, 0xffff0000, v21
	v_mul_f32_e32 v18, v18, v55
	v_dual_fmac_f32 v9, v10, v50 :: v_dual_fmac_f32 v18, v11, v51
	s_delay_alu instid0(VALU_DEP_3) | instskip(NEXT) | instid1(VALU_DEP_1)
	v_dual_mul_f32 v21, v38, v131 :: v_dual_lshlrev_b32 v10, 16, v21
	v_dual_fmac_f32 v40, v11, v99 :: v_dual_fmac_f32 v21, v10, v56
	s_delay_alu instid0(VALU_DEP_1) | instskip(SKIP_4) | instid1(VALU_DEP_4)
	v_add_f32_e32 v39, v39, v40
	v_add_f32_e32 v20, v115, v20
	v_mul_f32_e32 v40, v17, v54
	v_dual_mul_f32 v17, v17, v73 :: v_dual_fmac_f32 v42, v11, v59
	v_and_b32_e32 v11, 0xffff0000, v23
	v_add_f32_e32 v9, v20, v9
	v_add_f32_e32 v21, v37, v21
	v_lshlrev_b32_e32 v23, 16, v23
	v_add_f32_e32 v19, v19, v42
	v_dual_fmac_f32 v41, v12, v53 :: v_dual_and_b32 v42, 0xffff0000, v22
	v_mul_f32_e32 v37, v11, v46
	v_lshlrev_b32_e32 v20, 16, v22
	v_add_f32_e32 v9, v9, v18
	s_delay_alu instid0(VALU_DEP_4) | instskip(NEXT) | instid1(VALU_DEP_4)
	v_dual_fmac_f32 v17, v12, v130 :: v_dual_mul_f32 v22, v42, v132
	v_fmac_f32_e32 v37, v23, v45
	v_dual_add_f32 v18, v19, v41 :: v_dual_mul_f32 v19, v38, v75
	s_delay_alu instid0(VALU_DEP_3) | instskip(SKIP_1) | instid1(VALU_DEP_2)
	v_dual_add_f32 v9, v9, v17 :: v_dual_fmac_f32 v22, v20, v74
	v_dual_fmac_f32 v40, v12, v49 :: v_dual_and_b32 v17, 0xffff0000, v24
	v_dual_fmac_f32 v19, v10, v48 :: v_dual_add_f32 v12, v21, v22
	s_delay_alu instid0(VALU_DEP_2) | instskip(NEXT) | instid1(VALU_DEP_2)
	v_add_f32_e32 v21, v39, v40
	v_dual_mul_f32 v39, v17, v52 :: v_dual_add_f32 v12, v12, v37
	v_dual_mul_f32 v37, v38, v135 :: v_dual_lshlrev_b32 v24, 16, v24
	s_delay_alu instid0(VALU_DEP_1) | instskip(NEXT) | instid1(VALU_DEP_2)
	v_fmac_f32_e32 v37, v10, v33
	v_dual_mul_f32 v22, v42, v133 :: v_dual_fmac_f32 v39, v24, v47
	v_add_f32_e32 v18, v18, v19
	v_mul_f32_e32 v19, v42, v34
	s_delay_alu instid0(VALU_DEP_3) | instskip(SKIP_1) | instid1(VALU_DEP_3)
	v_dual_add_f32 v21, v21, v37 :: v_dual_fmac_f32 v22, v20, v76
	v_mul_f32_e32 v37, v38, v139
	v_fmac_f32_e32 v19, v20, v30
	s_delay_alu instid0(VALU_DEP_3) | instskip(SKIP_1) | instid1(VALU_DEP_3)
	v_add_f32_e32 v18, v18, v22
	v_mul_f32_e32 v22, v11, v36
	v_dual_mul_f32 v40, v11, v134 :: v_dual_add_f32 v19, v21, v19
	v_mul_f32_e32 v21, v17, v136
	s_delay_alu instid0(VALU_DEP_3) | instskip(NEXT) | instid1(VALU_DEP_3)
	v_dual_fmac_f32 v37, v10, v138 :: v_dual_fmac_f32 v22, v23, v31
	v_fmac_f32_e32 v40, v23, v137
	v_add_f32_e32 v114, v12, v39
	s_delay_alu instid0(VALU_DEP_4) | instskip(NEXT) | instid1(VALU_DEP_3)
	v_dual_mul_f32 v12, v17, v35 :: v_dual_fmac_f32 v21, v24, v25
	v_dual_add_f32 v19, v19, v22 :: v_dual_add_f32 v18, v18, v40
	v_and_b32_e32 v22, 0xffff0000, v5
	s_delay_alu instid0(VALU_DEP_3) | instskip(SKIP_2) | instid1(VALU_DEP_3)
	v_dual_fmac_f32 v12, v24, v29 :: v_dual_mul_f32 v11, v11, v140
	v_lshlrev_b32_e32 v5, 16, v5
	v_add_f32_e32 v9, v9, v37
	v_dual_mul_f32 v17, v17, v141 :: v_dual_add_f32 v112, v18, v12
	s_delay_alu instid0(VALU_DEP_4) | instskip(SKIP_1) | instid1(VALU_DEP_3)
	v_dual_mul_f32 v18, v42, v32 :: v_dual_fmac_f32 v11, v23, v27
	v_and_b32_e32 v12, 0xffff0000, v6
	v_dual_fmac_f32 v17, v24, v28 :: v_dual_lshlrev_b32 v6, 16, v6
	s_delay_alu instid0(VALU_DEP_3) | instskip(SKIP_2) | instid1(VALU_DEP_3)
	v_fmac_f32_e32 v18, v20, v26
	v_and_b32_e32 v20, 0xffff0000, v7
	v_lshlrev_b32_e32 v7, 16, v7
	v_dual_add_f32 v9, v9, v18 :: v_dual_add_f32 v110, v19, v21
	s_delay_alu instid0(VALU_DEP_3) | instskip(SKIP_1) | instid1(VALU_DEP_3)
	v_mul_f32_e32 v21, v20, v70
	v_dual_mul_f32 v19, v12, v92 :: v_dual_mul_f32 v10, v22, v78
	v_dual_mul_f32 v18, v22, v93 :: v_dual_add_f32 v9, v9, v11
	s_delay_alu instid0(VALU_DEP_3) | instskip(NEXT) | instid1(VALU_DEP_3)
	v_fmac_f32_e32 v21, v7, v62
	v_fmac_f32_e32 v19, v6, v61
	s_delay_alu instid0(VALU_DEP_4) | instskip(SKIP_3) | instid1(VALU_DEP_4)
	v_dual_fmac_f32 v10, v5, v69 :: v_dual_and_b32 v11, 0xffff0000, v8
	v_mul_f32_e32 v23, v22, v96
	v_mul_f32_e32 v37, v12, v97
	v_mul_f32_e32 v24, v20, v63
	v_add_f32_e32 v10, v109, v10
	s_delay_alu instid0(VALU_DEP_4) | instskip(NEXT) | instid1(VALU_DEP_3)
	v_dual_mul_f32 v38, v20, v98 :: v_dual_fmac_f32 v23, v5, v64
	v_dual_fmac_f32 v37, v6, v60 :: v_dual_fmac_f32 v24, v7, v59
	s_delay_alu instid0(VALU_DEP_3) | instskip(SKIP_1) | instid1(VALU_DEP_4)
	v_dual_add_f32 v10, v10, v19 :: v_dual_mul_f32 v19, v12, v94
	v_fmac_f32_e32 v18, v5, v71
	v_dual_add_f32 v23, v107, v23 :: v_dual_lshlrev_b32 v8, 16, v8
	v_mul_f32_e32 v22, v22, v128
	s_delay_alu instid0(VALU_DEP_4) | instskip(NEXT) | instid1(VALU_DEP_4)
	v_dual_add_f32 v10, v10, v21 :: v_dual_mul_f32 v21, v11, v72
	v_add_f32_e32 v18, v108, v18
	v_fmac_f32_e32 v19, v6, v58
	s_delay_alu instid0(VALU_DEP_4) | instskip(NEXT) | instid1(VALU_DEP_4)
	v_dual_add_f32 v23, v23, v37 :: v_dual_fmac_f32 v22, v5, v127
	v_fmac_f32_e32 v21, v8, v57
	v_mul_f32_e32 v20, v20, v55
	s_delay_alu instid0(VALU_DEP_4) | instskip(SKIP_1) | instid1(VALU_DEP_4)
	v_add_f32_e32 v18, v18, v19
	v_mul_f32_e32 v19, v11, v95
	v_dual_fmac_f32 v38, v7, v99 :: v_dual_add_f32 v5, v10, v21
	v_mul_f32_e32 v10, v12, v129
	s_delay_alu instid0(VALU_DEP_3) | instskip(SKIP_2) | instid1(VALU_DEP_3)
	v_dual_add_f32 v18, v18, v24 :: v_dual_fmac_f32 v19, v8, v53
	v_and_b32_e32 v21, 0xffff0000, v13
	v_dual_fmac_f32 v20, v7, v51 :: v_dual_lshlrev_b32 v13, 16, v13
	v_dual_mul_f32 v7, v11, v73 :: v_dual_add_f32 v12, v18, v19
	v_add_f32_e32 v19, v106, v22
	v_fmac_f32_e32 v10, v6, v50
	v_add_f32_e32 v18, v23, v38
	s_delay_alu instid0(VALU_DEP_4) | instskip(NEXT) | instid1(VALU_DEP_3)
	v_dual_mul_f32 v22, v21, v131 :: v_dual_fmac_f32 v7, v8, v130
	v_dual_add_f32 v115, v9, v17 :: v_dual_add_f32 v10, v19, v10
	s_delay_alu instid0(VALU_DEP_1)
	v_dual_add_f32 v10, v10, v20 :: v_dual_and_b32 v19, 0xffff0000, v14
	v_mul_f32_e32 v6, v11, v54
	v_lshlrev_b32_e32 v11, 16, v14
	v_and_b32_e32 v20, 0xffff0000, v16
	v_fmac_f32_e32 v22, v13, v56
	v_dual_mul_f32 v14, v19, v132 :: v_dual_add_f32 v7, v10, v7
	v_and_b32_e32 v10, 0xffff0000, v15
	v_lshlrev_b32_e32 v15, 16, v15
	s_delay_alu instid0(VALU_DEP_4) | instskip(NEXT) | instid1(VALU_DEP_4)
	v_add_f32_e32 v5, v5, v22
	v_fmac_f32_e32 v14, v11, v74
	v_fmac_f32_e32 v6, v8, v49
	v_lshlrev_b32_e32 v16, 16, v16
	v_mul_f32_e32 v8, v21, v75
	s_delay_alu instid0(VALU_DEP_4) | instskip(NEXT) | instid1(VALU_DEP_4)
	v_dual_mul_f32 v22, v20, v52 :: v_dual_add_f32 v5, v5, v14
	v_add_f32_e32 v6, v18, v6
	v_mul_f32_e32 v18, v10, v46
	s_delay_alu instid0(VALU_DEP_4) | instskip(NEXT) | instid1(VALU_DEP_4)
	v_fmac_f32_e32 v8, v13, v48
	v_fmac_f32_e32 v22, v16, v47
	s_delay_alu instid0(VALU_DEP_3) | instskip(NEXT) | instid1(VALU_DEP_1)
	v_fmac_f32_e32 v18, v15, v45
	v_dual_add_f32 v8, v12, v8 :: v_dual_add_f32 v5, v5, v18
	v_mul_f32_e32 v14, v19, v133
	v_mul_f32_e32 v18, v21, v139
	s_delay_alu instid0(VALU_DEP_2) | instskip(NEXT) | instid1(VALU_DEP_2)
	v_dual_add_f32 v109, v5, v22 :: v_dual_fmac_f32 v14, v11, v76
	v_fmac_f32_e32 v18, v13, v138
	s_delay_alu instid0(VALU_DEP_2) | instskip(NEXT) | instid1(VALU_DEP_2)
	v_add_f32_e32 v8, v8, v14
	v_dual_mul_f32 v14, v21, v135 :: v_dual_add_f32 v7, v7, v18
	v_mul_f32_e32 v12, v10, v134
	s_delay_alu instid0(VALU_DEP_2) | instskip(NEXT) | instid1(VALU_DEP_2)
	v_dual_fmac_f32 v14, v13, v33 :: v_dual_mul_f32 v13, v19, v32
	v_fmac_f32_e32 v12, v15, v137
	s_delay_alu instid0(VALU_DEP_1) | instskip(SKIP_1) | instid1(VALU_DEP_2)
	v_dual_fmac_f32 v13, v11, v26 :: v_dual_add_f32 v8, v8, v12
	v_mul_f32_e32 v12, v19, v34
	v_dual_add_f32 v7, v7, v13 :: v_dual_add_f32 v6, v6, v14
	s_delay_alu instid0(VALU_DEP_2) | instskip(SKIP_3) | instid1(VALU_DEP_4)
	v_fmac_f32_e32 v12, v11, v30
	v_mul_f32_e32 v14, v10, v36
	v_mul_f32_e32 v10, v10, v140
	;; [unrolled: 1-line block ×3, first 2 shown]
	v_add_f32_e32 v6, v6, v12
	s_delay_alu instid0(VALU_DEP_4) | instskip(NEXT) | instid1(VALU_DEP_3)
	v_fmac_f32_e32 v14, v15, v31
	v_dual_fmac_f32 v10, v15, v27 :: v_dual_fmac_f32 v11, v16, v25
	v_mul_f32_e32 v21, v20, v35
	v_mul_f32_e32 v12, v20, v141
	s_delay_alu instid0(VALU_DEP_4) | instskip(NEXT) | instid1(VALU_DEP_4)
	v_add_f32_e32 v6, v6, v14
	v_add_f32_e32 v7, v7, v10
	s_delay_alu instid0(VALU_DEP_4) | instskip(NEXT) | instid1(VALU_DEP_3)
	v_fmac_f32_e32 v21, v16, v29
	v_dual_fmac_f32 v12, v16, v28 :: v_dual_add_f32 v107, v6, v11
	s_delay_alu instid0(VALU_DEP_2) | instskip(NEXT) | instid1(VALU_DEP_2)
	v_add_f32_e32 v108, v8, v21
	v_add_f32_e32 v106, v7, v12
	s_cbranch_scc1 .LBB291_66
.LBB291_24:                             ;   Parent Loop BB291_19 Depth=1
                                        ; =>  This Inner Loop Header: Depth=2
	v_dual_mov_b32 v24, 0 :: v_dual_add_nc_u32 v93, s1, v0
	v_dual_mov_b32 v23, 0 :: v_dual_mov_b32 v22, 0
	s_waitcnt vmcnt(0)
	v_mov_b32_e32 v21, 0
	s_delay_alu instid0(VALU_DEP_3) | instskip(SKIP_3) | instid1(VALU_DEP_4)
	v_min_u32_e32 v78, s23, v93
	v_add_nc_u32_e32 v92, 0x100, v93
	v_dual_mov_b32 v44, 0 :: v_dual_mov_b32 v43, 0
	v_dual_mov_b32 v42, 0 :: v_dual_mov_b32 v41, 0
	v_lshlrev_b64 v[5:6], 1, v[78:79]
	s_delay_alu instid0(VALU_DEP_4) | instskip(SKIP_2) | instid1(VALU_DEP_4)
	v_min_u32_e32 v78, s23, v92
	v_dual_mov_b32 v68, 0 :: v_dual_mov_b32 v67, 0
	v_dual_mov_b32 v66, 0 :: v_dual_mov_b32 v65, 0
	v_add_co_u32 v13, vcc_lo, s6, v5
	v_add_co_ci_u32_e32 v14, vcc_lo, s7, v6, vcc_lo
	v_lshlrev_b64 v[5:6], 1, v[78:79]
	s_delay_alu instid0(VALU_DEP_3) | instskip(NEXT) | instid1(VALU_DEP_3)
	v_add_co_u32 v7, vcc_lo, v13, v84
	v_add_co_ci_u32_e32 v8, vcc_lo, v14, v85, vcc_lo
	v_add_co_u32 v9, vcc_lo, v13, v86
	v_add_co_ci_u32_e32 v10, vcc_lo, v14, v87, vcc_lo
	;; [unrolled: 2-line block ×5, first 2 shown]
	s_clause 0x1
	global_load_b128 v[61:64], v[7:8], off slc dlc
	global_load_b128 v[57:60], v[9:10], off slc dlc
	v_add_co_u32 v7, vcc_lo, v15, v84
	v_add_co_ci_u32_e32 v8, vcc_lo, v16, v85, vcc_lo
	v_add_co_u32 v9, vcc_lo, v15, v86
	v_add_co_ci_u32_e32 v10, vcc_lo, v16, v87, vcc_lo
	;; [unrolled: 2-line block ×4, first 2 shown]
	s_clause 0x5
	global_load_b128 v[53:56], v[11:12], off slc dlc
	global_load_b128 v[49:52], v[5:6], off slc dlc
	;; [unrolled: 1-line block ×6, first 2 shown]
	v_mov_b32_e32 v16, 0
	v_cmp_gt_u32_e32 vcc_lo, s8, v93
	v_dual_mov_b32 v15, 0 :: v_dual_mov_b32 v14, 0
	v_dual_mov_b32 v13, 0 :: v_dual_mov_b32 v76, 0
	;; [unrolled: 1-line block ×13, first 2 shown]
	v_mov_b32_e32 v69, 0
	s_and_saveexec_b32 s2, vcc_lo
	s_cbranch_execz .LBB291_23
; %bb.25:                               ;   in Loop: Header=BB291_24 Depth=2
	s_mov_b32 s3, exec_lo
                                        ; implicit-def: $vgpr72
	v_cmpx_lt_u32_e32 0x7fff, v93
	s_xor_b32 s3, exec_lo, s3
	s_cbranch_execz .LBB291_27
; %bb.26:                               ;   in Loop: Header=BB291_24 Depth=2
	v_mov_b32_e32 v94, v79
	s_delay_alu instid0(VALU_DEP_1) | instskip(NEXT) | instid1(VALU_DEP_1)
	v_lshlrev_b64 v[5:6], 1, v[93:94]
	v_add_co_u32 v5, vcc_lo, s16, v5
	s_delay_alu instid0(VALU_DEP_2)
	v_add_co_ci_u32_e32 v6, vcc_lo, s17, v6, vcc_lo
	global_load_b128 v[69:72], v[5:6], off
.LBB291_27:                             ;   in Loop: Header=BB291_24 Depth=2
	s_and_not1_saveexec_b32 s3, s3
	s_cbranch_execz .LBB291_29
; %bb.28:                               ;   in Loop: Header=BB291_24 Depth=2
	s_waitcnt vmcnt(0)
	ds_load_b128 v[69:72], v121
.LBB291_29:                             ;   in Loop: Header=BB291_24 Depth=2
	s_or_b32 exec_lo, exec_lo, s3
	v_add_nc_u32_e32 v78, s1, v101
	s_mov_b32 s3, exec_lo
                                        ; implicit-def: $vgpr40
	s_delay_alu instid0(VALU_DEP_1)
	v_cmpx_lt_u32_e32 0x7fff, v78
	s_xor_b32 s3, exec_lo, s3
	s_cbranch_execz .LBB291_31
; %bb.30:                               ;   in Loop: Header=BB291_24 Depth=2
	v_lshlrev_b64 v[5:6], 1, v[78:79]
	s_delay_alu instid0(VALU_DEP_1) | instskip(NEXT) | instid1(VALU_DEP_2)
	v_add_co_u32 v5, vcc_lo, s16, v5
	v_add_co_ci_u32_e32 v6, vcc_lo, s17, v6, vcc_lo
	global_load_b128 v[37:40], v[5:6], off
.LBB291_31:                             ;   in Loop: Header=BB291_24 Depth=2
	s_and_not1_saveexec_b32 s3, s3
	s_cbranch_execz .LBB291_33
; %bb.32:                               ;   in Loop: Header=BB291_24 Depth=2
	v_add_nc_u32_e32 v5, s26, v121
	s_waitcnt vmcnt(0)
	ds_load_b128 v[37:40], v5
.LBB291_33:                             ;   in Loop: Header=BB291_24 Depth=2
	s_or_b32 exec_lo, exec_lo, s3
	v_add_nc_u32_e32 v98, s1, v103
	s_mov_b32 s3, exec_lo
                                        ; implicit-def: $vgpr20
	s_delay_alu instid0(VALU_DEP_1)
	v_cmpx_lt_u32_e32 0x7fff, v98
	s_xor_b32 s3, exec_lo, s3
	s_cbranch_execz .LBB291_35
; %bb.34:                               ;   in Loop: Header=BB291_24 Depth=2
	v_mov_b32_e32 v99, v79
	s_delay_alu instid0(VALU_DEP_1) | instskip(NEXT) | instid1(VALU_DEP_1)
	v_lshlrev_b64 v[5:6], 1, v[98:99]
	v_add_co_u32 v5, vcc_lo, s16, v5
	s_delay_alu instid0(VALU_DEP_2)
	v_add_co_ci_u32_e32 v6, vcc_lo, s17, v6, vcc_lo
	global_load_b128 v[17:20], v[5:6], off
.LBB291_35:                             ;   in Loop: Header=BB291_24 Depth=2
	s_and_not1_saveexec_b32 s3, s3
	s_cbranch_execz .LBB291_37
; %bb.36:                               ;   in Loop: Header=BB291_24 Depth=2
	v_add_nc_u32_e32 v5, s29, v121
	s_waitcnt vmcnt(0)
	ds_load_2addr_b32 v[17:18], v5 offset1:1
	ds_load_2addr_b32 v[19:20], v5 offset0:2 offset1:3
.LBB291_37:                             ;   in Loop: Header=BB291_24 Depth=2
	s_or_b32 exec_lo, exec_lo, s3
	v_add_nc_u32_e32 v96, s1, v80
	s_mov_b32 s3, exec_lo
                                        ; implicit-def: $vgpr12
	s_delay_alu instid0(VALU_DEP_1)
	v_cmpx_lt_u32_e32 0x7fff, v96
	s_xor_b32 s3, exec_lo, s3
	s_cbranch_execz .LBB291_39
; %bb.38:                               ;   in Loop: Header=BB291_24 Depth=2
	v_mov_b32_e32 v97, v79
	s_delay_alu instid0(VALU_DEP_1) | instskip(NEXT) | instid1(VALU_DEP_1)
	v_lshlrev_b64 v[5:6], 1, v[96:97]
	v_add_co_u32 v5, vcc_lo, s16, v5
	s_delay_alu instid0(VALU_DEP_2)
	v_add_co_ci_u32_e32 v6, vcc_lo, s17, v6, vcc_lo
	global_load_b128 v[9:12], v[5:6], off
.LBB291_39:                             ;   in Loop: Header=BB291_24 Depth=2
	s_and_not1_saveexec_b32 s3, s3
	s_cbranch_execz .LBB291_41
; %bb.40:                               ;   in Loop: Header=BB291_24 Depth=2
	v_add_nc_u32_e32 v5, s33, v121
	s_waitcnt vmcnt(0)
	ds_load_b128 v[9:12], v5
.LBB291_41:                             ;   in Loop: Header=BB291_24 Depth=2
	s_or_b32 exec_lo, exec_lo, s3
	v_add_nc_u32_e32 v94, s1, v105
	s_mov_b32 s3, exec_lo
                                        ; implicit-def: $vgpr8
	s_delay_alu instid0(VALU_DEP_1)
	v_cmpx_lt_u32_e32 0x7fff, v94
	s_xor_b32 s3, exec_lo, s3
	s_cbranch_execz .LBB291_43
; %bb.42:                               ;   in Loop: Header=BB291_24 Depth=2
	v_mov_b32_e32 v95, v79
	s_delay_alu instid0(VALU_DEP_1) | instskip(NEXT) | instid1(VALU_DEP_1)
	v_lshlrev_b64 v[5:6], 1, v[94:95]
	v_add_co_u32 v5, vcc_lo, s16, v5
	s_delay_alu instid0(VALU_DEP_2)
	v_add_co_ci_u32_e32 v6, vcc_lo, s17, v6, vcc_lo
	global_load_b128 v[5:8], v[5:6], off
.LBB291_43:                             ;   in Loop: Header=BB291_24 Depth=2
	s_and_not1_saveexec_b32 s3, s3
	s_cbranch_execz .LBB291_45
; %bb.44:                               ;   in Loop: Header=BB291_24 Depth=2
	s_waitcnt vmcnt(0)
	v_add_nc_u32_e32 v5, s10, v121
	ds_load_2addr_b64 v[5:8], v5 offset1:1
.LBB291_45:                             ;   in Loop: Header=BB291_24 Depth=2
	s_or_b32 exec_lo, exec_lo, s3
	v_cmp_gt_u32_e32 vcc_lo, s8, v92
	v_dual_mov_b32 v16, 0 :: v_dual_mov_b32 v15, 0
	v_dual_mov_b32 v14, 0 :: v_dual_mov_b32 v13, 0
	;; [unrolled: 1-line block ×10, first 2 shown]
	s_and_saveexec_b32 s3, vcc_lo
	s_cbranch_execz .LBB291_22
; %bb.46:                               ;   in Loop: Header=BB291_24 Depth=2
	s_mov_b32 s4, exec_lo
                                        ; implicit-def: $vgpr76
	v_cmpx_lt_u32_e32 0x7fff, v92
	s_xor_b32 s4, exec_lo, s4
	s_cbranch_execz .LBB291_48
; %bb.47:                               ;   in Loop: Header=BB291_24 Depth=2
	v_mov_b32_e32 v93, v79
	s_delay_alu instid0(VALU_DEP_1) | instskip(NEXT) | instid1(VALU_DEP_1)
	v_lshlrev_b64 v[13:14], 1, v[92:93]
	v_add_co_u32 v13, vcc_lo, s16, v13
	s_delay_alu instid0(VALU_DEP_2)
	v_add_co_ci_u32_e32 v14, vcc_lo, s17, v14, vcc_lo
	global_load_b128 v[73:76], v[13:14], off
.LBB291_48:                             ;   in Loop: Header=BB291_24 Depth=2
	s_and_not1_saveexec_b32 s4, s4
	s_cbranch_execz .LBB291_50
; %bb.49:                               ;   in Loop: Header=BB291_24 Depth=2
	s_waitcnt vmcnt(0)
	ds_load_b128 v[73:76], v121 offset:512
.LBB291_50:                             ;   in Loop: Header=BB291_24 Depth=2
	s_or_b32 exec_lo, exec_lo, s4
	v_add_nc_u32_e32 v78, 0x100, v78
	s_mov_b32 s4, exec_lo
                                        ; implicit-def: $vgpr68
	s_delay_alu instid0(VALU_DEP_1)
	v_cmpx_lt_u32_e32 0x7fff, v78
	s_xor_b32 s4, exec_lo, s4
	s_cbranch_execz .LBB291_52
; %bb.51:                               ;   in Loop: Header=BB291_24 Depth=2
	v_lshlrev_b64 v[13:14], 1, v[78:79]
	s_delay_alu instid0(VALU_DEP_1) | instskip(NEXT) | instid1(VALU_DEP_2)
	v_add_co_u32 v13, vcc_lo, s16, v13
	v_add_co_ci_u32_e32 v14, vcc_lo, s17, v14, vcc_lo
	global_load_b128 v[65:68], v[13:14], off
.LBB291_52:                             ;   in Loop: Header=BB291_24 Depth=2
	s_and_not1_saveexec_b32 s4, s4
	s_cbranch_execz .LBB291_54
; %bb.53:                               ;   in Loop: Header=BB291_24 Depth=2
	v_add_nc_u32_e32 v13, s26, v121
	s_waitcnt vmcnt(0)
	ds_load_b128 v[65:68], v13 offset:512
.LBB291_54:                             ;   in Loop: Header=BB291_24 Depth=2
	s_or_b32 exec_lo, exec_lo, s4
	v_add_nc_u32_e32 v78, 0x100, v98
	s_mov_b32 s4, exec_lo
                                        ; implicit-def: $vgpr44
	s_delay_alu instid0(VALU_DEP_1)
	v_cmpx_lt_u32_e32 0x7fff, v78
	s_xor_b32 s4, exec_lo, s4
	s_cbranch_execz .LBB291_56
; %bb.55:                               ;   in Loop: Header=BB291_24 Depth=2
	v_lshlrev_b64 v[13:14], 1, v[78:79]
	s_delay_alu instid0(VALU_DEP_1) | instskip(NEXT) | instid1(VALU_DEP_2)
	v_add_co_u32 v13, vcc_lo, s16, v13
	v_add_co_ci_u32_e32 v14, vcc_lo, s17, v14, vcc_lo
	global_load_b128 v[41:44], v[13:14], off
.LBB291_56:                             ;   in Loop: Header=BB291_24 Depth=2
	s_and_not1_saveexec_b32 s4, s4
	s_cbranch_execz .LBB291_58
; %bb.57:                               ;   in Loop: Header=BB291_24 Depth=2
	v_add_nc_u32_e32 v13, s29, v121
	s_waitcnt vmcnt(0)
	ds_load_2addr_b32 v[41:42], v13 offset0:128 offset1:129
	ds_load_2addr_b32 v[43:44], v13 offset0:130 offset1:131
.LBB291_58:                             ;   in Loop: Header=BB291_24 Depth=2
	s_or_b32 exec_lo, exec_lo, s4
	v_add_nc_u32_e32 v78, 0x100, v96
	s_mov_b32 s4, exec_lo
                                        ; implicit-def: $vgpr24
	s_delay_alu instid0(VALU_DEP_1)
	v_cmpx_lt_u32_e32 0x7fff, v78
	s_xor_b32 s4, exec_lo, s4
	s_cbranch_execz .LBB291_60
; %bb.59:                               ;   in Loop: Header=BB291_24 Depth=2
	v_lshlrev_b64 v[13:14], 1, v[78:79]
	s_delay_alu instid0(VALU_DEP_1) | instskip(NEXT) | instid1(VALU_DEP_2)
	v_add_co_u32 v13, vcc_lo, s16, v13
	v_add_co_ci_u32_e32 v14, vcc_lo, s17, v14, vcc_lo
	global_load_b128 v[21:24], v[13:14], off
.LBB291_60:                             ;   in Loop: Header=BB291_24 Depth=2
	s_and_not1_saveexec_b32 s4, s4
	s_cbranch_execz .LBB291_62
; %bb.61:                               ;   in Loop: Header=BB291_24 Depth=2
	v_add_nc_u32_e32 v13, s33, v121
	s_waitcnt vmcnt(0)
	ds_load_b128 v[21:24], v13 offset:512
.LBB291_62:                             ;   in Loop: Header=BB291_24 Depth=2
	s_or_b32 exec_lo, exec_lo, s4
	v_add_nc_u32_e32 v78, 0x100, v94
	s_mov_b32 s4, exec_lo
                                        ; implicit-def: $vgpr16
	s_delay_alu instid0(VALU_DEP_1)
	v_cmpx_lt_u32_e32 0x7fff, v78
	s_xor_b32 s4, exec_lo, s4
	s_cbranch_execz .LBB291_64
; %bb.63:                               ;   in Loop: Header=BB291_24 Depth=2
	v_lshlrev_b64 v[13:14], 1, v[78:79]
	s_delay_alu instid0(VALU_DEP_1) | instskip(NEXT) | instid1(VALU_DEP_2)
	v_add_co_u32 v13, vcc_lo, s16, v13
	v_add_co_ci_u32_e32 v14, vcc_lo, s17, v14, vcc_lo
	global_load_b128 v[13:16], v[13:14], off
.LBB291_64:                             ;   in Loop: Header=BB291_24 Depth=2
	s_and_not1_saveexec_b32 s4, s4
	s_cbranch_execz .LBB291_21
; %bb.65:                               ;   in Loop: Header=BB291_24 Depth=2
	s_waitcnt vmcnt(0)
	v_add_nc_u32_e32 v13, s10, v121
	ds_load_2addr_b64 v[13:16], v13 offset0:64 offset1:65
	s_branch .LBB291_21
.LBB291_66:                             ;   in Loop: Header=BB291_19 Depth=1
	s_delay_alu instid0(VALU_DEP_1)
	v_cvt_i32_f32_e32 v5, v123
	s_waitcnt lgkmcnt(0)
	v_cvt_i32_f32_e32 v6, v126
	v_cvt_i32_f32_e32 v7, v124
	;; [unrolled: 1-line block ×4, first 2 shown]
	v_cvt_f32_i32_dpp v5, v5 row_shr:8 row_mask:0xf bank_mask:0xf bound_ctrl:1
	v_cvt_f32_i32_dpp v6, v6 row_shr:8 row_mask:0xf bank_mask:0xf bound_ctrl:1
	;; [unrolled: 1-line block ×5, first 2 shown]
	s_delay_alu instid0(VALU_DEP_4) | instskip(NEXT) | instid1(VALU_DEP_3)
	v_dual_add_f32 v5, v123, v5 :: v_dual_add_f32 v6, v126, v6
	v_dual_add_f32 v7, v124, v7 :: v_dual_add_f32 v8, v125, v8
	s_delay_alu instid0(VALU_DEP_2) | instskip(NEXT) | instid1(VALU_DEP_3)
	v_cvt_i32_f32_e32 v10, v5
	v_cvt_i32_f32_e32 v11, v6
	s_delay_alu instid0(VALU_DEP_3) | instskip(NEXT) | instid1(VALU_DEP_4)
	v_cvt_i32_f32_e32 v12, v7
	v_cvt_i32_f32_e32 v13, v8
	s_delay_alu instid0(VALU_DEP_4) | instskip(NEXT) | instid1(VALU_DEP_4)
	v_cvt_f32_i32_dpp v10, v10 row_shr:4 row_mask:0xf bank_mask:0xf bound_ctrl:1
	v_cvt_f32_i32_dpp v11, v11 row_shr:4 row_mask:0xf bank_mask:0xf bound_ctrl:1
	s_delay_alu instid0(VALU_DEP_4) | instskip(NEXT) | instid1(VALU_DEP_4)
	v_cvt_f32_i32_dpp v12, v12 row_shr:4 row_mask:0xf bank_mask:0xf bound_ctrl:1
	v_cvt_f32_i32_dpp v13, v13 row_shr:4 row_mask:0xf bank_mask:0xf bound_ctrl:1
	s_delay_alu instid0(VALU_DEP_3) | instskip(NEXT) | instid1(VALU_DEP_2)
	v_dual_add_f32 v5, v5, v10 :: v_dual_add_f32 v6, v6, v11
	v_dual_add_f32 v7, v7, v12 :: v_dual_add_f32 v8, v8, v13
	s_delay_alu instid0(VALU_DEP_2) | instskip(NEXT) | instid1(VALU_DEP_3)
	v_cvt_i32_f32_e32 v10, v5
	v_cvt_i32_f32_e32 v11, v6
	s_delay_alu instid0(VALU_DEP_3) | instskip(NEXT) | instid1(VALU_DEP_4)
	v_cvt_i32_f32_e32 v12, v7
	v_cvt_i32_f32_e32 v13, v8
	s_delay_alu instid0(VALU_DEP_4) | instskip(NEXT) | instid1(VALU_DEP_4)
	v_cvt_f32_i32_dpp v10, v10 row_shr:2 row_mask:0xf bank_mask:0xf bound_ctrl:1
	v_cvt_f32_i32_dpp v11, v11 row_shr:2 row_mask:0xf bank_mask:0xf bound_ctrl:1
	s_delay_alu instid0(VALU_DEP_4) | instskip(NEXT) | instid1(VALU_DEP_4)
	v_cvt_f32_i32_dpp v12, v12 row_shr:2 row_mask:0xf bank_mask:0xf bound_ctrl:1
	v_cvt_f32_i32_dpp v13, v13 row_shr:2 row_mask:0xf bank_mask:0xf bound_ctrl:1
	s_delay_alu instid0(VALU_DEP_3) | instskip(NEXT) | instid1(VALU_DEP_2)
	v_dual_add_f32 v5, v5, v10 :: v_dual_add_f32 v6, v6, v11
	v_add_f32_e32 v8, v8, v13
	s_delay_alu instid0(VALU_DEP_2) | instskip(NEXT) | instid1(VALU_DEP_3)
	v_cvt_i32_f32_e32 v10, v5
	v_cvt_i32_f32_e32 v11, v6
	s_delay_alu instid0(VALU_DEP_3) | instskip(NEXT) | instid1(VALU_DEP_3)
	v_cvt_i32_f32_e32 v13, v8
	v_cvt_f32_i32_dpp v10, v10 row_shr:1 row_mask:0xf bank_mask:0xf bound_ctrl:1
	s_delay_alu instid0(VALU_DEP_3) | instskip(SKIP_1) | instid1(VALU_DEP_4)
	v_cvt_f32_i32_dpp v11, v11 row_shr:1 row_mask:0xf bank_mask:0xf bound_ctrl:1
	v_add_f32_e32 v7, v7, v12
	v_cvt_f32_i32_dpp v13, v13 row_shr:1 row_mask:0xf bank_mask:0xf bound_ctrl:1
	s_delay_alu instid0(VALU_DEP_3) | instskip(SKIP_1) | instid1(VALU_DEP_4)
	v_add_f32_e32 v48, v6, v11
	v_cvt_i32_f32_e32 v6, v120
	v_cvt_i32_f32_e32 v12, v7
	s_delay_alu instid0(VALU_DEP_4)
	v_add_f32_e32 v42, v8, v13
	v_cvt_i32_f32_e32 v8, v119
	ds_bpermute_b32 v49, v102, v48
	v_cvt_f32_i32_dpp v6, v6 row_shr:8 row_mask:0xf bank_mask:0xf bound_ctrl:1
	v_add_f32_e32 v9, v122, v9
	v_cvt_f32_i32_dpp v12, v12 row_shr:1 row_mask:0xf bank_mask:0xf bound_ctrl:1
	v_cvt_f32_i32_dpp v8, v8 row_shr:8 row_mask:0xf bank_mask:0xf bound_ctrl:1
	v_add_f32_e32 v51, v5, v10
	v_add_f32_e32 v6, v120, v6
	v_cvt_i32_f32_e32 v14, v9
	v_cvt_i32_f32_e32 v5, v117
	v_add_f32_e32 v8, v119, v8
	ds_bpermute_b32 v52, v102, v51
	v_cvt_i32_f32_e32 v11, v6
	v_cvt_f32_i32_dpp v14, v14 row_shr:4 row_mask:0xf bank_mask:0xf bound_ctrl:1
	v_cvt_f32_i32_dpp v5, v5 row_shr:8 row_mask:0xf bank_mask:0xf bound_ctrl:1
	ds_bpermute_b32 v43, v102, v42
	v_cvt_i32_f32_e32 v13, v8
	v_cvt_f32_i32_dpp v11, v11 row_shr:4 row_mask:0xf bank_mask:0xf bound_ctrl:1
	v_add_f32_e32 v9, v9, v14
	v_add_f32_e32 v45, v7, v12
	v_cvt_i32_f32_e32 v7, v118
	v_cvt_f32_i32_dpp v13, v13 row_shr:4 row_mask:0xf bank_mask:0xf bound_ctrl:1
	v_add_f32_e32 v6, v6, v11
	v_cvt_i32_f32_e32 v14, v9
	ds_bpermute_b32 v46, v102, v45
	v_cvt_f32_i32_dpp v7, v7 row_shr:8 row_mask:0xf bank_mask:0xf bound_ctrl:1
	v_add_f32_e32 v8, v8, v13
	v_cvt_i32_f32_e32 v11, v6
	v_cvt_f32_i32_dpp v14, v14 row_shr:2 row_mask:0xf bank_mask:0xf bound_ctrl:1
	s_delay_alu instid0(VALU_DEP_3) | instskip(NEXT) | instid1(VALU_DEP_3)
	v_cvt_i32_f32_e32 v13, v8
	v_cvt_f32_i32_dpp v11, v11 row_shr:2 row_mask:0xf bank_mask:0xf bound_ctrl:1
	s_delay_alu instid0(VALU_DEP_3) | instskip(SKIP_1) | instid1(VALU_DEP_4)
	v_add_f32_e32 v9, v9, v14
	v_add_f32_e32 v5, v117, v5
	v_cvt_f32_i32_dpp v13, v13 row_shr:2 row_mask:0xf bank_mask:0xf bound_ctrl:1
	s_delay_alu instid0(VALU_DEP_4) | instskip(NEXT) | instid1(VALU_DEP_4)
	v_add_f32_e32 v6, v6, v11
	v_cvt_i32_f32_e32 v14, v9
	v_add_f32_e32 v7, v118, v7
	v_cvt_i32_f32_e32 v10, v5
	v_add_f32_e32 v8, v8, v13
	v_cvt_i32_f32_e32 v11, v6
	v_cvt_f32_i32_dpp v14, v14 row_shr:1 row_mask:0xf bank_mask:0xf bound_ctrl:1
	v_cvt_i32_f32_e32 v12, v7
	v_cvt_f32_i32_dpp v10, v10 row_shr:4 row_mask:0xf bank_mask:0xf bound_ctrl:1
	v_cvt_i32_f32_e32 v13, v8
	v_cvt_f32_i32_dpp v11, v11 row_shr:1 row_mask:0xf bank_mask:0xf bound_ctrl:1
	v_add_f32_e32 v37, v9, v14
	v_cvt_f32_i32_dpp v12, v12 row_shr:4 row_mask:0xf bank_mask:0xf bound_ctrl:1
	v_cvt_i32_f32_e32 v9, v116
	v_cvt_f32_i32_dpp v13, v13 row_shr:1 row_mask:0xf bank_mask:0xf bound_ctrl:1
	v_add_f32_e32 v35, v6, v11
	v_cvt_i32_f32_e32 v6, v111
	v_add_f32_e32 v7, v7, v12
	v_cvt_f32_i32_dpp v9, v9 row_shr:8 row_mask:0xf bank_mask:0xf bound_ctrl:1
	ds_bpermute_b32 v38, v102, v37
	v_add_f32_e32 v29, v8, v13
	v_cvt_f32_i32_dpp v6, v6 row_shr:8 row_mask:0xf bank_mask:0xf bound_ctrl:1
	v_cvt_i32_f32_e32 v12, v7
	v_cvt_i32_f32_e32 v8, v112
	s_delay_alu instid0(VALU_DEP_3) | instskip(SKIP_4) | instid1(VALU_DEP_3)
	v_add_f32_e32 v6, v111, v6
	ds_bpermute_b32 v36, v102, v35
	v_cvt_f32_i32_dpp v12, v12 row_shr:2 row_mask:0xf bank_mask:0xf bound_ctrl:1
	v_cvt_f32_i32_dpp v8, v8 row_shr:8 row_mask:0xf bank_mask:0xf bound_ctrl:1
	v_cvt_i32_f32_e32 v11, v6
	v_add_f32_e32 v7, v7, v12
	s_delay_alu instid0(VALU_DEP_3) | instskip(NEXT) | instid1(VALU_DEP_3)
	v_add_f32_e32 v8, v112, v8
	v_cvt_f32_i32_dpp v11, v11 row_shr:4 row_mask:0xf bank_mask:0xf bound_ctrl:1
	s_delay_alu instid0(VALU_DEP_3) | instskip(NEXT) | instid1(VALU_DEP_3)
	v_cvt_i32_f32_e32 v12, v7
	v_cvt_i32_f32_e32 v13, v8
	s_delay_alu instid0(VALU_DEP_3) | instskip(NEXT) | instid1(VALU_DEP_3)
	v_add_f32_e32 v6, v6, v11
	v_cvt_f32_i32_dpp v12, v12 row_shr:1 row_mask:0xf bank_mask:0xf bound_ctrl:1
	v_add_f32_e32 v5, v5, v10
	s_delay_alu instid0(VALU_DEP_4) | instskip(NEXT) | instid1(VALU_DEP_4)
	v_cvt_f32_i32_dpp v13, v13 row_shr:4 row_mask:0xf bank_mask:0xf bound_ctrl:1
	v_cvt_i32_f32_e32 v11, v6
	s_delay_alu instid0(VALU_DEP_4) | instskip(NEXT) | instid1(VALU_DEP_4)
	v_add_f32_e32 v32, v7, v12
	v_cvt_i32_f32_e32 v10, v5
	v_cvt_i32_f32_e32 v7, v114
	s_delay_alu instid0(VALU_DEP_4)
	v_cvt_f32_i32_dpp v11, v11 row_shr:2 row_mask:0xf bank_mask:0xf bound_ctrl:1
	v_add_f32_e32 v8, v8, v13
	ds_bpermute_b32 v33, v102, v32
	v_cvt_f32_i32_dpp v10, v10 row_shr:2 row_mask:0xf bank_mask:0xf bound_ctrl:1
	v_cvt_f32_i32_dpp v7, v7 row_shr:8 row_mask:0xf bank_mask:0xf bound_ctrl:1
	v_add_f32_e32 v6, v6, v11
	v_cvt_i32_f32_e32 v13, v8
	s_delay_alu instid0(VALU_DEP_4) | instskip(NEXT) | instid1(VALU_DEP_3)
	v_add_f32_e32 v5, v5, v10
	v_cvt_i32_f32_e32 v11, v6
	s_delay_alu instid0(VALU_DEP_3) | instskip(SKIP_1) | instid1(VALU_DEP_4)
	v_cvt_f32_i32_dpp v13, v13 row_shr:2 row_mask:0xf bank_mask:0xf bound_ctrl:1
	v_add_f32_e32 v7, v114, v7
	v_cvt_i32_f32_e32 v10, v5
	s_delay_alu instid0(VALU_DEP_4) | instskip(NEXT) | instid1(VALU_DEP_4)
	v_cvt_f32_i32_dpp v11, v11 row_shr:1 row_mask:0xf bank_mask:0xf bound_ctrl:1
	v_add_f32_e32 v8, v8, v13
	s_delay_alu instid0(VALU_DEP_4) | instskip(NEXT) | instid1(VALU_DEP_4)
	v_cvt_i32_f32_e32 v12, v7
	v_cvt_f32_i32_dpp v10, v10 row_shr:1 row_mask:0xf bank_mask:0xf bound_ctrl:1
	s_delay_alu instid0(VALU_DEP_4)
	v_dual_add_f32 v9, v116, v9 :: v_dual_add_f32 v22, v6, v11
	v_cvt_i32_f32_e32 v6, v109
	ds_bpermute_b32 v30, v102, v29
	v_add_f32_e32 v40, v5, v10
	v_cvt_i32_f32_e32 v14, v9
	v_cvt_i32_f32_e32 v5, v113
	;; [unrolled: 1-line block ×3, first 2 shown]
	v_cvt_f32_i32_dpp v6, v6 row_shr:8 row_mask:0xf bank_mask:0xf bound_ctrl:1
	v_cvt_f32_i32_dpp v12, v12 row_shr:4 row_mask:0xf bank_mask:0xf bound_ctrl:1
	;; [unrolled: 1-line block ×4, first 2 shown]
	ds_bpermute_b32 v41, v102, v40
	ds_bpermute_b32 v23, v102, v22
	v_cvt_f32_i32_dpp v13, v13 row_shr:1 row_mask:0xf bank_mask:0xf bound_ctrl:1
	v_add_f32_e32 v9, v9, v14
	s_delay_alu instid0(VALU_DEP_2) | instskip(NEXT) | instid1(VALU_DEP_2)
	v_dual_add_f32 v6, v109, v6 :: v_dual_add_f32 v17, v8, v13
	v_cvt_i32_f32_e32 v14, v9
	v_cvt_i32_f32_e32 v8, v107
	s_delay_alu instid0(VALU_DEP_3) | instskip(NEXT) | instid1(VALU_DEP_3)
	v_cvt_i32_f32_e32 v11, v6
	v_cvt_f32_i32_dpp v14, v14 row_shr:2 row_mask:0xf bank_mask:0xf bound_ctrl:1
	s_delay_alu instid0(VALU_DEP_3) | instskip(SKIP_1) | instid1(VALU_DEP_4)
	v_cvt_f32_i32_dpp v8, v8 row_shr:8 row_mask:0xf bank_mask:0xf bound_ctrl:1
	v_add_f32_e32 v5, v113, v5
	v_cvt_f32_i32_dpp v11, v11 row_shr:4 row_mask:0xf bank_mask:0xf bound_ctrl:1
	s_delay_alu instid0(VALU_DEP_3) | instskip(NEXT) | instid1(VALU_DEP_3)
	v_dual_add_f32 v9, v9, v14 :: v_dual_add_f32 v8, v107, v8
	v_cvt_i32_f32_e32 v10, v5
	s_delay_alu instid0(VALU_DEP_3) | instskip(NEXT) | instid1(VALU_DEP_3)
	v_add_f32_e32 v6, v6, v11
	v_cvt_i32_f32_e32 v14, v9
	s_delay_alu instid0(VALU_DEP_4) | instskip(NEXT) | instid1(VALU_DEP_4)
	v_cvt_i32_f32_e32 v15, v8
	v_cvt_f32_i32_dpp v10, v10 row_shr:4 row_mask:0xf bank_mask:0xf bound_ctrl:1
	s_delay_alu instid0(VALU_DEP_4) | instskip(NEXT) | instid1(VALU_DEP_4)
	v_cvt_i32_f32_e32 v11, v6
	v_cvt_f32_i32_dpp v14, v14 row_shr:1 row_mask:0xf bank_mask:0xf bound_ctrl:1
	s_delay_alu instid0(VALU_DEP_4) | instskip(NEXT) | instid1(VALU_DEP_4)
	v_cvt_f32_i32_dpp v15, v15 row_shr:4 row_mask:0xf bank_mask:0xf bound_ctrl:1
	v_add_f32_e32 v5, v5, v10
	v_add_f32_e32 v7, v7, v12
	v_cvt_f32_i32_dpp v11, v11 row_shr:2 row_mask:0xf bank_mask:0xf bound_ctrl:1
	v_add_f32_e32 v24, v9, v14
	v_add_f32_e32 v8, v8, v15
	v_cvt_i32_f32_e32 v9, v110
	v_cvt_i32_f32_e32 v10, v5
	;; [unrolled: 1-line block ×3, first 2 shown]
	ds_bpermute_b32 v25, v102, v24
	v_cvt_i32_f32_e32 v15, v8
	v_cvt_f32_i32_dpp v9, v9 row_shr:8 row_mask:0xf bank_mask:0xf bound_ctrl:1
	v_cvt_f32_i32_dpp v10, v10 row_shr:2 row_mask:0xf bank_mask:0xf bound_ctrl:1
	;; [unrolled: 1-line block ×3, first 2 shown]
	v_add_f32_e32 v6, v6, v11
	v_cvt_f32_i32_dpp v15, v15 row_shr:2 row_mask:0xf bank_mask:0xf bound_ctrl:1
	v_add_f32_e32 v9, v110, v9
	v_add_f32_e32 v5, v5, v10
	;; [unrolled: 1-line block ×3, first 2 shown]
	v_cvt_i32_f32_e32 v11, v6
	v_add_f32_e32 v8, v8, v15
	v_cvt_i32_f32_e32 v14, v9
	v_cvt_i32_f32_e32 v10, v5
	;; [unrolled: 1-line block ×3, first 2 shown]
	v_cvt_f32_i32_dpp v11, v11 row_shr:1 row_mask:0xf bank_mask:0xf bound_ctrl:1
	v_cvt_i32_f32_e32 v15, v8
	v_cvt_f32_i32_dpp v14, v14 row_shr:4 row_mask:0xf bank_mask:0xf bound_ctrl:1
	v_cvt_f32_i32_dpp v10, v10 row_shr:1 row_mask:0xf bank_mask:0xf bound_ctrl:1
	;; [unrolled: 1-line block ×3, first 2 shown]
	v_add_f32_e32 v11, v6, v11
	s_waitcnt vmcnt(0)
	v_cvt_f32_i32_dpp v21, v15 row_shr:1 row_mask:0xf bank_mask:0xf bound_ctrl:1
	v_add_f32_e32 v9, v9, v14
	v_add_f32_e32 v27, v5, v10
	;; [unrolled: 1-line block ×3, first 2 shown]
	v_cvt_i32_f32_e32 v5, v115
	v_cvt_i32_f32_e32 v7, v108
	;; [unrolled: 1-line block ×3, first 2 shown]
	ds_bpermute_b32 v28, v102, v27
	ds_bpermute_b32 v20, v102, v19
	v_cvt_f32_i32_dpp v5, v5 row_shr:8 row_mask:0xf bank_mask:0xf bound_ctrl:1
	v_cvt_f32_i32_dpp v7, v7 row_shr:8 row_mask:0xf bank_mask:0xf bound_ctrl:1
	;; [unrolled: 1-line block ×3, first 2 shown]
	s_delay_alu instid0(VALU_DEP_3) | instskip(NEXT) | instid1(VALU_DEP_3)
	v_add_f32_e32 v5, v115, v5
	v_add_f32_e32 v7, v108, v7
	s_delay_alu instid0(VALU_DEP_3) | instskip(NEXT) | instid1(VALU_DEP_3)
	v_add_f32_e32 v9, v9, v14
	v_cvt_i32_f32_e32 v10, v5
	s_delay_alu instid0(VALU_DEP_3) | instskip(NEXT) | instid1(VALU_DEP_3)
	v_cvt_i32_f32_e32 v12, v7
	v_cvt_i32_f32_e32 v14, v9
	s_delay_alu instid0(VALU_DEP_3) | instskip(NEXT) | instid1(VALU_DEP_3)
	v_cvt_f32_i32_dpp v10, v10 row_shr:4 row_mask:0xf bank_mask:0xf bound_ctrl:1
	v_cvt_f32_i32_dpp v12, v12 row_shr:4 row_mask:0xf bank_mask:0xf bound_ctrl:1
	s_delay_alu instid0(VALU_DEP_3) | instskip(NEXT) | instid1(VALU_DEP_3)
	v_cvt_f32_i32_dpp v14, v14 row_shr:1 row_mask:0xf bank_mask:0xf bound_ctrl:1
	v_add_f32_e32 v5, v5, v10
	s_delay_alu instid0(VALU_DEP_3) | instskip(NEXT) | instid1(VALU_DEP_3)
	v_add_f32_e32 v7, v7, v12
	v_add_f32_e32 v13, v9, v14
	v_cvt_i32_f32_e32 v9, v106
	s_delay_alu instid0(VALU_DEP_4) | instskip(NEXT) | instid1(VALU_DEP_4)
	v_cvt_i32_f32_e32 v10, v5
	v_cvt_i32_f32_e32 v12, v7
	ds_bpermute_b32 v14, v102, v13
	v_cvt_f32_i32_dpp v9, v9 row_shr:8 row_mask:0xf bank_mask:0xf bound_ctrl:1
	v_cvt_f32_i32_dpp v10, v10 row_shr:2 row_mask:0xf bank_mask:0xf bound_ctrl:1
	;; [unrolled: 1-line block ×3, first 2 shown]
	s_delay_alu instid0(VALU_DEP_3) | instskip(NEXT) | instid1(VALU_DEP_3)
	v_add_f32_e32 v9, v106, v9
	v_add_f32_e32 v5, v5, v10
	s_delay_alu instid0(VALU_DEP_3) | instskip(NEXT) | instid1(VALU_DEP_3)
	v_add_f32_e32 v7, v7, v12
	v_cvt_i32_f32_e32 v16, v9
	s_delay_alu instid0(VALU_DEP_2) | instskip(NEXT) | instid1(VALU_DEP_2)
	v_cvt_i32_f32_e32 v12, v7
	v_cvt_f32_i32_dpp v16, v16 row_shr:4 row_mask:0xf bank_mask:0xf bound_ctrl:1
	s_delay_alu instid0(VALU_DEP_2) | instskip(NEXT) | instid1(VALU_DEP_2)
	v_cvt_f32_i32_dpp v12, v12 row_shr:1 row_mask:0xf bank_mask:0xf bound_ctrl:1
	v_add_f32_e32 v9, v9, v16
	s_delay_alu instid0(VALU_DEP_1) | instskip(NEXT) | instid1(VALU_DEP_1)
	v_cvt_i32_f32_e32 v16, v9
	v_cvt_f32_i32_dpp v16, v16 row_shr:2 row_mask:0xf bank_mask:0xf bound_ctrl:1
	s_delay_alu instid0(VALU_DEP_1) | instskip(SKIP_4) | instid1(VALU_DEP_2)
	v_add_f32_e32 v10, v9, v16
	v_cvt_i32_f32_e32 v9, v5
	ds_bpermute_b32 v18, v102, v17
	v_cvt_i32_f32_e32 v16, v10
	v_cvt_f32_i32_dpp v9, v9 row_shr:1 row_mask:0xf bank_mask:0xf bound_ctrl:1
	v_cvt_f32_i32_dpp v16, v16 row_shr:1 row_mask:0xf bank_mask:0xf bound_ctrl:1
	s_delay_alu instid0(VALU_DEP_2)
	v_add_f32_e32 v15, v5, v9
	v_add_f32_e32 v9, v7, v12
	;; [unrolled: 1-line block ×3, first 2 shown]
	ds_bpermute_b32 v12, v102, v11
	v_add_f32_e32 v5, v10, v16
	ds_bpermute_b32 v16, v102, v15
	ds_bpermute_b32 v10, v102, v9
	;; [unrolled: 1-line block ×4, first 2 shown]
	s_and_saveexec_b32 s5, s0
	s_cbranch_execz .LBB291_189
; %bb.67:                               ;   in Loop: Header=BB291_19 Depth=1
	v_dual_mov_b32 v64, 0 :: v_dual_mov_b32 v63, 0
	v_dual_mov_b32 v62, 0 :: v_dual_mov_b32 v61, 0
	;; [unrolled: 1-line block ×10, first 2 shown]
	s_and_not1_b32 vcc_lo, exec_lo, s25
	s_cbranch_vccnz .LBB291_69
; %bb.68:                               ;   in Loop: Header=BB291_19 Depth=1
	v_mul_hi_u32 v21, v77, v104
	v_mul_hi_u32 v26, v83, v104
	;; [unrolled: 1-line block ×4, first 2 shown]
	v_mov_b32_e32 v67, v79
	v_mov_b32_e32 v89, v79
	;; [unrolled: 1-line block ×3, first 2 shown]
	v_mul_lo_u32 v21, v21, s18
	v_mul_lo_u32 v26, v26, s18
	;; [unrolled: 1-line block ×4, first 2 shown]
	s_delay_alu instid0(VALU_DEP_4) | instskip(NEXT) | instid1(VALU_DEP_4)
	v_sub_nc_u32_e32 v21, v77, v21
	v_sub_nc_u32_e32 v26, v83, v26
	s_delay_alu instid0(VALU_DEP_4) | instskip(NEXT) | instid1(VALU_DEP_4)
	v_sub_nc_u32_e32 v31, v82, v31
	v_sub_nc_u32_e32 v34, v81, v34
	s_delay_alu instid0(VALU_DEP_4)
	v_subrev_nc_u32_e32 v39, s18, v21
	v_cmp_le_u32_e32 vcc_lo, s18, v21
	v_mov_b32_e32 v54, v79
	v_subrev_nc_u32_e32 v44, s18, v26
	v_subrev_nc_u32_e32 v47, s18, v31
	;; [unrolled: 1-line block ×3, first 2 shown]
	v_cndmask_b32_e32 v21, v21, v39, vcc_lo
	v_cmp_le_u32_e32 vcc_lo, s18, v26
	v_mov_b32_e32 v57, v79
	s_delay_alu instid0(VALU_DEP_3) | instskip(SKIP_2) | instid1(VALU_DEP_2)
	v_subrev_nc_u32_e32 v39, s18, v21
	v_cndmask_b32_e32 v26, v26, v44, vcc_lo
	v_cmp_le_u32_e32 vcc_lo, s18, v31
	v_subrev_nc_u32_e32 v44, s18, v26
	v_cndmask_b32_e32 v31, v31, v47, vcc_lo
	v_cmp_le_u32_e32 vcc_lo, s18, v34
	v_cndmask_b32_e32 v34, v34, v50, vcc_lo
	v_cmp_le_u32_e32 vcc_lo, s18, v21
	v_mov_b32_e32 v59, v79
	v_subrev_nc_u32_e32 v47, s18, v31
	s_delay_alu instid0(VALU_DEP_4) | instskip(SKIP_2) | instid1(VALU_DEP_2)
	v_subrev_nc_u32_e32 v50, s18, v34
	v_cndmask_b32_e32 v78, v21, v39, vcc_lo
	v_cmp_le_u32_e32 vcc_lo, s18, v26
	v_lshlrev_b64 v[60:61], 1, v[78:79]
	v_cndmask_b32_e32 v53, v26, v44, vcc_lo
	v_cmp_le_u32_e32 vcc_lo, s18, v31
	v_add_nc_u32_e32 v66, s27, v78
	v_cndmask_b32_e32 v56, v31, v47, vcc_lo
	v_cmp_le_u32_e32 vcc_lo, s18, v34
	v_lshlrev_b64 v[54:55], 1, v[53:54]
	v_add_nc_u32_e32 v88, s28, v53
	s_delay_alu instid0(VALU_DEP_4)
	v_lshlrev_b64 v[62:63], 1, v[56:57]
	v_cndmask_b32_e32 v58, v34, v50, vcc_lo
	v_add_co_u32 v60, vcc_lo, s12, v60
	v_add_co_ci_u32_e32 v61, vcc_lo, s13, v61, vcc_lo
	v_add_co_u32 v54, vcc_lo, s12, v54
	v_add_co_ci_u32_e32 v55, vcc_lo, s13, v55, vcc_lo
	v_lshlrev_b64 v[64:65], 1, v[58:59]
	v_add_co_u32 v68, vcc_lo, s12, v62
	v_add_co_ci_u32_e32 v69, vcc_lo, s13, v63, vcc_lo
	v_lshlrev_b64 v[62:63], 1, v[66:67]
	v_add_nc_u32_e32 v66, s27, v53
	v_add_co_u32 v70, vcc_lo, s12, v64
	v_add_co_ci_u32_e32 v71, vcc_lo, s13, v65, vcc_lo
	s_delay_alu instid0(VALU_DEP_3) | instskip(SKIP_3) | instid1(VALU_DEP_3)
	v_lshlrev_b64 v[64:65], 1, v[66:67]
	v_add_nc_u32_e32 v66, s27, v56
	v_add_co_u32 v72, vcc_lo, s12, v62
	v_add_co_ci_u32_e32 v73, vcc_lo, s13, v63, vcc_lo
	v_lshlrev_b64 v[62:63], 1, v[66:67]
	v_add_nc_u32_e32 v66, s27, v58
	v_add_co_u32 v74, vcc_lo, s12, v64
	v_add_co_ci_u32_e32 v75, vcc_lo, s13, v65, vcc_lo
	s_delay_alu instid0(VALU_DEP_3) | instskip(SKIP_3) | instid1(VALU_DEP_4)
	v_lshlrev_b64 v[64:65], 1, v[66:67]
	v_add_co_u32 v66, vcc_lo, s12, v62
	v_add_co_ci_u32_e32 v67, vcc_lo, s13, v63, vcc_lo
	v_dual_mov_b32 v63, v79 :: v_dual_add_nc_u32 v62, s28, v78
	v_add_co_u32 v84, vcc_lo, s12, v64
	v_add_co_ci_u32_e32 v85, vcc_lo, s13, v65, vcc_lo
	s_delay_alu instid0(VALU_DEP_3)
	v_lshlrev_b64 v[86:87], 1, v[62:63]
	s_clause 0x7
	global_load_u16 v64, v[60:61], off
	global_load_u16 v63, v[54:55], off
	;; [unrolled: 1-line block ×8, first 2 shown]
	v_dual_mov_b32 v68, v79 :: v_dual_add_nc_u32 v67, s28, v56
	v_lshlrev_b64 v[65:66], 1, v[88:89]
	v_dual_mov_b32 v72, v79 :: v_dual_add_nc_u32 v71, s28, v58
	v_add_co_u32 v69, vcc_lo, s12, v86
	s_delay_alu instid0(VALU_DEP_4)
	v_lshlrev_b64 v[67:68], 1, v[67:68]
	v_dual_mov_b32 v74, v79 :: v_dual_add_nc_u32 v73, s30, v78
	v_add_co_ci_u32_e32 v70, vcc_lo, s13, v87, vcc_lo
	v_add_co_u32 v65, vcc_lo, s12, v65
	v_lshlrev_b64 v[71:72], 1, v[71:72]
	v_add_nc_u32_e32 v75, s30, v53
	v_add_co_ci_u32_e32 v66, vcc_lo, s13, v66, vcc_lo
	v_add_co_u32 v67, vcc_lo, s12, v67
	v_lshlrev_b64 v[73:74], 1, v[73:74]
	v_dual_mov_b32 v85, v79 :: v_dual_add_nc_u32 v84, s30, v56
	v_add_co_ci_u32_e32 v68, vcc_lo, s13, v68, vcc_lo
	v_add_co_u32 v71, vcc_lo, s12, v71
	v_lshlrev_b64 v[75:76], 1, v[75:76]
	v_add_nc_u32_e32 v78, s31, v78
	v_dual_mov_b32 v87, v79 :: v_dual_add_nc_u32 v86, s30, v58
	v_add_co_ci_u32_e32 v72, vcc_lo, s13, v72, vcc_lo
	v_add_co_u32 v73, vcc_lo, s12, v73
	v_lshlrev_b64 v[84:85], 1, v[84:85]
	v_add_co_ci_u32_e32 v74, vcc_lo, s13, v74, vcc_lo
	v_lshlrev_b64 v[88:89], 1, v[78:79]
	v_add_nc_u32_e32 v78, s31, v53
	v_add_co_u32 v75, vcc_lo, s12, v75
	v_lshlrev_b64 v[86:87], 1, v[86:87]
	v_add_co_ci_u32_e32 v76, vcc_lo, s13, v76, vcc_lo
	v_add_co_u32 v84, vcc_lo, s12, v84
	v_lshlrev_b64 v[53:54], 1, v[78:79]
	v_add_nc_u32_e32 v78, s31, v56
	v_add_co_ci_u32_e32 v85, vcc_lo, s13, v85, vcc_lo
	v_add_co_u32 v86, vcc_lo, s12, v86
	v_add_co_ci_u32_e32 v87, vcc_lo, s13, v87, vcc_lo
	v_add_co_u32 v88, vcc_lo, s12, v88
	v_lshlrev_b64 v[90:91], 1, v[78:79]
	v_add_nc_u32_e32 v78, s31, v58
	v_add_co_ci_u32_e32 v89, vcc_lo, s13, v89, vcc_lo
	v_add_co_u32 v92, vcc_lo, s12, v53
	v_add_co_ci_u32_e32 v93, vcc_lo, s13, v54, vcc_lo
	s_delay_alu instid0(VALU_DEP_4) | instskip(SKIP_2) | instid1(VALU_DEP_3)
	v_lshlrev_b64 v[53:54], 1, v[78:79]
	v_add_co_u32 v90, vcc_lo, s12, v90
	v_add_co_ci_u32_e32 v91, vcc_lo, s13, v91, vcc_lo
	v_add_co_u32 v94, vcc_lo, s12, v53
	s_delay_alu instid0(VALU_DEP_4)
	v_add_co_ci_u32_e32 v95, vcc_lo, s13, v54, vcc_lo
	s_clause 0xb
	global_load_u16 v58, v[69:70], off
	global_load_u16 v56, v[65:66], off
	;; [unrolled: 1-line block ×12, first 2 shown]
.LBB291_69:                             ;   in Loop: Header=BB291_19 Depth=1
	v_cmp_ne_u32_e32 vcc_lo, 0, v1
	s_and_saveexec_b32 s2, vcc_lo
	s_cbranch_execnz .LBB291_89
; %bb.70:                               ;   in Loop: Header=BB291_19 Depth=1
	s_or_b32 exec_lo, exec_lo, s2
	v_cmp_ne_u32_e64 s1, 0, v2
	s_delay_alu instid0(VALU_DEP_1)
	s_and_saveexec_b32 s3, s1
	s_cbranch_execnz .LBB291_94
.LBB291_71:                             ;   in Loop: Header=BB291_19 Depth=1
	s_or_b32 exec_lo, exec_lo, s3
	v_cmp_ne_u32_e64 s2, 0, v3
	s_delay_alu instid0(VALU_DEP_1)
	s_and_saveexec_b32 s4, s2
	s_cbranch_execnz .LBB291_99
.LBB291_72:                             ;   in Loop: Header=BB291_19 Depth=1
	s_or_b32 exec_lo, exec_lo, s4
	v_cmp_ne_u32_e64 s3, 0, v4
	s_delay_alu instid0(VALU_DEP_1)
	s_and_saveexec_b32 s34, s3
	s_cbranch_execnz .LBB291_104
.LBB291_73:                             ;   in Loop: Header=BB291_19 Depth=1
	s_or_b32 exec_lo, exec_lo, s34
	v_add_nc_u32_e32 v78, s11, v77
	s_and_saveexec_b32 s34, vcc_lo
	s_cbranch_execnz .LBB291_109
.LBB291_74:                             ;   in Loop: Header=BB291_19 Depth=1
	s_or_b32 exec_lo, exec_lo, s34
	s_and_saveexec_b32 s34, s1
	s_cbranch_execnz .LBB291_114
.LBB291_75:                             ;   in Loop: Header=BB291_19 Depth=1
	s_or_b32 exec_lo, exec_lo, s34
	s_and_saveexec_b32 s34, s2
	s_cbranch_execnz .LBB291_119
.LBB291_76:                             ;   in Loop: Header=BB291_19 Depth=1
	s_or_b32 exec_lo, exec_lo, s34
	s_and_saveexec_b32 s34, s3
	s_cbranch_execnz .LBB291_124
.LBB291_77:                             ;   in Loop: Header=BB291_19 Depth=1
	s_or_b32 exec_lo, exec_lo, s34
	v_add_nc_u32_e32 v78, s11, v78
	s_and_saveexec_b32 s34, vcc_lo
	s_cbranch_execnz .LBB291_129
.LBB291_78:                             ;   in Loop: Header=BB291_19 Depth=1
	s_or_b32 exec_lo, exec_lo, s34
	s_and_saveexec_b32 s34, s1
	s_cbranch_execnz .LBB291_134
.LBB291_79:                             ;   in Loop: Header=BB291_19 Depth=1
	s_or_b32 exec_lo, exec_lo, s34
	s_and_saveexec_b32 s34, s2
	s_cbranch_execnz .LBB291_139
.LBB291_80:                             ;   in Loop: Header=BB291_19 Depth=1
	s_or_b32 exec_lo, exec_lo, s34
	s_and_saveexec_b32 s34, s3
	s_cbranch_execnz .LBB291_144
.LBB291_81:                             ;   in Loop: Header=BB291_19 Depth=1
	s_or_b32 exec_lo, exec_lo, s34
	v_add_nc_u32_e32 v78, s11, v78
	s_and_saveexec_b32 s34, vcc_lo
	s_cbranch_execnz .LBB291_149
.LBB291_82:                             ;   in Loop: Header=BB291_19 Depth=1
	s_or_b32 exec_lo, exec_lo, s34
	s_and_saveexec_b32 s34, s1
	s_cbranch_execnz .LBB291_154
.LBB291_83:                             ;   in Loop: Header=BB291_19 Depth=1
	s_or_b32 exec_lo, exec_lo, s34
	s_and_saveexec_b32 s34, s2
	s_cbranch_execnz .LBB291_159
.LBB291_84:                             ;   in Loop: Header=BB291_19 Depth=1
	s_or_b32 exec_lo, exec_lo, s34
	s_and_saveexec_b32 s34, s3
	s_cbranch_execnz .LBB291_164
.LBB291_85:                             ;   in Loop: Header=BB291_19 Depth=1
	s_or_b32 exec_lo, exec_lo, s34
	v_add_nc_u32_e32 v78, s11, v78
	s_and_saveexec_b32 s4, vcc_lo
	s_cbranch_execnz .LBB291_169
.LBB291_86:                             ;   in Loop: Header=BB291_19 Depth=1
	s_or_b32 exec_lo, exec_lo, s4
	s_and_saveexec_b32 s4, s1
	s_cbranch_execnz .LBB291_174
.LBB291_87:                             ;   in Loop: Header=BB291_19 Depth=1
	s_or_b32 exec_lo, exec_lo, s4
	s_and_saveexec_b32 s1, s2
	s_cbranch_execnz .LBB291_179
.LBB291_88:                             ;   in Loop: Header=BB291_19 Depth=1
	s_or_b32 exec_lo, exec_lo, s1
	s_delay_alu instid0(SALU_CYCLE_1)
	s_and_b32 exec_lo, exec_lo, s3
	s_cbranch_execnz .LBB291_184
	s_branch .LBB291_189
.LBB291_89:                             ;   in Loop: Header=BB291_19 Depth=1
	s_waitcnt lgkmcnt(18)
	v_add_f32_e32 v51, v51, v52
	s_waitcnt vmcnt(19)
	v_lshlrev_b32_e32 v52, 16, v64
	s_delay_alu instid0(VALU_DEP_1) | instskip(NEXT) | instid1(VALU_DEP_1)
	v_add_f32_e32 v52, v51, v52
	v_and_b32_e32 v51, 0x7f800000, v52
	s_delay_alu instid0(VALU_DEP_1) | instskip(NEXT) | instid1(VALU_DEP_1)
	v_cmp_ne_u32_e64 s1, 0x7f800000, v51
                                        ; implicit-def: $vgpr51
	s_and_saveexec_b32 s3, s1
	s_delay_alu instid0(SALU_CYCLE_1)
	s_xor_b32 s1, exec_lo, s3
; %bb.90:                               ;   in Loop: Header=BB291_19 Depth=1
	v_bfe_u32 v51, v52, 16, 1
	s_delay_alu instid0(VALU_DEP_1)
	v_add3_u32 v51, v52, v51, 0x7fff
                                        ; implicit-def: $vgpr52
; %bb.91:                               ;   in Loop: Header=BB291_19 Depth=1
	s_and_not1_saveexec_b32 s3, s1
; %bb.92:                               ;   in Loop: Header=BB291_19 Depth=1
	v_and_b32_e32 v51, 0xffff, v52
	v_or_b32_e32 v64, 0x10000, v52
	s_delay_alu instid0(VALU_DEP_2) | instskip(NEXT) | instid1(VALU_DEP_1)
	v_cmp_eq_u32_e64 s1, 0, v51
	v_cndmask_b32_e64 v51, v64, v52, s1
; %bb.93:                               ;   in Loop: Header=BB291_19 Depth=1
	s_or_b32 exec_lo, exec_lo, s3
	v_mov_b32_e32 v78, v79
	s_delay_alu instid0(VALU_DEP_1) | instskip(NEXT) | instid1(VALU_DEP_1)
	v_lshlrev_b64 v[64:65], 1, v[77:78]
	v_add_co_u32 v64, s1, s14, v64
	s_delay_alu instid0(VALU_DEP_1) | instskip(SKIP_3) | instid1(VALU_DEP_1)
	v_add_co_ci_u32_e64 v65, s1, s15, v65, s1
	global_store_d16_hi_b16 v[64:65], v51, off
	s_or_b32 exec_lo, exec_lo, s2
	v_cmp_ne_u32_e64 s1, 0, v2
	s_and_saveexec_b32 s3, s1
	s_cbranch_execz .LBB291_71
.LBB291_94:                             ;   in Loop: Header=BB291_19 Depth=1
	s_waitcnt vmcnt(18) lgkmcnt(19)
	v_dual_add_f32 v48, v48, v49 :: v_dual_lshlrev_b32 v49, 16, v63
	s_delay_alu instid0(VALU_DEP_1) | instskip(NEXT) | instid1(VALU_DEP_1)
	v_add_f32_e32 v49, v48, v49
	v_and_b32_e32 v48, 0x7f800000, v49
	s_delay_alu instid0(VALU_DEP_1) | instskip(NEXT) | instid1(VALU_DEP_1)
	v_cmp_ne_u32_e64 s2, 0x7f800000, v48
                                        ; implicit-def: $vgpr48
	s_and_saveexec_b32 s4, s2
	s_delay_alu instid0(SALU_CYCLE_1)
	s_xor_b32 s2, exec_lo, s4
; %bb.95:                               ;   in Loop: Header=BB291_19 Depth=1
	v_bfe_u32 v48, v49, 16, 1
	s_delay_alu instid0(VALU_DEP_1)
	v_add3_u32 v48, v49, v48, 0x7fff
                                        ; implicit-def: $vgpr49
; %bb.96:                               ;   in Loop: Header=BB291_19 Depth=1
	s_and_not1_saveexec_b32 s4, s2
; %bb.97:                               ;   in Loop: Header=BB291_19 Depth=1
	v_and_b32_e32 v48, 0xffff, v49
	v_or_b32_e32 v51, 0x10000, v49
	s_delay_alu instid0(VALU_DEP_2) | instskip(NEXT) | instid1(VALU_DEP_1)
	v_cmp_eq_u32_e64 s2, 0, v48
	v_cndmask_b32_e64 v48, v51, v49, s2
; %bb.98:                               ;   in Loop: Header=BB291_19 Depth=1
	s_or_b32 exec_lo, exec_lo, s4
	v_mov_b32_e32 v84, v79
	s_waitcnt lgkmcnt(18)
	s_delay_alu instid0(VALU_DEP_1) | instskip(NEXT) | instid1(VALU_DEP_1)
	v_lshlrev_b64 v[51:52], 1, v[83:84]
	v_add_co_u32 v51, s2, s14, v51
	s_delay_alu instid0(VALU_DEP_1) | instskip(SKIP_3) | instid1(VALU_DEP_1)
	v_add_co_ci_u32_e64 v52, s2, s15, v52, s2
	global_store_d16_hi_b16 v[51:52], v48, off
	s_or_b32 exec_lo, exec_lo, s3
	v_cmp_ne_u32_e64 s2, 0, v3
	s_and_saveexec_b32 s4, s2
	s_cbranch_execz .LBB291_72
.LBB291_99:                             ;   in Loop: Header=BB291_19 Depth=1
	s_waitcnt lgkmcnt(16)
	v_add_f32_e32 v45, v45, v46
	s_waitcnt vmcnt(17)
	v_lshlrev_b32_e32 v46, 16, v62
	s_delay_alu instid0(VALU_DEP_1) | instskip(NEXT) | instid1(VALU_DEP_1)
	v_add_f32_e32 v46, v45, v46
	v_and_b32_e32 v45, 0x7f800000, v46
	s_delay_alu instid0(VALU_DEP_1) | instskip(NEXT) | instid1(VALU_DEP_1)
	v_cmp_ne_u32_e64 s3, 0x7f800000, v45
                                        ; implicit-def: $vgpr45
	s_and_saveexec_b32 s34, s3
	s_delay_alu instid0(SALU_CYCLE_1)
	s_xor_b32 s3, exec_lo, s34
; %bb.100:                              ;   in Loop: Header=BB291_19 Depth=1
	v_bfe_u32 v45, v46, 16, 1
	s_delay_alu instid0(VALU_DEP_1)
	v_add3_u32 v45, v46, v45, 0x7fff
                                        ; implicit-def: $vgpr46
; %bb.101:                              ;   in Loop: Header=BB291_19 Depth=1
	s_and_not1_saveexec_b32 s34, s3
; %bb.102:                              ;   in Loop: Header=BB291_19 Depth=1
	v_and_b32_e32 v45, 0xffff, v46
	v_or_b32_e32 v48, 0x10000, v46
	s_delay_alu instid0(VALU_DEP_2) | instskip(NEXT) | instid1(VALU_DEP_1)
	v_cmp_eq_u32_e64 s3, 0, v45
	v_cndmask_b32_e64 v45, v48, v46, s3
; %bb.103:                              ;   in Loop: Header=BB291_19 Depth=1
	s_or_b32 exec_lo, exec_lo, s34
	v_mov_b32_e32 v83, v79
	s_delay_alu instid0(VALU_DEP_1) | instskip(NEXT) | instid1(VALU_DEP_1)
	v_lshlrev_b64 v[48:49], 1, v[82:83]
	v_add_co_u32 v48, s3, s14, v48
	s_delay_alu instid0(VALU_DEP_1) | instskip(SKIP_3) | instid1(VALU_DEP_1)
	v_add_co_ci_u32_e64 v49, s3, s15, v49, s3
	global_store_d16_hi_b16 v[48:49], v45, off
	s_or_b32 exec_lo, exec_lo, s4
	v_cmp_ne_u32_e64 s3, 0, v4
	s_and_saveexec_b32 s34, s3
	s_cbranch_execz .LBB291_73
.LBB291_104:                            ;   in Loop: Header=BB291_19 Depth=1
	s_waitcnt vmcnt(16) lgkmcnt(17)
	v_dual_add_f32 v42, v42, v43 :: v_dual_lshlrev_b32 v43, 16, v61
	s_delay_alu instid0(VALU_DEP_1) | instskip(NEXT) | instid1(VALU_DEP_1)
	v_add_f32_e32 v43, v42, v43
	v_and_b32_e32 v42, 0x7f800000, v43
	s_delay_alu instid0(VALU_DEP_1) | instskip(NEXT) | instid1(VALU_DEP_1)
	v_cmp_ne_u32_e64 s4, 0x7f800000, v42
                                        ; implicit-def: $vgpr42
	s_and_saveexec_b32 s35, s4
	s_delay_alu instid0(SALU_CYCLE_1)
	s_xor_b32 s4, exec_lo, s35
; %bb.105:                              ;   in Loop: Header=BB291_19 Depth=1
	v_bfe_u32 v42, v43, 16, 1
	s_delay_alu instid0(VALU_DEP_1)
	v_add3_u32 v42, v43, v42, 0x7fff
                                        ; implicit-def: $vgpr43
; %bb.106:                              ;   in Loop: Header=BB291_19 Depth=1
	s_and_not1_saveexec_b32 s35, s4
; %bb.107:                              ;   in Loop: Header=BB291_19 Depth=1
	v_and_b32_e32 v42, 0xffff, v43
	v_or_b32_e32 v45, 0x10000, v43
	s_delay_alu instid0(VALU_DEP_2) | instskip(NEXT) | instid1(VALU_DEP_1)
	v_cmp_eq_u32_e64 s4, 0, v42
	v_cndmask_b32_e64 v42, v45, v43, s4
; %bb.108:                              ;   in Loop: Header=BB291_19 Depth=1
	s_or_b32 exec_lo, exec_lo, s35
	v_mov_b32_e32 v82, v79
	s_waitcnt lgkmcnt(16)
	s_delay_alu instid0(VALU_DEP_1) | instskip(NEXT) | instid1(VALU_DEP_1)
	v_lshlrev_b64 v[45:46], 1, v[81:82]
	v_add_co_u32 v45, s4, s14, v45
	s_delay_alu instid0(VALU_DEP_1)
	v_add_co_ci_u32_e64 v46, s4, s15, v46, s4
	global_store_d16_hi_b16 v[45:46], v42, off
	s_or_b32 exec_lo, exec_lo, s34
	v_add_nc_u32_e32 v78, s11, v77
	s_and_saveexec_b32 s34, vcc_lo
	s_cbranch_execz .LBB291_74
.LBB291_109:                            ;   in Loop: Header=BB291_19 Depth=1
	s_waitcnt vmcnt(15) lgkmcnt(15)
	v_dual_add_f32 v37, v37, v38 :: v_dual_lshlrev_b32 v38, 16, v60
	s_delay_alu instid0(VALU_DEP_1) | instskip(NEXT) | instid1(VALU_DEP_1)
	v_add_f32_e32 v38, v37, v38
	v_and_b32_e32 v37, 0x7f800000, v38
	s_delay_alu instid0(VALU_DEP_1) | instskip(NEXT) | instid1(VALU_DEP_1)
	v_cmp_ne_u32_e64 s4, 0x7f800000, v37
                                        ; implicit-def: $vgpr37
	s_and_saveexec_b32 s35, s4
	s_delay_alu instid0(SALU_CYCLE_1)
	s_xor_b32 s4, exec_lo, s35
; %bb.110:                              ;   in Loop: Header=BB291_19 Depth=1
	v_bfe_u32 v37, v38, 16, 1
	s_delay_alu instid0(VALU_DEP_1)
	v_add3_u32 v37, v38, v37, 0x7fff
                                        ; implicit-def: $vgpr38
; %bb.111:                              ;   in Loop: Header=BB291_19 Depth=1
	s_and_not1_saveexec_b32 s35, s4
; %bb.112:                              ;   in Loop: Header=BB291_19 Depth=1
	v_and_b32_e32 v37, 0xffff, v38
	v_or_b32_e32 v42, 0x10000, v38
	s_delay_alu instid0(VALU_DEP_2) | instskip(NEXT) | instid1(VALU_DEP_1)
	v_cmp_eq_u32_e64 s4, 0, v37
	v_cndmask_b32_e64 v37, v42, v38, s4
; %bb.113:                              ;   in Loop: Header=BB291_19 Depth=1
	s_or_b32 exec_lo, exec_lo, s35
	v_lshlrev_b64 v[42:43], 1, v[78:79]
	s_delay_alu instid0(VALU_DEP_1) | instskip(NEXT) | instid1(VALU_DEP_1)
	v_add_co_u32 v42, s4, s14, v42
	v_add_co_ci_u32_e64 v43, s4, s15, v43, s4
	global_store_d16_hi_b16 v[42:43], v37, off
	s_or_b32 exec_lo, exec_lo, s34
	s_and_saveexec_b32 s34, s1
	s_cbranch_execz .LBB291_75
.LBB291_114:                            ;   in Loop: Header=BB291_19 Depth=1
	s_waitcnt vmcnt(14) lgkmcnt(11)
	v_dual_add_f32 v37, v40, v41 :: v_dual_lshlrev_b32 v38, 16, v59
	s_delay_alu instid0(VALU_DEP_1) | instskip(NEXT) | instid1(VALU_DEP_1)
	v_add_f32_e32 v38, v37, v38
	v_and_b32_e32 v37, 0x7f800000, v38
	s_delay_alu instid0(VALU_DEP_1) | instskip(NEXT) | instid1(VALU_DEP_1)
	v_cmp_ne_u32_e64 s4, 0x7f800000, v37
                                        ; implicit-def: $vgpr37
	s_and_saveexec_b32 s35, s4
	s_delay_alu instid0(SALU_CYCLE_1)
	s_xor_b32 s4, exec_lo, s35
; %bb.115:                              ;   in Loop: Header=BB291_19 Depth=1
	v_bfe_u32 v37, v38, 16, 1
	s_delay_alu instid0(VALU_DEP_1)
	v_add3_u32 v37, v38, v37, 0x7fff
                                        ; implicit-def: $vgpr38
; %bb.116:                              ;   in Loop: Header=BB291_19 Depth=1
	s_and_not1_saveexec_b32 s35, s4
; %bb.117:                              ;   in Loop: Header=BB291_19 Depth=1
	v_and_b32_e32 v37, 0xffff, v38
	v_or_b32_e32 v40, 0x10000, v38
	s_delay_alu instid0(VALU_DEP_2) | instskip(NEXT) | instid1(VALU_DEP_1)
	v_cmp_eq_u32_e64 s4, 0, v37
	v_cndmask_b32_e64 v37, v40, v38, s4
; %bb.118:                              ;   in Loop: Header=BB291_19 Depth=1
	s_or_b32 exec_lo, exec_lo, s35
	v_dual_mov_b32 v41, v79 :: v_dual_add_nc_u32 v40, 1, v78
	s_delay_alu instid0(VALU_DEP_1) | instskip(NEXT) | instid1(VALU_DEP_1)
	v_lshlrev_b64 v[40:41], 1, v[40:41]
	v_add_co_u32 v40, s4, s14, v40
	s_delay_alu instid0(VALU_DEP_1)
	v_add_co_ci_u32_e64 v41, s4, s15, v41, s4
	global_store_d16_hi_b16 v[40:41], v37, off
	s_or_b32 exec_lo, exec_lo, s34
	s_and_saveexec_b32 s34, s2
	s_cbranch_execz .LBB291_76
.LBB291_119:                            ;   in Loop: Header=BB291_19 Depth=1
	s_waitcnt vmcnt(13) lgkmcnt(14)
	v_dual_add_f32 v35, v35, v36 :: v_dual_lshlrev_b32 v36, 16, v57
	s_delay_alu instid0(VALU_DEP_1) | instskip(NEXT) | instid1(VALU_DEP_1)
	v_add_f32_e32 v36, v35, v36
	v_and_b32_e32 v35, 0x7f800000, v36
	s_delay_alu instid0(VALU_DEP_1) | instskip(NEXT) | instid1(VALU_DEP_1)
	v_cmp_ne_u32_e64 s4, 0x7f800000, v35
                                        ; implicit-def: $vgpr35
	s_and_saveexec_b32 s35, s4
	s_delay_alu instid0(SALU_CYCLE_1)
	s_xor_b32 s4, exec_lo, s35
; %bb.120:                              ;   in Loop: Header=BB291_19 Depth=1
	v_bfe_u32 v35, v36, 16, 1
	s_delay_alu instid0(VALU_DEP_1)
	v_add3_u32 v35, v36, v35, 0x7fff
                                        ; implicit-def: $vgpr36
; %bb.121:                              ;   in Loop: Header=BB291_19 Depth=1
	s_and_not1_saveexec_b32 s35, s4
; %bb.122:                              ;   in Loop: Header=BB291_19 Depth=1
	v_and_b32_e32 v35, 0xffff, v36
	v_or_b32_e32 v37, 0x10000, v36
	s_delay_alu instid0(VALU_DEP_2) | instskip(NEXT) | instid1(VALU_DEP_1)
	v_cmp_eq_u32_e64 s4, 0, v35
	v_cndmask_b32_e64 v35, v37, v36, s4
; %bb.123:                              ;   in Loop: Header=BB291_19 Depth=1
	s_or_b32 exec_lo, exec_lo, s35
	v_dual_mov_b32 v37, v79 :: v_dual_add_nc_u32 v36, 2, v78
	s_delay_alu instid0(VALU_DEP_1) | instskip(NEXT) | instid1(VALU_DEP_1)
	v_lshlrev_b64 v[36:37], 1, v[36:37]
	v_add_co_u32 v36, s4, s14, v36
	s_delay_alu instid0(VALU_DEP_1)
	v_add_co_ci_u32_e64 v37, s4, s15, v37, s4
	global_store_d16_hi_b16 v[36:37], v35, off
	s_or_b32 exec_lo, exec_lo, s34
	s_and_saveexec_b32 s34, s3
	s_cbranch_execz .LBB291_77
.LBB291_124:                            ;   in Loop: Header=BB291_19 Depth=1
	s_waitcnt vmcnt(12) lgkmcnt(13)
	v_dual_add_f32 v32, v32, v33 :: v_dual_lshlrev_b32 v33, 16, v55
	s_delay_alu instid0(VALU_DEP_1) | instskip(NEXT) | instid1(VALU_DEP_1)
	v_add_f32_e32 v33, v32, v33
	v_and_b32_e32 v32, 0x7f800000, v33
	s_delay_alu instid0(VALU_DEP_1) | instskip(NEXT) | instid1(VALU_DEP_1)
	v_cmp_ne_u32_e64 s4, 0x7f800000, v32
                                        ; implicit-def: $vgpr32
	s_and_saveexec_b32 s35, s4
	s_delay_alu instid0(SALU_CYCLE_1)
	s_xor_b32 s4, exec_lo, s35
; %bb.125:                              ;   in Loop: Header=BB291_19 Depth=1
	v_bfe_u32 v32, v33, 16, 1
	s_delay_alu instid0(VALU_DEP_1)
	v_add3_u32 v32, v33, v32, 0x7fff
                                        ; implicit-def: $vgpr33
; %bb.126:                              ;   in Loop: Header=BB291_19 Depth=1
	s_and_not1_saveexec_b32 s35, s4
; %bb.127:                              ;   in Loop: Header=BB291_19 Depth=1
	v_and_b32_e32 v32, 0xffff, v33
	v_or_b32_e32 v35, 0x10000, v33
	s_delay_alu instid0(VALU_DEP_2) | instskip(NEXT) | instid1(VALU_DEP_1)
	v_cmp_eq_u32_e64 s4, 0, v32
	v_cndmask_b32_e64 v32, v35, v33, s4
; %bb.128:                              ;   in Loop: Header=BB291_19 Depth=1
	s_or_b32 exec_lo, exec_lo, s35
	v_dual_mov_b32 v36, v79 :: v_dual_add_nc_u32 v35, 3, v78
	s_delay_alu instid0(VALU_DEP_1) | instskip(NEXT) | instid1(VALU_DEP_1)
	v_lshlrev_b64 v[35:36], 1, v[35:36]
	v_add_co_u32 v35, s4, s14, v35
	s_delay_alu instid0(VALU_DEP_1)
	v_add_co_ci_u32_e64 v36, s4, s15, v36, s4
	global_store_d16_hi_b16 v[35:36], v32, off
	s_or_b32 exec_lo, exec_lo, s34
	v_add_nc_u32_e32 v78, s11, v78
	s_and_saveexec_b32 s34, vcc_lo
	s_cbranch_execz .LBB291_78
.LBB291_129:                            ;   in Loop: Header=BB291_19 Depth=1
	s_waitcnt lgkmcnt(12)
	v_add_f32_e32 v29, v29, v30
	s_waitcnt vmcnt(11)
	v_lshlrev_b32_e32 v30, 16, v58
	s_delay_alu instid0(VALU_DEP_1) | instskip(NEXT) | instid1(VALU_DEP_1)
	v_add_f32_e32 v30, v29, v30
	v_and_b32_e32 v29, 0x7f800000, v30
	s_delay_alu instid0(VALU_DEP_1) | instskip(NEXT) | instid1(VALU_DEP_1)
	v_cmp_ne_u32_e64 s4, 0x7f800000, v29
                                        ; implicit-def: $vgpr29
	s_and_saveexec_b32 s35, s4
	s_delay_alu instid0(SALU_CYCLE_1)
	s_xor_b32 s4, exec_lo, s35
; %bb.130:                              ;   in Loop: Header=BB291_19 Depth=1
	v_bfe_u32 v29, v30, 16, 1
	s_delay_alu instid0(VALU_DEP_1)
	v_add3_u32 v29, v30, v29, 0x7fff
                                        ; implicit-def: $vgpr30
; %bb.131:                              ;   in Loop: Header=BB291_19 Depth=1
	s_and_not1_saveexec_b32 s35, s4
; %bb.132:                              ;   in Loop: Header=BB291_19 Depth=1
	v_and_b32_e32 v29, 0xffff, v30
	v_or_b32_e32 v32, 0x10000, v30
	s_delay_alu instid0(VALU_DEP_2) | instskip(NEXT) | instid1(VALU_DEP_1)
	v_cmp_eq_u32_e64 s4, 0, v29
	v_cndmask_b32_e64 v29, v32, v30, s4
; %bb.133:                              ;   in Loop: Header=BB291_19 Depth=1
	s_or_b32 exec_lo, exec_lo, s35
	v_lshlrev_b64 v[32:33], 1, v[78:79]
	s_delay_alu instid0(VALU_DEP_1) | instskip(NEXT) | instid1(VALU_DEP_1)
	v_add_co_u32 v32, s4, s14, v32
	v_add_co_ci_u32_e64 v33, s4, s15, v33, s4
	global_store_d16_hi_b16 v[32:33], v29, off
	s_or_b32 exec_lo, exec_lo, s34
	s_and_saveexec_b32 s34, s1
	s_cbranch_execz .LBB291_79
.LBB291_134:                            ;   in Loop: Header=BB291_19 Depth=1
	s_waitcnt vmcnt(10) lgkmcnt(9)
	v_dual_add_f32 v24, v24, v25 :: v_dual_lshlrev_b32 v25, 16, v56
	s_delay_alu instid0(VALU_DEP_1) | instskip(NEXT) | instid1(VALU_DEP_1)
	v_add_f32_e32 v25, v24, v25
	v_and_b32_e32 v24, 0x7f800000, v25
	s_delay_alu instid0(VALU_DEP_1) | instskip(NEXT) | instid1(VALU_DEP_1)
	v_cmp_ne_u32_e64 s4, 0x7f800000, v24
                                        ; implicit-def: $vgpr24
	s_and_saveexec_b32 s35, s4
	s_delay_alu instid0(SALU_CYCLE_1)
	s_xor_b32 s4, exec_lo, s35
; %bb.135:                              ;   in Loop: Header=BB291_19 Depth=1
	v_bfe_u32 v24, v25, 16, 1
	s_delay_alu instid0(VALU_DEP_1)
	v_add3_u32 v24, v25, v24, 0x7fff
                                        ; implicit-def: $vgpr25
; %bb.136:                              ;   in Loop: Header=BB291_19 Depth=1
	s_and_not1_saveexec_b32 s35, s4
; %bb.137:                              ;   in Loop: Header=BB291_19 Depth=1
	v_and_b32_e32 v24, 0xffff, v25
	v_or_b32_e32 v29, 0x10000, v25
	s_delay_alu instid0(VALU_DEP_2) | instskip(NEXT) | instid1(VALU_DEP_1)
	v_cmp_eq_u32_e64 s4, 0, v24
	v_cndmask_b32_e64 v24, v29, v25, s4
; %bb.138:                              ;   in Loop: Header=BB291_19 Depth=1
	s_or_b32 exec_lo, exec_lo, s35
	v_dual_mov_b32 v30, v79 :: v_dual_add_nc_u32 v29, 1, v78
	s_delay_alu instid0(VALU_DEP_1) | instskip(NEXT) | instid1(VALU_DEP_1)
	v_lshlrev_b64 v[29:30], 1, v[29:30]
	v_add_co_u32 v29, s4, s14, v29
	s_delay_alu instid0(VALU_DEP_1)
	v_add_co_ci_u32_e64 v30, s4, s15, v30, s4
	global_store_d16_hi_b16 v[29:30], v24, off
	s_or_b32 exec_lo, exec_lo, s34
	s_and_saveexec_b32 s34, s2
	s_cbranch_execz .LBB291_80
.LBB291_139:                            ;   in Loop: Header=BB291_19 Depth=1
	s_waitcnt vmcnt(9) lgkmcnt(8)
	v_dual_add_f32 v24, v27, v28 :: v_dual_lshlrev_b32 v25, 16, v54
	s_delay_alu instid0(VALU_DEP_1) | instskip(NEXT) | instid1(VALU_DEP_1)
	v_add_f32_e32 v25, v24, v25
	v_and_b32_e32 v24, 0x7f800000, v25
	s_delay_alu instid0(VALU_DEP_1) | instskip(NEXT) | instid1(VALU_DEP_1)
	v_cmp_ne_u32_e64 s4, 0x7f800000, v24
                                        ; implicit-def: $vgpr24
	s_and_saveexec_b32 s35, s4
	s_delay_alu instid0(SALU_CYCLE_1)
	s_xor_b32 s4, exec_lo, s35
; %bb.140:                              ;   in Loop: Header=BB291_19 Depth=1
	v_bfe_u32 v24, v25, 16, 1
	s_delay_alu instid0(VALU_DEP_1)
	v_add3_u32 v24, v25, v24, 0x7fff
                                        ; implicit-def: $vgpr25
; %bb.141:                              ;   in Loop: Header=BB291_19 Depth=1
	s_and_not1_saveexec_b32 s35, s4
; %bb.142:                              ;   in Loop: Header=BB291_19 Depth=1
	v_and_b32_e32 v24, 0xffff, v25
	v_or_b32_e32 v27, 0x10000, v25
	s_delay_alu instid0(VALU_DEP_2) | instskip(NEXT) | instid1(VALU_DEP_1)
	v_cmp_eq_u32_e64 s4, 0, v24
	v_cndmask_b32_e64 v24, v27, v25, s4
; %bb.143:                              ;   in Loop: Header=BB291_19 Depth=1
	s_or_b32 exec_lo, exec_lo, s35
	v_dual_mov_b32 v28, v79 :: v_dual_add_nc_u32 v27, 2, v78
	s_delay_alu instid0(VALU_DEP_1) | instskip(NEXT) | instid1(VALU_DEP_1)
	v_lshlrev_b64 v[27:28], 1, v[27:28]
	v_add_co_u32 v27, s4, s14, v27
	s_delay_alu instid0(VALU_DEP_1)
	v_add_co_ci_u32_e64 v28, s4, s15, v28, s4
	global_store_d16_hi_b16 v[27:28], v24, off
	s_or_b32 exec_lo, exec_lo, s34
	s_and_saveexec_b32 s34, s3
	s_cbranch_execz .LBB291_81
.LBB291_144:                            ;   in Loop: Header=BB291_19 Depth=1
	s_waitcnt vmcnt(8) lgkmcnt(10)
	v_dual_add_f32 v22, v22, v23 :: v_dual_lshlrev_b32 v23, 16, v53
	s_delay_alu instid0(VALU_DEP_1) | instskip(NEXT) | instid1(VALU_DEP_1)
	v_add_f32_e32 v23, v22, v23
	v_and_b32_e32 v22, 0x7f800000, v23
	s_delay_alu instid0(VALU_DEP_1) | instskip(NEXT) | instid1(VALU_DEP_1)
	v_cmp_ne_u32_e64 s4, 0x7f800000, v22
                                        ; implicit-def: $vgpr22
	s_and_saveexec_b32 s35, s4
	s_delay_alu instid0(SALU_CYCLE_1)
	s_xor_b32 s4, exec_lo, s35
; %bb.145:                              ;   in Loop: Header=BB291_19 Depth=1
	v_bfe_u32 v22, v23, 16, 1
	s_delay_alu instid0(VALU_DEP_1)
	v_add3_u32 v22, v23, v22, 0x7fff
                                        ; implicit-def: $vgpr23
; %bb.146:                              ;   in Loop: Header=BB291_19 Depth=1
	s_and_not1_saveexec_b32 s35, s4
; %bb.147:                              ;   in Loop: Header=BB291_19 Depth=1
	v_and_b32_e32 v22, 0xffff, v23
	v_or_b32_e32 v24, 0x10000, v23
	s_delay_alu instid0(VALU_DEP_2) | instskip(NEXT) | instid1(VALU_DEP_1)
	v_cmp_eq_u32_e64 s4, 0, v22
	v_cndmask_b32_e64 v22, v24, v23, s4
; %bb.148:                              ;   in Loop: Header=BB291_19 Depth=1
	s_or_b32 exec_lo, exec_lo, s35
	v_dual_mov_b32 v24, v79 :: v_dual_add_nc_u32 v23, 3, v78
	s_delay_alu instid0(VALU_DEP_1) | instskip(NEXT) | instid1(VALU_DEP_1)
	v_lshlrev_b64 v[23:24], 1, v[23:24]
	v_add_co_u32 v23, s4, s14, v23
	s_delay_alu instid0(VALU_DEP_1)
	v_add_co_ci_u32_e64 v24, s4, s15, v24, s4
	global_store_d16_hi_b16 v[23:24], v22, off
	s_or_b32 exec_lo, exec_lo, s34
	v_add_nc_u32_e32 v78, s11, v78
	s_and_saveexec_b32 s34, vcc_lo
	s_cbranch_execz .LBB291_82
.LBB291_149:                            ;   in Loop: Header=BB291_19 Depth=1
	s_waitcnt vmcnt(7) lgkmcnt(7)
	v_dual_add_f32 v19, v19, v20 :: v_dual_lshlrev_b32 v20, 16, v50
	s_delay_alu instid0(VALU_DEP_1) | instskip(NEXT) | instid1(VALU_DEP_1)
	v_add_f32_e32 v20, v19, v20
	v_and_b32_e32 v19, 0x7f800000, v20
	s_delay_alu instid0(VALU_DEP_1) | instskip(NEXT) | instid1(VALU_DEP_1)
	v_cmp_ne_u32_e64 s4, 0x7f800000, v19
                                        ; implicit-def: $vgpr19
	s_and_saveexec_b32 s35, s4
	s_delay_alu instid0(SALU_CYCLE_1)
	s_xor_b32 s4, exec_lo, s35
; %bb.150:                              ;   in Loop: Header=BB291_19 Depth=1
	v_bfe_u32 v19, v20, 16, 1
	s_delay_alu instid0(VALU_DEP_1)
	v_add3_u32 v19, v20, v19, 0x7fff
                                        ; implicit-def: $vgpr20
; %bb.151:                              ;   in Loop: Header=BB291_19 Depth=1
	s_and_not1_saveexec_b32 s35, s4
; %bb.152:                              ;   in Loop: Header=BB291_19 Depth=1
	v_and_b32_e32 v19, 0xffff, v20
	v_or_b32_e32 v22, 0x10000, v20
	s_delay_alu instid0(VALU_DEP_2) | instskip(NEXT) | instid1(VALU_DEP_1)
	v_cmp_eq_u32_e64 s4, 0, v19
	v_cndmask_b32_e64 v19, v22, v20, s4
; %bb.153:                              ;   in Loop: Header=BB291_19 Depth=1
	s_or_b32 exec_lo, exec_lo, s35
	v_lshlrev_b64 v[22:23], 1, v[78:79]
	s_delay_alu instid0(VALU_DEP_1) | instskip(NEXT) | instid1(VALU_DEP_1)
	v_add_co_u32 v22, s4, s14, v22
	v_add_co_ci_u32_e64 v23, s4, s15, v23, s4
	global_store_d16_hi_b16 v[22:23], v19, off
	s_or_b32 exec_lo, exec_lo, s34
	s_and_saveexec_b32 s34, s1
	s_cbranch_execz .LBB291_83
.LBB291_154:                            ;   in Loop: Header=BB291_19 Depth=1
	s_waitcnt vmcnt(6) lgkmcnt(5)
	v_dual_add_f32 v17, v17, v18 :: v_dual_lshlrev_b32 v18, 16, v47
	s_delay_alu instid0(VALU_DEP_1) | instskip(NEXT) | instid1(VALU_DEP_1)
	v_add_f32_e32 v18, v17, v18
	v_and_b32_e32 v17, 0x7f800000, v18
	s_delay_alu instid0(VALU_DEP_1) | instskip(NEXT) | instid1(VALU_DEP_1)
	v_cmp_ne_u32_e64 s4, 0x7f800000, v17
                                        ; implicit-def: $vgpr17
	s_and_saveexec_b32 s35, s4
	s_delay_alu instid0(SALU_CYCLE_1)
	s_xor_b32 s4, exec_lo, s35
; %bb.155:                              ;   in Loop: Header=BB291_19 Depth=1
	v_bfe_u32 v17, v18, 16, 1
	s_delay_alu instid0(VALU_DEP_1)
	v_add3_u32 v17, v18, v17, 0x7fff
                                        ; implicit-def: $vgpr18
; %bb.156:                              ;   in Loop: Header=BB291_19 Depth=1
	s_and_not1_saveexec_b32 s35, s4
; %bb.157:                              ;   in Loop: Header=BB291_19 Depth=1
	v_and_b32_e32 v17, 0xffff, v18
	v_or_b32_e32 v19, 0x10000, v18
	s_delay_alu instid0(VALU_DEP_2) | instskip(NEXT) | instid1(VALU_DEP_1)
	v_cmp_eq_u32_e64 s4, 0, v17
	v_cndmask_b32_e64 v17, v19, v18, s4
; %bb.158:                              ;   in Loop: Header=BB291_19 Depth=1
	s_or_b32 exec_lo, exec_lo, s35
	v_dual_mov_b32 v19, v79 :: v_dual_add_nc_u32 v18, 1, v78
	s_delay_alu instid0(VALU_DEP_1) | instskip(NEXT) | instid1(VALU_DEP_1)
	v_lshlrev_b64 v[18:19], 1, v[18:19]
	v_add_co_u32 v18, s4, s14, v18
	s_delay_alu instid0(VALU_DEP_1)
	v_add_co_ci_u32_e64 v19, s4, s15, v19, s4
	global_store_d16_hi_b16 v[18:19], v17, off
	s_or_b32 exec_lo, exec_lo, s34
	s_and_saveexec_b32 s34, s2
	s_cbranch_execz .LBB291_84
.LBB291_159:                            ;   in Loop: Header=BB291_19 Depth=1
	s_waitcnt vmcnt(5) lgkmcnt(6)
	v_dual_add_f32 v13, v13, v14 :: v_dual_lshlrev_b32 v14, 16, v44
	s_delay_alu instid0(VALU_DEP_1) | instskip(NEXT) | instid1(VALU_DEP_1)
	v_add_f32_e32 v14, v13, v14
	v_and_b32_e32 v13, 0x7f800000, v14
	s_delay_alu instid0(VALU_DEP_1) | instskip(NEXT) | instid1(VALU_DEP_1)
	v_cmp_ne_u32_e64 s4, 0x7f800000, v13
                                        ; implicit-def: $vgpr13
	s_and_saveexec_b32 s35, s4
	s_delay_alu instid0(SALU_CYCLE_1)
	s_xor_b32 s4, exec_lo, s35
; %bb.160:                              ;   in Loop: Header=BB291_19 Depth=1
	v_bfe_u32 v13, v14, 16, 1
	s_delay_alu instid0(VALU_DEP_1)
	v_add3_u32 v13, v14, v13, 0x7fff
                                        ; implicit-def: $vgpr14
; %bb.161:                              ;   in Loop: Header=BB291_19 Depth=1
	s_and_not1_saveexec_b32 s35, s4
; %bb.162:                              ;   in Loop: Header=BB291_19 Depth=1
	v_and_b32_e32 v13, 0xffff, v14
	v_or_b32_e32 v17, 0x10000, v14
	s_delay_alu instid0(VALU_DEP_2) | instskip(NEXT) | instid1(VALU_DEP_1)
	v_cmp_eq_u32_e64 s4, 0, v13
	v_cndmask_b32_e64 v13, v17, v14, s4
; %bb.163:                              ;   in Loop: Header=BB291_19 Depth=1
	s_or_b32 exec_lo, exec_lo, s35
	s_waitcnt lgkmcnt(5)
	v_dual_mov_b32 v18, v79 :: v_dual_add_nc_u32 v17, 2, v78
	s_delay_alu instid0(VALU_DEP_1) | instskip(NEXT) | instid1(VALU_DEP_1)
	v_lshlrev_b64 v[17:18], 1, v[17:18]
	v_add_co_u32 v17, s4, s14, v17
	s_delay_alu instid0(VALU_DEP_1)
	v_add_co_ci_u32_e64 v18, s4, s15, v18, s4
	global_store_d16_hi_b16 v[17:18], v13, off
	s_or_b32 exec_lo, exec_lo, s34
	s_and_saveexec_b32 s34, s3
	s_cbranch_execz .LBB291_85
.LBB291_164:                            ;   in Loop: Header=BB291_19 Depth=1
	s_waitcnt vmcnt(4) lgkmcnt(3)
	v_dual_add_f32 v13, v15, v16 :: v_dual_lshlrev_b32 v14, 16, v39
	s_delay_alu instid0(VALU_DEP_1) | instskip(NEXT) | instid1(VALU_DEP_1)
	v_add_f32_e32 v14, v13, v14
	v_and_b32_e32 v13, 0x7f800000, v14
	s_delay_alu instid0(VALU_DEP_1) | instskip(NEXT) | instid1(VALU_DEP_1)
	v_cmp_ne_u32_e64 s4, 0x7f800000, v13
                                        ; implicit-def: $vgpr13
	s_and_saveexec_b32 s35, s4
	s_delay_alu instid0(SALU_CYCLE_1)
	s_xor_b32 s4, exec_lo, s35
; %bb.165:                              ;   in Loop: Header=BB291_19 Depth=1
	v_bfe_u32 v13, v14, 16, 1
	s_delay_alu instid0(VALU_DEP_1)
	v_add3_u32 v13, v14, v13, 0x7fff
                                        ; implicit-def: $vgpr14
; %bb.166:                              ;   in Loop: Header=BB291_19 Depth=1
	s_and_not1_saveexec_b32 s35, s4
; %bb.167:                              ;   in Loop: Header=BB291_19 Depth=1
	v_and_b32_e32 v13, 0xffff, v14
	v_or_b32_e32 v15, 0x10000, v14
	s_delay_alu instid0(VALU_DEP_2) | instskip(NEXT) | instid1(VALU_DEP_1)
	v_cmp_eq_u32_e64 s4, 0, v13
	v_cndmask_b32_e64 v13, v15, v14, s4
; %bb.168:                              ;   in Loop: Header=BB291_19 Depth=1
	s_or_b32 exec_lo, exec_lo, s35
	v_dual_mov_b32 v15, v79 :: v_dual_add_nc_u32 v14, 3, v78
	s_delay_alu instid0(VALU_DEP_1) | instskip(NEXT) | instid1(VALU_DEP_1)
	v_lshlrev_b64 v[14:15], 1, v[14:15]
	v_add_co_u32 v14, s4, s14, v14
	s_delay_alu instid0(VALU_DEP_1)
	v_add_co_ci_u32_e64 v15, s4, s15, v15, s4
	global_store_d16_hi_b16 v[14:15], v13, off
	s_or_b32 exec_lo, exec_lo, s34
	v_add_nc_u32_e32 v78, s11, v78
	s_and_saveexec_b32 s4, vcc_lo
	s_cbranch_execz .LBB291_86
.LBB291_169:                            ;   in Loop: Header=BB291_19 Depth=1
	s_waitcnt vmcnt(3) lgkmcnt(4)
	v_dual_add_f32 v11, v11, v12 :: v_dual_lshlrev_b32 v12, 16, v34
	s_delay_alu instid0(VALU_DEP_1) | instskip(NEXT) | instid1(VALU_DEP_1)
	v_add_f32_e32 v12, v11, v12
	v_and_b32_e32 v11, 0x7f800000, v12
	s_delay_alu instid0(VALU_DEP_1) | instskip(SKIP_1) | instid1(SALU_CYCLE_1)
	v_cmp_ne_u32_e32 vcc_lo, 0x7f800000, v11
                                        ; implicit-def: $vgpr11
	s_and_saveexec_b32 s34, vcc_lo
	s_xor_b32 s34, exec_lo, s34
; %bb.170:                              ;   in Loop: Header=BB291_19 Depth=1
	v_bfe_u32 v11, v12, 16, 1
	s_delay_alu instid0(VALU_DEP_1)
	v_add3_u32 v11, v12, v11, 0x7fff
                                        ; implicit-def: $vgpr12
; %bb.171:                              ;   in Loop: Header=BB291_19 Depth=1
	s_and_not1_saveexec_b32 s34, s34
; %bb.172:                              ;   in Loop: Header=BB291_19 Depth=1
	v_and_b32_e32 v11, 0xffff, v12
	v_or_b32_e32 v13, 0x10000, v12
	s_delay_alu instid0(VALU_DEP_2) | instskip(NEXT) | instid1(VALU_DEP_2)
	v_cmp_eq_u32_e32 vcc_lo, 0, v11
	v_cndmask_b32_e32 v11, v13, v12, vcc_lo
; %bb.173:                              ;   in Loop: Header=BB291_19 Depth=1
	s_or_b32 exec_lo, exec_lo, s34
	v_lshlrev_b64 v[12:13], 1, v[78:79]
	s_delay_alu instid0(VALU_DEP_1) | instskip(NEXT) | instid1(VALU_DEP_2)
	v_add_co_u32 v12, vcc_lo, s14, v12
	v_add_co_ci_u32_e32 v13, vcc_lo, s15, v13, vcc_lo
	global_store_d16_hi_b16 v[12:13], v11, off
	s_or_b32 exec_lo, exec_lo, s4
	s_and_saveexec_b32 s4, s1
	s_cbranch_execz .LBB291_87
.LBB291_174:                            ;   in Loop: Header=BB291_19 Depth=1
	s_waitcnt vmcnt(2) lgkmcnt(2)
	v_dual_add_f32 v9, v9, v10 :: v_dual_lshlrev_b32 v10, 16, v31
	s_delay_alu instid0(VALU_DEP_1) | instskip(NEXT) | instid1(VALU_DEP_1)
	v_add_f32_e32 v10, v9, v10
	v_and_b32_e32 v9, 0x7f800000, v10
	s_delay_alu instid0(VALU_DEP_1) | instskip(SKIP_1) | instid1(SALU_CYCLE_1)
	v_cmp_ne_u32_e32 vcc_lo, 0x7f800000, v9
                                        ; implicit-def: $vgpr9
	s_and_saveexec_b32 s1, vcc_lo
	s_xor_b32 s1, exec_lo, s1
; %bb.175:                              ;   in Loop: Header=BB291_19 Depth=1
	v_bfe_u32 v9, v10, 16, 1
	s_delay_alu instid0(VALU_DEP_1)
	v_add3_u32 v9, v10, v9, 0x7fff
                                        ; implicit-def: $vgpr10
; %bb.176:                              ;   in Loop: Header=BB291_19 Depth=1
	s_and_not1_saveexec_b32 s1, s1
; %bb.177:                              ;   in Loop: Header=BB291_19 Depth=1
	v_and_b32_e32 v9, 0xffff, v10
	v_or_b32_e32 v11, 0x10000, v10
	s_delay_alu instid0(VALU_DEP_2) | instskip(NEXT) | instid1(VALU_DEP_2)
	v_cmp_eq_u32_e32 vcc_lo, 0, v9
	v_cndmask_b32_e32 v9, v11, v10, vcc_lo
; %bb.178:                              ;   in Loop: Header=BB291_19 Depth=1
	s_or_b32 exec_lo, exec_lo, s1
	v_dual_mov_b32 v11, v79 :: v_dual_add_nc_u32 v10, 1, v78
	s_delay_alu instid0(VALU_DEP_1) | instskip(NEXT) | instid1(VALU_DEP_1)
	v_lshlrev_b64 v[10:11], 1, v[10:11]
	v_add_co_u32 v10, vcc_lo, s14, v10
	s_delay_alu instid0(VALU_DEP_2)
	v_add_co_ci_u32_e32 v11, vcc_lo, s15, v11, vcc_lo
	global_store_d16_hi_b16 v[10:11], v9, off
	s_or_b32 exec_lo, exec_lo, s4
	s_and_saveexec_b32 s1, s2
	s_cbranch_execz .LBB291_88
.LBB291_179:                            ;   in Loop: Header=BB291_19 Depth=1
	s_waitcnt vmcnt(1) lgkmcnt(1)
	v_dual_add_f32 v7, v7, v8 :: v_dual_lshlrev_b32 v8, 16, v26
	s_delay_alu instid0(VALU_DEP_1) | instskip(NEXT) | instid1(VALU_DEP_1)
	v_add_f32_e32 v8, v7, v8
	v_and_b32_e32 v7, 0x7f800000, v8
	s_delay_alu instid0(VALU_DEP_1) | instskip(SKIP_1) | instid1(SALU_CYCLE_1)
	v_cmp_ne_u32_e32 vcc_lo, 0x7f800000, v7
                                        ; implicit-def: $vgpr7
	s_and_saveexec_b32 s2, vcc_lo
	s_xor_b32 s2, exec_lo, s2
; %bb.180:                              ;   in Loop: Header=BB291_19 Depth=1
	v_bfe_u32 v7, v8, 16, 1
	s_delay_alu instid0(VALU_DEP_1)
	v_add3_u32 v7, v8, v7, 0x7fff
                                        ; implicit-def: $vgpr8
; %bb.181:                              ;   in Loop: Header=BB291_19 Depth=1
	s_and_not1_saveexec_b32 s2, s2
; %bb.182:                              ;   in Loop: Header=BB291_19 Depth=1
	v_and_b32_e32 v7, 0xffff, v8
	v_or_b32_e32 v9, 0x10000, v8
	s_delay_alu instid0(VALU_DEP_2) | instskip(NEXT) | instid1(VALU_DEP_2)
	v_cmp_eq_u32_e32 vcc_lo, 0, v7
	v_cndmask_b32_e32 v7, v9, v8, vcc_lo
; %bb.183:                              ;   in Loop: Header=BB291_19 Depth=1
	s_or_b32 exec_lo, exec_lo, s2
	v_dual_mov_b32 v9, v79 :: v_dual_add_nc_u32 v8, 2, v78
	s_delay_alu instid0(VALU_DEP_1) | instskip(NEXT) | instid1(VALU_DEP_1)
	v_lshlrev_b64 v[8:9], 1, v[8:9]
	v_add_co_u32 v8, vcc_lo, s14, v8
	s_delay_alu instid0(VALU_DEP_2) | instskip(SKIP_2) | instid1(SALU_CYCLE_1)
	v_add_co_ci_u32_e32 v9, vcc_lo, s15, v9, vcc_lo
	global_store_d16_hi_b16 v[8:9], v7, off
	s_or_b32 exec_lo, exec_lo, s1
	s_and_b32 exec_lo, exec_lo, s3
	s_cbranch_execz .LBB291_189
.LBB291_184:                            ;   in Loop: Header=BB291_19 Depth=1
	s_waitcnt vmcnt(0) lgkmcnt(0)
	v_dual_add_f32 v5, v5, v6 :: v_dual_lshlrev_b32 v6, 16, v21
	s_delay_alu instid0(VALU_DEP_1) | instskip(NEXT) | instid1(VALU_DEP_1)
	v_add_f32_e32 v6, v5, v6
	v_and_b32_e32 v5, 0x7f800000, v6
	s_delay_alu instid0(VALU_DEP_1) | instskip(SKIP_1) | instid1(SALU_CYCLE_1)
	v_cmp_ne_u32_e32 vcc_lo, 0x7f800000, v5
                                        ; implicit-def: $vgpr5
	s_and_saveexec_b32 s1, vcc_lo
	s_xor_b32 s1, exec_lo, s1
; %bb.185:                              ;   in Loop: Header=BB291_19 Depth=1
	v_bfe_u32 v5, v6, 16, 1
	s_delay_alu instid0(VALU_DEP_1)
	v_add3_u32 v5, v6, v5, 0x7fff
                                        ; implicit-def: $vgpr6
; %bb.186:                              ;   in Loop: Header=BB291_19 Depth=1
	s_and_not1_saveexec_b32 s1, s1
; %bb.187:                              ;   in Loop: Header=BB291_19 Depth=1
	v_and_b32_e32 v5, 0xffff, v6
	v_or_b32_e32 v7, 0x10000, v6
	s_delay_alu instid0(VALU_DEP_2) | instskip(NEXT) | instid1(VALU_DEP_2)
	v_cmp_eq_u32_e32 vcc_lo, 0, v5
	v_cndmask_b32_e32 v5, v7, v6, vcc_lo
; %bb.188:                              ;   in Loop: Header=BB291_19 Depth=1
	s_or_b32 exec_lo, exec_lo, s1
	v_add_nc_u32_e32 v78, 3, v78
	s_delay_alu instid0(VALU_DEP_1) | instskip(NEXT) | instid1(VALU_DEP_1)
	v_lshlrev_b64 v[6:7], 1, v[78:79]
	v_add_co_u32 v6, vcc_lo, s14, v6
	s_delay_alu instid0(VALU_DEP_2)
	v_add_co_ci_u32_e32 v7, vcc_lo, s15, v7, vcc_lo
	global_store_d16_hi_b16 v[6:7], v5, off
.LBB291_189:                            ;   in Loop: Header=BB291_19 Depth=1
	s_or_b32 exec_lo, exec_lo, s5
	v_add_nc_u32_e32 v77, s20, v77
	s_delay_alu instid0(VALU_DEP_1) | instskip(SKIP_1) | instid1(VALU_DEP_2)
	v_add_nc_u32_e32 v5, 4, v77
	v_cmp_gt_u32_e32 vcc_lo, s11, v77
	v_cmp_le_u32_e64 s1, s11, v5
	s_delay_alu instid0(VALU_DEP_1) | instskip(NEXT) | instid1(SALU_CYCLE_1)
	s_and_b32 s1, vcc_lo, s1
	s_and_saveexec_b32 s34, s1
	s_cbranch_execz .LBB291_18
; %bb.190:                              ;   in Loop: Header=BB291_19 Depth=1
	s_mov_b32 s35, exec_lo
	v_cmpx_ne_u32_e64 s21, v77
	s_cbranch_execz .LBB291_17
; %bb.191:                              ;   in Loop: Header=BB291_19 Depth=1
	v_subrev_nc_u32_e32 v5, s21, v77
	s_mov_b32 s36, 0
	s_mov_b64 s[4:5], 0
	s_delay_alu instid0(VALU_DEP_1)
	v_cmp_lt_u32_e32 vcc_lo, 1, v5
	v_cndmask_b32_e32 v5, 1, v5, vcc_lo
	.p2align	6
.LBB291_192:                            ;   Parent Loop BB291_19 Depth=1
                                        ; =>  This Inner Loop Header: Depth=2
	s_cmp_lg_u32 s4, 3
	s_cselect_b32 vcc_lo, -1, 0
	s_cmp_lg_u32 s4, 2
	v_cndmask_b32_e32 v4, 0, v4, vcc_lo
	s_cselect_b32 s1, -1, 0
	s_cmp_lg_u32 s4, 1
	v_cndmask_b32_e64 v3, 0, v3, s1
	s_cselect_b32 s2, -1, 0
	s_cmp_lg_u32 s4, 0
	v_cndmask_b32_e64 v2, 0, v2, s2
	s_cselect_b32 s3, -1, 0
	s_add_u32 s4, s4, 1
	v_cndmask_b32_e64 v1, 0, v1, s3
	v_cmp_eq_u32_e32 vcc_lo, s4, v5
	s_addc_u32 s5, s5, 0
	s_or_b32 s36, vcc_lo, s36
	s_delay_alu instid0(SALU_CYCLE_1)
	s_and_not1_b32 exec_lo, exec_lo, s36
	s_cbranch_execnz .LBB291_192
; %bb.193:                              ;   in Loop: Header=BB291_19 Depth=1
	s_or_b32 exec_lo, exec_lo, s36
	s_branch .LBB291_17
.LBB291_194:
	s_nop 0
	s_sendmsg sendmsg(MSG_DEALLOC_VGPRS)
	s_endpgm
	.section	.rodata,"a",@progbits
	.p2align	6, 0x0
	.amdhsa_kernel _Z12wvSplitK_hf_I14__hip_bfloat16Li32ELi4ELi16ELi8ELi2ELi5EEviiiiiiPKT_S3_S3_PS1_ii
		.amdhsa_group_segment_fixed_size 65536
		.amdhsa_private_segment_fixed_size 0
		.amdhsa_kernarg_size 64
		.amdhsa_user_sgpr_count 15
		.amdhsa_user_sgpr_dispatch_ptr 0
		.amdhsa_user_sgpr_queue_ptr 0
		.amdhsa_user_sgpr_kernarg_segment_ptr 1
		.amdhsa_user_sgpr_dispatch_id 0
		.amdhsa_user_sgpr_private_segment_size 0
		.amdhsa_wavefront_size32 1
		.amdhsa_uses_dynamic_stack 0
		.amdhsa_enable_private_segment 0
		.amdhsa_system_sgpr_workgroup_id_x 1
		.amdhsa_system_sgpr_workgroup_id_y 0
		.amdhsa_system_sgpr_workgroup_id_z 0
		.amdhsa_system_sgpr_workgroup_info 0
		.amdhsa_system_vgpr_workitem_id 1
		.amdhsa_next_free_vgpr 151
		.amdhsa_next_free_sgpr 37
		.amdhsa_reserve_vcc 1
		.amdhsa_float_round_mode_32 0
		.amdhsa_float_round_mode_16_64 0
		.amdhsa_float_denorm_mode_32 3
		.amdhsa_float_denorm_mode_16_64 3
		.amdhsa_dx10_clamp 1
		.amdhsa_ieee_mode 1
		.amdhsa_fp16_overflow 0
		.amdhsa_workgroup_processor_mode 1
		.amdhsa_memory_ordered 1
		.amdhsa_forward_progress 0
		.amdhsa_shared_vgpr_count 0
		.amdhsa_exception_fp_ieee_invalid_op 0
		.amdhsa_exception_fp_denorm_src 0
		.amdhsa_exception_fp_ieee_div_zero 0
		.amdhsa_exception_fp_ieee_overflow 0
		.amdhsa_exception_fp_ieee_underflow 0
		.amdhsa_exception_fp_ieee_inexact 0
		.amdhsa_exception_int_div_zero 0
	.end_amdhsa_kernel
	.section	.text._Z12wvSplitK_hf_I14__hip_bfloat16Li32ELi4ELi16ELi8ELi2ELi5EEviiiiiiPKT_S3_S3_PS1_ii,"axG",@progbits,_Z12wvSplitK_hf_I14__hip_bfloat16Li32ELi4ELi16ELi8ELi2ELi5EEviiiiiiPKT_S3_S3_PS1_ii,comdat
.Lfunc_end291:
	.size	_Z12wvSplitK_hf_I14__hip_bfloat16Li32ELi4ELi16ELi8ELi2ELi5EEviiiiiiPKT_S3_S3_PS1_ii, .Lfunc_end291-_Z12wvSplitK_hf_I14__hip_bfloat16Li32ELi4ELi16ELi8ELi2ELi5EEviiiiiiPKT_S3_S3_PS1_ii
                                        ; -- End function
	.section	.AMDGPU.csdata,"",@progbits
; Kernel info:
; codeLenInByte = 13176
; NumSgprs: 39
; NumVgprs: 151
; ScratchSize: 0
; MemoryBound: 0
; FloatMode: 240
; IeeeMode: 1
; LDSByteSize: 65536 bytes/workgroup (compile time only)
; SGPRBlocks: 4
; VGPRBlocks: 18
; NumSGPRsForWavesPerEU: 39
; NumVGPRsForWavesPerEU: 151
; Occupancy: 8
; WaveLimiterHint : 0
; COMPUTE_PGM_RSRC2:SCRATCH_EN: 0
; COMPUTE_PGM_RSRC2:USER_SGPR: 15
; COMPUTE_PGM_RSRC2:TRAP_HANDLER: 0
; COMPUTE_PGM_RSRC2:TGID_X_EN: 1
; COMPUTE_PGM_RSRC2:TGID_Y_EN: 0
; COMPUTE_PGM_RSRC2:TGID_Z_EN: 0
; COMPUTE_PGM_RSRC2:TIDIG_COMP_CNT: 1
	.section	.text._Z16wvSplitK_hf_big_I14__hip_bfloat16Li32ELi4ELi16ELi8ELi2ELi5EEviiiiiiPKT_S3_S3_PS1_ii,"axG",@progbits,_Z16wvSplitK_hf_big_I14__hip_bfloat16Li32ELi4ELi16ELi8ELi2ELi5EEviiiiiiPKT_S3_S3_PS1_ii,comdat
	.protected	_Z16wvSplitK_hf_big_I14__hip_bfloat16Li32ELi4ELi16ELi8ELi2ELi5EEviiiiiiPKT_S3_S3_PS1_ii ; -- Begin function _Z16wvSplitK_hf_big_I14__hip_bfloat16Li32ELi4ELi16ELi8ELi2ELi5EEviiiiiiPKT_S3_S3_PS1_ii
	.globl	_Z16wvSplitK_hf_big_I14__hip_bfloat16Li32ELi4ELi16ELi8ELi2ELi5EEviiiiiiPKT_S3_S3_PS1_ii
	.p2align	8
	.type	_Z16wvSplitK_hf_big_I14__hip_bfloat16Li32ELi4ELi16ELi8ELi2ELi5EEviiiiiiPKT_S3_S3_PS1_ii,@function
_Z16wvSplitK_hf_big_I14__hip_bfloat16Li32ELi4ELi16ELi8ELi2ELi5EEviiiiiiPKT_S3_S3_PS1_ii: ; @_Z16wvSplitK_hf_big_I14__hip_bfloat16Li32ELi4ELi16ELi8ELi2ELi5EEviiiiiiPKT_S3_S3_PS1_ii
; %bb.0:
	s_load_b64 s[20:21], s[0:1], 0x38
	v_bfe_u32 v5, v0, 10, 10
	s_mov_b32 s2, exec_lo
	s_waitcnt lgkmcnt(0)
	s_delay_alu instid0(VALU_DEP_1)
	v_cmpx_gt_u32_e64 s20, v5
	s_cbranch_execz .LBB292_160
; %bb.1:
	s_load_b128 s[16:19], s[0:1], 0x0
	s_mul_i32 s15, s15, s20
	s_mov_b32 s4, 1
	v_add_lshl_u32 v76, s15, v5, 2
	s_mov_b32 s5, s4
	s_mov_b32 s6, s4
	;; [unrolled: 1-line block ×3, first 2 shown]
	s_delay_alu instid0(VALU_DEP_1) | instskip(SKIP_2) | instid1(VALU_DEP_2)
	v_add_nc_u32_e32 v1, 4, v76
	s_waitcnt lgkmcnt(0)
	v_cmp_gt_u32_e32 vcc_lo, s19, v76
	v_cmp_le_u32_e64 s2, s19, v1
	v_dual_mov_b32 v1, s4 :: v_dual_mov_b32 v4, s7
	v_dual_mov_b32 v2, s5 :: v_dual_mov_b32 v3, s6
	s_delay_alu instid0(VALU_DEP_3) | instskip(NEXT) | instid1(SALU_CYCLE_1)
	s_and_b32 s2, vcc_lo, s2
	s_and_saveexec_b32 s8, s2
	s_cbranch_execz .LBB292_7
; %bb.2:
	v_dual_mov_b32 v1, s4 :: v_dual_mov_b32 v2, s5
	v_dual_mov_b32 v3, s6 :: v_dual_mov_b32 v4, s7
	s_add_i32 s9, s19, -4
	s_mov_b32 s10, exec_lo
	v_cmpx_ne_u32_e64 s9, v76
	s_cbranch_execz .LBB292_6
; %bb.3:
	v_subrev_nc_u32_e32 v1, s9, v76
	s_mov_b32 s11, 0
	s_mov_b64 s[2:3], 0
	s_mov_b32 s5, s4
	s_mov_b32 s6, s4
	v_cmp_lt_u32_e32 vcc_lo, 1, v1
	s_mov_b32 s7, s4
	v_cndmask_b32_e32 v6, 1, v1, vcc_lo
	.p2align	6
.LBB292_4:                              ; =>This Inner Loop Header: Depth=1
	s_cmp_lg_u32 s2, 3
	s_cselect_b32 s7, s7, 0
	s_cmp_lg_u32 s2, 2
	s_cselect_b32 s6, s6, 0
	;; [unrolled: 2-line block ×4, first 2 shown]
	s_add_u32 s2, s2, 1
	v_dual_mov_b32 v1, s4 :: v_dual_mov_b32 v2, s5
	v_cmp_eq_u32_e32 vcc_lo, s2, v6
	v_dual_mov_b32 v3, s6 :: v_dual_mov_b32 v4, s7
	s_addc_u32 s3, s3, 0
	s_or_b32 s11, vcc_lo, s11
	s_delay_alu instid0(SALU_CYCLE_1)
	s_and_not1_b32 exec_lo, exec_lo, s11
	s_cbranch_execnz .LBB292_4
; %bb.5:
	s_or_b32 exec_lo, exec_lo, s11
	v_mov_b32_e32 v76, s9
.LBB292_6:
	s_or_b32 exec_lo, exec_lo, s10
.LBB292_7:
	s_delay_alu instid0(SALU_CYCLE_1)
	s_or_b32 exec_lo, exec_lo, s8
	s_lshl_b32 s2, s20, 2
	s_abs_i32 s6, s19
	s_abs_i32 s3, s2
	s_mov_b32 s23, 0
	v_cvt_f32_u32_e32 v6, s3
	s_sub_i32 s5, 0, s3
	s_delay_alu instid0(VALU_DEP_1) | instskip(SKIP_2) | instid1(VALU_DEP_1)
	v_rcp_iflag_f32_e32 v6, v6
	s_waitcnt_depctr 0xfff
	v_mul_f32_e32 v6, 0x4f7ffffe, v6
	v_cvt_u32_f32_e32 v6, v6
	s_delay_alu instid0(VALU_DEP_1) | instskip(NEXT) | instid1(VALU_DEP_1)
	v_readfirstlane_b32 s4, v6
	s_mul_i32 s5, s5, s4
	s_delay_alu instid0(SALU_CYCLE_1) | instskip(NEXT) | instid1(SALU_CYCLE_1)
	s_mul_hi_u32 s5, s4, s5
	s_add_i32 s4, s4, s5
	s_ashr_i32 s5, s19, 31
	s_mul_hi_u32 s4, s6, s4
	s_delay_alu instid0(SALU_CYCLE_1) | instskip(NEXT) | instid1(SALU_CYCLE_1)
	s_mul_i32 s4, s4, s3
	s_sub_i32 s4, s6, s4
	s_delay_alu instid0(SALU_CYCLE_1) | instskip(SKIP_2) | instid1(SALU_CYCLE_1)
	s_sub_i32 s6, s4, s3
	s_cmp_ge_u32 s4, s3
	s_cselect_b32 s4, s6, s4
	s_sub_i32 s6, s4, s3
	s_cmp_ge_u32 s4, s3
	s_cselect_b32 s3, s6, s4
	s_add_i32 s2, s2, s19
	s_xor_b32 s3, s3, s5
	s_delay_alu instid0(SALU_CYCLE_1) | instskip(NEXT) | instid1(SALU_CYCLE_1)
	s_sub_i32 s3, s3, s5
	s_sub_i32 s2, s2, s3
	s_cmp_eq_u32 s3, 0
	s_cselect_b32 s22, s19, s2
	s_delay_alu instid0(SALU_CYCLE_1)
	v_cmp_gt_u32_e32 vcc_lo, s22, v76
	s_and_b32 exec_lo, exec_lo, vcc_lo
	s_cbranch_execz .LBB292_160
; %bb.8:
	s_load_b256 s[8:15], s[0:1], 0x10
	s_min_u32 s24, s18, 0x1800
	s_cmp_lg_u32 s16, 0
	s_mul_i32 s2, s21, s20
	s_cselect_b32 s25, -1, 0
	s_cmp_lg_u32 s18, 0
	s_load_b64 s[6:7], s[0:1], 0x30
	s_cselect_b32 s21, -1, 0
	s_lshl_b32 s26, s20, 8
	s_add_i32 s27, s16, -8
	s_add_i32 s28, s19, -1
	s_lshl_b32 s29, s2, 2
	v_and_b32_e32 v0, 0x3ff, v0
	v_mbcnt_lo_u32_b32 v89, -1, 0
	s_delay_alu instid0(VALU_DEP_2)
	v_dual_mov_b32 v79, 0 :: v_dual_lshlrev_b32 v90, 3, v0
	s_waitcnt lgkmcnt(0)
	s_cmp_lg_u64 s[14:15], 0
	s_cselect_b32 s30, -1, 0
	s_abs_i32 s2, s9
	s_add_i32 s31, s19, -4
	v_cvt_f32_u32_e32 v6, s2
	s_sub_i32 s1, 0, s2
	s_sub_i32 s3, 0, s8
	;; [unrolled: 1-line block ×3, first 2 shown]
	s_mul_i32 s9, s24, 6
	v_rcp_iflag_f32_e32 v6, v6
	s_waitcnt_depctr 0xfff
	v_mul_f32_e32 v6, 0x4f7ffffe, v6
	s_delay_alu instid0(VALU_DEP_1) | instskip(NEXT) | instid1(VALU_DEP_1)
	v_cvt_u32_f32_e32 v6, v6
	v_readfirstlane_b32 s0, v6
	v_cvt_f32_u32_e32 v6, s8
	s_delay_alu instid0(VALU_DEP_2) | instskip(NEXT) | instid1(VALU_DEP_1)
	s_mul_i32 s1, s1, s0
	v_rcp_iflag_f32_e32 v6, v6
	s_mul_hi_u32 s1, s0, s1
	v_lshlrev_b32_e32 v7, 4, v0
	s_add_i32 s1, s0, s1
	s_cmp_lt_u32 s2, 2
	v_cmp_eq_u32_e64 s0, 31, v0
	s_cselect_b32 s4, s4, 1
	s_delay_alu instid0(SALU_CYCLE_1)
	s_sub_i32 s5, s4, s2
	s_cmp_ge_u32 s4, s2
	s_waitcnt_depctr 0xfff
	v_mul_f32_e32 v0, 0x4f7ffffe, v6
	s_cselect_b32 s33, s5, s4
	s_lshr_b32 s4, s1, 31
	v_lshl_add_u32 v91, v5, 9, v7
	s_mul_i32 s4, s4, s2
	v_cvt_u32_f32_e32 v6, v0
	s_sub_i32 s4, 2, s4
	v_lshl_add_u32 v0, v5, 8, v90
	s_sub_i32 s5, s4, s2
	s_cmp_ge_u32 s4, s2
	v_mul_lo_u32 v8, s3, v6
	s_cselect_b32 s3, s5, s4
	s_mul_hi_u32 s4, s1, 3
	s_sub_i32 s5, s3, s2
	s_cmp_ge_u32 s3, s2
	s_mul_i32 s4, s4, s2
	s_cselect_b32 s34, s5, s3
	s_sub_i32 s3, 3, s4
	v_mul_hi_u32 v5, v6, v8
	s_sub_i32 s4, s3, s2
	s_cmp_ge_u32 s3, s2
	v_mad_u64_u32 v[80:81], null, s18, 3, v[0:1]
	s_cselect_b32 s3, s4, s3
	v_lshl_add_u32 v92, s18, 1, v0
	s_sub_i32 s4, s3, s2
	s_cmp_ge_u32 s3, s2
	v_lshl_add_u32 v93, s18, 2, v0
	s_cselect_b32 s35, s4, s3
	s_lshr_b32 s1, s1, 30
	v_add_nc_u32_e32 v94, s18, v0
	s_mul_i32 s1, s1, s2
	v_add_nc_u32_e32 v95, v6, v5
	s_sub_i32 s1, 4, s1
	s_mul_i32 s33, s33, s8
	s_sub_i32 s3, s1, s2
	s_cmp_ge_u32 s1, s2
	s_mul_i32 s34, s34, s8
	s_cselect_b32 s1, s3, s1
	s_mul_i32 s35, s35, s8
	s_sub_i32 s3, s1, s2
	s_cmp_ge_u32 s1, s2
	s_cselect_b32 s40, s3, s1
	s_add_u32 s36, s6, 2
	s_addc_u32 s37, s7, 0
	s_lshl_b32 s38, s24, 3
	s_lshl_b32 s20, s20, 9
	;; [unrolled: 1-line block ×3, first 2 shown]
	s_mul_i32 s40, s40, s8
	s_lshl_b32 s41, s24, 1
	s_branch .LBB292_12
.LBB292_9:                              ;   in Loop: Header=BB292_12 Depth=1
	s_or_b32 exec_lo, exec_lo, s44
	v_mov_b32_e32 v76, s31
.LBB292_10:                             ;   in Loop: Header=BB292_12 Depth=1
	s_or_b32 exec_lo, exec_lo, s43
.LBB292_11:                             ;   in Loop: Header=BB292_12 Depth=1
	s_delay_alu instid0(SALU_CYCLE_1) | instskip(NEXT) | instid1(VALU_DEP_1)
	s_or_b32 exec_lo, exec_lo, s42
	v_cmp_le_u32_e32 vcc_lo, s22, v76
	s_or_b32 s23, vcc_lo, s23
	s_delay_alu instid0(SALU_CYCLE_1)
	s_and_not1_b32 exec_lo, exec_lo, s23
	s_cbranch_execz .LBB292_160
.LBB292_12:                             ; =>This Loop Header: Depth=1
                                        ;     Child Loop BB292_17 Depth 2
                                        ;       Child Loop BB292_22 Depth 3
                                        ;     Child Loop BB292_158 Depth 2
	v_mov_b32_e32 v77, v79
	v_mov_b32_e32 v96, v79
	v_mov_b32_e32 v97, v79
	v_mov_b32_e32 v98, v79
	v_mov_b32_e32 v99, v79
	v_mov_b32_e32 v100, v79
	v_mov_b32_e32 v101, v79
	v_mov_b32_e32 v104, v79
	v_mov_b32_e32 v102, v79
	v_mov_b32_e32 v103, v79
	v_mov_b32_e32 v109, v79
	v_mov_b32_e32 v107, v79
	v_mov_b32_e32 v106, v79
	v_mov_b32_e32 v105, v79
	v_mov_b32_e32 v108, v79
	v_mov_b32_e32 v113, v79
	v_mov_b32_e32 v111, v79
	v_mov_b32_e32 v112, v79
	v_mov_b32_e32 v114, v79
	v_mov_b32_e32 v110, v79
	s_and_not1_b32 vcc_lo, exec_lo, s25
	s_mov_b32 s3, 0
	s_cbranch_vccnz .LBB292_29
; %bb.13:                               ;   in Loop: Header=BB292_12 Depth=1
	v_dual_mov_b32 v111, 0 :: v_dual_add_nc_u32 v6, 2, v76
	v_add_nc_u32_e32 v5, 1, v76
	v_add_nc_u32_e32 v7, 3, v76
	s_waitcnt lgkmcnt(3)
	v_min_u32_e32 v8, s28, v76
	v_min_u32_e32 v6, s28, v6
	s_waitcnt lgkmcnt(0)
	v_dual_mov_b32 v10, v79 :: v_dual_mov_b32 v113, 0
	v_cmp_gt_u32_e64 s1, s19, v76
	v_mul_lo_u32 v78, v8, s17
	v_mov_b32_e32 v8, v79
	v_min_u32_e32 v9, s28, v7
	v_mul_lo_u32 v7, v6, s17
	v_mov_b32_e32 v6, v79
	v_min_u32_e32 v5, s28, v5
	v_dual_mov_b32 v110, 0 :: v_dual_mov_b32 v105, 0
	v_mul_lo_u32 v9, v9, s17
	v_lshlrev_b64 v[81:82], 1, v[78:79]
	s_delay_alu instid0(VALU_DEP_4)
	v_mul_lo_u32 v5, v5, s17
	v_lshlrev_b64 v[85:86], 1, v[7:8]
	v_dual_mov_b32 v114, 0 :: v_dual_mov_b32 v107, 0
	v_dual_mov_b32 v112, 0 :: v_dual_mov_b32 v109, 0
	v_lshlrev_b64 v[87:88], 1, v[9:10]
	v_dual_mov_b32 v108, 0 :: v_dual_mov_b32 v103, 0
	v_lshlrev_b64 v[83:84], 1, v[5:6]
	v_dual_mov_b32 v106, 0 :: v_dual_mov_b32 v101, 0
	v_dual_mov_b32 v102, 0 :: v_dual_mov_b32 v99, 0
	;; [unrolled: 1-line block ×4, first 2 shown]
	v_mov_b32_e32 v98, 0
	v_mov_b32_e32 v96, 0
	s_mov_b32 s4, 0
	s_branch .LBB292_17
.LBB292_14:                             ;   in Loop: Header=BB292_17 Depth=2
	s_or_b32 exec_lo, exec_lo, s42
.LBB292_15:                             ;   in Loop: Header=BB292_17 Depth=2
	s_delay_alu instid0(SALU_CYCLE_1)
	s_or_b32 exec_lo, exec_lo, s5
	s_waitcnt vmcnt(7)
	v_and_b32_e32 v121, 0xffff0000, v67
	s_waitcnt lgkmcnt(4)
	v_and_b32_e32 v124, 0xffff0000, v72
	s_waitcnt vmcnt(6)
	v_and_b32_e32 v128, 0xffff0000, v63
	v_and_b32_e32 v125, 0xffff0000, v62
	v_lshlrev_b32_e32 v62, 16, v62
	v_and_b32_e32 v120, 0xffff0000, v71
	v_and_b32_e32 v119, 0xffff0000, v66
	s_waitcnt vmcnt(5)
	v_and_b32_e32 v131, 0xffff0000, v58
	v_and_b32_e32 v126, 0xffff0000, v68
	;; [unrolled: 1-line block ×3, first 2 shown]
	v_lshlrev_b32_e32 v65, 16, v65
	v_and_b32_e32 v117, 0xffff0000, v70
	v_and_b32_e32 v115, 0xffff0000, v69
	v_dual_mul_f32 v129, v124, v126 :: v_dual_lshlrev_b32 v130, 16, v57
	v_lshlrev_b32_e32 v63, 16, v63
	s_delay_alu instid0(VALU_DEP_4) | instskip(NEXT) | instid1(VALU_DEP_4)
	v_dual_mul_f32 v122, v117, v119 :: v_dual_lshlrev_b32 v69, 16, v69
	v_mul_f32_e32 v118, v115, v116
	v_lshlrev_b32_e32 v72, 16, v72
	s_delay_alu instid0(VALU_DEP_2) | instskip(SKIP_3) | instid1(VALU_DEP_4)
	v_fmac_f32_e32 v118, v69, v65
	v_dual_mul_f32 v127, v117, v125 :: v_dual_lshlrev_b32 v70, 16, v70
	v_dual_mul_f32 v133, v117, v131 :: v_dual_lshlrev_b32 v68, 16, v68
	v_lshlrev_b32_e32 v66, 16, v66
	v_add_f32_e32 v110, v110, v118
	s_delay_alu instid0(VALU_DEP_4) | instskip(NEXT) | instid1(VALU_DEP_3)
	v_fmac_f32_e32 v127, v70, v62
	v_dual_fmac_f32 v129, v72, v68 :: v_dual_fmac_f32 v122, v70, v66
	v_dual_mul_f32 v118, v120, v121 :: v_dual_lshlrev_b32 v71, 16, v71
	s_delay_alu instid0(VALU_DEP_2) | instskip(NEXT) | instid1(VALU_DEP_1)
	v_dual_add_f32 v110, v110, v122 :: v_dual_and_b32 v123, 0xffff0000, v61
	v_dual_mul_f32 v122, v115, v123 :: v_dual_lshlrev_b32 v61, 16, v61
	s_delay_alu instid0(VALU_DEP_1) | instskip(NEXT) | instid1(VALU_DEP_1)
	v_dual_fmac_f32 v122, v69, v61 :: v_dual_lshlrev_b32 v67, 16, v67
	v_fmac_f32_e32 v118, v71, v67
	s_delay_alu instid0(VALU_DEP_2) | instskip(SKIP_1) | instid1(VALU_DEP_3)
	v_add_f32_e32 v114, v114, v122
	v_mul_f32_e32 v122, v120, v128
	v_add_f32_e32 v110, v110, v118
	v_and_b32_e32 v118, 0xffff0000, v57
	s_delay_alu instid0(VALU_DEP_4) | instskip(NEXT) | instid1(VALU_DEP_4)
	v_add_f32_e32 v114, v114, v127
	v_dual_fmac_f32 v122, v71, v63 :: v_dual_and_b32 v127, 0xffff0000, v64
	s_delay_alu instid0(VALU_DEP_3) | instskip(NEXT) | instid1(VALU_DEP_2)
	v_mul_f32_e32 v57, v115, v118
	v_add_f32_e32 v114, v114, v122
	v_lshlrev_b32_e32 v122, 16, v58
	s_delay_alu instid0(VALU_DEP_3) | instskip(NEXT) | instid1(VALU_DEP_2)
	v_dual_fmac_f32 v57, v69, v130 :: v_dual_add_f32 v58, v110, v129
	v_dual_mul_f32 v132, v124, v127 :: v_dual_fmac_f32 v133, v70, v122
	s_delay_alu instid0(VALU_DEP_2) | instskip(SKIP_1) | instid1(VALU_DEP_2)
	v_add_f32_e32 v110, v112, v57
	v_and_b32_e32 v112, 0xffff0000, v59
	v_dual_add_f32 v110, v110, v133 :: v_dual_lshlrev_b32 v59, 16, v59
	s_waitcnt vmcnt(4)
	v_lshlrev_b32_e32 v133, 16, v49
	v_lshlrev_b32_e32 v64, 16, v64
	v_mul_f32_e32 v129, v120, v112
	s_delay_alu instid0(VALU_DEP_1) | instskip(NEXT) | instid1(VALU_DEP_1)
	v_dual_fmac_f32 v132, v72, v64 :: v_dual_fmac_f32 v129, v71, v59
	v_dual_add_f32 v57, v114, v132 :: v_dual_and_b32 v114, 0xffff0000, v49
	s_delay_alu instid0(VALU_DEP_1) | instskip(NEXT) | instid1(VALU_DEP_1)
	v_dual_mul_f32 v49, v115, v114 :: v_dual_and_b32 v132, 0xffff0000, v60
	v_dual_mul_f32 v134, v124, v132 :: v_dual_and_b32 v115, 0xffff0000, v50
	s_delay_alu instid0(VALU_DEP_2) | instskip(NEXT) | instid1(VALU_DEP_2)
	v_fmac_f32_e32 v49, v69, v133
	v_dual_mul_f32 v50, v117, v115 :: v_dual_lshlrev_b32 v69, 16, v50
	v_and_b32_e32 v117, 0xffff0000, v51
	s_delay_alu instid0(VALU_DEP_3)
	v_add_f32_e32 v49, v111, v49
	s_waitcnt lgkmcnt(3)
	v_and_b32_e32 v111, 0xffff0000, v53
	v_lshlrev_b32_e32 v53, 16, v53
	v_fmac_f32_e32 v50, v70, v69
	v_lshlrev_b32_e32 v70, 16, v51
	s_delay_alu instid0(VALU_DEP_2) | instskip(SKIP_1) | instid1(VALU_DEP_2)
	v_dual_mul_f32 v120, v120, v117 :: v_dual_add_f32 v49, v49, v50
	v_mul_f32_e32 v50, v111, v116
	v_fmac_f32_e32 v120, v71, v70
	v_and_b32_e32 v71, 0xffff0000, v54
	v_lshlrev_b32_e32 v60, 16, v60
	v_dual_add_f32 v110, v110, v129 :: v_dual_lshlrev_b32 v129, 16, v52
	v_fmac_f32_e32 v50, v53, v65
	v_add_f32_e32 v49, v49, v120
	s_delay_alu instid0(VALU_DEP_4) | instskip(NEXT) | instid1(VALU_DEP_3)
	v_fmac_f32_e32 v134, v72, v60
	v_dual_add_f32 v50, v113, v50 :: v_dual_and_b32 v113, 0xffff0000, v55
	s_delay_alu instid0(VALU_DEP_2) | instskip(SKIP_2) | instid1(VALU_DEP_4)
	v_dual_add_f32 v51, v110, v134 :: v_dual_and_b32 v110, 0xffff0000, v52
	v_lshlrev_b32_e32 v52, 16, v54
	v_mul_f32_e32 v54, v71, v119
	v_dual_mul_f32 v120, v113, v121 :: v_dual_lshlrev_b32 v55, 16, v55
	v_mul_f32_e32 v134, v71, v125
	s_delay_alu instid0(VALU_DEP_3) | instskip(NEXT) | instid1(VALU_DEP_3)
	v_fmac_f32_e32 v54, v52, v66
	v_fmac_f32_e32 v120, v55, v67
	s_delay_alu instid0(VALU_DEP_2) | instskip(SKIP_2) | instid1(VALU_DEP_3)
	v_add_f32_e32 v50, v50, v54
	v_and_b32_e32 v54, 0xffff0000, v56
	v_lshlrev_b32_e32 v56, 16, v56
	v_add_f32_e32 v50, v50, v120
	v_mul_f32_e32 v120, v111, v118
	s_delay_alu instid0(VALU_DEP_4) | instskip(NEXT) | instid1(VALU_DEP_1)
	v_mul_f32_e32 v135, v54, v126
	v_dual_fmac_f32 v120, v53, v130 :: v_dual_fmac_f32 v135, v56, v68
	s_delay_alu instid0(VALU_DEP_1) | instskip(SKIP_2) | instid1(VALU_DEP_2)
	v_add_f32_e32 v105, v105, v120
	v_mul_f32_e32 v120, v113, v112
	v_fmac_f32_e32 v134, v52, v62
	v_fmac_f32_e32 v120, v55, v59
	v_mul_f32_e32 v124, v124, v110
	s_delay_alu instid0(VALU_DEP_1) | instskip(SKIP_1) | instid1(VALU_DEP_2)
	v_fmac_f32_e32 v124, v72, v129
	v_mul_f32_e32 v72, v111, v123
	v_dual_mul_f32 v111, v111, v114 :: v_dual_add_f32 v124, v49, v124
	s_delay_alu instid0(VALU_DEP_2) | instskip(NEXT) | instid1(VALU_DEP_2)
	v_dual_mul_f32 v49, v71, v131 :: v_dual_fmac_f32 v72, v53, v61
	v_fmac_f32_e32 v111, v53, v133
	v_mul_f32_e32 v53, v71, v115
	s_delay_alu instid0(VALU_DEP_3) | instskip(NEXT) | instid1(VALU_DEP_2)
	v_fmac_f32_e32 v49, v52, v122
	v_fmac_f32_e32 v53, v52, v69
	v_mul_f32_e32 v52, v113, v117
	s_delay_alu instid0(VALU_DEP_3) | instskip(SKIP_4) | instid1(VALU_DEP_3)
	v_add_f32_e32 v71, v105, v49
	s_waitcnt lgkmcnt(2)
	v_dual_add_f32 v72, v108, v72 :: v_dual_and_b32 v105, 0xffff0000, v45
	v_mul_f32_e32 v108, v113, v128
	v_fmac_f32_e32 v52, v55, v70
	v_dual_add_f32 v71, v71, v120 :: v_dual_add_f32 v72, v72, v134
	s_delay_alu instid0(VALU_DEP_3) | instskip(SKIP_1) | instid1(VALU_DEP_1)
	v_dual_fmac_f32 v108, v55, v63 :: v_dual_lshlrev_b32 v55, 16, v45
	v_mul_f32_e32 v45, v105, v116
	v_fmac_f32_e32 v45, v55, v65
	s_delay_alu instid0(VALU_DEP_1) | instskip(SKIP_3) | instid1(VALU_DEP_1)
	v_add_f32_e32 v45, v107, v45
	v_lshlrev_b32_e32 v107, 16, v48
	v_add_f32_e32 v72, v72, v108
	v_mul_f32_e32 v108, v54, v127
	v_fmac_f32_e32 v108, v56, v64
	s_delay_alu instid0(VALU_DEP_1) | instskip(SKIP_2) | instid1(VALU_DEP_3)
	v_dual_add_f32 v49, v72, v108 :: v_dual_add_f32 v72, v106, v111
	v_mul_f32_e32 v106, v54, v132
	v_lshlrev_b32_e32 v108, 16, v46
	v_dual_mul_f32 v54, v54, v110 :: v_dual_add_f32 v53, v72, v53
	s_delay_alu instid0(VALU_DEP_3) | instskip(SKIP_1) | instid1(VALU_DEP_3)
	v_fmac_f32_e32 v106, v56, v60
	v_and_b32_e32 v72, 0xffff0000, v46
	v_dual_fmac_f32 v54, v56, v129 :: v_dual_add_f32 v53, v53, v52
	s_delay_alu instid0(VALU_DEP_2) | instskip(SKIP_2) | instid1(VALU_DEP_4)
	v_dual_add_f32 v52, v71, v106 :: v_dual_mul_f32 v111, v72, v119
	v_and_b32_e32 v71, 0xffff0000, v48
	v_and_b32_e32 v56, 0xffff0000, v47
	v_add_f32_e32 v46, v53, v54
	v_mul_f32_e32 v53, v105, v123
	v_dual_fmac_f32 v111, v108, v66 :: v_dual_lshlrev_b32 v54, 16, v47
	s_delay_alu instid0(VALU_DEP_4) | instskip(SKIP_1) | instid1(VALU_DEP_4)
	v_mul_f32_e32 v47, v56, v121
	v_mul_f32_e32 v106, v72, v125
	v_fmac_f32_e32 v53, v55, v61
	s_delay_alu instid0(VALU_DEP_4) | instskip(NEXT) | instid1(VALU_DEP_3)
	v_dual_add_f32 v45, v45, v111 :: v_dual_mul_f32 v48, v71, v126
	v_dual_fmac_f32 v47, v54, v67 :: v_dual_fmac_f32 v106, v108, v62
	s_delay_alu instid0(VALU_DEP_3) | instskip(SKIP_1) | instid1(VALU_DEP_3)
	v_dual_add_f32 v53, v109, v53 :: v_dual_add_f32 v50, v50, v135
	v_mul_f32_e32 v109, v56, v128
	v_dual_add_f32 v45, v45, v47 :: v_dual_fmac_f32 v48, v107, v68
	s_delay_alu instid0(VALU_DEP_3) | instskip(SKIP_1) | instid1(VALU_DEP_4)
	v_add_f32_e32 v53, v53, v106
	v_mul_f32_e32 v111, v105, v118
	v_fmac_f32_e32 v109, v54, v63
	s_delay_alu instid0(VALU_DEP_4) | instskip(NEXT) | instid1(VALU_DEP_3)
	v_dual_mul_f32 v106, v71, v127 :: v_dual_add_f32 v47, v45, v48
	v_fmac_f32_e32 v111, v55, v130
	s_delay_alu instid0(VALU_DEP_3) | instskip(SKIP_2) | instid1(VALU_DEP_4)
	v_add_f32_e32 v45, v53, v109
	v_mul_f32_e32 v53, v105, v114
	v_mul_f32_e32 v105, v56, v112
	v_add_f32_e32 v103, v103, v111
	s_delay_alu instid0(VALU_DEP_3) | instskip(NEXT) | instid1(VALU_DEP_3)
	v_fmac_f32_e32 v53, v55, v133
	v_fmac_f32_e32 v105, v54, v59
	v_mul_f32_e32 v55, v72, v115
	v_mul_f32_e32 v48, v72, v131
	s_delay_alu instid0(VALU_DEP_4) | instskip(SKIP_1) | instid1(VALU_DEP_4)
	v_dual_mul_f32 v72, v71, v132 :: v_dual_add_f32 v53, v102, v53
	v_mul_f32_e32 v71, v71, v110
	v_fmac_f32_e32 v55, v108, v69
	v_mul_f32_e32 v56, v56, v117
	s_delay_alu instid0(VALU_DEP_4) | instskip(NEXT) | instid1(VALU_DEP_4)
	v_fmac_f32_e32 v72, v107, v60
	v_fmac_f32_e32 v71, v107, v129
	s_delay_alu instid0(VALU_DEP_3) | instskip(SKIP_2) | instid1(VALU_DEP_2)
	v_dual_add_f32 v53, v53, v55 :: v_dual_fmac_f32 v56, v54, v70
	s_waitcnt lgkmcnt(1)
	v_and_b32_e32 v55, 0xffff0000, v42
	v_dual_fmac_f32 v48, v108, v122 :: v_dual_add_f32 v53, v53, v56
	v_lshlrev_b32_e32 v56, 16, v42
	s_delay_alu instid0(VALU_DEP_2) | instskip(SKIP_1) | instid1(VALU_DEP_2)
	v_dual_add_f32 v42, v53, v71 :: v_dual_mul_f32 v53, v55, v125
	v_and_b32_e32 v71, 0xffff0000, v44
	v_dual_fmac_f32 v106, v107, v64 :: v_dual_fmac_f32 v53, v56, v62
	v_dual_add_f32 v48, v103, v48 :: v_dual_and_b32 v103, 0xffff0000, v43
	v_lshlrev_b32_e32 v43, 16, v43
	v_and_b32_e32 v102, 0xffff0000, v41
	v_lshlrev_b32_e32 v41, 16, v41
	s_delay_alu instid0(VALU_DEP_4) | instskip(SKIP_1) | instid1(VALU_DEP_4)
	v_add_f32_e32 v48, v48, v105
	v_mul_f32_e32 v105, v103, v121
	v_dual_add_f32 v45, v45, v106 :: v_dual_mul_f32 v54, v102, v116
	v_mul_f32_e32 v106, v71, v126
	s_delay_alu instid0(VALU_DEP_4) | instskip(SKIP_1) | instid1(VALU_DEP_4)
	v_add_f32_e32 v48, v48, v72
	v_mul_f32_e32 v72, v55, v119
	v_dual_fmac_f32 v105, v43, v67 :: v_dual_fmac_f32 v54, v41, v65
	s_delay_alu instid0(VALU_DEP_2) | instskip(NEXT) | instid1(VALU_DEP_2)
	v_fmac_f32_e32 v72, v56, v66
	v_add_f32_e32 v54, v104, v54
	v_mul_f32_e32 v104, v102, v123
	s_delay_alu instid0(VALU_DEP_2) | instskip(NEXT) | instid1(VALU_DEP_2)
	v_add_f32_e32 v54, v54, v72
	v_fmac_f32_e32 v104, v41, v61
	s_delay_alu instid0(VALU_DEP_2) | instskip(NEXT) | instid1(VALU_DEP_2)
	v_add_f32_e32 v54, v54, v105
	v_add_f32_e32 v72, v101, v104
	v_mul_f32_e32 v101, v103, v128
	v_lshlrev_b32_e32 v104, 16, v44
	v_mul_f32_e32 v105, v103, v112
	s_delay_alu instid0(VALU_DEP_4) | instskip(NEXT) | instid1(VALU_DEP_4)
	v_add_f32_e32 v53, v72, v53
	v_dual_fmac_f32 v101, v43, v63 :: v_dual_mul_f32 v44, v102, v118
	v_mul_f32_e32 v72, v55, v131
	s_delay_alu instid0(VALU_DEP_4) | instskip(NEXT) | instid1(VALU_DEP_3)
	v_dual_fmac_f32 v106, v104, v68 :: v_dual_fmac_f32 v105, v43, v59
	v_add_f32_e32 v53, v53, v101
	s_delay_alu instid0(VALU_DEP_4) | instskip(NEXT) | instid1(VALU_DEP_1)
	v_dual_fmac_f32 v44, v41, v130 :: v_dual_mul_f32 v101, v71, v127
	v_add_f32_e32 v100, v100, v44
	s_delay_alu instid0(VALU_DEP_2) | instskip(SKIP_2) | instid1(VALU_DEP_2)
	v_fmac_f32_e32 v101, v104, v64
	v_fmac_f32_e32 v72, v56, v122
	v_add_f32_e32 v44, v54, v106
	v_add_f32_e32 v54, v100, v72
	s_waitcnt lgkmcnt(0)
	v_lshlrev_b32_e32 v100, 16, v37
	v_mul_f32_e32 v102, v102, v114
	s_delay_alu instid0(VALU_DEP_3) | instskip(NEXT) | instid1(VALU_DEP_2)
	v_add_f32_e32 v54, v54, v105
	v_fmac_f32_e32 v102, v41, v133
	v_add_f32_e32 v41, v53, v101
	v_mul_f32_e32 v53, v55, v115
	v_mul_f32_e32 v55, v71, v132
	s_delay_alu instid0(VALU_DEP_4) | instskip(NEXT) | instid1(VALU_DEP_3)
	v_dual_add_f32 v72, v99, v102 :: v_dual_and_b32 v99, 0xffff0000, v37
	v_fmac_f32_e32 v53, v56, v69
	v_mul_f32_e32 v56, v103, v117
	s_delay_alu instid0(VALU_DEP_3) | instskip(NEXT) | instid1(VALU_DEP_2)
	v_mul_f32_e32 v37, v99, v116
	v_dual_add_f32 v53, v72, v53 :: v_dual_fmac_f32 v56, v43, v70
	s_delay_alu instid0(VALU_DEP_2) | instskip(SKIP_1) | instid1(VALU_DEP_3)
	v_dual_fmac_f32 v37, v100, v65 :: v_dual_and_b32 v72, 0xffff0000, v38
	v_lshlrev_b32_e32 v65, 16, v39
	v_dual_add_f32 v53, v53, v56 :: v_dual_mul_f32 v56, v71, v110
	v_mul_f32_e32 v71, v99, v123
	s_delay_alu instid0(VALU_DEP_4) | instskip(SKIP_1) | instid1(VALU_DEP_3)
	v_add_f32_e32 v37, v98, v37
	v_fmac_f32_e32 v55, v104, v60
	v_fmac_f32_e32 v71, v100, v61
	s_delay_alu instid0(VALU_DEP_2) | instskip(SKIP_2) | instid1(VALU_DEP_2)
	v_add_f32_e32 v43, v54, v55
	v_and_b32_e32 v55, 0xffff0000, v39
	v_lshlrev_b32_e32 v54, 16, v38
	v_dual_mul_f32 v38, v72, v119 :: v_dual_mul_f32 v61, v55, v128
	v_mul_f32_e32 v39, v55, v121
	s_delay_alu instid0(VALU_DEP_2) | instskip(NEXT) | instid1(VALU_DEP_3)
	v_fmac_f32_e32 v61, v65, v63
	v_dual_mul_f32 v63, v55, v112 :: v_dual_fmac_f32 v38, v54, v66
	s_delay_alu instid0(VALU_DEP_3) | instskip(NEXT) | instid1(VALU_DEP_2)
	v_fmac_f32_e32 v39, v65, v67
	v_fmac_f32_e32 v63, v65, v59
	s_delay_alu instid0(VALU_DEP_3) | instskip(NEXT) | instid1(VALU_DEP_1)
	v_add_f32_e32 v38, v37, v38
	v_dual_add_f32 v38, v38, v39 :: v_dual_mul_f32 v39, v99, v118
	v_and_b32_e32 v66, 0xffff0000, v40
	s_delay_alu instid0(VALU_DEP_2) | instskip(NEXT) | instid1(VALU_DEP_2)
	v_dual_fmac_f32 v39, v100, v130 :: v_dual_lshlrev_b32 v40, 16, v40
	v_mul_f32_e32 v67, v66, v126
	s_delay_alu instid0(VALU_DEP_2) | instskip(SKIP_4) | instid1(VALU_DEP_3)
	v_add_f32_e32 v39, v96, v39
	v_fmac_f32_e32 v56, v104, v129
	v_mul_f32_e32 v59, v72, v115
	s_waitcnt vmcnt(0)
	v_dual_fmac_f32 v67, v40, v68 :: v_dual_and_b32 v96, 0xffff0000, v14
	v_dual_add_f32 v37, v53, v56 :: v_dual_lshlrev_b32 v14, 16, v14
	v_dual_mul_f32 v53, v72, v125 :: v_dual_add_f32 v56, v97, v71
	v_fmac_f32_e32 v59, v54, v69
	s_delay_alu instid0(VALU_DEP_2) | instskip(NEXT) | instid1(VALU_DEP_1)
	v_dual_fmac_f32 v53, v54, v62 :: v_dual_mul_f32 v62, v72, v131
	v_dual_add_f32 v53, v56, v53 :: v_dual_mul_f32 v56, v66, v127
	s_delay_alu instid0(VALU_DEP_2) | instskip(SKIP_2) | instid1(VALU_DEP_4)
	v_fmac_f32_e32 v62, v54, v122
	v_mul_f32_e32 v54, v55, v117
	v_and_b32_e32 v55, 0xffff0000, v33
	v_dual_add_f32 v53, v53, v61 :: v_dual_fmac_f32 v56, v40, v64
	v_lshlrev_b32_e32 v33, 16, v33
	v_add_f32_e32 v61, v39, v62
	s_delay_alu instid0(VALU_DEP_3) | instskip(SKIP_2) | instid1(VALU_DEP_4)
	v_add_f32_e32 v39, v53, v56
	v_mul_f32_e32 v53, v66, v132
	v_dual_add_f32 v38, v38, v67 :: v_dual_mul_f32 v67, v99, v114
	v_dual_add_f32 v56, v61, v63 :: v_dual_mul_f32 v63, v66, v110
	s_delay_alu instid0(VALU_DEP_2) | instskip(NEXT) | instid1(VALU_DEP_1)
	v_fmac_f32_e32 v67, v100, v133
	v_add_f32_e32 v61, v77, v67
	v_dual_fmac_f32 v53, v40, v60 :: v_dual_and_b32 v60, 0xffff0000, v29
	s_delay_alu instid0(VALU_DEP_4) | instskip(NEXT) | instid1(VALU_DEP_3)
	v_fmac_f32_e32 v63, v40, v129
	v_add_f32_e32 v59, v61, v59
	v_lshlrev_b32_e32 v61, 16, v29
	s_delay_alu instid0(VALU_DEP_4) | instskip(SKIP_4) | instid1(VALU_DEP_3)
	v_dual_add_f32 v29, v56, v53 :: v_dual_and_b32 v56, 0xffff0000, v30
	v_and_b32_e32 v53, 0xffff0000, v34
	v_dual_fmac_f32 v54, v65, v70 :: v_dual_and_b32 v65, 0xffff0000, v31
	v_lshlrev_b32_e32 v34, 16, v34
	v_lshlrev_b32_e32 v30, 16, v30
	v_dual_add_f32 v54, v59, v54 :: v_dual_lshlrev_b32 v31, 16, v31
	v_mul_f32_e32 v59, v53, v56
	v_mul_f32_e32 v62, v55, v60
	v_and_b32_e32 v66, 0xffff0000, v25
	v_lshlrev_b32_e32 v25, 16, v25
	s_delay_alu instid0(VALU_DEP_4) | instskip(NEXT) | instid1(VALU_DEP_4)
	v_dual_fmac_f32 v59, v34, v30 :: v_dual_and_b32 v70, 0xffff0000, v28
	v_fmac_f32_e32 v62, v33, v61
	s_delay_alu instid0(VALU_DEP_4) | instskip(NEXT) | instid1(VALU_DEP_2)
	v_mul_f32_e32 v68, v55, v66
	v_add_f32_e32 v58, v58, v62
	s_delay_alu instid0(VALU_DEP_2) | instskip(NEXT) | instid1(VALU_DEP_2)
	v_fmac_f32_e32 v68, v33, v25
	v_dual_add_f32 v40, v58, v59 :: v_dual_and_b32 v59, 0xffff0000, v32
	v_and_b32_e32 v58, 0xffff0000, v36
	v_lshlrev_b32_e32 v36, 16, v36
	v_lshlrev_b32_e32 v32, 16, v32
	v_add_f32_e32 v57, v57, v68
	s_delay_alu instid0(VALU_DEP_4) | instskip(SKIP_2) | instid1(VALU_DEP_3)
	v_mul_f32_e32 v67, v58, v59
	v_and_b32_e32 v64, 0xffff0000, v35
	v_lshlrev_b32_e32 v35, 16, v35
	v_dual_add_f32 v54, v54, v63 :: v_dual_fmac_f32 v67, v36, v32
	s_delay_alu instid0(VALU_DEP_3) | instskip(NEXT) | instid1(VALU_DEP_1)
	v_mul_f32_e32 v62, v64, v65
	v_fmac_f32_e32 v62, v35, v31
	s_delay_alu instid0(VALU_DEP_1) | instskip(NEXT) | instid1(VALU_DEP_1)
	v_add_f32_e32 v40, v40, v62
	v_dual_add_f32 v110, v40, v67 :: v_dual_and_b32 v67, 0xffff0000, v21
	v_lshlrev_b32_e32 v21, 16, v21
	s_delay_alu instid0(VALU_DEP_2) | instskip(NEXT) | instid1(VALU_DEP_1)
	v_dual_mul_f32 v69, v55, v67 :: v_dual_and_b32 v62, 0xffff0000, v26
	v_dual_fmac_f32 v69, v33, v21 :: v_dual_lshlrev_b32 v26, 16, v26
	s_delay_alu instid0(VALU_DEP_2) | instskip(SKIP_1) | instid1(VALU_DEP_3)
	v_dual_mul_f32 v63, v53, v62 :: v_dual_and_b32 v40, 0xffff0000, v27
	v_lshlrev_b32_e32 v27, 16, v27
	v_add_f32_e32 v51, v51, v69
	s_delay_alu instid0(VALU_DEP_3) | instskip(NEXT) | instid1(VALU_DEP_1)
	v_fmac_f32_e32 v63, v34, v26
	v_add_f32_e32 v57, v57, v63
	v_and_b32_e32 v63, 0xffff0000, v22
	s_delay_alu instid0(VALU_DEP_1) | instskip(NEXT) | instid1(VALU_DEP_1)
	v_dual_mul_f32 v71, v53, v63 :: v_dual_lshlrev_b32 v22, 16, v22
	v_dual_mul_f32 v68, v64, v40 :: v_dual_fmac_f32 v71, v34, v22
	s_delay_alu instid0(VALU_DEP_1) | instskip(SKIP_1) | instid1(VALU_DEP_1)
	v_add_f32_e32 v51, v51, v71
	v_dual_mul_f32 v77, v58, v70 :: v_dual_and_b32 v72, 0xffff0000, v23
	v_dual_fmac_f32 v68, v35, v27 :: v_dual_mul_f32 v69, v64, v72
	s_delay_alu instid0(VALU_DEP_1) | instskip(SKIP_1) | instid1(VALU_DEP_1)
	v_add_f32_e32 v57, v57, v68
	v_lshlrev_b32_e32 v23, 16, v23
	v_dual_fmac_f32 v69, v35, v23 :: v_dual_lshlrev_b32 v28, 16, v28
	s_delay_alu instid0(VALU_DEP_1) | instskip(NEXT) | instid1(VALU_DEP_2)
	v_fmac_f32_e32 v77, v36, v28
	v_add_f32_e32 v51, v51, v69
	v_and_b32_e32 v71, 0xffff0000, v24
	v_and_b32_e32 v68, 0xffff0000, v13
	v_lshlrev_b32_e32 v13, 16, v13
	s_delay_alu instid0(VALU_DEP_3) | instskip(NEXT) | instid1(VALU_DEP_3)
	v_dual_add_f32 v114, v57, v77 :: v_dual_mul_f32 v97, v58, v71
	v_mul_f32_e32 v55, v55, v68
	s_delay_alu instid0(VALU_DEP_1) | instskip(SKIP_1) | instid1(VALU_DEP_2)
	v_dual_fmac_f32 v55, v33, v13 :: v_dual_lshlrev_b32 v24, 16, v24
	v_mul_f32_e32 v33, v53, v96
	v_add_f32_e32 v53, v124, v55
	s_delay_alu instid0(VALU_DEP_2) | instskip(SKIP_1) | instid1(VALU_DEP_2)
	v_dual_fmac_f32 v33, v34, v14 :: v_dual_and_b32 v34, 0xffff0000, v17
	v_lshlrev_b32_e32 v17, 16, v17
	v_add_f32_e32 v33, v53, v33
	v_and_b32_e32 v53, 0xffff0000, v16
	v_fmac_f32_e32 v97, v36, v24
	v_mul_f32_e32 v57, v34, v60
	v_lshlrev_b32_e32 v16, 16, v16
	s_delay_alu instid0(VALU_DEP_4) | instskip(NEXT) | instid1(VALU_DEP_4)
	v_dual_mul_f32 v58, v58, v53 :: v_dual_and_b32 v55, 0xffff0000, v15
	v_add_f32_e32 v112, v51, v97
	s_delay_alu instid0(VALU_DEP_4) | instskip(NEXT) | instid1(VALU_DEP_3)
	v_fmac_f32_e32 v57, v17, v61
	v_dual_fmac_f32 v58, v36, v16 :: v_dual_lshlrev_b32 v15, 16, v15
	s_delay_alu instid0(VALU_DEP_2) | instskip(NEXT) | instid1(VALU_DEP_1)
	v_dual_mul_f32 v51, v64, v55 :: v_dual_add_f32 v36, v50, v57
	v_fmac_f32_e32 v51, v35, v15
	v_and_b32_e32 v35, 0xffff0000, v18
	v_lshlrev_b32_e32 v18, 16, v18
	s_delay_alu instid0(VALU_DEP_2) | instskip(NEXT) | instid1(VALU_DEP_1)
	v_mul_f32_e32 v64, v35, v56
	v_fmac_f32_e32 v64, v18, v30
	s_delay_alu instid0(VALU_DEP_1) | instskip(SKIP_3) | instid1(VALU_DEP_3)
	v_add_f32_e32 v36, v36, v64
	v_mul_f32_e32 v64, v34, v67
	v_add_f32_e32 v33, v33, v51
	v_and_b32_e32 v51, 0xffff0000, v19
	v_dual_fmac_f32 v64, v17, v21 :: v_dual_lshlrev_b32 v19, 16, v19
	s_delay_alu instid0(VALU_DEP_2) | instskip(SKIP_1) | instid1(VALU_DEP_3)
	v_dual_mul_f32 v57, v34, v66 :: v_dual_mul_f32 v50, v51, v65
	v_mul_f32_e32 v34, v34, v68
	v_add_f32_e32 v52, v52, v64
	s_delay_alu instid0(VALU_DEP_3) | instskip(NEXT) | instid1(VALU_DEP_3)
	v_fmac_f32_e32 v50, v19, v31
	v_fmac_f32_e32 v34, v17, v13
	s_delay_alu instid0(VALU_DEP_2) | instskip(SKIP_4) | instid1(VALU_DEP_4)
	v_add_f32_e32 v36, v36, v50
	v_mul_f32_e32 v50, v35, v62
	v_add_f32_e32 v111, v33, v58
	v_and_b32_e32 v33, 0xffff0000, v20
	v_lshlrev_b32_e32 v20, 16, v20
	v_fmac_f32_e32 v50, v18, v26
	s_delay_alu instid0(VALU_DEP_3) | instskip(NEXT) | instid1(VALU_DEP_1)
	v_mul_f32_e32 v58, v33, v59
	v_dual_fmac_f32 v58, v20, v32 :: v_dual_fmac_f32 v57, v17, v25
	s_delay_alu instid0(VALU_DEP_1) | instskip(NEXT) | instid1(VALU_DEP_2)
	v_dual_add_f32 v113, v36, v58 :: v_dual_mul_f32 v36, v51, v40
	v_add_f32_e32 v49, v49, v57
	v_dual_mul_f32 v57, v35, v63 :: v_dual_mul_f32 v58, v33, v70
	v_mul_f32_e32 v35, v35, v96
	s_delay_alu instid0(VALU_DEP_3) | instskip(NEXT) | instid1(VALU_DEP_3)
	v_dual_fmac_f32 v36, v19, v27 :: v_dual_add_f32 v49, v49, v50
	v_dual_mul_f32 v50, v51, v72 :: v_dual_fmac_f32 v57, v18, v22
	s_delay_alu instid0(VALU_DEP_4) | instskip(SKIP_1) | instid1(VALU_DEP_3)
	v_fmac_f32_e32 v58, v20, v28
	v_add_f32_e32 v34, v46, v34
	v_dual_fmac_f32 v35, v18, v14 :: v_dual_fmac_f32 v50, v19, v23
	s_delay_alu instid0(VALU_DEP_4) | instskip(SKIP_2) | instid1(VALU_DEP_3)
	v_add_f32_e32 v52, v52, v57
	v_add_f32_e32 v36, v49, v36
	v_mul_f32_e32 v49, v33, v71
	v_dual_add_f32 v34, v34, v35 :: v_dual_add_f32 v17, v52, v50
	s_delay_alu instid0(VALU_DEP_2) | instskip(NEXT) | instid1(VALU_DEP_4)
	v_fmac_f32_e32 v49, v20, v24
	v_add_f32_e32 v108, v36, v58
	v_and_b32_e32 v36, 0xffff0000, v9
	v_lshlrev_b32_e32 v9, 16, v9
	s_delay_alu instid0(VALU_DEP_4) | instskip(NEXT) | instid1(VALU_DEP_3)
	v_add_f32_e32 v105, v17, v49
	v_dual_mul_f32 v17, v51, v55 :: v_dual_mul_f32 v18, v36, v60
	v_and_b32_e32 v35, 0xffff0000, v10
	s_delay_alu instid0(VALU_DEP_2) | instskip(SKIP_1) | instid1(VALU_DEP_4)
	v_dual_fmac_f32 v17, v19, v15 :: v_dual_lshlrev_b32 v10, 16, v10
	v_mul_f32_e32 v19, v33, v53
	v_fmac_f32_e32 v18, v9, v61
	s_delay_alu instid0(VALU_DEP_3) | instskip(SKIP_1) | instid1(VALU_DEP_3)
	v_dual_mul_f32 v46, v35, v62 :: v_dual_add_f32 v17, v34, v17
	v_and_b32_e32 v34, 0xffff0000, v11
	v_add_f32_e32 v18, v47, v18
	v_mul_f32_e32 v33, v35, v56
	v_fmac_f32_e32 v19, v20, v16
	s_delay_alu instid0(VALU_DEP_4) | instskip(SKIP_1) | instid1(VALU_DEP_2)
	v_dual_mul_f32 v20, v34, v65 :: v_dual_lshlrev_b32 v11, 16, v11
	v_fmac_f32_e32 v46, v10, v26
	v_dual_fmac_f32 v33, v10, v30 :: v_dual_fmac_f32 v20, v11, v31
	s_delay_alu instid0(VALU_DEP_1) | instskip(SKIP_2) | instid1(VALU_DEP_3)
	v_add_f32_e32 v18, v18, v33
	v_dual_add_f32 v106, v17, v19 :: v_dual_and_b32 v17, 0xffff0000, v12
	v_dual_mul_f32 v19, v36, v66 :: v_dual_lshlrev_b32 v12, 16, v12
	v_add_f32_e32 v18, v18, v20
	v_mul_f32_e32 v20, v36, v67
	s_delay_alu instid0(VALU_DEP_4) | instskip(NEXT) | instid1(VALU_DEP_4)
	v_mul_f32_e32 v33, v17, v59
	v_fmac_f32_e32 v19, v9, v25
	s_delay_alu instid0(VALU_DEP_2) | instskip(NEXT) | instid1(VALU_DEP_2)
	v_dual_fmac_f32 v20, v9, v21 :: v_dual_fmac_f32 v33, v12, v32
	v_add_f32_e32 v19, v45, v19
	v_mul_f32_e32 v45, v34, v40
	s_delay_alu instid0(VALU_DEP_2) | instskip(NEXT) | instid1(VALU_DEP_2)
	v_dual_add_f32 v107, v18, v33 :: v_dual_add_f32 v18, v19, v46
	v_fmac_f32_e32 v45, v11, v27
	v_dual_mul_f32 v33, v36, v68 :: v_dual_mul_f32 v36, v17, v70
	v_mul_f32_e32 v47, v35, v63
	v_add_f32_e32 v19, v48, v20
	v_mul_f32_e32 v20, v34, v72
	v_add_f32_e32 v18, v18, v45
	v_fmac_f32_e32 v33, v9, v13
	v_dual_fmac_f32 v47, v10, v22 :: v_dual_fmac_f32 v36, v12, v28
	v_dual_mul_f32 v9, v35, v96 :: v_dual_mul_f32 v34, v34, v55
	v_dual_fmac_f32 v20, v11, v23 :: v_dual_and_b32 v35, 0xffff0000, v5
	v_lshlrev_b32_e32 v5, 16, v5
	s_delay_alu instid0(VALU_DEP_3) | instskip(NEXT) | instid1(VALU_DEP_3)
	v_dual_fmac_f32 v9, v10, v14 :: v_dual_fmac_f32 v34, v11, v15
	v_mul_f32_e32 v10, v35, v60
	v_add_f32_e32 v19, v19, v47
	s_delay_alu instid0(VALU_DEP_2) | instskip(NEXT) | instid1(VALU_DEP_2)
	v_dual_add_f32 v109, v18, v36 :: v_dual_fmac_f32 v10, v5, v61
	v_dual_add_f32 v19, v19, v20 :: v_dual_add_f32 v20, v42, v33
	v_dual_mul_f32 v33, v17, v71 :: v_dual_and_b32 v42, 0xffff0000, v6
	v_lshlrev_b32_e32 v6, 16, v6
	s_delay_alu instid0(VALU_DEP_4) | instskip(NEXT) | instid1(VALU_DEP_3)
	v_add_f32_e32 v10, v44, v10
	v_dual_add_f32 v9, v20, v9 :: v_dual_mul_f32 v20, v42, v56
	v_mul_f32_e32 v18, v42, v62
	s_delay_alu instid0(VALU_DEP_2) | instskip(NEXT) | instid1(VALU_DEP_2)
	v_dual_fmac_f32 v20, v6, v30 :: v_dual_and_b32 v11, 0xffff0000, v7
	v_fmac_f32_e32 v18, v6, v26
	s_delay_alu instid0(VALU_DEP_2) | instskip(NEXT) | instid1(VALU_DEP_3)
	v_dual_add_f32 v10, v10, v20 :: v_dual_lshlrev_b32 v7, 16, v7
	v_mul_f32_e32 v44, v11, v65
	v_dual_mul_f32 v17, v17, v53 :: v_dual_mul_f32 v20, v42, v63
	s_delay_alu instid0(VALU_DEP_2) | instskip(NEXT) | instid1(VALU_DEP_2)
	v_dual_fmac_f32 v44, v7, v31 :: v_dual_add_f32 v9, v9, v34
	v_fmac_f32_e32 v17, v12, v16
	v_mul_f32_e32 v34, v11, v72
	s_delay_alu instid0(VALU_DEP_4) | instskip(NEXT) | instid1(VALU_DEP_4)
	v_fmac_f32_e32 v20, v6, v22
	v_add_f32_e32 v10, v10, v44
	s_delay_alu instid0(VALU_DEP_4) | instskip(SKIP_1) | instid1(VALU_DEP_2)
	v_dual_fmac_f32 v33, v12, v24 :: v_dual_add_f32 v102, v9, v17
	v_dual_mul_f32 v9, v35, v66 :: v_dual_and_b32 v12, 0xffff0000, v8
	v_dual_add_f32 v103, v19, v33 :: v_dual_lshlrev_b32 v8, 16, v8
	v_mul_f32_e32 v17, v35, v67
	s_delay_alu instid0(VALU_DEP_3) | instskip(NEXT) | instid1(VALU_DEP_4)
	v_fmac_f32_e32 v9, v5, v25
	v_mul_f32_e32 v19, v12, v59
	v_fmac_f32_e32 v34, v7, v23
	v_mul_f32_e32 v33, v11, v40
	v_fmac_f32_e32 v17, v5, v21
	v_add_f32_e32 v9, v41, v9
	v_fmac_f32_e32 v19, v8, v32
	s_delay_alu instid0(VALU_DEP_2) | instskip(NEXT) | instid1(VALU_DEP_4)
	v_add_f32_e32 v9, v9, v18
	v_dual_mul_f32 v18, v12, v70 :: v_dual_add_f32 v17, v43, v17
	s_delay_alu instid0(VALU_DEP_3) | instskip(SKIP_1) | instid1(VALU_DEP_3)
	v_dual_add_f32 v104, v10, v19 :: v_dual_and_b32 v19, 0xffff0000, v73
	v_lshlrev_b32_e32 v10, 16, v78
	v_fmac_f32_e32 v18, v8, v28
	s_delay_alu instid0(VALU_DEP_4) | instskip(NEXT) | instid1(VALU_DEP_1)
	v_dual_add_f32 v17, v17, v20 :: v_dual_mul_f32 v20, v12, v71
	v_dual_add_f32 v17, v17, v34 :: v_dual_fmac_f32 v20, v8, v24
	s_delay_alu instid0(VALU_DEP_1) | instskip(NEXT) | instid1(VALU_DEP_1)
	v_dual_fmac_f32 v33, v7, v27 :: v_dual_add_f32 v100, v17, v20
	v_add_f32_e32 v9, v9, v33
	v_mul_f32_e32 v33, v35, v68
	s_delay_alu instid0(VALU_DEP_1) | instskip(SKIP_1) | instid1(VALU_DEP_1)
	v_dual_mul_f32 v20, v19, v56 :: v_dual_fmac_f32 v33, v5, v13
	v_mul_f32_e32 v5, v42, v96
	v_dual_fmac_f32 v5, v6, v14 :: v_dual_mul_f32 v6, v11, v55
	v_lshlrev_b32_e32 v11, 16, v73
	s_delay_alu instid0(VALU_DEP_2) | instskip(NEXT) | instid1(VALU_DEP_2)
	v_dual_add_f32 v101, v9, v18 :: v_dual_fmac_f32 v6, v7, v15
	v_fmac_f32_e32 v20, v11, v30
	v_dual_add_f32 v18, v37, v33 :: v_dual_and_b32 v9, 0xffff0000, v78
	s_delay_alu instid0(VALU_DEP_1) | instskip(NEXT) | instid1(VALU_DEP_2)
	v_dual_mul_f32 v17, v9, v60 :: v_dual_lshlrev_b32 v30, 16, v75
	v_dual_add_f32 v5, v18, v5 :: v_dual_lshlrev_b32 v18, 16, v74
	v_mul_f32_e32 v7, v12, v53
	s_delay_alu instid0(VALU_DEP_3) | instskip(NEXT) | instid1(VALU_DEP_1)
	v_fmac_f32_e32 v17, v10, v61
	v_dual_fmac_f32 v7, v8, v16 :: v_dual_add_f32 v12, v38, v17
	s_delay_alu instid0(VALU_DEP_1) | instskip(SKIP_1) | instid1(VALU_DEP_1)
	v_add_f32_e32 v8, v12, v20
	v_mul_f32_e32 v12, v19, v62
	v_fmac_f32_e32 v12, v11, v26
	v_add_f32_e32 v5, v5, v6
	v_and_b32_e32 v6, 0xffff0000, v74
	s_delay_alu instid0(VALU_DEP_1) | instskip(SKIP_1) | instid1(VALU_DEP_2)
	v_dual_mul_f32 v17, v9, v66 :: v_dual_mul_f32 v20, v6, v65
	v_mul_f32_e32 v26, v6, v40
	v_fmac_f32_e32 v20, v18, v31
	s_delay_alu instid0(VALU_DEP_3) | instskip(NEXT) | instid1(VALU_DEP_3)
	v_fmac_f32_e32 v17, v10, v25
	v_fmac_f32_e32 v26, v18, v27
	s_delay_alu instid0(VALU_DEP_2) | instskip(SKIP_3) | instid1(VALU_DEP_4)
	v_dual_add_f32 v8, v8, v20 :: v_dual_add_f32 v17, v39, v17
	v_and_b32_e32 v25, 0xffff0000, v75
	v_mul_f32_e32 v20, v19, v63
	v_add_f32_e32 v99, v5, v7
	v_add_f32_e32 v12, v17, v12
	s_delay_alu instid0(VALU_DEP_4) | instskip(NEXT) | instid1(VALU_DEP_4)
	v_mul_f32_e32 v31, v25, v59
	v_dual_mul_f32 v17, v9, v67 :: v_dual_fmac_f32 v20, v11, v22
	s_delay_alu instid0(VALU_DEP_3) | instskip(NEXT) | instid1(VALU_DEP_2)
	v_dual_mul_f32 v9, v9, v68 :: v_dual_add_f32 v12, v12, v26
	v_fmac_f32_e32 v17, v10, v21
	s_delay_alu instid0(VALU_DEP_2) | instskip(NEXT) | instid1(VALU_DEP_1)
	v_dual_fmac_f32 v9, v10, v13 :: v_dual_mul_f32 v10, v19, v96
	v_dual_fmac_f32 v31, v30, v32 :: v_dual_fmac_f32 v10, v11, v14
	s_delay_alu instid0(VALU_DEP_1) | instskip(NEXT) | instid1(VALU_DEP_1)
	v_dual_add_f32 v98, v8, v31 :: v_dual_add_f32 v9, v54, v9
	v_add_f32_e32 v9, v9, v10
	v_mul_f32_e32 v10, v25, v53
	s_delay_alu instid0(VALU_DEP_1) | instskip(NEXT) | instid1(VALU_DEP_1)
	v_dual_add_f32 v13, v29, v17 :: v_dual_fmac_f32 v10, v30, v16
	v_add_f32_e32 v11, v13, v20
	v_mul_f32_e32 v13, v25, v71
	s_delay_alu instid0(VALU_DEP_1) | instskip(SKIP_2) | instid1(VALU_DEP_2)
	v_fmac_f32_e32 v13, v30, v24
	v_mul_f32_e32 v17, v6, v72
	v_dual_mul_f32 v6, v6, v55 :: v_dual_mul_f32 v21, v25, v70
	v_fmac_f32_e32 v17, v18, v23
	s_delay_alu instid0(VALU_DEP_2) | instskip(NEXT) | instid1(VALU_DEP_3)
	v_fmac_f32_e32 v6, v18, v15
	v_fmac_f32_e32 v21, v30, v28
	s_delay_alu instid0(VALU_DEP_2) | instskip(NEXT) | instid1(VALU_DEP_2)
	v_dual_add_f32 v11, v11, v17 :: v_dual_add_f32 v6, v9, v6
	v_add_f32_e32 v97, v12, v21
	s_delay_alu instid0(VALU_DEP_2)
	v_dual_add_f32 v96, v11, v13 :: v_dual_add_f32 v77, v6, v10
.LBB292_16:                             ;   in Loop: Header=BB292_17 Depth=2
	s_or_b32 exec_lo, exec_lo, s2
	s_addk_i32 s4, 0x200
	s_delay_alu instid0(SALU_CYCLE_1)
	s_cmp_ge_u32 s4, s16
	s_cbranch_scc1 .LBB292_29
.LBB292_17:                             ;   Parent Loop BB292_12 Depth=1
                                        ; =>  This Loop Header: Depth=2
                                        ;       Child Loop BB292_22 Depth 3
	s_cmp_eq_u32 s4, 0
	s_cselect_b32 s5, -1, 0
	s_add_i32 s2, s3, s24
	s_delay_alu instid0(SALU_CYCLE_1) | instskip(SKIP_1) | instid1(SALU_CYCLE_1)
	s_cmp_eq_u32 s4, s2
	s_cselect_b32 s42, -1, 0
	s_or_b32 s42, s5, s42
	s_delay_alu instid0(SALU_CYCLE_1)
	s_and_not1_b32 vcc_lo, exec_lo, s42
	s_cbranch_vccz .LBB292_19
; %bb.18:                               ;   in Loop: Header=BB292_17 Depth=2
	s_and_saveexec_b32 s2, s1
	s_cbranch_execz .LBB292_16
	s_branch .LBB292_26
.LBB292_19:                             ;   in Loop: Header=BB292_17 Depth=2
	s_and_b32 s5, s5, exec_lo
	s_cselect_b32 s3, s3, s2
	s_and_not1_b32 vcc_lo, exec_lo, s21
	s_waitcnt vmcnt(0)
	s_waitcnt_vscnt null, 0x0
	s_barrier
	buffer_gl0_inv
	s_cbranch_vccnz .LBB292_25
; %bb.20:                               ;   in Loop: Header=BB292_17 Depth=2
	v_dual_mov_b32 v10, v91 :: v_dual_add_nc_u32 v5, s3, v92
	v_add_nc_u32_e32 v6, s3, v80
	v_add_nc_u32_e32 v7, s3, v93
	v_add_nc_u32_e32 v8, s3, v94
	v_add_nc_u32_e32 v9, s3, v0
	s_mov_b32 s5, 0
	s_mov_b32 s42, 0
                                        ; implicit-def: $sgpr43
	s_branch .LBB292_22
.LBB292_21:                             ;   in Loop: Header=BB292_22 Depth=3
	s_or_b32 exec_lo, exec_lo, s2
	s_delay_alu instid0(SALU_CYCLE_1) | instskip(NEXT) | instid1(SALU_CYCLE_1)
	s_and_b32 s2, exec_lo, s43
	s_or_b32 s5, s2, s5
	s_delay_alu instid0(SALU_CYCLE_1)
	s_and_not1_b32 exec_lo, exec_lo, s5
	s_cbranch_execz .LBB292_24
.LBB292_22:                             ;   Parent Loop BB292_12 Depth=1
                                        ;     Parent Loop BB292_17 Depth=2
                                        ; =>    This Inner Loop Header: Depth=3
	s_delay_alu instid0(VALU_DEP_1) | instskip(SKIP_2) | instid1(VALU_DEP_2)
	v_add_nc_u32_e32 v78, s42, v9
	v_add_nc_u32_e32 v11, s42, v0
	s_or_b32 s43, s43, exec_lo
	v_cmp_gt_u32_e32 vcc_lo, s18, v78
	s_delay_alu instid0(VALU_DEP_2) | instskip(NEXT) | instid1(VALU_DEP_1)
	v_cmp_gt_u32_e64 s2, s24, v11
	s_and_b32 s44, s2, vcc_lo
	s_delay_alu instid0(SALU_CYCLE_1)
	s_and_saveexec_b32 s2, s44
	s_cbranch_execz .LBB292_21
; %bb.23:                               ;   in Loop: Header=BB292_22 Depth=3
	v_lshlrev_b64 v[11:12], 1, v[78:79]
	v_add_nc_u32_e32 v78, s42, v8
	v_add_nc_u32_e32 v31, s41, v10
	;; [unrolled: 1-line block ×3, first 2 shown]
	s_delay_alu instid0(VALU_DEP_3) | instskip(SKIP_3) | instid1(VALU_DEP_3)
	v_lshlrev_b64 v[13:14], 1, v[78:79]
	v_add_nc_u32_e32 v78, s42, v5
	v_add_co_u32 v11, vcc_lo, s12, v11
	v_add_co_ci_u32_e32 v12, vcc_lo, s13, v12, vcc_lo
	v_lshlrev_b64 v[15:16], 1, v[78:79]
	v_add_nc_u32_e32 v78, s42, v6
	v_add_co_u32 v17, vcc_lo, s12, v13
	v_add_co_ci_u32_e32 v18, vcc_lo, s13, v14, vcc_lo
	s_delay_alu instid0(VALU_DEP_3) | instskip(SKIP_3) | instid1(VALU_DEP_3)
	v_lshlrev_b64 v[23:24], 1, v[78:79]
	v_add_nc_u32_e32 v78, s42, v7
	v_add_co_u32 v19, vcc_lo, s12, v15
	v_add_co_ci_u32_e32 v20, vcc_lo, s13, v16, vcc_lo
	v_lshlrev_b64 v[25:26], 1, v[78:79]
	v_add_co_u32 v23, vcc_lo, s12, v23
	v_add_co_ci_u32_e32 v24, vcc_lo, s13, v24, vcc_lo
	s_clause 0x2
	global_load_b128 v[11:14], v[11:12], off
	global_load_b128 v[15:18], v[17:18], off
	;; [unrolled: 1-line block ×3, first 2 shown]
	v_add_co_u32 v27, vcc_lo, s12, v25
	v_add_co_ci_u32_e32 v28, vcc_lo, s13, v26, vcc_lo
	s_clause 0x1
	global_load_b128 v[23:26], v[23:24], off
	global_load_b128 v[27:30], v[27:28], off
	s_add_i32 s42, s42, s26
	s_waitcnt vmcnt(4)
	ds_store_b128 v10, v[11:14]
	s_waitcnt vmcnt(3)
	ds_store_2addr_b64 v31, v[15:16], v[17:18] offset1:1
	s_waitcnt vmcnt(2)
	ds_store_2addr_b32 v32, v19, v20 offset1:1
	ds_store_2addr_b32 v32, v21, v22 offset0:2 offset1:3
	s_cmp_ge_u32 s42, s24
	v_add_nc_u32_e32 v11, s9, v10
	s_cselect_b32 s44, -1, 0
	v_add_nc_u32_e32 v12, s38, v10
	v_add_nc_u32_e32 v10, s20, v10
	s_and_not1_b32 s43, s43, exec_lo
	s_and_b32 s44, s44, exec_lo
	s_waitcnt vmcnt(1)
	ds_store_2addr_b64 v11, v[23:24], v[25:26] offset1:1
	s_or_b32 s43, s43, s44
	s_waitcnt vmcnt(0)
	ds_store_2addr_b64 v12, v[27:28], v[29:30] offset1:1
	s_branch .LBB292_21
.LBB292_24:                             ;   in Loop: Header=BB292_17 Depth=2
	s_or_b32 exec_lo, exec_lo, s5
.LBB292_25:                             ;   in Loop: Header=BB292_17 Depth=2
	s_waitcnt lgkmcnt(0)
	s_barrier
	buffer_gl0_inv
	s_and_saveexec_b32 s2, s1
	s_cbranch_execz .LBB292_16
.LBB292_26:                             ;   in Loop: Header=BB292_17 Depth=2
	v_dual_mov_b32 v74, 0 :: v_dual_add_nc_u32 v115, s4, v90
	v_dual_mov_b32 v73, 0 :: v_dual_mov_b32 v20, 0
	v_mov_b32_e32 v19, 0
	s_delay_alu instid0(VALU_DEP_3) | instskip(SKIP_2) | instid1(VALU_DEP_3)
	v_min_u32_e32 v78, s27, v115
	v_dual_mov_b32 v75, 0 :: v_dual_add_nc_u32 v116, 0x100, v115
	v_dual_mov_b32 v18, 0 :: v_dual_mov_b32 v17, 0
	v_lshlrev_b64 v[5:6], 1, v[78:79]
	s_delay_alu instid0(VALU_DEP_3)
	v_min_u32_e32 v78, s27, v116
	s_waitcnt vmcnt(3)
	v_dual_mov_b32 v36, 0 :: v_dual_mov_b32 v35, 0
	s_waitcnt vmcnt(2)
	v_dual_mov_b32 v34, 0 :: v_dual_mov_b32 v33, 0
	v_add_co_u32 v13, vcc_lo, s10, v5
	v_add_co_ci_u32_e32 v14, vcc_lo, s11, v6, vcc_lo
	v_lshlrev_b64 v[5:6], 1, v[78:79]
	s_delay_alu instid0(VALU_DEP_3) | instskip(NEXT) | instid1(VALU_DEP_3)
	v_add_co_u32 v7, vcc_lo, v13, v81
	v_add_co_ci_u32_e32 v8, vcc_lo, v14, v82, vcc_lo
	v_add_co_u32 v9, vcc_lo, v13, v83
	v_add_co_ci_u32_e32 v10, vcc_lo, v14, v84, vcc_lo
	;; [unrolled: 2-line block ×5, first 2 shown]
	s_clause 0x1
	global_load_b128 v[65:68], v[7:8], off slc dlc
	global_load_b128 v[61:64], v[9:10], off slc dlc
	v_add_co_u32 v7, vcc_lo, v15, v81
	v_add_co_ci_u32_e32 v8, vcc_lo, v16, v82, vcc_lo
	v_add_co_u32 v9, vcc_lo, v15, v83
	v_add_co_ci_u32_e32 v10, vcc_lo, v16, v84, vcc_lo
	;; [unrolled: 2-line block ×4, first 2 shown]
	s_clause 0x5
	global_load_b128 v[57:60], v[11:12], off slc dlc
	global_load_b128 v[49:52], v[5:6], off slc dlc
	;; [unrolled: 1-line block ×6, first 2 shown]
	v_cmp_gt_u32_e32 vcc_lo, s16, v115
	v_mov_b32_e32 v78, 0
	v_dual_mov_b32 v8, 0 :: v_dual_mov_b32 v7, 0
	v_dual_mov_b32 v6, 0 :: v_dual_mov_b32 v5, 0
	;; [unrolled: 1-line block ×14, first 2 shown]
	s_and_saveexec_b32 s5, vcc_lo
	s_cbranch_execz .LBB292_15
; %bb.27:                               ;   in Loop: Header=BB292_17 Depth=2
	v_subrev_nc_u32_e32 v5, s3, v115
	v_cmp_gt_u32_e32 vcc_lo, s16, v116
	v_dual_mov_b32 v17, 0 :: v_dual_mov_b32 v20, 0
	v_dual_mov_b32 v19, 0 :: v_dual_mov_b32 v10, 0
	s_delay_alu instid0(VALU_DEP_4) | instskip(SKIP_1) | instid1(VALU_DEP_2)
	v_dual_mov_b32 v34, 0 :: v_dual_lshlrev_b32 v119, 1, v5
	v_dual_mov_b32 v9, 0 :: v_dual_mov_b32 v12, 0
	v_dual_mov_b32 v33, 0 :: v_dual_add_nc_u32 v118, s41, v119
	v_dual_mov_b32 v11, 0 :: v_dual_mov_b32 v6, 0
	v_dual_mov_b32 v5, 0 :: v_dual_mov_b32 v8, 0
	s_delay_alu instid0(VALU_DEP_3) | instskip(SKIP_1) | instid1(VALU_DEP_2)
	v_dual_mov_b32 v36, 0 :: v_dual_add_nc_u32 v115, s41, v118
	v_dual_mov_b32 v7, 0 :: v_dual_mov_b32 v78, 0
	v_dual_mov_b32 v35, 0 :: v_dual_add_nc_u32 v116, s41, v115
	v_dual_mov_b32 v73, 0 :: v_dual_mov_b32 v74, 0
	v_dual_mov_b32 v75, 0 :: v_dual_mov_b32 v18, 0
	s_delay_alu instid0(VALU_DEP_3)
	v_add_nc_u32_e32 v117, s41, v116
	ds_load_b128 v[69:72], v119
	ds_load_b128 v[53:56], v118
	ds_load_b128 v[45:48], v115
	ds_load_b128 v[41:44], v116
	ds_load_b128 v[37:40], v117
	s_and_saveexec_b32 s42, vcc_lo
	s_cbranch_execz .LBB292_14
; %bb.28:                               ;   in Loop: Header=BB292_17 Depth=2
	ds_load_b128 v[33:36], v119 offset:512
	ds_load_b128 v[17:20], v118 offset:512
	ds_load_b128 v[9:12], v115 offset:512
	ds_load_b128 v[5:8], v116 offset:512
	ds_load_b32 v78, v117 offset:512
	ds_load_b96 v[73:75], v117 offset:516
	s_branch .LBB292_14
.LBB292_29:                             ;   in Loop: Header=BB292_12 Depth=1
	s_mov_b32 s1, exec_lo
	v_cmpx_le_u32_e64 s19, v76
	s_xor_b32 s1, exec_lo, s1
; %bb.30:                               ;   in Loop: Header=BB292_12 Depth=1
	v_add_nc_u32_e32 v76, s29, v76
                                        ; implicit-def: $vgpr77
                                        ; implicit-def: $vgpr96
                                        ; implicit-def: $vgpr97
                                        ; implicit-def: $vgpr98
                                        ; implicit-def: $vgpr99
                                        ; implicit-def: $vgpr100
                                        ; implicit-def: $vgpr101
                                        ; implicit-def: $vgpr104
                                        ; implicit-def: $vgpr102
                                        ; implicit-def: $vgpr103
                                        ; implicit-def: $vgpr109
                                        ; implicit-def: $vgpr107
                                        ; implicit-def: $vgpr106
                                        ; implicit-def: $vgpr105
                                        ; implicit-def: $vgpr108
                                        ; implicit-def: $vgpr113
                                        ; implicit-def: $vgpr111
                                        ; implicit-def: $vgpr112
                                        ; implicit-def: $vgpr114
                                        ; implicit-def: $vgpr110
; %bb.31:                               ;   in Loop: Header=BB292_12 Depth=1
	s_and_not1_saveexec_b32 s42, s1
	s_cbranch_execz .LBB292_11
; %bb.32:                               ;   in Loop: Header=BB292_12 Depth=1
	v_xor_b32_e32 v5, 16, v89
	v_cvt_i32_f32_e32 v6, v110
	v_cvt_i32_f32_e32 v7, v114
	s_waitcnt lgkmcnt(3)
	v_cvt_i32_f32_e32 v8, v112
	s_waitcnt lgkmcnt(0)
	v_cvt_i32_f32_e32 v10, v113
	v_cmp_gt_i32_e32 vcc_lo, 32, v5
	v_cvt_f32_i32_dpp v6, v6 row_shr:8 row_mask:0xf bank_mask:0xf bound_ctrl:1
	v_cvt_f32_i32_dpp v7, v7 row_shr:8 row_mask:0xf bank_mask:0xf bound_ctrl:1
	v_cvt_i32_f32_e32 v9, v111
	v_cvt_f32_i32_dpp v8, v8 row_shr:8 row_mask:0xf bank_mask:0xf bound_ctrl:1
	s_delay_alu instid0(VALU_DEP_4) | instskip(SKIP_3) | instid1(VALU_DEP_4)
	v_dual_cndmask_b32 v5, v89, v5 :: v_dual_add_f32 v6, v110, v6
	v_cvt_f32_i32_dpp v10, v10 row_shr:8 row_mask:0xf bank_mask:0xf bound_ctrl:1
	v_add_f32_e32 v7, v114, v7
	v_cvt_f32_i32_dpp v9, v9 row_shr:8 row_mask:0xf bank_mask:0xf bound_ctrl:1
	v_dual_add_f32 v8, v112, v8 :: v_dual_lshlrev_b32 v5, 2, v5
	s_delay_alu instid0(VALU_DEP_4) | instskip(SKIP_2) | instid1(VALU_DEP_4)
	v_add_f32_e32 v10, v113, v10
	v_cvt_i32_f32_e32 v11, v6
	v_cvt_i32_f32_e32 v12, v7
	;; [unrolled: 1-line block ×3, first 2 shown]
	s_delay_alu instid0(VALU_DEP_4) | instskip(NEXT) | instid1(VALU_DEP_4)
	v_cvt_i32_f32_e32 v15, v10
	v_cvt_f32_i32_dpp v11, v11 row_shr:4 row_mask:0xf bank_mask:0xf bound_ctrl:1
	v_add_f32_e32 v9, v111, v9
	v_cvt_f32_i32_dpp v12, v12 row_shr:4 row_mask:0xf bank_mask:0xf bound_ctrl:1
	v_cvt_f32_i32_dpp v13, v13 row_shr:4 row_mask:0xf bank_mask:0xf bound_ctrl:1
	;; [unrolled: 1-line block ×3, first 2 shown]
	v_add_f32_e32 v6, v6, v11
	v_cvt_i32_f32_e32 v14, v9
	s_delay_alu instid0(VALU_DEP_4) | instskip(NEXT) | instid1(VALU_DEP_4)
	v_dual_add_f32 v7, v7, v12 :: v_dual_add_f32 v8, v8, v13
	v_add_f32_e32 v10, v10, v15
	s_delay_alu instid0(VALU_DEP_4) | instskip(NEXT) | instid1(VALU_DEP_4)
	v_cvt_i32_f32_e32 v11, v6
	v_cvt_f32_i32_dpp v14, v14 row_shr:4 row_mask:0xf bank_mask:0xf bound_ctrl:1
	s_delay_alu instid0(VALU_DEP_4)
	v_cvt_i32_f32_e32 v12, v7
	v_cvt_i32_f32_e32 v13, v8
	;; [unrolled: 1-line block ×3, first 2 shown]
	v_cvt_f32_i32_dpp v11, v11 row_shr:2 row_mask:0xf bank_mask:0xf bound_ctrl:1
	v_add_f32_e32 v9, v9, v14
	v_cvt_f32_i32_dpp v12, v12 row_shr:2 row_mask:0xf bank_mask:0xf bound_ctrl:1
	v_cvt_f32_i32_dpp v13, v13 row_shr:2 row_mask:0xf bank_mask:0xf bound_ctrl:1
	;; [unrolled: 1-line block ×3, first 2 shown]
	v_add_f32_e32 v6, v6, v11
	v_cvt_i32_f32_e32 v14, v9
	v_add_f32_e32 v7, v7, v12
	s_delay_alu instid0(VALU_DEP_3) | instskip(NEXT) | instid1(VALU_DEP_3)
	v_cvt_i32_f32_e32 v11, v6
	v_cvt_f32_i32_dpp v14, v14 row_shr:2 row_mask:0xf bank_mask:0xf bound_ctrl:1
	v_add_f32_e32 v8, v8, v13
	s_delay_alu instid0(VALU_DEP_4) | instskip(NEXT) | instid1(VALU_DEP_4)
	v_cvt_i32_f32_e32 v12, v7
	v_cvt_f32_i32_dpp v11, v11 row_shr:1 row_mask:0xf bank_mask:0xf bound_ctrl:1
	s_delay_alu instid0(VALU_DEP_4) | instskip(NEXT) | instid1(VALU_DEP_4)
	v_add_f32_e32 v9, v9, v14
	v_cvt_i32_f32_e32 v13, v8
	s_delay_alu instid0(VALU_DEP_4) | instskip(SKIP_1) | instid1(VALU_DEP_4)
	v_cvt_f32_i32_dpp v12, v12 row_shr:1 row_mask:0xf bank_mask:0xf bound_ctrl:1
	v_add_f32_e32 v10, v10, v15
	v_cvt_i32_f32_e32 v14, v9
	s_delay_alu instid0(VALU_DEP_4) | instskip(NEXT) | instid1(VALU_DEP_4)
	v_cvt_f32_i32_dpp v13, v13 row_shr:1 row_mask:0xf bank_mask:0xf bound_ctrl:1
	v_add_f32_e32 v49, v7, v12
	s_delay_alu instid0(VALU_DEP_4)
	v_cvt_i32_f32_e32 v15, v10
	v_cvt_i32_f32_e32 v7, v108
	v_cvt_f32_i32_dpp v14, v14 row_shr:1 row_mask:0xf bank_mask:0xf bound_ctrl:1
	ds_bpermute_b32 v50, v5, v49
	v_cvt_f32_i32_dpp v15, v15 row_shr:1 row_mask:0xf bank_mask:0xf bound_ctrl:1
	v_add_f32_e32 v46, v8, v13
	v_cvt_i32_f32_e32 v8, v105
	v_cvt_f32_i32_dpp v7, v7 row_shr:8 row_mask:0xf bank_mask:0xf bound_ctrl:1
	s_delay_alu instid0(VALU_DEP_4) | instskip(SKIP_1) | instid1(VALU_DEP_4)
	v_add_f32_e32 v39, v10, v15
	v_cvt_i32_f32_e32 v10, v107
	v_cvt_f32_i32_dpp v8, v8 row_shr:8 row_mask:0xf bank_mask:0xf bound_ctrl:1
	s_delay_alu instid0(VALU_DEP_4)
	v_add_f32_e32 v7, v108, v7
	ds_bpermute_b32 v47, v5, v46
	ds_bpermute_b32 v40, v5, v39
	v_cvt_f32_i32_dpp v10, v10 row_shr:8 row_mask:0xf bank_mask:0xf bound_ctrl:1
	v_add_f32_e32 v8, v105, v8
	v_cvt_i32_f32_e32 v12, v7
	s_delay_alu instid0(VALU_DEP_2) | instskip(NEXT) | instid1(VALU_DEP_2)
	v_cvt_i32_f32_e32 v13, v8
	v_cvt_f32_i32_dpp v12, v12 row_shr:4 row_mask:0xf bank_mask:0xf bound_ctrl:1
	v_add_f32_e32 v52, v6, v11
	v_add_f32_e32 v6, v9, v14
	v_cvt_i32_f32_e32 v9, v106
	v_cvt_f32_i32_dpp v13, v13 row_shr:4 row_mask:0xf bank_mask:0xf bound_ctrl:1
	v_cvt_i32_f32_e32 v11, v109
	v_add_f32_e32 v7, v7, v12
	ds_bpermute_b32 v53, v5, v52
	v_cvt_f32_i32_dpp v9, v9 row_shr:8 row_mask:0xf bank_mask:0xf bound_ctrl:1
	v_cvt_f32_i32_dpp v11, v11 row_shr:8 row_mask:0xf bank_mask:0xf bound_ctrl:1
	v_add_f32_e32 v10, v107, v10
	v_cvt_i32_f32_e32 v12, v7
	s_delay_alu instid0(VALU_DEP_4)
	v_add_f32_e32 v9, v106, v9
	ds_bpermute_b32 v44, v5, v6
	v_add_f32_e32 v11, v109, v11
	v_cvt_i32_f32_e32 v15, v10
	v_cvt_f32_i32_dpp v12, v12 row_shr:2 row_mask:0xf bank_mask:0xf bound_ctrl:1
	v_cvt_i32_f32_e32 v14, v9
	s_delay_alu instid0(VALU_DEP_4) | instskip(NEXT) | instid1(VALU_DEP_4)
	v_cvt_i32_f32_e32 v16, v11
	v_cvt_f32_i32_dpp v15, v15 row_shr:4 row_mask:0xf bank_mask:0xf bound_ctrl:1
	s_delay_alu instid0(VALU_DEP_3) | instskip(SKIP_1) | instid1(VALU_DEP_4)
	v_cvt_f32_i32_dpp v14, v14 row_shr:4 row_mask:0xf bank_mask:0xf bound_ctrl:1
	v_add_f32_e32 v8, v8, v13
	v_cvt_f32_i32_dpp v16, v16 row_shr:4 row_mask:0xf bank_mask:0xf bound_ctrl:1
	s_delay_alu instid0(VALU_DEP_3) | instskip(NEXT) | instid1(VALU_DEP_3)
	v_dual_add_f32 v10, v10, v15 :: v_dual_add_f32 v9, v9, v14
	v_cvt_i32_f32_e32 v13, v8
	s_delay_alu instid0(VALU_DEP_3) | instskip(NEXT) | instid1(VALU_DEP_3)
	v_add_f32_e32 v11, v11, v16
	v_cvt_i32_f32_e32 v15, v10
	s_delay_alu instid0(VALU_DEP_4) | instskip(NEXT) | instid1(VALU_DEP_4)
	v_cvt_i32_f32_e32 v14, v9
	v_cvt_f32_i32_dpp v13, v13 row_shr:2 row_mask:0xf bank_mask:0xf bound_ctrl:1
	v_add_f32_e32 v7, v7, v12
	v_cvt_i32_f32_e32 v16, v11
	v_cvt_f32_i32_dpp v15, v15 row_shr:2 row_mask:0xf bank_mask:0xf bound_ctrl:1
	v_cvt_f32_i32_dpp v14, v14 row_shr:2 row_mask:0xf bank_mask:0xf bound_ctrl:1
	v_add_f32_e32 v8, v8, v13
	v_cvt_i32_f32_e32 v12, v7
	v_cvt_f32_i32_dpp v16, v16 row_shr:2 row_mask:0xf bank_mask:0xf bound_ctrl:1
	s_delay_alu instid0(VALU_DEP_4) | instskip(NEXT) | instid1(VALU_DEP_4)
	v_dual_add_f32 v10, v10, v15 :: v_dual_add_f32 v9, v9, v14
	v_cvt_i32_f32_e32 v13, v8
	s_delay_alu instid0(VALU_DEP_4) | instskip(NEXT) | instid1(VALU_DEP_3)
	v_cvt_f32_i32_dpp v12, v12 row_shr:1 row_mask:0xf bank_mask:0xf bound_ctrl:1
	v_cvt_i32_f32_e32 v15, v10
	s_delay_alu instid0(VALU_DEP_4) | instskip(NEXT) | instid1(VALU_DEP_4)
	v_cvt_i32_f32_e32 v14, v9
	v_cvt_f32_i32_dpp v13, v13 row_shr:1 row_mask:0xf bank_mask:0xf bound_ctrl:1
	s_delay_alu instid0(VALU_DEP_4)
	v_add_f32_e32 v42, v7, v12
	v_cvt_i32_f32_e32 v7, v103
	v_cvt_f32_i32_dpp v15, v15 row_shr:1 row_mask:0xf bank_mask:0xf bound_ctrl:1
	v_cvt_f32_i32_dpp v14, v14 row_shr:1 row_mask:0xf bank_mask:0xf bound_ctrl:1
	v_add_f32_e32 v37, v8, v13
	v_cvt_i32_f32_e32 v8, v102
	v_cvt_f32_i32_dpp v7, v7 row_shr:8 row_mask:0xf bank_mask:0xf bound_ctrl:1
	s_delay_alu instid0(VALU_DEP_4) | instskip(SKIP_1) | instid1(VALU_DEP_4)
	v_dual_add_f32 v11, v11, v16 :: v_dual_add_f32 v34, v9, v14
	v_cvt_i32_f32_e32 v9, v104
	v_cvt_f32_i32_dpp v8, v8 row_shr:8 row_mask:0xf bank_mask:0xf bound_ctrl:1
	s_delay_alu instid0(VALU_DEP_4) | instskip(NEXT) | instid1(VALU_DEP_4)
	v_add_f32_e32 v7, v103, v7
	v_cvt_i32_f32_e32 v16, v11
	ds_bpermute_b32 v43, v5, v42
	v_cvt_f32_i32_dpp v9, v9 row_shr:8 row_mask:0xf bank_mask:0xf bound_ctrl:1
	v_add_f32_e32 v8, v102, v8
	v_cvt_i32_f32_e32 v12, v7
	v_cvt_f32_i32_dpp v16, v16 row_shr:1 row_mask:0xf bank_mask:0xf bound_ctrl:1
	v_add_f32_e32 v31, v10, v15
	v_cvt_i32_f32_e32 v10, v101
	v_cvt_i32_f32_e32 v13, v8
	v_cvt_f32_i32_dpp v12, v12 row_shr:4 row_mask:0xf bank_mask:0xf bound_ctrl:1
	v_add_f32_e32 v26, v11, v16
	v_cvt_i32_f32_e32 v11, v100
	v_cvt_f32_i32_dpp v10, v10 row_shr:8 row_mask:0xf bank_mask:0xf bound_ctrl:1
	v_cvt_f32_i32_dpp v13, v13 row_shr:4 row_mask:0xf bank_mask:0xf bound_ctrl:1
	v_add_f32_e32 v9, v104, v9
	v_add_f32_e32 v7, v7, v12
	v_cvt_f32_i32_dpp v11, v11 row_shr:8 row_mask:0xf bank_mask:0xf bound_ctrl:1
	v_add_f32_e32 v10, v101, v10
	v_add_f32_e32 v8, v8, v13
	v_cvt_i32_f32_e32 v14, v9
	v_cvt_i32_f32_e32 v12, v7
	ds_bpermute_b32 v38, v5, v37
	v_cvt_i32_f32_e32 v15, v10
	v_cvt_i32_f32_e32 v13, v8
	v_cvt_f32_i32_dpp v14, v14 row_shr:4 row_mask:0xf bank_mask:0xf bound_ctrl:1
	v_cvt_f32_i32_dpp v12, v12 row_shr:2 row_mask:0xf bank_mask:0xf bound_ctrl:1
	ds_bpermute_b32 v35, v5, v34
	v_cvt_f32_i32_dpp v15, v15 row_shr:4 row_mask:0xf bank_mask:0xf bound_ctrl:1
	v_cvt_f32_i32_dpp v13, v13 row_shr:2 row_mask:0xf bank_mask:0xf bound_ctrl:1
	v_add_f32_e32 v9, v9, v14
	v_add_f32_e32 v7, v7, v12
	ds_bpermute_b32 v32, v5, v31
	v_add_f32_e32 v10, v10, v15
	v_add_f32_e32 v8, v8, v13
	v_cvt_i32_f32_e32 v14, v9
	v_cvt_i32_f32_e32 v12, v7
	ds_bpermute_b32 v27, v5, v26
	v_cvt_i32_f32_e32 v15, v10
	v_cvt_i32_f32_e32 v13, v8
	v_cvt_f32_i32_dpp v14, v14 row_shr:2 row_mask:0xf bank_mask:0xf bound_ctrl:1
	v_cvt_f32_i32_dpp v12, v12 row_shr:1 row_mask:0xf bank_mask:0xf bound_ctrl:1
	s_delay_alu instid0(VALU_DEP_4) | instskip(NEXT) | instid1(VALU_DEP_4)
	v_cvt_f32_i32_dpp v15, v15 row_shr:2 row_mask:0xf bank_mask:0xf bound_ctrl:1
	v_cvt_f32_i32_dpp v13, v13 row_shr:1 row_mask:0xf bank_mask:0xf bound_ctrl:1
	s_delay_alu instid0(VALU_DEP_2) | instskip(NEXT) | instid1(VALU_DEP_2)
	v_dual_add_f32 v9, v9, v14 :: v_dual_add_f32 v10, v10, v15
	v_add_f32_e32 v24, v8, v13
	v_cvt_i32_f32_e32 v8, v98
	s_delay_alu instid0(VALU_DEP_3) | instskip(NEXT) | instid1(VALU_DEP_4)
	v_cvt_i32_f32_e32 v14, v9
	v_cvt_i32_f32_e32 v15, v10
	ds_bpermute_b32 v25, v5, v24
	v_cvt_f32_i32_dpp v8, v8 row_shr:8 row_mask:0xf bank_mask:0xf bound_ctrl:1
	v_add_f32_e32 v11, v100, v11
	v_cvt_f32_i32_dpp v14, v14 row_shr:1 row_mask:0xf bank_mask:0xf bound_ctrl:1
	v_cvt_f32_i32_dpp v15, v15 row_shr:1 row_mask:0xf bank_mask:0xf bound_ctrl:1
	s_delay_alu instid0(VALU_DEP_4) | instskip(NEXT) | instid1(VALU_DEP_4)
	v_add_f32_e32 v8, v98, v8
	v_cvt_i32_f32_e32 v16, v11
	s_delay_alu instid0(VALU_DEP_2) | instskip(NEXT) | instid1(VALU_DEP_2)
	v_cvt_i32_f32_e32 v13, v8
	v_cvt_f32_i32_dpp v16, v16 row_shr:4 row_mask:0xf bank_mask:0xf bound_ctrl:1
	s_delay_alu instid0(VALU_DEP_2) | instskip(NEXT) | instid1(VALU_DEP_2)
	v_cvt_f32_i32_dpp v13, v13 row_shr:4 row_mask:0xf bank_mask:0xf bound_ctrl:1
	v_add_f32_e32 v11, v11, v16
	v_add_f32_e32 v29, v7, v12
	v_cvt_i32_f32_e32 v7, v99
	s_delay_alu instid0(VALU_DEP_4) | instskip(NEXT) | instid1(VALU_DEP_4)
	v_add_f32_e32 v8, v8, v13
	v_cvt_i32_f32_e32 v16, v11
	ds_bpermute_b32 v30, v5, v29
	v_cvt_f32_i32_dpp v7, v7 row_shr:8 row_mask:0xf bank_mask:0xf bound_ctrl:1
	v_cvt_i32_f32_e32 v13, v8
	v_cvt_f32_i32_dpp v16, v16 row_shr:2 row_mask:0xf bank_mask:0xf bound_ctrl:1
	s_delay_alu instid0(VALU_DEP_3) | instskip(NEXT) | instid1(VALU_DEP_3)
	v_add_f32_e32 v7, v99, v7
	v_cvt_f32_i32_dpp v13, v13 row_shr:2 row_mask:0xf bank_mask:0xf bound_ctrl:1
	v_add_f32_e32 v19, v10, v15
	v_cvt_i32_f32_e32 v10, v96
	s_delay_alu instid0(VALU_DEP_4) | instskip(NEXT) | instid1(VALU_DEP_4)
	v_cvt_i32_f32_e32 v12, v7
	v_add_f32_e32 v8, v8, v13
	ds_bpermute_b32 v20, v5, v19
	v_cvt_f32_i32_dpp v10, v10 row_shr:8 row_mask:0xf bank_mask:0xf bound_ctrl:1
	v_add_f32_e32 v11, v11, v16
	v_cvt_f32_i32_dpp v12, v12 row_shr:4 row_mask:0xf bank_mask:0xf bound_ctrl:1
	v_cvt_i32_f32_e32 v13, v8
	s_delay_alu instid0(VALU_DEP_4) | instskip(NEXT) | instid1(VALU_DEP_4)
	v_add_f32_e32 v10, v96, v10
	v_cvt_i32_f32_e32 v16, v11
	s_delay_alu instid0(VALU_DEP_4) | instskip(NEXT) | instid1(VALU_DEP_4)
	v_add_f32_e32 v7, v7, v12
	v_cvt_f32_i32_dpp v13, v13 row_shr:1 row_mask:0xf bank_mask:0xf bound_ctrl:1
	s_delay_alu instid0(VALU_DEP_4) | instskip(NEXT) | instid1(VALU_DEP_4)
	v_cvt_i32_f32_e32 v17, v10
	v_cvt_f32_i32_dpp v16, v16 row_shr:1 row_mask:0xf bank_mask:0xf bound_ctrl:1
	s_delay_alu instid0(VALU_DEP_4) | instskip(NEXT) | instid1(VALU_DEP_4)
	v_cvt_i32_f32_e32 v12, v7
	v_add_f32_e32 v13, v8, v13
	s_delay_alu instid0(VALU_DEP_4) | instskip(SKIP_3) | instid1(VALU_DEP_4)
	v_cvt_f32_i32_dpp v17, v17 row_shr:4 row_mask:0xf bank_mask:0xf bound_ctrl:1
	v_add_f32_e32 v21, v9, v14
	v_cvt_i32_f32_e32 v9, v97
	v_cvt_f32_i32_dpp v12, v12 row_shr:2 row_mask:0xf bank_mask:0xf bound_ctrl:1
	v_add_f32_e32 v10, v10, v17
	ds_bpermute_b32 v22, v5, v21
	v_cvt_f32_i32_dpp v9, v9 row_shr:8 row_mask:0xf bank_mask:0xf bound_ctrl:1
	v_add_f32_e32 v7, v7, v12
	v_cvt_i32_f32_e32 v17, v10
	s_delay_alu instid0(VALU_DEP_1) | instskip(SKIP_2) | instid1(VALU_DEP_3)
	v_cvt_f32_i32_dpp v17, v17 row_shr:2 row_mask:0xf bank_mask:0xf bound_ctrl:1
	v_add_f32_e32 v15, v11, v16
	v_cvt_i32_f32_e32 v11, v77
	v_add_f32_e32 v10, v10, v17
	ds_bpermute_b32 v16, v5, v15
	v_cvt_f32_i32_dpp v11, v11 row_shr:8 row_mask:0xf bank_mask:0xf bound_ctrl:1
	v_cvt_i32_f32_e32 v17, v10
	s_delay_alu instid0(VALU_DEP_2) | instskip(SKIP_1) | instid1(VALU_DEP_2)
	v_add_f32_e32 v11, v77, v11
	s_waitcnt vmcnt(0)
	v_cvt_f32_i32_dpp v23, v17 row_shr:1 row_mask:0xf bank_mask:0xf bound_ctrl:1
	s_delay_alu instid0(VALU_DEP_2) | instskip(NEXT) | instid1(VALU_DEP_1)
	v_cvt_i32_f32_e32 v18, v11
	v_cvt_f32_i32_dpp v18, v18 row_shr:4 row_mask:0xf bank_mask:0xf bound_ctrl:1
	s_delay_alu instid0(VALU_DEP_1) | instskip(NEXT) | instid1(VALU_DEP_1)
	v_add_f32_e32 v11, v11, v18
	v_cvt_i32_f32_e32 v18, v11
	s_delay_alu instid0(VALU_DEP_1) | instskip(NEXT) | instid1(VALU_DEP_1)
	v_cvt_f32_i32_dpp v18, v18 row_shr:2 row_mask:0xf bank_mask:0xf bound_ctrl:1
	v_dual_add_f32 v9, v97, v9 :: v_dual_add_f32 v12, v11, v18
	s_delay_alu instid0(VALU_DEP_1) | instskip(SKIP_1) | instid1(VALU_DEP_3)
	v_cvt_i32_f32_e32 v14, v9
	v_cvt_i32_f32_e32 v11, v7
	;; [unrolled: 1-line block ×3, first 2 shown]
	s_delay_alu instid0(VALU_DEP_3) | instskip(NEXT) | instid1(VALU_DEP_3)
	v_cvt_f32_i32_dpp v14, v14 row_shr:4 row_mask:0xf bank_mask:0xf bound_ctrl:1
	v_cvt_f32_i32_dpp v11, v11 row_shr:1 row_mask:0xf bank_mask:0xf bound_ctrl:1
	s_delay_alu instid0(VALU_DEP_3) | instskip(NEXT) | instid1(VALU_DEP_3)
	v_cvt_f32_i32_dpp v18, v18 row_shr:1 row_mask:0xf bank_mask:0xf bound_ctrl:1
	v_add_f32_e32 v9, v9, v14
	s_delay_alu instid0(VALU_DEP_3) | instskip(NEXT) | instid1(VALU_DEP_3)
	v_add_f32_e32 v17, v7, v11
	v_add_f32_e32 v7, v12, v18
	s_delay_alu instid0(VALU_DEP_3) | instskip(SKIP_3) | instid1(VALU_DEP_1)
	v_cvt_i32_f32_e32 v14, v9
	ds_bpermute_b32 v18, v5, v17
	ds_bpermute_b32 v8, v5, v7
	v_cvt_f32_i32_dpp v14, v14 row_shr:2 row_mask:0xf bank_mask:0xf bound_ctrl:1
	v_add_f32_e32 v9, v9, v14
	s_delay_alu instid0(VALU_DEP_1) | instskip(NEXT) | instid1(VALU_DEP_1)
	v_cvt_i32_f32_e32 v14, v9
	v_cvt_f32_i32_dpp v14, v14 row_shr:1 row_mask:0xf bank_mask:0xf bound_ctrl:1
	s_delay_alu instid0(VALU_DEP_1)
	v_add_f32_e32 v11, v9, v14
	v_add_f32_e32 v9, v10, v23
	ds_bpermute_b32 v14, v5, v13
	ds_bpermute_b32 v12, v5, v11
	;; [unrolled: 1-line block ×3, first 2 shown]
	s_and_saveexec_b32 s5, s0
	s_cbranch_execz .LBB292_155
; %bb.33:                               ;   in Loop: Header=BB292_12 Depth=1
	v_dual_mov_b32 v65, 0 :: v_dual_add_nc_u32 v78, 2, v76
	v_dual_mov_b32 v64, 0 :: v_dual_add_nc_u32 v5, 3, v76
	v_dual_mov_b32 v63, 0 :: v_dual_mov_b32 v62, 0
	v_dual_mov_b32 v61, 0 :: v_dual_mov_b32 v60, 0
	;; [unrolled: 1-line block ×8, first 2 shown]
	v_mov_b32_e32 v33, 0
	v_mov_b32_e32 v23, 0
	s_and_not1_b32 vcc_lo, exec_lo, s30
	s_cbranch_vccnz .LBB292_35
; %bb.34:                               ;   in Loop: Header=BB292_12 Depth=1
	v_mul_hi_u32 v23, v76, v95
	v_dual_mov_b32 v55, v79 :: v_dual_add_nc_u32 v28, 1, v76
	v_mul_hi_u32 v33, v78, v95
	v_mul_hi_u32 v36, v5, v95
	v_mov_b32_e32 v70, v79
	s_delay_alu instid0(VALU_DEP_4)
	v_mul_hi_u32 v41, v28, v95
	v_mov_b32_e32 v99, v79
	v_mul_lo_u32 v23, v23, s8
	v_mov_b32_e32 v88, v79
	v_mov_b32_e32 v97, v79
	v_mul_lo_u32 v33, v33, s8
	v_mul_lo_u32 v36, v36, s8
	;; [unrolled: 1-line block ×3, first 2 shown]
	v_sub_nc_u32_e32 v23, v76, v23
	s_delay_alu instid0(VALU_DEP_4) | instskip(NEXT) | instid1(VALU_DEP_4)
	v_sub_nc_u32_e32 v33, v78, v33
	v_sub_nc_u32_e32 v36, v5, v36
	s_delay_alu instid0(VALU_DEP_3)
	v_subrev_nc_u32_e32 v45, s8, v23
	v_cmp_le_u32_e32 vcc_lo, s8, v23
	v_sub_nc_u32_e32 v28, v28, v41
	v_subrev_nc_u32_e32 v41, s8, v33
	v_subrev_nc_u32_e32 v48, s8, v36
	v_cndmask_b32_e32 v23, v23, v45, vcc_lo
	v_cmp_le_u32_e32 vcc_lo, s8, v33
	v_mov_b32_e32 v58, v79
	v_subrev_nc_u32_e32 v45, s8, v28
	v_cndmask_b32_e32 v33, v33, v41, vcc_lo
	v_cmp_le_u32_e32 vcc_lo, s8, v36
	v_mov_b32_e32 v67, v79
	v_subrev_nc_u32_e32 v41, s8, v23
	v_cndmask_b32_e32 v36, v36, v48, vcc_lo
	v_cmp_le_u32_e32 vcc_lo, s8, v28
	s_delay_alu instid0(VALU_DEP_2)
	v_subrev_nc_u32_e32 v48, s8, v36
	v_cndmask_b32_e32 v28, v28, v45, vcc_lo
	v_cmp_le_u32_e32 vcc_lo, s8, v23
	v_subrev_nc_u32_e32 v45, s8, v33
	v_cndmask_b32_e32 v54, v23, v41, vcc_lo
	v_cmp_le_u32_e32 vcc_lo, s8, v33
	v_mov_b32_e32 v60, v79
	v_subrev_nc_u32_e32 v23, s8, v28
	v_cndmask_b32_e32 v59, v33, v45, vcc_lo
	v_cmp_le_u32_e32 vcc_lo, s8, v36
	s_delay_alu instid0(VALU_DEP_2) | instskip(SKIP_3) | instid1(VALU_DEP_3)
	v_lshlrev_b64 v[60:61], 1, v[59:60]
	v_cndmask_b32_e32 v66, v36, v48, vcc_lo
	v_cmp_le_u32_e32 vcc_lo, s8, v28
	v_add_nc_u32_e32 v98, s40, v59
	v_lshlrev_b64 v[62:63], 1, v[66:67]
	v_cndmask_b32_e32 v57, v28, v23, vcc_lo
	v_lshlrev_b64 v[55:56], 1, v[54:55]
	s_delay_alu instid0(VALU_DEP_2) | instskip(SKIP_1) | instid1(VALU_DEP_3)
	v_lshlrev_b64 v[64:65], 1, v[57:58]
	v_add_nc_u32_e32 v69, s33, v57
	v_add_co_u32 v55, vcc_lo, s14, v55
	s_delay_alu instid0(VALU_DEP_4) | instskip(NEXT) | instid1(VALU_DEP_4)
	v_add_co_ci_u32_e32 v56, vcc_lo, s15, v56, vcc_lo
	v_add_co_u32 v67, vcc_lo, s14, v64
	v_add_co_ci_u32_e32 v68, vcc_lo, s15, v65, vcc_lo
	v_dual_mov_b32 v65, v79 :: v_dual_add_nc_u32 v64, s33, v54
	v_add_co_u32 v60, vcc_lo, s14, v60
	v_add_co_ci_u32_e32 v61, vcc_lo, s15, v61, vcc_lo
	s_delay_alu instid0(VALU_DEP_3)
	v_lshlrev_b64 v[64:65], 1, v[64:65]
	v_add_co_u32 v71, vcc_lo, s14, v62
	v_add_co_ci_u32_e32 v72, vcc_lo, s15, v63, vcc_lo
	v_lshlrev_b64 v[62:63], 1, v[69:70]
	v_add_nc_u32_e32 v69, s33, v59
	v_add_co_u32 v73, vcc_lo, s14, v64
	v_add_co_ci_u32_e32 v74, vcc_lo, s15, v65, vcc_lo
	s_delay_alu instid0(VALU_DEP_3) | instskip(SKIP_3) | instid1(VALU_DEP_3)
	v_lshlrev_b64 v[64:65], 1, v[69:70]
	v_add_nc_u32_e32 v69, s33, v66
	v_add_co_u32 v81, vcc_lo, s14, v62
	v_add_co_ci_u32_e32 v82, vcc_lo, s15, v63, vcc_lo
	v_lshlrev_b64 v[62:63], 1, v[69:70]
	v_add_co_u32 v69, vcc_lo, s14, v64
	v_add_co_ci_u32_e32 v70, vcc_lo, s15, v65, vcc_lo
	v_dual_mov_b32 v65, v79 :: v_dual_add_nc_u32 v64, s34, v54
	v_add_nc_u32_e32 v87, s34, v57
	v_add_co_u32 v83, vcc_lo, s14, v62
	v_add_co_ci_u32_e32 v84, vcc_lo, s15, v63, vcc_lo
	s_delay_alu instid0(VALU_DEP_4)
	v_lshlrev_b64 v[85:86], 1, v[64:65]
	s_clause 0x7
	global_load_u16 v65, v[55:56], off
	global_load_u16 v64, v[67:68], off
	global_load_u16 v63, v[60:61], off
	global_load_u16 v62, v[71:72], off
	global_load_u16 v61, v[73:74], off
	global_load_u16 v60, v[81:82], off
	global_load_u16 v58, v[69:70], off
	global_load_u16 v56, v[83:84], off
	v_dual_mov_b32 v74, v79 :: v_dual_add_nc_u32 v69, s34, v59
	v_mov_b32_e32 v82, v79
	v_mov_b32_e32 v70, v79
	v_lshlrev_b64 v[67:68], 1, v[87:88]
	v_dual_mov_b32 v84, v79 :: v_dual_add_nc_u32 v73, s34, v66
	v_add_co_u32 v71, vcc_lo, s14, v85
	s_delay_alu instid0(VALU_DEP_4)
	v_lshlrev_b64 v[69:70], 1, v[69:70]
	v_add_nc_u32_e32 v81, s35, v54
	v_add_co_ci_u32_e32 v72, vcc_lo, s15, v86, vcc_lo
	v_mov_b32_e32 v86, v79
	v_add_co_u32 v67, vcc_lo, s14, v67
	v_lshlrev_b64 v[73:74], 1, v[73:74]
	v_add_nc_u32_e32 v83, s35, v57
	v_add_co_ci_u32_e32 v68, vcc_lo, s15, v68, vcc_lo
	v_add_co_u32 v69, vcc_lo, s14, v69
	v_lshlrev_b64 v[81:82], 1, v[81:82]
	v_add_nc_u32_e32 v85, s35, v59
	v_add_co_ci_u32_e32 v70, vcc_lo, s15, v70, vcc_lo
	;; [unrolled: 4-line block ×3, first 2 shown]
	v_add_co_u32 v81, vcc_lo, s14, v81
	v_lshlrev_b64 v[85:86], 1, v[85:86]
	v_dual_mov_b32 v55, v79 :: v_dual_add_nc_u32 v54, s40, v54
	v_add_co_ci_u32_e32 v82, vcc_lo, s15, v82, vcc_lo
	v_add_co_u32 v83, vcc_lo, s14, v83
	v_lshlrev_b64 v[87:88], 1, v[87:88]
	v_add_co_ci_u32_e32 v84, vcc_lo, s15, v84, vcc_lo
	v_add_co_u32 v85, vcc_lo, s14, v85
	v_lshlrev_b64 v[54:55], 1, v[54:55]
	v_add_co_ci_u32_e32 v86, vcc_lo, s15, v86, vcc_lo
	v_add_nc_u32_e32 v96, s40, v57
	v_add_co_u32 v87, vcc_lo, s14, v87
	v_add_co_ci_u32_e32 v88, vcc_lo, s15, v88, vcc_lo
	v_add_co_u32 v100, vcc_lo, s14, v54
	s_delay_alu instid0(VALU_DEP_4) | instskip(SKIP_3) | instid1(VALU_DEP_4)
	v_lshlrev_b64 v[96:97], 1, v[96:97]
	v_add_co_ci_u32_e32 v101, vcc_lo, s15, v55, vcc_lo
	v_lshlrev_b64 v[54:55], 1, v[98:99]
	v_add_nc_u32_e32 v98, s40, v66
	v_add_co_u32 v96, vcc_lo, s14, v96
	v_add_co_ci_u32_e32 v97, vcc_lo, s15, v97, vcc_lo
	s_delay_alu instid0(VALU_DEP_3) | instskip(SKIP_2) | instid1(VALU_DEP_3)
	v_lshlrev_b64 v[98:99], 1, v[98:99]
	v_add_co_u32 v102, vcc_lo, s14, v54
	v_add_co_ci_u32_e32 v103, vcc_lo, s15, v55, vcc_lo
	v_add_co_u32 v98, vcc_lo, s14, v98
	s_delay_alu instid0(VALU_DEP_4)
	v_add_co_ci_u32_e32 v99, vcc_lo, s15, v99, vcc_lo
	s_clause 0xb
	global_load_u16 v59, v[71:72], off
	global_load_u16 v57, v[67:68], off
	;; [unrolled: 1-line block ×12, first 2 shown]
.LBB292_35:                             ;   in Loop: Header=BB292_12 Depth=1
	v_cmp_ne_u32_e32 vcc_lo, 0, v1
	s_and_saveexec_b32 s2, vcc_lo
	s_cbranch_execnz .LBB292_55
; %bb.36:                               ;   in Loop: Header=BB292_12 Depth=1
	s_or_b32 exec_lo, exec_lo, s2
	v_cmp_ne_u32_e64 s1, 0, v2
	s_delay_alu instid0(VALU_DEP_1)
	s_and_saveexec_b32 s3, s1
	s_cbranch_execnz .LBB292_60
.LBB292_37:                             ;   in Loop: Header=BB292_12 Depth=1
	s_or_b32 exec_lo, exec_lo, s3
	v_cmp_ne_u32_e64 s2, 0, v3
	s_delay_alu instid0(VALU_DEP_1)
	s_and_saveexec_b32 s4, s2
	s_cbranch_execnz .LBB292_65
.LBB292_38:                             ;   in Loop: Header=BB292_12 Depth=1
	s_or_b32 exec_lo, exec_lo, s4
	v_cmp_ne_u32_e64 s3, 0, v4
	s_delay_alu instid0(VALU_DEP_1)
	s_and_saveexec_b32 s43, s3
	s_cbranch_execnz .LBB292_70
.LBB292_39:                             ;   in Loop: Header=BB292_12 Depth=1
	s_or_b32 exec_lo, exec_lo, s43
	v_add_nc_u32_e32 v78, s19, v76
	s_and_saveexec_b32 s43, vcc_lo
	s_cbranch_execnz .LBB292_75
.LBB292_40:                             ;   in Loop: Header=BB292_12 Depth=1
	s_or_b32 exec_lo, exec_lo, s43
	s_and_saveexec_b32 s43, s1
	s_cbranch_execnz .LBB292_80
.LBB292_41:                             ;   in Loop: Header=BB292_12 Depth=1
	s_or_b32 exec_lo, exec_lo, s43
	s_and_saveexec_b32 s43, s2
	s_cbranch_execnz .LBB292_85
.LBB292_42:                             ;   in Loop: Header=BB292_12 Depth=1
	s_or_b32 exec_lo, exec_lo, s43
	s_and_saveexec_b32 s43, s3
	s_cbranch_execnz .LBB292_90
.LBB292_43:                             ;   in Loop: Header=BB292_12 Depth=1
	s_or_b32 exec_lo, exec_lo, s43
	v_add_nc_u32_e32 v78, s19, v78
	s_and_saveexec_b32 s43, vcc_lo
	s_cbranch_execnz .LBB292_95
.LBB292_44:                             ;   in Loop: Header=BB292_12 Depth=1
	s_or_b32 exec_lo, exec_lo, s43
	s_and_saveexec_b32 s43, s1
	s_cbranch_execnz .LBB292_100
.LBB292_45:                             ;   in Loop: Header=BB292_12 Depth=1
	s_or_b32 exec_lo, exec_lo, s43
	s_and_saveexec_b32 s43, s2
	s_cbranch_execnz .LBB292_105
.LBB292_46:                             ;   in Loop: Header=BB292_12 Depth=1
	s_or_b32 exec_lo, exec_lo, s43
	s_and_saveexec_b32 s43, s3
	s_cbranch_execnz .LBB292_110
.LBB292_47:                             ;   in Loop: Header=BB292_12 Depth=1
	s_or_b32 exec_lo, exec_lo, s43
	v_add_nc_u32_e32 v78, s19, v78
	s_and_saveexec_b32 s43, vcc_lo
	s_cbranch_execnz .LBB292_115
.LBB292_48:                             ;   in Loop: Header=BB292_12 Depth=1
	s_or_b32 exec_lo, exec_lo, s43
	s_and_saveexec_b32 s43, s1
	s_cbranch_execnz .LBB292_120
.LBB292_49:                             ;   in Loop: Header=BB292_12 Depth=1
	s_or_b32 exec_lo, exec_lo, s43
	s_and_saveexec_b32 s43, s2
	s_cbranch_execnz .LBB292_125
.LBB292_50:                             ;   in Loop: Header=BB292_12 Depth=1
	s_or_b32 exec_lo, exec_lo, s43
	s_and_saveexec_b32 s43, s3
	s_cbranch_execnz .LBB292_130
.LBB292_51:                             ;   in Loop: Header=BB292_12 Depth=1
	s_or_b32 exec_lo, exec_lo, s43
	v_add_nc_u32_e32 v78, s19, v78
	s_and_saveexec_b32 s4, vcc_lo
	s_cbranch_execnz .LBB292_135
.LBB292_52:                             ;   in Loop: Header=BB292_12 Depth=1
	s_or_b32 exec_lo, exec_lo, s4
	s_and_saveexec_b32 s4, s1
	s_cbranch_execnz .LBB292_140
.LBB292_53:                             ;   in Loop: Header=BB292_12 Depth=1
	s_or_b32 exec_lo, exec_lo, s4
	s_and_saveexec_b32 s1, s2
	s_cbranch_execnz .LBB292_145
.LBB292_54:                             ;   in Loop: Header=BB292_12 Depth=1
	s_or_b32 exec_lo, exec_lo, s1
	s_delay_alu instid0(SALU_CYCLE_1)
	s_and_b32 exec_lo, exec_lo, s3
	s_cbranch_execnz .LBB292_150
	s_branch .LBB292_155
.LBB292_55:                             ;   in Loop: Header=BB292_12 Depth=1
	s_waitcnt lgkmcnt(16)
	v_add_f32_e32 v52, v52, v53
	s_waitcnt vmcnt(19)
	v_lshlrev_b32_e32 v53, 16, v65
	s_delay_alu instid0(VALU_DEP_1) | instskip(NEXT) | instid1(VALU_DEP_1)
	v_add_f32_e32 v53, v52, v53
	v_and_b32_e32 v52, 0x7f800000, v53
	s_delay_alu instid0(VALU_DEP_1) | instskip(NEXT) | instid1(VALU_DEP_1)
	v_cmp_ne_u32_e64 s1, 0x7f800000, v52
                                        ; implicit-def: $vgpr52
	s_and_saveexec_b32 s3, s1
	s_delay_alu instid0(SALU_CYCLE_1)
	s_xor_b32 s1, exec_lo, s3
; %bb.56:                               ;   in Loop: Header=BB292_12 Depth=1
	v_bfe_u32 v52, v53, 16, 1
	s_delay_alu instid0(VALU_DEP_1)
	v_add3_u32 v52, v53, v52, 0x7fff
                                        ; implicit-def: $vgpr53
; %bb.57:                               ;   in Loop: Header=BB292_12 Depth=1
	s_and_not1_saveexec_b32 s3, s1
; %bb.58:                               ;   in Loop: Header=BB292_12 Depth=1
	v_and_b32_e32 v52, 0xffff, v53
	v_or_b32_e32 v65, 0x10000, v53
	s_delay_alu instid0(VALU_DEP_2) | instskip(NEXT) | instid1(VALU_DEP_1)
	v_cmp_eq_u32_e64 s1, 0, v52
	v_cndmask_b32_e64 v52, v65, v53, s1
; %bb.59:                               ;   in Loop: Header=BB292_12 Depth=1
	s_or_b32 exec_lo, exec_lo, s3
	v_mov_b32_e32 v77, v79
	s_delay_alu instid0(VALU_DEP_1) | instskip(NEXT) | instid1(VALU_DEP_1)
	v_lshlrev_b64 v[65:66], 1, v[76:77]
	v_add_co_u32 v65, s1, s6, v65
	s_delay_alu instid0(VALU_DEP_1) | instskip(SKIP_3) | instid1(VALU_DEP_1)
	v_add_co_ci_u32_e64 v66, s1, s7, v66, s1
	global_store_d16_hi_b16 v[65:66], v52, off
	s_or_b32 exec_lo, exec_lo, s2
	v_cmp_ne_u32_e64 s1, 0, v2
	s_and_saveexec_b32 s3, s1
	s_cbranch_execz .LBB292_37
.LBB292_60:                             ;   in Loop: Header=BB292_12 Depth=1
	s_waitcnt vmcnt(18) lgkmcnt(19)
	v_dual_add_f32 v49, v49, v50 :: v_dual_lshlrev_b32 v50, 16, v64
	s_delay_alu instid0(VALU_DEP_1) | instskip(NEXT) | instid1(VALU_DEP_1)
	v_add_f32_e32 v50, v49, v50
	v_and_b32_e32 v49, 0x7f800000, v50
	s_delay_alu instid0(VALU_DEP_1) | instskip(NEXT) | instid1(VALU_DEP_1)
	v_cmp_ne_u32_e64 s2, 0x7f800000, v49
                                        ; implicit-def: $vgpr49
	s_and_saveexec_b32 s4, s2
	s_delay_alu instid0(SALU_CYCLE_1)
	s_xor_b32 s2, exec_lo, s4
; %bb.61:                               ;   in Loop: Header=BB292_12 Depth=1
	v_bfe_u32 v49, v50, 16, 1
	s_delay_alu instid0(VALU_DEP_1)
	v_add3_u32 v49, v50, v49, 0x7fff
                                        ; implicit-def: $vgpr50
; %bb.62:                               ;   in Loop: Header=BB292_12 Depth=1
	s_and_not1_saveexec_b32 s4, s2
; %bb.63:                               ;   in Loop: Header=BB292_12 Depth=1
	v_and_b32_e32 v49, 0xffff, v50
	v_or_b32_e32 v52, 0x10000, v50
	s_delay_alu instid0(VALU_DEP_2) | instskip(NEXT) | instid1(VALU_DEP_1)
	v_cmp_eq_u32_e64 s2, 0, v49
	v_cndmask_b32_e64 v49, v52, v50, s2
; %bb.64:                               ;   in Loop: Header=BB292_12 Depth=1
	s_or_b32 exec_lo, exec_lo, s4
	v_mov_b32_e32 v77, v79
	s_waitcnt lgkmcnt(16)
	s_delay_alu instid0(VALU_DEP_1) | instskip(NEXT) | instid1(VALU_DEP_1)
	v_lshlrev_b64 v[52:53], 1, v[76:77]
	v_add_co_u32 v52, s2, s36, v52
	s_delay_alu instid0(VALU_DEP_1) | instskip(SKIP_3) | instid1(VALU_DEP_1)
	v_add_co_ci_u32_e64 v53, s2, s37, v53, s2
	global_store_d16_hi_b16 v[52:53], v49, off
	s_or_b32 exec_lo, exec_lo, s3
	v_cmp_ne_u32_e64 s2, 0, v3
	s_and_saveexec_b32 s4, s2
	s_cbranch_execz .LBB292_38
.LBB292_65:                             ;   in Loop: Header=BB292_12 Depth=1
	s_waitcnt lgkmcnt(18)
	v_add_f32_e32 v46, v46, v47
	s_waitcnt vmcnt(17)
	v_lshlrev_b32_e32 v47, 16, v63
	s_delay_alu instid0(VALU_DEP_1) | instskip(NEXT) | instid1(VALU_DEP_1)
	v_add_f32_e32 v47, v46, v47
	v_and_b32_e32 v46, 0x7f800000, v47
	s_delay_alu instid0(VALU_DEP_1) | instskip(NEXT) | instid1(VALU_DEP_1)
	v_cmp_ne_u32_e64 s3, 0x7f800000, v46
                                        ; implicit-def: $vgpr46
	s_and_saveexec_b32 s43, s3
	s_delay_alu instid0(SALU_CYCLE_1)
	s_xor_b32 s3, exec_lo, s43
; %bb.66:                               ;   in Loop: Header=BB292_12 Depth=1
	v_bfe_u32 v46, v47, 16, 1
	s_delay_alu instid0(VALU_DEP_1)
	v_add3_u32 v46, v47, v46, 0x7fff
                                        ; implicit-def: $vgpr47
; %bb.67:                               ;   in Loop: Header=BB292_12 Depth=1
	s_and_not1_saveexec_b32 s43, s3
; %bb.68:                               ;   in Loop: Header=BB292_12 Depth=1
	v_and_b32_e32 v46, 0xffff, v47
	v_or_b32_e32 v49, 0x10000, v47
	s_delay_alu instid0(VALU_DEP_2) | instskip(NEXT) | instid1(VALU_DEP_1)
	v_cmp_eq_u32_e64 s3, 0, v46
	v_cndmask_b32_e64 v46, v49, v47, s3
; %bb.69:                               ;   in Loop: Header=BB292_12 Depth=1
	s_or_b32 exec_lo, exec_lo, s43
	v_lshlrev_b64 v[49:50], 1, v[78:79]
	s_delay_alu instid0(VALU_DEP_1) | instskip(NEXT) | instid1(VALU_DEP_1)
	v_add_co_u32 v49, s3, s6, v49
	v_add_co_ci_u32_e64 v50, s3, s7, v50, s3
	global_store_d16_hi_b16 v[49:50], v46, off
	s_or_b32 exec_lo, exec_lo, s4
	v_cmp_ne_u32_e64 s3, 0, v4
	s_delay_alu instid0(VALU_DEP_1)
	s_and_saveexec_b32 s43, s3
	s_cbranch_execz .LBB292_39
.LBB292_70:                             ;   in Loop: Header=BB292_12 Depth=1
	s_waitcnt lgkmcnt(15)
	v_add_f32_e32 v6, v6, v44
	s_waitcnt vmcnt(16)
	v_lshlrev_b32_e32 v44, 16, v62
	s_delay_alu instid0(VALU_DEP_1) | instskip(NEXT) | instid1(VALU_DEP_1)
	v_add_f32_e32 v6, v6, v44
	v_and_b32_e32 v44, 0x7f800000, v6
	s_delay_alu instid0(VALU_DEP_1) | instskip(NEXT) | instid1(VALU_DEP_1)
	v_cmp_ne_u32_e64 s4, 0x7f800000, v44
                                        ; implicit-def: $vgpr44
	s_and_saveexec_b32 s44, s4
	s_delay_alu instid0(SALU_CYCLE_1)
	s_xor_b32 s4, exec_lo, s44
; %bb.71:                               ;   in Loop: Header=BB292_12 Depth=1
	v_bfe_u32 v44, v6, 16, 1
	s_delay_alu instid0(VALU_DEP_1)
	v_add3_u32 v44, v6, v44, 0x7fff
                                        ; implicit-def: $vgpr6
; %bb.72:                               ;   in Loop: Header=BB292_12 Depth=1
	s_and_not1_saveexec_b32 s44, s4
; %bb.73:                               ;   in Loop: Header=BB292_12 Depth=1
	v_and_b32_e32 v44, 0xffff, v6
	v_or_b32_e32 v46, 0x10000, v6
	s_delay_alu instid0(VALU_DEP_2) | instskip(NEXT) | instid1(VALU_DEP_1)
	v_cmp_eq_u32_e64 s4, 0, v44
	v_cndmask_b32_e64 v44, v46, v6, s4
; %bb.74:                               ;   in Loop: Header=BB292_12 Depth=1
	s_or_b32 exec_lo, exec_lo, s44
	v_mov_b32_e32 v6, v79
	s_delay_alu instid0(VALU_DEP_1) | instskip(NEXT) | instid1(VALU_DEP_1)
	v_lshlrev_b64 v[5:6], 1, v[5:6]
	v_add_co_u32 v5, s4, s6, v5
	s_delay_alu instid0(VALU_DEP_1)
	v_add_co_ci_u32_e64 v6, s4, s7, v6, s4
	global_store_d16_hi_b16 v[5:6], v44, off
	s_or_b32 exec_lo, exec_lo, s43
	v_add_nc_u32_e32 v78, s19, v76
	s_and_saveexec_b32 s43, vcc_lo
	s_cbranch_execz .LBB292_40
.LBB292_75:                             ;   in Loop: Header=BB292_12 Depth=1
	s_waitcnt vmcnt(15) lgkmcnt(17)
	v_dual_add_f32 v5, v39, v40 :: v_dual_lshlrev_b32 v6, 16, v61
	s_delay_alu instid0(VALU_DEP_1) | instskip(NEXT) | instid1(VALU_DEP_1)
	v_add_f32_e32 v6, v5, v6
	v_and_b32_e32 v5, 0x7f800000, v6
	s_delay_alu instid0(VALU_DEP_1) | instskip(NEXT) | instid1(VALU_DEP_1)
	v_cmp_ne_u32_e64 s4, 0x7f800000, v5
                                        ; implicit-def: $vgpr5
	s_and_saveexec_b32 s44, s4
	s_delay_alu instid0(SALU_CYCLE_1)
	s_xor_b32 s4, exec_lo, s44
; %bb.76:                               ;   in Loop: Header=BB292_12 Depth=1
	v_bfe_u32 v5, v6, 16, 1
	s_delay_alu instid0(VALU_DEP_1)
	v_add3_u32 v5, v6, v5, 0x7fff
                                        ; implicit-def: $vgpr6
; %bb.77:                               ;   in Loop: Header=BB292_12 Depth=1
	s_and_not1_saveexec_b32 s44, s4
; %bb.78:                               ;   in Loop: Header=BB292_12 Depth=1
	v_and_b32_e32 v5, 0xffff, v6
	v_or_b32_e32 v39, 0x10000, v6
	s_delay_alu instid0(VALU_DEP_2) | instskip(NEXT) | instid1(VALU_DEP_1)
	v_cmp_eq_u32_e64 s4, 0, v5
	v_cndmask_b32_e64 v5, v39, v6, s4
; %bb.79:                               ;   in Loop: Header=BB292_12 Depth=1
	s_or_b32 exec_lo, exec_lo, s44
	v_lshlrev_b64 v[39:40], 1, v[78:79]
	s_delay_alu instid0(VALU_DEP_1) | instskip(NEXT) | instid1(VALU_DEP_1)
	v_add_co_u32 v39, s4, s6, v39
	v_add_co_ci_u32_e64 v40, s4, s7, v40, s4
	global_store_d16_hi_b16 v[39:40], v5, off
	s_or_b32 exec_lo, exec_lo, s43
	s_and_saveexec_b32 s43, s1
	s_cbranch_execz .LBB292_41
.LBB292_80:                             ;   in Loop: Header=BB292_12 Depth=1
	s_waitcnt vmcnt(14) lgkmcnt(14)
	v_dual_add_f32 v5, v42, v43 :: v_dual_lshlrev_b32 v6, 16, v60
	s_delay_alu instid0(VALU_DEP_1) | instskip(NEXT) | instid1(VALU_DEP_1)
	v_add_f32_e32 v6, v5, v6
	v_and_b32_e32 v5, 0x7f800000, v6
	s_delay_alu instid0(VALU_DEP_1) | instskip(NEXT) | instid1(VALU_DEP_1)
	v_cmp_ne_u32_e64 s4, 0x7f800000, v5
                                        ; implicit-def: $vgpr5
	s_and_saveexec_b32 s44, s4
	s_delay_alu instid0(SALU_CYCLE_1)
	s_xor_b32 s4, exec_lo, s44
; %bb.81:                               ;   in Loop: Header=BB292_12 Depth=1
	v_bfe_u32 v5, v6, 16, 1
	s_delay_alu instid0(VALU_DEP_1)
	v_add3_u32 v5, v6, v5, 0x7fff
                                        ; implicit-def: $vgpr6
; %bb.82:                               ;   in Loop: Header=BB292_12 Depth=1
	s_and_not1_saveexec_b32 s44, s4
; %bb.83:                               ;   in Loop: Header=BB292_12 Depth=1
	v_and_b32_e32 v5, 0xffff, v6
	v_or_b32_e32 v39, 0x10000, v6
	s_delay_alu instid0(VALU_DEP_2) | instskip(NEXT) | instid1(VALU_DEP_1)
	v_cmp_eq_u32_e64 s4, 0, v5
	v_cndmask_b32_e64 v5, v39, v6, s4
; %bb.84:                               ;   in Loop: Header=BB292_12 Depth=1
	s_or_b32 exec_lo, exec_lo, s44
	v_dual_mov_b32 v40, v79 :: v_dual_add_nc_u32 v39, 1, v78
	s_delay_alu instid0(VALU_DEP_1) | instskip(NEXT) | instid1(VALU_DEP_1)
	v_lshlrev_b64 v[39:40], 1, v[39:40]
	v_add_co_u32 v39, s4, s6, v39
	s_delay_alu instid0(VALU_DEP_1)
	v_add_co_ci_u32_e64 v40, s4, s7, v40, s4
	global_store_d16_hi_b16 v[39:40], v5, off
	s_or_b32 exec_lo, exec_lo, s43
	s_and_saveexec_b32 s43, s2
	s_cbranch_execz .LBB292_42
.LBB292_85:                             ;   in Loop: Header=BB292_12 Depth=1
	s_waitcnt lgkmcnt(13)
	v_add_f32_e32 v5, v37, v38
	s_waitcnt vmcnt(13)
	v_lshlrev_b32_e32 v6, 16, v58
	s_delay_alu instid0(VALU_DEP_1) | instskip(NEXT) | instid1(VALU_DEP_1)
	v_add_f32_e32 v6, v5, v6
	v_and_b32_e32 v5, 0x7f800000, v6
	s_delay_alu instid0(VALU_DEP_1) | instskip(NEXT) | instid1(VALU_DEP_1)
	v_cmp_ne_u32_e64 s4, 0x7f800000, v5
                                        ; implicit-def: $vgpr5
	s_and_saveexec_b32 s44, s4
	s_delay_alu instid0(SALU_CYCLE_1)
	s_xor_b32 s4, exec_lo, s44
; %bb.86:                               ;   in Loop: Header=BB292_12 Depth=1
	v_bfe_u32 v5, v6, 16, 1
	s_delay_alu instid0(VALU_DEP_1)
	v_add3_u32 v5, v6, v5, 0x7fff
                                        ; implicit-def: $vgpr6
; %bb.87:                               ;   in Loop: Header=BB292_12 Depth=1
	s_and_not1_saveexec_b32 s44, s4
; %bb.88:                               ;   in Loop: Header=BB292_12 Depth=1
	v_and_b32_e32 v5, 0xffff, v6
	v_or_b32_e32 v37, 0x10000, v6
	s_delay_alu instid0(VALU_DEP_2) | instskip(NEXT) | instid1(VALU_DEP_1)
	v_cmp_eq_u32_e64 s4, 0, v5
	v_cndmask_b32_e64 v5, v37, v6, s4
; %bb.89:                               ;   in Loop: Header=BB292_12 Depth=1
	s_or_b32 exec_lo, exec_lo, s44
	v_dual_mov_b32 v38, v79 :: v_dual_add_nc_u32 v37, 2, v78
	s_delay_alu instid0(VALU_DEP_1) | instskip(NEXT) | instid1(VALU_DEP_1)
	v_lshlrev_b64 v[37:38], 1, v[37:38]
	v_add_co_u32 v37, s4, s6, v37
	s_delay_alu instid0(VALU_DEP_1)
	v_add_co_ci_u32_e64 v38, s4, s7, v38, s4
	global_store_d16_hi_b16 v[37:38], v5, off
	s_or_b32 exec_lo, exec_lo, s43
	s_and_saveexec_b32 s43, s3
	s_cbranch_execz .LBB292_43
.LBB292_90:                             ;   in Loop: Header=BB292_12 Depth=1
	s_waitcnt vmcnt(12) lgkmcnt(12)
	v_dual_add_f32 v5, v34, v35 :: v_dual_lshlrev_b32 v6, 16, v56
	s_delay_alu instid0(VALU_DEP_1) | instskip(NEXT) | instid1(VALU_DEP_1)
	v_add_f32_e32 v6, v5, v6
	v_and_b32_e32 v5, 0x7f800000, v6
	s_delay_alu instid0(VALU_DEP_1) | instskip(NEXT) | instid1(VALU_DEP_1)
	v_cmp_ne_u32_e64 s4, 0x7f800000, v5
                                        ; implicit-def: $vgpr5
	s_and_saveexec_b32 s44, s4
	s_delay_alu instid0(SALU_CYCLE_1)
	s_xor_b32 s4, exec_lo, s44
; %bb.91:                               ;   in Loop: Header=BB292_12 Depth=1
	v_bfe_u32 v5, v6, 16, 1
	s_delay_alu instid0(VALU_DEP_1)
	v_add3_u32 v5, v6, v5, 0x7fff
                                        ; implicit-def: $vgpr6
; %bb.92:                               ;   in Loop: Header=BB292_12 Depth=1
	s_and_not1_saveexec_b32 s44, s4
; %bb.93:                               ;   in Loop: Header=BB292_12 Depth=1
	v_and_b32_e32 v5, 0xffff, v6
	v_or_b32_e32 v34, 0x10000, v6
	s_delay_alu instid0(VALU_DEP_2) | instskip(NEXT) | instid1(VALU_DEP_1)
	v_cmp_eq_u32_e64 s4, 0, v5
	v_cndmask_b32_e64 v5, v34, v6, s4
; %bb.94:                               ;   in Loop: Header=BB292_12 Depth=1
	s_or_b32 exec_lo, exec_lo, s44
	v_dual_mov_b32 v35, v79 :: v_dual_add_nc_u32 v34, 3, v78
	s_delay_alu instid0(VALU_DEP_1) | instskip(NEXT) | instid1(VALU_DEP_1)
	v_lshlrev_b64 v[34:35], 1, v[34:35]
	v_add_co_u32 v34, s4, s6, v34
	s_delay_alu instid0(VALU_DEP_1)
	v_add_co_ci_u32_e64 v35, s4, s7, v35, s4
	global_store_d16_hi_b16 v[34:35], v5, off
	s_or_b32 exec_lo, exec_lo, s43
	v_add_nc_u32_e32 v78, s19, v78
	s_and_saveexec_b32 s43, vcc_lo
	s_cbranch_execz .LBB292_44
.LBB292_95:                             ;   in Loop: Header=BB292_12 Depth=1
	s_waitcnt vmcnt(11) lgkmcnt(11)
	v_dual_add_f32 v5, v31, v32 :: v_dual_lshlrev_b32 v6, 16, v59
	s_delay_alu instid0(VALU_DEP_1) | instskip(NEXT) | instid1(VALU_DEP_1)
	v_add_f32_e32 v6, v5, v6
	v_and_b32_e32 v5, 0x7f800000, v6
	s_delay_alu instid0(VALU_DEP_1) | instskip(NEXT) | instid1(VALU_DEP_1)
	v_cmp_ne_u32_e64 s4, 0x7f800000, v5
                                        ; implicit-def: $vgpr5
	s_and_saveexec_b32 s44, s4
	s_delay_alu instid0(SALU_CYCLE_1)
	s_xor_b32 s4, exec_lo, s44
; %bb.96:                               ;   in Loop: Header=BB292_12 Depth=1
	v_bfe_u32 v5, v6, 16, 1
	s_delay_alu instid0(VALU_DEP_1)
	v_add3_u32 v5, v6, v5, 0x7fff
                                        ; implicit-def: $vgpr6
; %bb.97:                               ;   in Loop: Header=BB292_12 Depth=1
	s_and_not1_saveexec_b32 s44, s4
; %bb.98:                               ;   in Loop: Header=BB292_12 Depth=1
	v_and_b32_e32 v5, 0xffff, v6
	v_or_b32_e32 v31, 0x10000, v6
	s_delay_alu instid0(VALU_DEP_2) | instskip(NEXT) | instid1(VALU_DEP_1)
	v_cmp_eq_u32_e64 s4, 0, v5
	v_cndmask_b32_e64 v5, v31, v6, s4
; %bb.99:                               ;   in Loop: Header=BB292_12 Depth=1
	s_or_b32 exec_lo, exec_lo, s44
	v_lshlrev_b64 v[31:32], 1, v[78:79]
	s_delay_alu instid0(VALU_DEP_1) | instskip(NEXT) | instid1(VALU_DEP_1)
	v_add_co_u32 v31, s4, s6, v31
	v_add_co_ci_u32_e64 v32, s4, s7, v32, s4
	global_store_d16_hi_b16 v[31:32], v5, off
	s_or_b32 exec_lo, exec_lo, s43
	s_and_saveexec_b32 s43, s1
	s_cbranch_execz .LBB292_45
.LBB292_100:                            ;   in Loop: Header=BB292_12 Depth=1
	s_waitcnt vmcnt(10) lgkmcnt(10)
	v_dual_add_f32 v5, v26, v27 :: v_dual_lshlrev_b32 v6, 16, v57
	s_delay_alu instid0(VALU_DEP_1) | instskip(NEXT) | instid1(VALU_DEP_1)
	v_add_f32_e32 v6, v5, v6
	v_and_b32_e32 v5, 0x7f800000, v6
	s_delay_alu instid0(VALU_DEP_1) | instskip(NEXT) | instid1(VALU_DEP_1)
	v_cmp_ne_u32_e64 s4, 0x7f800000, v5
                                        ; implicit-def: $vgpr5
	s_and_saveexec_b32 s44, s4
	s_delay_alu instid0(SALU_CYCLE_1)
	s_xor_b32 s4, exec_lo, s44
; %bb.101:                              ;   in Loop: Header=BB292_12 Depth=1
	v_bfe_u32 v5, v6, 16, 1
	s_delay_alu instid0(VALU_DEP_1)
	v_add3_u32 v5, v6, v5, 0x7fff
                                        ; implicit-def: $vgpr6
; %bb.102:                              ;   in Loop: Header=BB292_12 Depth=1
	s_and_not1_saveexec_b32 s44, s4
; %bb.103:                              ;   in Loop: Header=BB292_12 Depth=1
	v_and_b32_e32 v5, 0xffff, v6
	v_or_b32_e32 v26, 0x10000, v6
	s_delay_alu instid0(VALU_DEP_2) | instskip(NEXT) | instid1(VALU_DEP_1)
	v_cmp_eq_u32_e64 s4, 0, v5
	v_cndmask_b32_e64 v5, v26, v6, s4
; %bb.104:                              ;   in Loop: Header=BB292_12 Depth=1
	s_or_b32 exec_lo, exec_lo, s44
	v_dual_mov_b32 v27, v79 :: v_dual_add_nc_u32 v26, 1, v78
	s_delay_alu instid0(VALU_DEP_1) | instskip(NEXT) | instid1(VALU_DEP_1)
	v_lshlrev_b64 v[26:27], 1, v[26:27]
	v_add_co_u32 v26, s4, s6, v26
	s_delay_alu instid0(VALU_DEP_1)
	v_add_co_ci_u32_e64 v27, s4, s7, v27, s4
	global_store_d16_hi_b16 v[26:27], v5, off
	s_or_b32 exec_lo, exec_lo, s43
	s_and_saveexec_b32 s43, s2
	s_cbranch_execz .LBB292_46
.LBB292_105:                            ;   in Loop: Header=BB292_12 Depth=1
	s_waitcnt vmcnt(9) lgkmcnt(8)
	v_dual_add_f32 v5, v29, v30 :: v_dual_lshlrev_b32 v6, 16, v55
	s_delay_alu instid0(VALU_DEP_1) | instskip(NEXT) | instid1(VALU_DEP_1)
	v_add_f32_e32 v6, v5, v6
	v_and_b32_e32 v5, 0x7f800000, v6
	s_delay_alu instid0(VALU_DEP_1) | instskip(NEXT) | instid1(VALU_DEP_1)
	v_cmp_ne_u32_e64 s4, 0x7f800000, v5
                                        ; implicit-def: $vgpr5
	s_and_saveexec_b32 s44, s4
	s_delay_alu instid0(SALU_CYCLE_1)
	s_xor_b32 s4, exec_lo, s44
; %bb.106:                              ;   in Loop: Header=BB292_12 Depth=1
	v_bfe_u32 v5, v6, 16, 1
	s_delay_alu instid0(VALU_DEP_1)
	v_add3_u32 v5, v6, v5, 0x7fff
                                        ; implicit-def: $vgpr6
; %bb.107:                              ;   in Loop: Header=BB292_12 Depth=1
	s_and_not1_saveexec_b32 s44, s4
; %bb.108:                              ;   in Loop: Header=BB292_12 Depth=1
	v_and_b32_e32 v5, 0xffff, v6
	v_or_b32_e32 v26, 0x10000, v6
	s_delay_alu instid0(VALU_DEP_2) | instskip(NEXT) | instid1(VALU_DEP_1)
	v_cmp_eq_u32_e64 s4, 0, v5
	v_cndmask_b32_e64 v5, v26, v6, s4
; %bb.109:                              ;   in Loop: Header=BB292_12 Depth=1
	s_or_b32 exec_lo, exec_lo, s44
	v_dual_mov_b32 v27, v79 :: v_dual_add_nc_u32 v26, 2, v78
	s_delay_alu instid0(VALU_DEP_1) | instskip(NEXT) | instid1(VALU_DEP_1)
	v_lshlrev_b64 v[26:27], 1, v[26:27]
	v_add_co_u32 v26, s4, s6, v26
	s_delay_alu instid0(VALU_DEP_1)
	v_add_co_ci_u32_e64 v27, s4, s7, v27, s4
	global_store_d16_hi_b16 v[26:27], v5, off
	s_or_b32 exec_lo, exec_lo, s43
	s_and_saveexec_b32 s43, s3
	s_cbranch_execz .LBB292_47
.LBB292_110:                            ;   in Loop: Header=BB292_12 Depth=1
	s_waitcnt vmcnt(8) lgkmcnt(9)
	v_dual_add_f32 v5, v24, v25 :: v_dual_lshlrev_b32 v6, 16, v54
	s_delay_alu instid0(VALU_DEP_1) | instskip(NEXT) | instid1(VALU_DEP_1)
	v_add_f32_e32 v6, v5, v6
	v_and_b32_e32 v5, 0x7f800000, v6
	s_delay_alu instid0(VALU_DEP_1) | instskip(NEXT) | instid1(VALU_DEP_1)
	v_cmp_ne_u32_e64 s4, 0x7f800000, v5
                                        ; implicit-def: $vgpr5
	s_and_saveexec_b32 s44, s4
	s_delay_alu instid0(SALU_CYCLE_1)
	s_xor_b32 s4, exec_lo, s44
; %bb.111:                              ;   in Loop: Header=BB292_12 Depth=1
	v_bfe_u32 v5, v6, 16, 1
	s_delay_alu instid0(VALU_DEP_1)
	v_add3_u32 v5, v6, v5, 0x7fff
                                        ; implicit-def: $vgpr6
; %bb.112:                              ;   in Loop: Header=BB292_12 Depth=1
	s_and_not1_saveexec_b32 s44, s4
; %bb.113:                              ;   in Loop: Header=BB292_12 Depth=1
	v_and_b32_e32 v5, 0xffff, v6
	v_or_b32_e32 v24, 0x10000, v6
	s_delay_alu instid0(VALU_DEP_2) | instskip(NEXT) | instid1(VALU_DEP_1)
	v_cmp_eq_u32_e64 s4, 0, v5
	v_cndmask_b32_e64 v5, v24, v6, s4
; %bb.114:                              ;   in Loop: Header=BB292_12 Depth=1
	s_or_b32 exec_lo, exec_lo, s44
	v_dual_mov_b32 v25, v79 :: v_dual_add_nc_u32 v24, 3, v78
	s_delay_alu instid0(VALU_DEP_1) | instskip(NEXT) | instid1(VALU_DEP_1)
	v_lshlrev_b64 v[24:25], 1, v[24:25]
	v_add_co_u32 v24, s4, s6, v24
	s_delay_alu instid0(VALU_DEP_1)
	v_add_co_ci_u32_e64 v25, s4, s7, v25, s4
	global_store_d16_hi_b16 v[24:25], v5, off
	s_or_b32 exec_lo, exec_lo, s43
	v_add_nc_u32_e32 v78, s19, v78
	s_and_saveexec_b32 s43, vcc_lo
	s_cbranch_execz .LBB292_48
.LBB292_115:                            ;   in Loop: Header=BB292_12 Depth=1
	s_waitcnt vmcnt(7) lgkmcnt(6)
	v_dual_add_f32 v5, v21, v22 :: v_dual_lshlrev_b32 v6, 16, v51
	s_delay_alu instid0(VALU_DEP_1) | instskip(NEXT) | instid1(VALU_DEP_1)
	v_add_f32_e32 v6, v5, v6
	v_and_b32_e32 v5, 0x7f800000, v6
	s_delay_alu instid0(VALU_DEP_1) | instskip(NEXT) | instid1(VALU_DEP_1)
	v_cmp_ne_u32_e64 s4, 0x7f800000, v5
                                        ; implicit-def: $vgpr5
	s_and_saveexec_b32 s44, s4
	s_delay_alu instid0(SALU_CYCLE_1)
	s_xor_b32 s4, exec_lo, s44
; %bb.116:                              ;   in Loop: Header=BB292_12 Depth=1
	v_bfe_u32 v5, v6, 16, 1
	s_delay_alu instid0(VALU_DEP_1)
	v_add3_u32 v5, v6, v5, 0x7fff
                                        ; implicit-def: $vgpr6
; %bb.117:                              ;   in Loop: Header=BB292_12 Depth=1
	s_and_not1_saveexec_b32 s44, s4
; %bb.118:                              ;   in Loop: Header=BB292_12 Depth=1
	v_and_b32_e32 v5, 0xffff, v6
	v_or_b32_e32 v21, 0x10000, v6
	s_delay_alu instid0(VALU_DEP_2) | instskip(NEXT) | instid1(VALU_DEP_1)
	v_cmp_eq_u32_e64 s4, 0, v5
	v_cndmask_b32_e64 v5, v21, v6, s4
; %bb.119:                              ;   in Loop: Header=BB292_12 Depth=1
	s_or_b32 exec_lo, exec_lo, s44
	v_lshlrev_b64 v[21:22], 1, v[78:79]
	s_delay_alu instid0(VALU_DEP_1) | instskip(NEXT) | instid1(VALU_DEP_1)
	v_add_co_u32 v21, s4, s6, v21
	v_add_co_ci_u32_e64 v22, s4, s7, v22, s4
	global_store_d16_hi_b16 v[21:22], v5, off
	s_or_b32 exec_lo, exec_lo, s43
	s_and_saveexec_b32 s43, s1
	s_cbranch_execz .LBB292_49
.LBB292_120:                            ;   in Loop: Header=BB292_12 Depth=1
	s_waitcnt lgkmcnt(7)
	v_add_f32_e32 v5, v19, v20
	s_waitcnt vmcnt(6)
	v_lshlrev_b32_e32 v6, 16, v48
	s_delay_alu instid0(VALU_DEP_1) | instskip(NEXT) | instid1(VALU_DEP_1)
	v_add_f32_e32 v6, v5, v6
	v_and_b32_e32 v5, 0x7f800000, v6
	s_delay_alu instid0(VALU_DEP_1) | instskip(NEXT) | instid1(VALU_DEP_1)
	v_cmp_ne_u32_e64 s4, 0x7f800000, v5
                                        ; implicit-def: $vgpr5
	s_and_saveexec_b32 s44, s4
	s_delay_alu instid0(SALU_CYCLE_1)
	s_xor_b32 s4, exec_lo, s44
; %bb.121:                              ;   in Loop: Header=BB292_12 Depth=1
	v_bfe_u32 v5, v6, 16, 1
	s_delay_alu instid0(VALU_DEP_1)
	v_add3_u32 v5, v6, v5, 0x7fff
                                        ; implicit-def: $vgpr6
; %bb.122:                              ;   in Loop: Header=BB292_12 Depth=1
	s_and_not1_saveexec_b32 s44, s4
; %bb.123:                              ;   in Loop: Header=BB292_12 Depth=1
	v_and_b32_e32 v5, 0xffff, v6
	v_or_b32_e32 v19, 0x10000, v6
	s_delay_alu instid0(VALU_DEP_2) | instskip(NEXT) | instid1(VALU_DEP_1)
	v_cmp_eq_u32_e64 s4, 0, v5
	v_cndmask_b32_e64 v5, v19, v6, s4
; %bb.124:                              ;   in Loop: Header=BB292_12 Depth=1
	s_or_b32 exec_lo, exec_lo, s44
	v_dual_mov_b32 v20, v79 :: v_dual_add_nc_u32 v19, 1, v78
	s_delay_alu instid0(VALU_DEP_1) | instskip(NEXT) | instid1(VALU_DEP_1)
	v_lshlrev_b64 v[19:20], 1, v[19:20]
	v_add_co_u32 v19, s4, s6, v19
	s_delay_alu instid0(VALU_DEP_1)
	v_add_co_ci_u32_e64 v20, s4, s7, v20, s4
	global_store_d16_hi_b16 v[19:20], v5, off
	s_or_b32 exec_lo, exec_lo, s43
	s_and_saveexec_b32 s43, s2
	s_cbranch_execz .LBB292_50
.LBB292_125:                            ;   in Loop: Header=BB292_12 Depth=1
	s_waitcnt vmcnt(5) lgkmcnt(5)
	v_dual_add_f32 v5, v15, v16 :: v_dual_lshlrev_b32 v6, 16, v45
	s_delay_alu instid0(VALU_DEP_1) | instskip(NEXT) | instid1(VALU_DEP_1)
	v_add_f32_e32 v6, v5, v6
	v_and_b32_e32 v5, 0x7f800000, v6
	s_delay_alu instid0(VALU_DEP_1) | instskip(NEXT) | instid1(VALU_DEP_1)
	v_cmp_ne_u32_e64 s4, 0x7f800000, v5
                                        ; implicit-def: $vgpr5
	s_and_saveexec_b32 s44, s4
	s_delay_alu instid0(SALU_CYCLE_1)
	s_xor_b32 s4, exec_lo, s44
; %bb.126:                              ;   in Loop: Header=BB292_12 Depth=1
	v_bfe_u32 v5, v6, 16, 1
	s_delay_alu instid0(VALU_DEP_1)
	v_add3_u32 v5, v6, v5, 0x7fff
                                        ; implicit-def: $vgpr6
; %bb.127:                              ;   in Loop: Header=BB292_12 Depth=1
	s_and_not1_saveexec_b32 s44, s4
; %bb.128:                              ;   in Loop: Header=BB292_12 Depth=1
	v_and_b32_e32 v5, 0xffff, v6
	v_or_b32_e32 v15, 0x10000, v6
	s_delay_alu instid0(VALU_DEP_2) | instskip(NEXT) | instid1(VALU_DEP_1)
	v_cmp_eq_u32_e64 s4, 0, v5
	v_cndmask_b32_e64 v5, v15, v6, s4
; %bb.129:                              ;   in Loop: Header=BB292_12 Depth=1
	s_or_b32 exec_lo, exec_lo, s44
	v_dual_mov_b32 v16, v79 :: v_dual_add_nc_u32 v15, 2, v78
	s_delay_alu instid0(VALU_DEP_1) | instskip(NEXT) | instid1(VALU_DEP_1)
	v_lshlrev_b64 v[15:16], 1, v[15:16]
	v_add_co_u32 v15, s4, s6, v15
	s_delay_alu instid0(VALU_DEP_1)
	v_add_co_ci_u32_e64 v16, s4, s7, v16, s4
	global_store_d16_hi_b16 v[15:16], v5, off
	s_or_b32 exec_lo, exec_lo, s43
	s_and_saveexec_b32 s43, s3
	s_cbranch_execz .LBB292_51
.LBB292_130:                            ;   in Loop: Header=BB292_12 Depth=1
	s_waitcnt vmcnt(4) lgkmcnt(4)
	v_dual_add_f32 v5, v17, v18 :: v_dual_lshlrev_b32 v6, 16, v41
	s_delay_alu instid0(VALU_DEP_1) | instskip(NEXT) | instid1(VALU_DEP_1)
	v_add_f32_e32 v6, v5, v6
	v_and_b32_e32 v5, 0x7f800000, v6
	s_delay_alu instid0(VALU_DEP_1) | instskip(NEXT) | instid1(VALU_DEP_1)
	v_cmp_ne_u32_e64 s4, 0x7f800000, v5
                                        ; implicit-def: $vgpr5
	s_and_saveexec_b32 s44, s4
	s_delay_alu instid0(SALU_CYCLE_1)
	s_xor_b32 s4, exec_lo, s44
; %bb.131:                              ;   in Loop: Header=BB292_12 Depth=1
	v_bfe_u32 v5, v6, 16, 1
	s_delay_alu instid0(VALU_DEP_1)
	v_add3_u32 v5, v6, v5, 0x7fff
                                        ; implicit-def: $vgpr6
; %bb.132:                              ;   in Loop: Header=BB292_12 Depth=1
	s_and_not1_saveexec_b32 s44, s4
; %bb.133:                              ;   in Loop: Header=BB292_12 Depth=1
	v_and_b32_e32 v5, 0xffff, v6
	v_or_b32_e32 v15, 0x10000, v6
	s_delay_alu instid0(VALU_DEP_2) | instskip(NEXT) | instid1(VALU_DEP_1)
	v_cmp_eq_u32_e64 s4, 0, v5
	v_cndmask_b32_e64 v5, v15, v6, s4
; %bb.134:                              ;   in Loop: Header=BB292_12 Depth=1
	s_or_b32 exec_lo, exec_lo, s44
	v_dual_mov_b32 v16, v79 :: v_dual_add_nc_u32 v15, 3, v78
	s_delay_alu instid0(VALU_DEP_1) | instskip(NEXT) | instid1(VALU_DEP_1)
	v_lshlrev_b64 v[15:16], 1, v[15:16]
	v_add_co_u32 v15, s4, s6, v15
	s_delay_alu instid0(VALU_DEP_1)
	v_add_co_ci_u32_e64 v16, s4, s7, v16, s4
	global_store_d16_hi_b16 v[15:16], v5, off
	s_or_b32 exec_lo, exec_lo, s43
	v_add_nc_u32_e32 v78, s19, v78
	s_and_saveexec_b32 s4, vcc_lo
	s_cbranch_execz .LBB292_52
.LBB292_135:                            ;   in Loop: Header=BB292_12 Depth=1
	s_waitcnt vmcnt(3) lgkmcnt(2)
	v_dual_add_f32 v5, v13, v14 :: v_dual_lshlrev_b32 v6, 16, v36
	s_delay_alu instid0(VALU_DEP_1) | instskip(NEXT) | instid1(VALU_DEP_1)
	v_add_f32_e32 v6, v5, v6
	v_and_b32_e32 v5, 0x7f800000, v6
	s_delay_alu instid0(VALU_DEP_1) | instskip(SKIP_1) | instid1(SALU_CYCLE_1)
	v_cmp_ne_u32_e32 vcc_lo, 0x7f800000, v5
                                        ; implicit-def: $vgpr5
	s_and_saveexec_b32 s43, vcc_lo
	s_xor_b32 s43, exec_lo, s43
; %bb.136:                              ;   in Loop: Header=BB292_12 Depth=1
	v_bfe_u32 v5, v6, 16, 1
	s_delay_alu instid0(VALU_DEP_1)
	v_add3_u32 v5, v6, v5, 0x7fff
                                        ; implicit-def: $vgpr6
; %bb.137:                              ;   in Loop: Header=BB292_12 Depth=1
	s_and_not1_saveexec_b32 s43, s43
; %bb.138:                              ;   in Loop: Header=BB292_12 Depth=1
	v_and_b32_e32 v5, 0xffff, v6
	v_or_b32_e32 v13, 0x10000, v6
	s_delay_alu instid0(VALU_DEP_2) | instskip(NEXT) | instid1(VALU_DEP_2)
	v_cmp_eq_u32_e32 vcc_lo, 0, v5
	v_cndmask_b32_e32 v5, v13, v6, vcc_lo
; %bb.139:                              ;   in Loop: Header=BB292_12 Depth=1
	s_or_b32 exec_lo, exec_lo, s43
	v_lshlrev_b64 v[13:14], 1, v[78:79]
	s_delay_alu instid0(VALU_DEP_1) | instskip(NEXT) | instid1(VALU_DEP_2)
	v_add_co_u32 v13, vcc_lo, s6, v13
	v_add_co_ci_u32_e32 v14, vcc_lo, s7, v14, vcc_lo
	global_store_d16_hi_b16 v[13:14], v5, off
	s_or_b32 exec_lo, exec_lo, s4
	s_and_saveexec_b32 s4, s1
	s_cbranch_execz .LBB292_53
.LBB292_140:                            ;   in Loop: Header=BB292_12 Depth=1
	s_waitcnt vmcnt(2) lgkmcnt(1)
	v_dual_add_f32 v5, v11, v12 :: v_dual_lshlrev_b32 v6, 16, v33
	s_delay_alu instid0(VALU_DEP_1) | instskip(NEXT) | instid1(VALU_DEP_1)
	v_add_f32_e32 v6, v5, v6
	v_and_b32_e32 v5, 0x7f800000, v6
	s_delay_alu instid0(VALU_DEP_1) | instskip(SKIP_1) | instid1(SALU_CYCLE_1)
	v_cmp_ne_u32_e32 vcc_lo, 0x7f800000, v5
                                        ; implicit-def: $vgpr5
	s_and_saveexec_b32 s1, vcc_lo
	s_xor_b32 s1, exec_lo, s1
; %bb.141:                              ;   in Loop: Header=BB292_12 Depth=1
	v_bfe_u32 v5, v6, 16, 1
	s_delay_alu instid0(VALU_DEP_1)
	v_add3_u32 v5, v6, v5, 0x7fff
                                        ; implicit-def: $vgpr6
; %bb.142:                              ;   in Loop: Header=BB292_12 Depth=1
	s_and_not1_saveexec_b32 s1, s1
; %bb.143:                              ;   in Loop: Header=BB292_12 Depth=1
	v_and_b32_e32 v5, 0xffff, v6
	v_or_b32_e32 v11, 0x10000, v6
	s_delay_alu instid0(VALU_DEP_2) | instskip(NEXT) | instid1(VALU_DEP_2)
	v_cmp_eq_u32_e32 vcc_lo, 0, v5
	v_cndmask_b32_e32 v5, v11, v6, vcc_lo
; %bb.144:                              ;   in Loop: Header=BB292_12 Depth=1
	s_or_b32 exec_lo, exec_lo, s1
	v_dual_mov_b32 v12, v79 :: v_dual_add_nc_u32 v11, 1, v78
	s_delay_alu instid0(VALU_DEP_1) | instskip(NEXT) | instid1(VALU_DEP_1)
	v_lshlrev_b64 v[11:12], 1, v[11:12]
	v_add_co_u32 v11, vcc_lo, s6, v11
	s_delay_alu instid0(VALU_DEP_2)
	v_add_co_ci_u32_e32 v12, vcc_lo, s7, v12, vcc_lo
	global_store_d16_hi_b16 v[11:12], v5, off
	s_or_b32 exec_lo, exec_lo, s4
	s_and_saveexec_b32 s1, s2
	s_cbranch_execz .LBB292_54
.LBB292_145:                            ;   in Loop: Header=BB292_12 Depth=1
	s_waitcnt vmcnt(1) lgkmcnt(0)
	v_dual_add_f32 v5, v9, v10 :: v_dual_lshlrev_b32 v6, 16, v28
	s_delay_alu instid0(VALU_DEP_1) | instskip(NEXT) | instid1(VALU_DEP_1)
	v_add_f32_e32 v6, v5, v6
	v_and_b32_e32 v5, 0x7f800000, v6
	s_delay_alu instid0(VALU_DEP_1) | instskip(SKIP_1) | instid1(SALU_CYCLE_1)
	v_cmp_ne_u32_e32 vcc_lo, 0x7f800000, v5
                                        ; implicit-def: $vgpr5
	s_and_saveexec_b32 s2, vcc_lo
	s_xor_b32 s2, exec_lo, s2
; %bb.146:                              ;   in Loop: Header=BB292_12 Depth=1
	v_bfe_u32 v5, v6, 16, 1
	s_delay_alu instid0(VALU_DEP_1)
	v_add3_u32 v5, v6, v5, 0x7fff
                                        ; implicit-def: $vgpr6
; %bb.147:                              ;   in Loop: Header=BB292_12 Depth=1
	s_and_not1_saveexec_b32 s2, s2
; %bb.148:                              ;   in Loop: Header=BB292_12 Depth=1
	v_and_b32_e32 v5, 0xffff, v6
	v_or_b32_e32 v9, 0x10000, v6
	s_delay_alu instid0(VALU_DEP_2) | instskip(NEXT) | instid1(VALU_DEP_2)
	v_cmp_eq_u32_e32 vcc_lo, 0, v5
	v_cndmask_b32_e32 v5, v9, v6, vcc_lo
; %bb.149:                              ;   in Loop: Header=BB292_12 Depth=1
	s_or_b32 exec_lo, exec_lo, s2
	v_dual_mov_b32 v10, v79 :: v_dual_add_nc_u32 v9, 2, v78
	s_delay_alu instid0(VALU_DEP_1) | instskip(NEXT) | instid1(VALU_DEP_1)
	v_lshlrev_b64 v[9:10], 1, v[9:10]
	v_add_co_u32 v9, vcc_lo, s6, v9
	s_delay_alu instid0(VALU_DEP_2) | instskip(SKIP_2) | instid1(SALU_CYCLE_1)
	v_add_co_ci_u32_e32 v10, vcc_lo, s7, v10, vcc_lo
	global_store_d16_hi_b16 v[9:10], v5, off
	s_or_b32 exec_lo, exec_lo, s1
	s_and_b32 exec_lo, exec_lo, s3
	s_cbranch_execz .LBB292_155
.LBB292_150:                            ;   in Loop: Header=BB292_12 Depth=1
	s_waitcnt vmcnt(0) lgkmcnt(3)
	v_dual_add_f32 v5, v7, v8 :: v_dual_lshlrev_b32 v6, 16, v23
	s_delay_alu instid0(VALU_DEP_1) | instskip(NEXT) | instid1(VALU_DEP_1)
	v_add_f32_e32 v6, v5, v6
	v_and_b32_e32 v5, 0x7f800000, v6
	s_delay_alu instid0(VALU_DEP_1) | instskip(SKIP_1) | instid1(SALU_CYCLE_1)
	v_cmp_ne_u32_e32 vcc_lo, 0x7f800000, v5
                                        ; implicit-def: $vgpr5
	s_and_saveexec_b32 s1, vcc_lo
	s_xor_b32 s1, exec_lo, s1
; %bb.151:                              ;   in Loop: Header=BB292_12 Depth=1
	v_bfe_u32 v5, v6, 16, 1
	s_delay_alu instid0(VALU_DEP_1)
	v_add3_u32 v5, v6, v5, 0x7fff
                                        ; implicit-def: $vgpr6
; %bb.152:                              ;   in Loop: Header=BB292_12 Depth=1
	s_and_not1_saveexec_b32 s1, s1
; %bb.153:                              ;   in Loop: Header=BB292_12 Depth=1
	v_and_b32_e32 v5, 0xffff, v6
	v_or_b32_e32 v7, 0x10000, v6
	s_delay_alu instid0(VALU_DEP_2) | instskip(NEXT) | instid1(VALU_DEP_2)
	v_cmp_eq_u32_e32 vcc_lo, 0, v5
	v_cndmask_b32_e32 v5, v7, v6, vcc_lo
; %bb.154:                              ;   in Loop: Header=BB292_12 Depth=1
	s_or_b32 exec_lo, exec_lo, s1
	v_add_nc_u32_e32 v78, 3, v78
	s_delay_alu instid0(VALU_DEP_1) | instskip(NEXT) | instid1(VALU_DEP_1)
	v_lshlrev_b64 v[6:7], 1, v[78:79]
	v_add_co_u32 v6, vcc_lo, s6, v6
	s_delay_alu instid0(VALU_DEP_2)
	v_add_co_ci_u32_e32 v7, vcc_lo, s7, v7, vcc_lo
	global_store_d16_hi_b16 v[6:7], v5, off
.LBB292_155:                            ;   in Loop: Header=BB292_12 Depth=1
	s_or_b32 exec_lo, exec_lo, s5
	v_add_nc_u32_e32 v76, s29, v76
	s_delay_alu instid0(VALU_DEP_1) | instskip(SKIP_1) | instid1(VALU_DEP_2)
	v_add_nc_u32_e32 v5, 4, v76
	v_cmp_gt_u32_e32 vcc_lo, s19, v76
	v_cmp_le_u32_e64 s1, s19, v5
	s_delay_alu instid0(VALU_DEP_1) | instskip(NEXT) | instid1(SALU_CYCLE_1)
	s_and_b32 s1, vcc_lo, s1
	s_and_saveexec_b32 s43, s1
	s_cbranch_execz .LBB292_10
; %bb.156:                              ;   in Loop: Header=BB292_12 Depth=1
	s_mov_b32 s44, exec_lo
	v_cmpx_ne_u32_e64 s31, v76
	s_cbranch_execz .LBB292_9
; %bb.157:                              ;   in Loop: Header=BB292_12 Depth=1
	v_subrev_nc_u32_e32 v5, s31, v76
	s_mov_b32 s45, 0
	s_mov_b64 s[4:5], 0
	s_delay_alu instid0(VALU_DEP_1)
	v_cmp_lt_u32_e32 vcc_lo, 1, v5
	v_cndmask_b32_e32 v5, 1, v5, vcc_lo
	.p2align	6
.LBB292_158:                            ;   Parent Loop BB292_12 Depth=1
                                        ; =>  This Inner Loop Header: Depth=2
	s_cmp_lg_u32 s4, 3
	s_cselect_b32 vcc_lo, -1, 0
	s_cmp_lg_u32 s4, 2
	v_cndmask_b32_e32 v4, 0, v4, vcc_lo
	s_cselect_b32 s1, -1, 0
	s_cmp_lg_u32 s4, 1
	v_cndmask_b32_e64 v3, 0, v3, s1
	s_cselect_b32 s2, -1, 0
	s_cmp_lg_u32 s4, 0
	v_cndmask_b32_e64 v2, 0, v2, s2
	s_cselect_b32 s3, -1, 0
	s_add_u32 s4, s4, 1
	v_cndmask_b32_e64 v1, 0, v1, s3
	v_cmp_eq_u32_e32 vcc_lo, s4, v5
	s_addc_u32 s5, s5, 0
	s_or_b32 s45, vcc_lo, s45
	s_delay_alu instid0(SALU_CYCLE_1)
	s_and_not1_b32 exec_lo, exec_lo, s45
	s_cbranch_execnz .LBB292_158
; %bb.159:                              ;   in Loop: Header=BB292_12 Depth=1
	s_or_b32 exec_lo, exec_lo, s45
	s_branch .LBB292_9
.LBB292_160:
	s_nop 0
	s_sendmsg sendmsg(MSG_DEALLOC_VGPRS)
	s_endpgm
	.section	.rodata,"a",@progbits
	.p2align	6, 0x0
	.amdhsa_kernel _Z16wvSplitK_hf_big_I14__hip_bfloat16Li32ELi4ELi16ELi8ELi2ELi5EEviiiiiiPKT_S3_S3_PS1_ii
		.amdhsa_group_segment_fixed_size 65536
		.amdhsa_private_segment_fixed_size 0
		.amdhsa_kernarg_size 64
		.amdhsa_user_sgpr_count 15
		.amdhsa_user_sgpr_dispatch_ptr 0
		.amdhsa_user_sgpr_queue_ptr 0
		.amdhsa_user_sgpr_kernarg_segment_ptr 1
		.amdhsa_user_sgpr_dispatch_id 0
		.amdhsa_user_sgpr_private_segment_size 0
		.amdhsa_wavefront_size32 1
		.amdhsa_uses_dynamic_stack 0
		.amdhsa_enable_private_segment 0
		.amdhsa_system_sgpr_workgroup_id_x 1
		.amdhsa_system_sgpr_workgroup_id_y 0
		.amdhsa_system_sgpr_workgroup_id_z 0
		.amdhsa_system_sgpr_workgroup_info 0
		.amdhsa_system_vgpr_workitem_id 1
		.amdhsa_next_free_vgpr 136
		.amdhsa_next_free_sgpr 46
		.amdhsa_reserve_vcc 1
		.amdhsa_float_round_mode_32 0
		.amdhsa_float_round_mode_16_64 0
		.amdhsa_float_denorm_mode_32 3
		.amdhsa_float_denorm_mode_16_64 3
		.amdhsa_dx10_clamp 1
		.amdhsa_ieee_mode 1
		.amdhsa_fp16_overflow 0
		.amdhsa_workgroup_processor_mode 1
		.amdhsa_memory_ordered 1
		.amdhsa_forward_progress 0
		.amdhsa_shared_vgpr_count 0
		.amdhsa_exception_fp_ieee_invalid_op 0
		.amdhsa_exception_fp_denorm_src 0
		.amdhsa_exception_fp_ieee_div_zero 0
		.amdhsa_exception_fp_ieee_overflow 0
		.amdhsa_exception_fp_ieee_underflow 0
		.amdhsa_exception_fp_ieee_inexact 0
		.amdhsa_exception_int_div_zero 0
	.end_amdhsa_kernel
	.section	.text._Z16wvSplitK_hf_big_I14__hip_bfloat16Li32ELi4ELi16ELi8ELi2ELi5EEviiiiiiPKT_S3_S3_PS1_ii,"axG",@progbits,_Z16wvSplitK_hf_big_I14__hip_bfloat16Li32ELi4ELi16ELi8ELi2ELi5EEviiiiiiPKT_S3_S3_PS1_ii,comdat
.Lfunc_end292:
	.size	_Z16wvSplitK_hf_big_I14__hip_bfloat16Li32ELi4ELi16ELi8ELi2ELi5EEviiiiiiPKT_S3_S3_PS1_ii, .Lfunc_end292-_Z16wvSplitK_hf_big_I14__hip_bfloat16Li32ELi4ELi16ELi8ELi2ELi5EEviiiiiiPKT_S3_S3_PS1_ii
                                        ; -- End function
	.section	.AMDGPU.csdata,"",@progbits
; Kernel info:
; codeLenInByte = 12620
; NumSgprs: 48
; NumVgprs: 136
; ScratchSize: 0
; MemoryBound: 0
; FloatMode: 240
; IeeeMode: 1
; LDSByteSize: 65536 bytes/workgroup (compile time only)
; SGPRBlocks: 5
; VGPRBlocks: 16
; NumSGPRsForWavesPerEU: 48
; NumVGPRsForWavesPerEU: 136
; Occupancy: 8
; WaveLimiterHint : 0
; COMPUTE_PGM_RSRC2:SCRATCH_EN: 0
; COMPUTE_PGM_RSRC2:USER_SGPR: 15
; COMPUTE_PGM_RSRC2:TRAP_HANDLER: 0
; COMPUTE_PGM_RSRC2:TGID_X_EN: 1
; COMPUTE_PGM_RSRC2:TGID_Y_EN: 0
; COMPUTE_PGM_RSRC2:TGID_Z_EN: 0
; COMPUTE_PGM_RSRC2:TIDIG_COMP_CNT: 1
	.section	.text._Z16wvSplitK_hf_sml_I14__hip_bfloat16Li64ELi1ELi16ELi8ELi4ELi5EEviiiiiiPKT_S3_S3_PS1_ii,"axG",@progbits,_Z16wvSplitK_hf_sml_I14__hip_bfloat16Li64ELi1ELi16ELi8ELi4ELi5EEviiiiiiPKT_S3_S3_PS1_ii,comdat
	.protected	_Z16wvSplitK_hf_sml_I14__hip_bfloat16Li64ELi1ELi16ELi8ELi4ELi5EEviiiiiiPKT_S3_S3_PS1_ii ; -- Begin function _Z16wvSplitK_hf_sml_I14__hip_bfloat16Li64ELi1ELi16ELi8ELi4ELi5EEviiiiiiPKT_S3_S3_PS1_ii
	.globl	_Z16wvSplitK_hf_sml_I14__hip_bfloat16Li64ELi1ELi16ELi8ELi4ELi5EEviiiiiiPKT_S3_S3_PS1_ii
	.p2align	8
	.type	_Z16wvSplitK_hf_sml_I14__hip_bfloat16Li64ELi1ELi16ELi8ELi4ELi5EEviiiiiiPKT_S3_S3_PS1_ii,@function
_Z16wvSplitK_hf_sml_I14__hip_bfloat16Li64ELi1ELi16ELi8ELi4ELi5EEviiiiiiPKT_S3_S3_PS1_ii: ; @_Z16wvSplitK_hf_sml_I14__hip_bfloat16Li64ELi1ELi16ELi8ELi4ELi5EEviiiiiiPKT_S3_S3_PS1_ii
; %bb.0:
	s_clause 0x2
	s_load_b128 s[4:7], s[0:1], 0x0
	s_load_b64 s[8:9], s[0:1], 0x10
	s_load_b64 s[10:11], s[0:1], 0x28
	v_and_b32_e32 v3, 0x3ff, v0
	v_bfe_u32 v0, v0, 10, 10
	s_mov_b32 s12, exec_lo
	s_delay_alu instid0(VALU_DEP_2) | instskip(NEXT) | instid1(VALU_DEP_1)
	v_lshlrev_b32_e32 v99, 3, v3
	v_lshl_add_u32 v4, v0, 9, v99
	s_waitcnt lgkmcnt(0)
	s_mul_i32 s2, s6, 5
	s_delay_alu instid0(SALU_CYCLE_1)
	s_min_u32 s3, s2, 0x8000
	s_delay_alu instid0(VALU_DEP_1) | instid1(SALU_CYCLE_1)
	v_cmpx_gt_u32_e64 s3, v4
	s_cbranch_execz .LBB293_3
; %bb.1:
	s_load_b64 s[16:17], s[0:1], 0x20
	v_lshlrev_b32_e32 v5, 10, v0
	v_lshlrev_b32_e32 v6, 4, v3
	s_mov_b32 s13, 0
	s_delay_alu instid0(VALU_DEP_1) | instskip(NEXT) | instid1(VALU_DEP_1)
	v_add_co_u32 v1, s2, v5, v6
	v_add_co_ci_u32_e64 v2, null, 0, 0, s2
	v_add_nc_u32_e32 v5, v5, v6
	s_waitcnt lgkmcnt(0)
	s_delay_alu instid0(VALU_DEP_3) | instskip(NEXT) | instid1(VALU_DEP_3)
	v_add_co_u32 v1, vcc_lo, s16, v1
	v_add_co_ci_u32_e32 v2, vcc_lo, s17, v2, vcc_lo
	.p2align	6
.LBB293_2:                              ; =>This Inner Loop Header: Depth=1
	global_load_b128 v[6:9], v[1:2], off
	v_add_nc_u32_e32 v4, 0x2000, v4
	v_add_co_u32 v1, vcc_lo, 0x4000, v1
	v_add_co_ci_u32_e32 v2, vcc_lo, 0, v2, vcc_lo
	s_delay_alu instid0(VALU_DEP_3) | instskip(NEXT) | instid1(VALU_DEP_1)
	v_cmp_le_u32_e64 s2, s3, v4
	s_or_b32 s13, s2, s13
	s_waitcnt vmcnt(0)
	ds_store_b128 v5, v[6:9]
	v_add_nc_u32_e32 v5, 0x4000, v5
	s_and_not1_b32 exec_lo, exec_lo, s13
	s_cbranch_execnz .LBB293_2
.LBB293_3:
	s_or_b32 exec_lo, exec_lo, s12
	s_load_b64 s[16:17], s[0:1], 0x38
	s_waitcnt lgkmcnt(0)
	s_barrier
	buffer_gl0_inv
	s_mov_b32 s2, exec_lo
	v_cmpx_gt_u32_e64 s16, v0
	s_cbranch_execz .LBB293_42
; %bb.4:
	v_mad_u64_u32 v[80:81], null, s15, s16, v[0:1]
	s_delay_alu instid0(VALU_DEP_1)
	v_cmp_gt_u32_e32 vcc_lo, s7, v80
	s_and_b32 exec_lo, exec_lo, vcc_lo
	s_cbranch_execz .LBB293_42
; %bb.5:
	s_cmp_lg_u32 s4, 0
	v_cvt_f32_u32_e32 v1, s8
	s_cselect_b32 s14, -1, 0
	s_add_i32 s15, s4, -8
	s_add_i32 s18, s7, -1
	s_cmp_lg_u64 s[10:11], 0
	v_rcp_iflag_f32_e32 v1, v1
	s_cselect_b32 s19, -1, 0
	s_abs_i32 s21, s9
	s_clause 0x1
	s_load_b64 s[2:3], s[0:1], 0x18
	s_load_b64 s[12:13], s[0:1], 0x30
	v_cvt_f32_u32_e32 v0, s21
	s_sub_i32 s9, 0, s21
	s_sub_i32 s20, 0, s8
	;; [unrolled: 1-line block ×3, first 2 shown]
	v_lshlrev_b32_e32 v100, 4, v3
	v_rcp_iflag_f32_e32 v0, v0
	s_mov_b32 s1, 0
	s_waitcnt_depctr 0xfff
	v_mul_f32_e32 v1, 0x4f7ffffe, v1
	s_delay_alu instid0(VALU_DEP_1) | instskip(SKIP_1) | instid1(VALU_DEP_2)
	v_cvt_u32_f32_e32 v1, v1
	v_mul_f32_e32 v0, 0x4f7ffffe, v0
	v_mul_lo_u32 v2, s20, v1
	s_delay_alu instid0(VALU_DEP_2) | instskip(NEXT) | instid1(VALU_DEP_1)
	v_cvt_u32_f32_e32 v0, v0
	v_readfirstlane_b32 s0, v0
	v_mbcnt_lo_u32_b32 v0, -1, 0
	s_delay_alu instid0(VALU_DEP_4) | instskip(NEXT) | instid1(VALU_DEP_3)
	v_mul_hi_u32 v2, v1, v2
	s_mul_i32 s9, s9, s0
	s_delay_alu instid0(SALU_CYCLE_1) | instskip(NEXT) | instid1(SALU_CYCLE_1)
	s_mul_hi_u32 s9, s0, s9
	s_add_i32 s23, s0, s9
	s_cmp_lt_u32 s21, 2
	s_mul_i32 s9, s17, s16
	s_cselect_b32 s22, s22, 1
	s_mul_hi_u32 s20, s23, 3
	s_sub_i32 s16, s22, s21
	s_cmp_ge_u32 s22, s21
	s_mul_i32 s20, s20, s21
	s_cselect_b32 s17, s16, s22
	s_lshr_b32 s16, s23, 31
	v_cmp_eq_u32_e64 s0, 63, v3
	s_mul_i32 s16, s16, s21
	v_xor_b32_e32 v3, 16, v0
	s_sub_i32 s16, 2, s16
	v_add_nc_u32_e32 v102, v1, v2
	s_sub_i32 s22, s16, s21
	s_cmp_ge_u32 s16, s21
	v_cmp_gt_i32_e32 vcc_lo, 32, v3
	s_cselect_b32 s16, s22, s16
	s_mul_i32 s17, s17, s8
	s_sub_i32 s22, s16, s21
	s_cmp_ge_u32 s16, s21
	v_cndmask_b32_e32 v0, v0, v3, vcc_lo
	s_cselect_b32 s22, s22, s16
	s_sub_i32 s20, 3, s20
	v_mov_b32_e32 v82, 0
	s_sub_i32 s24, s20, s21
	v_lshlrev_b32_e32 v101, 2, v0
	s_cmp_ge_u32 s20, s21
	s_mul_i32 s16, s6, 6
	s_cselect_b32 s20, s24, s20
	s_delay_alu instid0(SALU_CYCLE_1) | instskip(SKIP_3) | instid1(SALU_CYCLE_1)
	s_sub_i32 s24, s20, s21
	s_cmp_ge_u32 s20, s21
	s_cselect_b32 s24, s24, s20
	s_lshr_b32 s20, s23, 30
	s_mul_i32 s20, s20, s21
	s_delay_alu instid0(SALU_CYCLE_1) | instskip(NEXT) | instid1(SALU_CYCLE_1)
	s_sub_i32 s20, 4, s20
	s_sub_i32 s23, s20, s21
	s_cmp_ge_u32 s20, s21
	s_cselect_b32 s23, s23, s20
	s_mul_i32 s20, s22, s8
	s_sub_i32 s22, s23, s21
	s_cmp_ge_u32 s23, s21
	s_mul_i32 s21, s24, s8
	s_cselect_b32 s24, s22, s23
	s_lshl_b32 s22, s6, 3
	s_lshl_b32 s23, s6, 2
	s_mul_i32 s24, s24, s8
	s_lshl_b32 s6, s6, 1
	s_branch .LBB293_8
.LBB293_6:                              ;   in Loop: Header=BB293_8 Depth=1
	s_or_b32 exec_lo, exec_lo, s26
	v_add_nc_u32_e32 v81, s7, v81
	s_delay_alu instid0(VALU_DEP_1) | instskip(NEXT) | instid1(VALU_DEP_1)
	v_lshlrev_b64 v[1:2], 1, v[81:82]
	v_add_co_u32 v1, vcc_lo, s12, v1
	s_delay_alu instid0(VALU_DEP_2)
	v_add_co_ci_u32_e32 v2, vcc_lo, s13, v2, vcc_lo
	global_store_d16_hi_b16 v[1:2], v0, off
.LBB293_7:                              ;   in Loop: Header=BB293_8 Depth=1
	s_or_b32 exec_lo, exec_lo, s25
	v_add_nc_u32_e32 v80, s9, v80
	s_delay_alu instid0(VALU_DEP_1) | instskip(SKIP_1) | instid1(SALU_CYCLE_1)
	v_cmp_le_u32_e32 vcc_lo, s7, v80
	s_or_b32 s1, vcc_lo, s1
	s_and_not1_b32 exec_lo, exec_lo, s1
	s_cbranch_execz .LBB293_42
.LBB293_8:                              ; =>This Loop Header: Depth=1
                                        ;     Child Loop BB293_14 Depth 2
	v_mov_b32_e32 v106, v82
	v_mov_b32_e32 v107, v82
	;; [unrolled: 1-line block ×5, first 2 shown]
	s_and_not1_b32 vcc_lo, exec_lo, s14
	s_cbranch_vccnz .LBB293_19
; %bb.9:                                ;   in Loop: Header=BB293_8 Depth=1
	v_min_u32_e32 v0, s18, v80
	v_dual_mov_b32 v110, 0 :: v_dual_mov_b32 v103, v100
	v_dual_mov_b32 v109, 0 :: v_dual_mov_b32 v108, 0
	s_delay_alu instid0(VALU_DEP_3) | instskip(SKIP_3) | instid1(VALU_DEP_2)
	v_mul_lo_u32 v81, v0, s5
	v_dual_mov_b32 v107, 0 :: v_dual_mov_b32 v106, 0
	s_mov_b32 s25, 0
	s_waitcnt lgkmcnt(0)
	v_lshlrev_b64 v[0:1], 1, v[81:82]
	s_waitcnt lgkmcnt(0)
	s_delay_alu instid0(VALU_DEP_1) | instskip(NEXT) | instid1(VALU_DEP_2)
	v_add_co_u32 v104, vcc_lo, s2, v0
	v_add_co_ci_u32_e32 v105, vcc_lo, s3, v1, vcc_lo
	s_branch .LBB293_14
.LBB293_10:                             ;   in Loop: Header=BB293_14 Depth=2
	s_or_b32 exec_lo, exec_lo, s29
.LBB293_11:                             ;   in Loop: Header=BB293_14 Depth=2
	s_delay_alu instid0(SALU_CYCLE_1)
	s_or_b32 exec_lo, exec_lo, s28
.LBB293_12:                             ;   in Loop: Header=BB293_14 Depth=2
	s_delay_alu instid0(SALU_CYCLE_1)
	s_or_b32 exec_lo, exec_lo, s27
.LBB293_13:                             ;   in Loop: Header=BB293_14 Depth=2
	s_delay_alu instid0(SALU_CYCLE_1)
	s_or_b32 exec_lo, exec_lo, s26
	s_waitcnt lgkmcnt(1)
	v_and_b32_e32 v112, 0xffff0000, v77
	v_and_b32_e32 v114, 0xffff0000, v78
	v_lshlrev_b32_e32 v78, 16, v78
	s_waitcnt vmcnt(3)
	v_and_b32_e32 v113, 0xffff0000, v69
	v_and_b32_e32 v81, 0xffff0000, v76
	v_lshlrev_b32_e32 v77, 16, v77
	v_lshlrev_b32_e32 v69, 16, v69
	s_addk_i32 s25, 0x800
	v_dual_mul_f32 v112, v112, v113 :: v_dual_and_b32 v111, 0xffff0000, v68
	v_lshlrev_b32_e32 v68, 16, v68
	s_cmp_ge_u32 s25, s4
	s_delay_alu instid0(VALU_DEP_2) | instskip(NEXT) | instid1(VALU_DEP_3)
	v_dual_fmac_f32 v112, v77, v69 :: v_dual_add_nc_u32 v103, 0x1000, v103
	v_dual_mul_f32 v81, v81, v111 :: v_dual_lshlrev_b32 v76, 16, v76
	v_and_b32_e32 v77, 0xffff0000, v72
	v_lshlrev_b32_e32 v72, 16, v72
	s_delay_alu instid0(VALU_DEP_3) | instskip(NEXT) | instid1(VALU_DEP_3)
	v_fmac_f32_e32 v81, v76, v68
	v_mul_f32_e32 v77, v77, v111
	s_delay_alu instid0(VALU_DEP_2) | instskip(NEXT) | instid1(VALU_DEP_2)
	v_dual_add_f32 v81, v110, v81 :: v_dual_and_b32 v76, 0xffff0000, v70
	v_dual_fmac_f32 v77, v72, v68 :: v_dual_lshlrev_b32 v70, 16, v70
	v_lshlrev_b32_e32 v72, 16, v73
	s_delay_alu instid0(VALU_DEP_2) | instskip(NEXT) | instid1(VALU_DEP_1)
	v_dual_mul_f32 v110, v114, v76 :: v_dual_add_f32 v77, v109, v77
	v_fmac_f32_e32 v110, v78, v70
	v_add_f32_e32 v78, v81, v112
	s_delay_alu instid0(VALU_DEP_1) | instskip(SKIP_4) | instid1(VALU_DEP_2)
	v_add_f32_e32 v78, v78, v110
	v_and_b32_e32 v110, 0xffff0000, v71
	v_and_b32_e32 v109, 0xffff0000, v75
	;; [unrolled: 1-line block ×3, first 2 shown]
	v_lshlrev_b32_e32 v71, 16, v71
	v_mul_f32_e32 v73, v112, v113
	s_delay_alu instid0(VALU_DEP_1) | instskip(NEXT) | instid1(VALU_DEP_1)
	v_dual_fmac_f32 v73, v72, v69 :: v_dual_and_b32 v112, 0xffff0000, v74
	v_dual_add_f32 v73, v77, v73 :: v_dual_lshlrev_b32 v72, 16, v74
	s_delay_alu instid0(VALU_DEP_2) | instskip(SKIP_1) | instid1(VALU_DEP_2)
	v_dual_mul_f32 v74, v112, v76 :: v_dual_and_b32 v81, 0xffff0000, v79
	v_lshlrev_b32_e32 v79, 16, v79
	v_mul_f32_e32 v81, v81, v110
	s_delay_alu instid0(VALU_DEP_3) | instskip(SKIP_1) | instid1(VALU_DEP_3)
	v_fmac_f32_e32 v74, v72, v70
	v_lshlrev_b32_e32 v72, 16, v75
	v_fmac_f32_e32 v81, v79, v71
	s_delay_alu instid0(VALU_DEP_3) | instskip(NEXT) | instid1(VALU_DEP_2)
	v_add_f32_e32 v73, v73, v74
	v_dual_add_f32 v78, v78, v81 :: v_dual_and_b32 v79, 0xffff0000, v98
	s_delay_alu instid0(VALU_DEP_1) | instskip(SKIP_1) | instid1(VALU_DEP_2)
	v_dual_mul_f32 v75, v109, v110 :: v_dual_mul_f32 v74, v79, v113
	v_lshlrev_b32_e32 v79, 16, v95
	v_dual_fmac_f32 v75, v72, v71 :: v_dual_lshlrev_b32 v72, 16, v98
	s_delay_alu instid0(VALU_DEP_1) | instskip(SKIP_2) | instid1(VALU_DEP_2)
	v_dual_add_f32 v73, v73, v75 :: v_dual_fmac_f32 v74, v72, v69
	v_and_b32_e32 v72, 0xffff0000, v95
	v_and_b32_e32 v77, 0xffff0000, v97
	v_dual_mul_f32 v72, v72, v76 :: v_dual_lshlrev_b32 v97, 16, v97
	s_delay_alu instid0(VALU_DEP_2) | instskip(SKIP_2) | instid1(VALU_DEP_3)
	v_mul_f32_e32 v77, v77, v111
	v_and_b32_e32 v75, 0xffff0000, v64
	v_lshlrev_b32_e32 v64, 16, v64
	v_dual_fmac_f32 v72, v79, v70 :: v_dual_fmac_f32 v77, v97, v68
	s_delay_alu instid0(VALU_DEP_3) | instskip(SKIP_1) | instid1(VALU_DEP_2)
	v_mul_f32_e32 v75, v75, v111
	v_and_b32_e32 v81, 0xffff0000, v65
	v_dual_fmac_f32 v75, v64, v68 :: v_dual_lshlrev_b32 v64, 16, v65
	s_delay_alu instid0(VALU_DEP_4) | instskip(NEXT) | instid1(VALU_DEP_3)
	v_add_f32_e32 v77, v108, v77
	v_mul_f32_e32 v65, v81, v113
	s_waitcnt lgkmcnt(0)
	v_and_b32_e32 v81, 0xffff0000, v60
	v_dual_add_f32 v75, v107, v75 :: v_dual_lshlrev_b32 v60, 16, v60
	s_delay_alu instid0(VALU_DEP_3) | instskip(SKIP_1) | instid1(VALU_DEP_1)
	v_dual_fmac_f32 v65, v64, v69 :: v_dual_lshlrev_b32 v64, 16, v66
	v_add_f32_e32 v74, v77, v74
	v_dual_add_f32 v72, v74, v72 :: v_dual_and_b32 v77, 0xffff0000, v66
	s_delay_alu instid0(VALU_DEP_1) | instskip(SKIP_1) | instid1(VALU_DEP_2)
	v_mul_f32_e32 v66, v77, v76
	v_and_b32_e32 v74, 0xffff0000, v61
	v_dual_add_f32 v65, v75, v65 :: v_dual_fmac_f32 v66, v64, v70
	v_mul_f32_e32 v64, v81, v111
	s_delay_alu instid0(VALU_DEP_2) | instskip(SKIP_1) | instid1(VALU_DEP_3)
	v_dual_add_f32 v65, v65, v66 :: v_dual_and_b32 v66, 0xffff0000, v67
	v_and_b32_e32 v79, 0xffff0000, v96
	v_fmac_f32_e32 v64, v60, v68
	v_lshlrev_b32_e32 v60, 16, v61
	v_dual_mul_f32 v61, v74, v113 :: v_dual_and_b32 v68, 0xffff0000, v62
	v_mul_f32_e32 v66, v66, v110
	v_mul_f32_e32 v79, v79, v110
	v_lshlrev_b32_e32 v67, 16, v67
	s_delay_alu instid0(VALU_DEP_4)
	v_dual_fmac_f32 v61, v60, v69 :: v_dual_lshlrev_b32 v60, 16, v62
	v_mul_f32_e32 v62, v68, v76
	v_and_b32_e32 v68, 0xffff0000, v56
	v_lshlrev_b32_e32 v77, 16, v96
	v_add_f32_e32 v64, v106, v64
	v_lshlrev_b32_e32 v56, 16, v56
	v_fmac_f32_e32 v62, v60, v70
	s_waitcnt vmcnt(2)
	v_dual_fmac_f32 v79, v77, v71 :: v_dual_and_b32 v70, 0xffff0000, v49
	v_add_f32_e32 v61, v64, v61
	v_lshlrev_b32_e32 v49, 16, v49
	v_and_b32_e32 v64, 0xffff0000, v63
	v_dual_fmac_f32 v66, v67, v71 :: v_dual_and_b32 v69, 0xffff0000, v48
	s_delay_alu instid0(VALU_DEP_4) | instskip(NEXT) | instid1(VALU_DEP_3)
	v_add_f32_e32 v61, v61, v62
	v_mul_f32_e32 v64, v64, v110
	s_delay_alu instid0(VALU_DEP_3) | instskip(SKIP_1) | instid1(VALU_DEP_2)
	v_dual_mul_f32 v60, v68, v69 :: v_dual_lshlrev_b32 v63, 16, v63
	v_and_b32_e32 v68, 0xffff0000, v57
	v_dual_fmac_f32 v64, v63, v71 :: v_dual_and_b32 v63, 0xffff0000, v53
	s_delay_alu instid0(VALU_DEP_1) | instskip(SKIP_2) | instid1(VALU_DEP_2)
	v_add_f32_e32 v61, v61, v64
	v_lshlrev_b32_e32 v48, 16, v48
	v_and_b32_e32 v64, 0xffff0000, v51
	v_dual_fmac_f32 v60, v56, v48 :: v_dual_lshlrev_b32 v51, 16, v51
	v_dual_mul_f32 v57, v68, v70 :: v_dual_lshlrev_b32 v56, 16, v57
	s_delay_alu instid0(VALU_DEP_2) | instskip(NEXT) | instid1(VALU_DEP_2)
	v_add_f32_e32 v60, v78, v60
	v_dual_fmac_f32 v57, v56, v49 :: v_dual_and_b32 v74, 0xffff0000, v50
	v_and_b32_e32 v68, 0xffff0000, v58
	v_lshlrev_b32_e32 v56, 16, v58
	s_delay_alu instid0(VALU_DEP_3) | instskip(NEXT) | instid1(VALU_DEP_3)
	v_dual_add_f32 v57, v60, v57 :: v_dual_lshlrev_b32 v50, 16, v50
	v_mul_f32_e32 v58, v68, v74
	v_and_b32_e32 v60, 0xffff0000, v52
	v_lshlrev_b32_e32 v52, 16, v52
	s_delay_alu instid0(VALU_DEP_3) | instskip(NEXT) | instid1(VALU_DEP_1)
	v_fmac_f32_e32 v58, v56, v50
	v_dual_add_f32 v56, v72, v79 :: v_dual_add_f32 v57, v57, v58
	s_delay_alu instid0(VALU_DEP_4) | instskip(NEXT) | instid1(VALU_DEP_1)
	v_mul_f32_e32 v58, v60, v69
	v_fmac_f32_e32 v58, v52, v48
	v_dual_mul_f32 v53, v63, v70 :: v_dual_lshlrev_b32 v52, 16, v53
	v_and_b32_e32 v63, 0xffff0000, v54
	s_delay_alu instid0(VALU_DEP_2) | instskip(SKIP_4) | instid1(VALU_DEP_4)
	v_dual_add_f32 v62, v65, v66 :: v_dual_fmac_f32 v53, v52, v49
	v_and_b32_e32 v60, 0xffff0000, v59
	v_lshlrev_b32_e32 v59, 16, v59
	v_lshlrev_b32_e32 v52, 16, v54
	v_mul_f32_e32 v54, v63, v74
	v_mul_f32_e32 v60, v60, v64
	s_delay_alu instid0(VALU_DEP_2) | instskip(SKIP_1) | instid1(VALU_DEP_3)
	v_fmac_f32_e32 v54, v52, v50
	v_lshlrev_b32_e32 v52, 16, v55
	v_fmac_f32_e32 v60, v59, v51
	v_and_b32_e32 v59, 0xffff0000, v55
	s_delay_alu instid0(VALU_DEP_1) | instskip(SKIP_1) | instid1(VALU_DEP_2)
	v_mul_f32_e32 v55, v59, v64
	v_lshlrev_b32_e32 v59, 16, v93
	v_dual_fmac_f32 v55, v52, v51 :: v_dual_add_f32 v52, v57, v60
	v_lshlrev_b32_e32 v57, 16, v94
	v_add_f32_e32 v58, v73, v58
	s_delay_alu instid0(VALU_DEP_1) | instskip(NEXT) | instid1(VALU_DEP_1)
	v_add_f32_e32 v53, v58, v53
	v_add_f32_e32 v53, v53, v54
	s_delay_alu instid0(VALU_DEP_1) | instskip(NEXT) | instid1(VALU_DEP_1)
	v_dual_add_f32 v53, v53, v55 :: v_dual_and_b32 v54, 0xffff0000, v94
	v_dual_mul_f32 v54, v54, v70 :: v_dual_and_b32 v55, 0xffff0000, v91
	s_delay_alu instid0(VALU_DEP_1) | instskip(NEXT) | instid1(VALU_DEP_2)
	v_dual_fmac_f32 v54, v57, v49 :: v_dual_lshlrev_b32 v57, 16, v91
	v_mul_f32_e32 v55, v55, v74
	s_delay_alu instid0(VALU_DEP_1) | instskip(SKIP_1) | instid1(VALU_DEP_1)
	v_fmac_f32_e32 v55, v57, v50
	v_and_b32_e32 v57, 0xffff0000, v92
	v_dual_mul_f32 v57, v57, v64 :: v_dual_and_b32 v58, 0xffff0000, v93
	s_delay_alu instid0(VALU_DEP_1) | instskip(NEXT) | instid1(VALU_DEP_1)
	v_mul_f32_e32 v58, v58, v69
	v_dual_fmac_f32 v58, v59, v48 :: v_dual_and_b32 v59, 0xffff0000, v46
	s_delay_alu instid0(VALU_DEP_1) | instskip(SKIP_2) | instid1(VALU_DEP_3)
	v_add_f32_e32 v56, v56, v58
	v_and_b32_e32 v58, 0xffff0000, v44
	v_lshlrev_b32_e32 v44, 16, v44
	v_add_f32_e32 v54, v56, v54
	s_delay_alu instid0(VALU_DEP_3) | instskip(SKIP_1) | instid1(VALU_DEP_3)
	v_mul_f32_e32 v58, v58, v69
	v_and_b32_e32 v56, 0xffff0000, v45
	v_add_f32_e32 v54, v54, v55
	s_delay_alu instid0(VALU_DEP_3) | instskip(NEXT) | instid1(VALU_DEP_3)
	v_fmac_f32_e32 v58, v44, v48
	v_dual_mul_f32 v45, v56, v70 :: v_dual_lshlrev_b32 v44, 16, v45
	v_and_b32_e32 v55, 0xffff0000, v40
	s_delay_alu instid0(VALU_DEP_2) | instskip(SKIP_2) | instid1(VALU_DEP_1)
	v_dual_fmac_f32 v45, v44, v49 :: v_dual_lshlrev_b32 v40, 16, v40
	v_lshlrev_b32_e32 v44, 16, v46
	v_mul_f32_e32 v46, v59, v74
	v_fmac_f32_e32 v46, v44, v50
	v_mul_f32_e32 v44, v55, v69
	s_delay_alu instid0(VALU_DEP_1) | instskip(NEXT) | instid1(VALU_DEP_1)
	v_dual_fmac_f32 v44, v40, v48 :: v_dual_and_b32 v55, 0xffff0000, v41
	v_dual_mul_f32 v41, v55, v70 :: v_dual_lshlrev_b32 v40, 16, v41
	v_and_b32_e32 v48, 0xffff0000, v42
	s_delay_alu instid0(VALU_DEP_2)
	v_dual_add_f32 v44, v61, v44 :: v_dual_fmac_f32 v41, v40, v49
	v_lshlrev_b32_e32 v56, 16, v92
	v_lshlrev_b32_e32 v40, 16, v42
	s_waitcnt vmcnt(1)
	v_dual_mul_f32 v42, v48, v74 :: v_dual_and_b32 v49, 0xffff0000, v25
	v_dual_add_f32 v41, v44, v41 :: v_dual_and_b32 v44, 0xffff0000, v43
	v_dual_add_f32 v58, v62, v58 :: v_dual_lshlrev_b32 v25, 16, v25
	s_delay_alu instid0(VALU_DEP_3) | instskip(NEXT) | instid1(VALU_DEP_2)
	v_dual_fmac_f32 v42, v40, v50 :: v_dual_lshlrev_b32 v43, 16, v43
	v_dual_mul_f32 v44, v44, v64 :: v_dual_add_f32 v45, v58, v45
	s_delay_alu instid0(VALU_DEP_2) | instskip(SKIP_1) | instid1(VALU_DEP_3)
	v_dual_add_f32 v41, v41, v42 :: v_dual_and_b32 v48, 0xffff0000, v24
	v_lshlrev_b32_e32 v24, 16, v24
	v_fmac_f32_e32 v44, v43, v51
	v_and_b32_e32 v50, 0xffff0000, v26
	v_dual_fmac_f32 v57, v56, v51 :: v_dual_lshlrev_b32 v26, 16, v26
	v_and_b32_e32 v43, 0xffff0000, v34
	s_delay_alu instid0(VALU_DEP_4) | instskip(SKIP_3) | instid1(VALU_DEP_3)
	v_add_f32_e32 v41, v41, v44
	v_dual_add_f32 v45, v45, v46 :: v_dual_and_b32 v46, 0xffff0000, v47
	v_lshlrev_b32_e32 v47, 16, v47
	v_and_b32_e32 v42, 0xffff0000, v39
	v_dual_mul_f32 v46, v46, v64 :: v_dual_lshlrev_b32 v39, 16, v39
	s_delay_alu instid0(VALU_DEP_1) | instskip(SKIP_1) | instid1(VALU_DEP_2)
	v_dual_fmac_f32 v46, v47, v51 :: v_dual_and_b32 v47, 0xffff0000, v36
	v_lshlrev_b32_e32 v36, 16, v36
	v_dual_mul_f32 v40, v47, v48 :: v_dual_and_b32 v47, 0xffff0000, v37
	s_delay_alu instid0(VALU_DEP_1) | instskip(SKIP_1) | instid1(VALU_DEP_3)
	v_fmac_f32_e32 v40, v36, v24
	v_lshlrev_b32_e32 v36, 16, v37
	v_mul_f32_e32 v37, v47, v49
	s_delay_alu instid0(VALU_DEP_3) | instskip(NEXT) | instid1(VALU_DEP_2)
	v_dual_add_f32 v40, v52, v40 :: v_dual_and_b32 v47, 0xffff0000, v38
	v_dual_fmac_f32 v37, v36, v25 :: v_dual_lshlrev_b32 v36, 16, v38
	s_delay_alu instid0(VALU_DEP_1) | instskip(SKIP_1) | instid1(VALU_DEP_2)
	v_dual_mul_f32 v38, v47, v50 :: v_dual_add_f32 v37, v40, v37
	v_and_b32_e32 v40, 0xffff0000, v32
	v_fmac_f32_e32 v38, v36, v26
	v_lshlrev_b32_e32 v32, 16, v32
	v_add_f32_e32 v54, v54, v57
	s_delay_alu instid0(VALU_DEP_3) | instskip(SKIP_1) | instid1(VALU_DEP_2)
	v_dual_mul_f32 v40, v40, v48 :: v_dual_add_f32 v37, v37, v38
	v_and_b32_e32 v38, 0xffff0000, v33
	v_fmac_f32_e32 v40, v32, v24
	v_lshlrev_b32_e32 v32, 16, v33
	s_delay_alu instid0(VALU_DEP_3) | instskip(NEXT) | instid1(VALU_DEP_3)
	v_dual_mul_f32 v33, v38, v49 :: v_dual_and_b32 v38, 0xffff0000, v27
	v_dual_add_f32 v40, v53, v40 :: v_dual_lshlrev_b32 v27, 16, v27
	s_delay_alu instid0(VALU_DEP_2) | instskip(SKIP_1) | instid1(VALU_DEP_2)
	v_dual_fmac_f32 v33, v32, v25 :: v_dual_lshlrev_b32 v32, 16, v34
	v_dual_mul_f32 v34, v43, v50 :: v_dual_and_b32 v43, 0xffff0000, v35
	v_dual_mul_f32 v42, v42, v38 :: v_dual_add_f32 v33, v40, v33
	v_and_b32_e32 v40, 0xffff0000, v89
	s_delay_alu instid0(VALU_DEP_3) | instskip(NEXT) | instid1(VALU_DEP_4)
	v_fmac_f32_e32 v34, v32, v26
	v_dual_mul_f32 v35, v43, v38 :: v_dual_lshlrev_b32 v32, 16, v35
	s_delay_alu instid0(VALU_DEP_4) | instskip(NEXT) | instid1(VALU_DEP_3)
	v_dual_fmac_f32 v42, v39, v27 :: v_dual_lshlrev_b32 v43, 16, v89
	v_dual_add_f32 v33, v33, v34 :: v_dual_mul_f32 v40, v40, v48
	s_delay_alu instid0(VALU_DEP_3) | instskip(SKIP_1) | instid1(VALU_DEP_4)
	v_fmac_f32_e32 v35, v32, v27
	v_and_b32_e32 v39, 0xffff0000, v90
	v_dual_add_f32 v37, v37, v42 :: v_dual_and_b32 v42, 0xffff0000, v29
	s_delay_alu instid0(VALU_DEP_3) | instskip(SKIP_3) | instid1(VALU_DEP_3)
	v_dual_add_f32 v33, v33, v35 :: v_dual_lshlrev_b32 v32, 16, v90
	v_and_b32_e32 v35, 0xffff0000, v28
	v_lshlrev_b32_e32 v28, 16, v28
	v_mul_f32_e32 v34, v39, v49
	v_dual_add_f32 v36, v45, v46 :: v_dual_mul_f32 v35, v35, v48
	s_delay_alu instid0(VALU_DEP_2) | instskip(NEXT) | instid1(VALU_DEP_2)
	v_fmac_f32_e32 v34, v32, v25
	v_dual_fmac_f32 v35, v28, v24 :: v_dual_and_b32 v32, 0xffff0000, v87
	v_lshlrev_b32_e32 v28, 16, v29
	v_dual_mul_f32 v29, v42, v49 :: v_dual_fmac_f32 v40, v43, v24
	s_delay_alu instid0(VALU_DEP_3) | instskip(NEXT) | instid1(VALU_DEP_4)
	v_mul_f32_e32 v32, v32, v50
	v_add_f32_e32 v35, v36, v35
	s_delay_alu instid0(VALU_DEP_3) | instskip(NEXT) | instid1(VALU_DEP_4)
	v_fmac_f32_e32 v29, v28, v25
	v_dual_add_f32 v39, v54, v40 :: v_dual_lshlrev_b32 v40, 16, v87
	s_delay_alu instid0(VALU_DEP_2) | instskip(NEXT) | instid1(VALU_DEP_2)
	v_dual_add_f32 v29, v35, v29 :: v_dual_lshlrev_b32 v28, 16, v30
	v_add_f32_e32 v34, v39, v34
	v_and_b32_e32 v39, 0xffff0000, v30
	s_delay_alu instid0(VALU_DEP_4) | instskip(NEXT) | instid1(VALU_DEP_2)
	v_fmac_f32_e32 v32, v40, v26
	v_dual_mul_f32 v30, v39, v50 :: v_dual_and_b32 v39, 0xffff0000, v20
	v_lshlrev_b32_e32 v20, 16, v20
	s_delay_alu instid0(VALU_DEP_3) | instskip(SKIP_1) | instid1(VALU_DEP_4)
	v_add_f32_e32 v32, v34, v32
	v_and_b32_e32 v34, 0xffff0000, v21
	v_fmac_f32_e32 v30, v28, v26
	s_delay_alu instid0(VALU_DEP_1) | instskip(NEXT) | instid1(VALU_DEP_1)
	v_dual_mul_f32 v28, v39, v48 :: v_dual_add_f32 v29, v29, v30
	v_fmac_f32_e32 v28, v20, v24
	v_lshlrev_b32_e32 v20, 16, v21
	v_dual_mul_f32 v21, v34, v49 :: v_dual_and_b32 v30, 0xffff0000, v22
	v_and_b32_e32 v24, 0xffff0000, v31
	s_delay_alu instid0(VALU_DEP_4) | instskip(SKIP_1) | instid1(VALU_DEP_3)
	v_add_f32_e32 v28, v41, v28
	s_waitcnt vmcnt(0)
	v_dual_fmac_f32 v21, v20, v25 :: v_dual_and_b32 v34, 0xffff0000, v2
	v_lshlrev_b32_e32 v20, 16, v22
	v_dual_mul_f32 v22, v30, v50 :: v_dual_and_b32 v25, 0xffff0000, v16
	s_delay_alu instid0(VALU_DEP_3) | instskip(SKIP_1) | instid1(VALU_DEP_3)
	v_dual_add_f32 v21, v28, v21 :: v_dual_and_b32 v30, 0xffff0000, v0
	v_lshlrev_b32_e32 v16, 16, v16
	v_fmac_f32_e32 v22, v20, v26
	v_lshlrev_b32_e32 v0, 16, v0
	s_delay_alu instid0(VALU_DEP_4) | instskip(SKIP_3) | instid1(VALU_DEP_4)
	v_mul_f32_e32 v20, v25, v30
	v_and_b32_e32 v26, 0xffff0000, v17
	v_and_b32_e32 v28, 0xffff0000, v1
	v_lshlrev_b32_e32 v1, 16, v1
	v_dual_fmac_f32 v20, v16, v0 :: v_dual_and_b32 v25, 0xffff0000, v23
	s_delay_alu instid0(VALU_DEP_3) | instskip(SKIP_2) | instid1(VALU_DEP_4)
	v_dual_mul_f32 v17, v26, v28 :: v_dual_lshlrev_b32 v16, 16, v17
	v_lshlrev_b32_e32 v23, 16, v23
	v_and_b32_e32 v26, 0xffff0000, v18
	v_add_f32_e32 v20, v37, v20
	v_add_f32_e32 v21, v21, v22
	v_dual_fmac_f32 v17, v16, v1 :: v_dual_and_b32 v22, 0xffff0000, v12
	v_lshlrev_b32_e32 v31, 16, v31
	v_lshlrev_b32_e32 v16, 16, v18
	s_delay_alu instid0(VALU_DEP_3) | instskip(SKIP_4) | instid1(VALU_DEP_4)
	v_dual_add_f32 v17, v20, v17 :: v_dual_lshlrev_b32 v2, 16, v2
	v_mul_f32_e32 v25, v25, v38
	v_mul_f32_e32 v24, v24, v38
	;; [unrolled: 1-line block ×3, first 2 shown]
	v_lshlrev_b32_e32 v12, 16, v12
	v_dual_mul_f32 v22, v22, v30 :: v_dual_fmac_f32 v25, v23, v27
	s_delay_alu instid0(VALU_DEP_4) | instskip(NEXT) | instid1(VALU_DEP_4)
	v_dual_fmac_f32 v24, v31, v27 :: v_dual_and_b32 v23, 0xffff0000, v13
	v_fmac_f32_e32 v18, v16, v2
	s_delay_alu instid0(VALU_DEP_3) | instskip(NEXT) | instid1(VALU_DEP_3)
	v_fmac_f32_e32 v22, v12, v0
	v_dual_mul_f32 v13, v23, v28 :: v_dual_lshlrev_b32 v12, 16, v13
	s_delay_alu instid0(VALU_DEP_4) | instskip(NEXT) | instid1(VALU_DEP_4)
	v_add_f32_e32 v20, v29, v24
	v_dual_add_f32 v17, v17, v18 :: v_dual_and_b32 v18, 0xffff0000, v19
	v_and_b32_e32 v24, 0xffff0000, v3
	s_delay_alu instid0(VALU_DEP_4) | instskip(SKIP_1) | instid1(VALU_DEP_3)
	v_dual_add_f32 v22, v33, v22 :: v_dual_fmac_f32 v13, v12, v1
	v_lshlrev_b32_e32 v19, 16, v19
	v_dual_mul_f32 v18, v18, v24 :: v_dual_lshlrev_b32 v3, 16, v3
	v_and_b32_e32 v23, 0xffff0000, v14
	s_delay_alu instid0(VALU_DEP_4) | instskip(SKIP_1) | instid1(VALU_DEP_4)
	v_dual_add_f32 v13, v22, v13 :: v_dual_and_b32 v22, 0xffff0000, v86
	v_lshlrev_b32_e32 v12, 16, v14
	v_fmac_f32_e32 v18, v19, v3
	s_delay_alu instid0(VALU_DEP_4) | instskip(NEXT) | instid1(VALU_DEP_4)
	v_dual_mul_f32 v14, v23, v34 :: v_dual_add_f32 v21, v21, v25
	v_dual_mul_f32 v19, v22, v28 :: v_dual_and_b32 v22, 0xffff0000, v15
	s_delay_alu instid0(VALU_DEP_2) | instskip(SKIP_1) | instid1(VALU_DEP_3)
	v_dual_fmac_f32 v14, v12, v2 :: v_dual_lshlrev_b32 v15, 16, v15
	v_and_b32_e32 v25, 0xffff0000, v85
	v_dual_mul_f32 v22, v22, v24 :: v_dual_lshlrev_b32 v23, 16, v85
	v_lshlrev_b32_e32 v12, 16, v86
	s_delay_alu instid0(VALU_DEP_4) | instskip(SKIP_1) | instid1(VALU_DEP_3)
	v_dual_add_f32 v13, v13, v14 :: v_dual_and_b32 v14, 0xffff0000, v83
	v_add_f32_e32 v110, v17, v18
	v_dual_fmac_f32 v22, v15, v3 :: v_dual_fmac_f32 v19, v12, v1
	v_lshlrev_b32_e32 v12, 16, v83
	s_delay_alu instid0(VALU_DEP_4) | instskip(NEXT) | instid1(VALU_DEP_3)
	v_dual_mul_f32 v14, v14, v34 :: v_dual_and_b32 v15, 0xffff0000, v5
	v_add_f32_e32 v109, v13, v22
	v_mul_f32_e32 v25, v25, v30
	s_delay_alu instid0(VALU_DEP_1) | instskip(SKIP_2) | instid1(VALU_DEP_2)
	v_dual_fmac_f32 v14, v12, v2 :: v_dual_fmac_f32 v25, v23, v0
	v_and_b32_e32 v23, 0xffff0000, v4
	v_lshlrev_b32_e32 v4, 16, v4
	v_mul_f32_e32 v12, v23, v30
	s_delay_alu instid0(VALU_DEP_1) | instskip(SKIP_3) | instid1(VALU_DEP_4)
	v_fmac_f32_e32 v12, v4, v0
	v_dual_mul_f32 v5, v15, v28 :: v_dual_lshlrev_b32 v4, 16, v5
	v_and_b32_e32 v40, 0xffff0000, v88
	v_lshlrev_b32_e32 v15, 16, v84
	v_add_f32_e32 v12, v20, v12
	v_and_b32_e32 v20, 0xffff0000, v9
	v_dual_fmac_f32 v5, v4, v1 :: v_dual_and_b32 v4, 0xffff0000, v6
	v_lshlrev_b32_e32 v6, 16, v6
	v_mul_f32_e32 v40, v40, v38
	s_delay_alu instid0(VALU_DEP_3) | instskip(NEXT) | instid1(VALU_DEP_4)
	v_add_f32_e32 v5, v12, v5
	v_mul_f32_e32 v4, v4, v34
	s_delay_alu instid0(VALU_DEP_1) | instskip(SKIP_2) | instid1(VALU_DEP_3)
	v_fmac_f32_e32 v4, v6, v2
	v_and_b32_e32 v6, 0xffff0000, v10
	v_lshlrev_b32_e32 v36, 16, v88
	v_add_f32_e32 v4, v5, v4
	s_delay_alu instid0(VALU_DEP_2) | instskip(NEXT) | instid1(VALU_DEP_1)
	v_fmac_f32_e32 v40, v36, v27
	v_add_f32_e32 v16, v32, v40
	s_delay_alu instid0(VALU_DEP_1) | instskip(NEXT) | instid1(VALU_DEP_1)
	v_add_f32_e32 v16, v16, v25
	v_dual_add_f32 v16, v16, v19 :: v_dual_and_b32 v19, 0xffff0000, v8
	v_lshlrev_b32_e32 v8, 16, v8
	s_delay_alu instid0(VALU_DEP_2) | instskip(NEXT) | instid1(VALU_DEP_3)
	v_add_f32_e32 v14, v16, v14
	v_dual_mul_f32 v19, v19, v30 :: v_dual_and_b32 v16, 0xffff0000, v84
	s_delay_alu instid0(VALU_DEP_1) | instskip(SKIP_1) | instid1(VALU_DEP_3)
	v_dual_fmac_f32 v19, v8, v0 :: v_dual_lshlrev_b32 v0, 16, v9
	v_dual_mul_f32 v8, v20, v28 :: v_dual_and_b32 v9, 0xffff0000, v7
	v_mul_f32_e32 v16, v16, v24
	s_delay_alu instid0(VALU_DEP_3) | instskip(NEXT) | instid1(VALU_DEP_3)
	v_add_f32_e32 v12, v21, v19
	v_fmac_f32_e32 v8, v0, v1
	v_lshlrev_b32_e32 v0, 16, v10
	v_dual_mul_f32 v1, v6, v34 :: v_dual_lshlrev_b32 v6, 16, v7
	v_and_b32_e32 v7, 0xffff0000, v11
	v_mul_f32_e32 v9, v9, v24
	v_add_f32_e32 v8, v12, v8
	s_delay_alu instid0(VALU_DEP_4) | instskip(NEXT) | instid1(VALU_DEP_4)
	v_dual_fmac_f32 v1, v0, v2 :: v_dual_lshlrev_b32 v0, 16, v11
	v_mul_f32_e32 v2, v7, v24
	v_fmac_f32_e32 v16, v15, v3
	v_fmac_f32_e32 v9, v6, v3
	s_delay_alu instid0(VALU_DEP_4) | instskip(NEXT) | instid1(VALU_DEP_4)
	v_add_f32_e32 v1, v8, v1
	v_fmac_f32_e32 v2, v0, v3
	s_delay_alu instid0(VALU_DEP_3) | instskip(NEXT) | instid1(VALU_DEP_2)
	v_dual_add_f32 v108, v14, v16 :: v_dual_add_f32 v107, v4, v9
	v_add_f32_e32 v106, v1, v2
	s_cbranch_scc1 .LBB293_19
.LBB293_14:                             ;   Parent Loop BB293_8 Depth=1
                                        ; =>  This Inner Loop Header: Depth=2
	v_dual_mov_b32 v11, 0 :: v_dual_add_nc_u32 v12, s25, v99
	v_dual_mov_b32 v84, 0 :: v_dual_mov_b32 v83, 0
	v_dual_mov_b32 v86, 0 :: v_dual_mov_b32 v85, 0
	s_delay_alu instid0(VALU_DEP_3) | instskip(SKIP_2) | instid1(VALU_DEP_3)
	v_min_u32_e32 v81, s15, v12
	v_dual_mov_b32 v10, 0 :: v_dual_add_nc_u32 v113, 0x200, v12
	v_dual_mov_b32 v9, 0 :: v_dual_add_nc_u32 v112, 0x400, v12
	v_lshlrev_b64 v[0:1], 1, v[81:82]
	s_delay_alu instid0(VALU_DEP_3) | instskip(SKIP_2) | instid1(VALU_DEP_3)
	v_min_u32_e32 v81, s15, v113
	v_dual_mov_b32 v8, 0 :: v_dual_add_nc_u32 v111, 0x600, v12
	v_dual_mov_b32 v15, 0 :: v_dual_mov_b32 v14, 0
	v_lshlrev_b64 v[2:3], 1, v[81:82]
	v_min_u32_e32 v81, s15, v112
	v_add_co_u32 v0, vcc_lo, v104, v0
	v_add_co_ci_u32_e32 v1, vcc_lo, v105, v1, vcc_lo
	s_delay_alu instid0(VALU_DEP_3) | instskip(SKIP_3) | instid1(VALU_DEP_3)
	v_lshlrev_b64 v[4:5], 1, v[81:82]
	v_min_u32_e32 v81, s15, v111
	v_add_co_u32 v2, vcc_lo, v104, v2
	v_add_co_ci_u32_e32 v3, vcc_lo, v105, v3, vcc_lo
	v_lshlrev_b64 v[6:7], 1, v[81:82]
	v_add_co_u32 v4, vcc_lo, v104, v4
	v_add_co_ci_u32_e32 v5, vcc_lo, v105, v5, vcc_lo
	v_mov_b32_e32 v13, 0
	s_delay_alu instid0(VALU_DEP_4)
	v_add_co_u32 v6, vcc_lo, v104, v6
	v_add_co_ci_u32_e32 v7, vcc_lo, v105, v7, vcc_lo
	s_clause 0x3
	global_load_b128 v[68:71], v[0:1], off slc dlc
	global_load_b128 v[48:51], v[2:3], off slc dlc
	;; [unrolled: 1-line block ×4, first 2 shown]
	v_dual_mov_b32 v7, 0 :: v_dual_mov_b32 v6, 0
	v_cmp_gt_u32_e32 vcc_lo, s4, v12
	v_dual_mov_b32 v5, 0 :: v_dual_mov_b32 v4, 0
	v_dual_mov_b32 v12, 0 :: v_dual_mov_b32 v19, 0
	;; [unrolled: 1-line block ×7, first 2 shown]
	v_mov_b32_e32 v28, 0
	v_dual_mov_b32 v88, 0 :: v_dual_mov_b32 v87, 0
	v_dual_mov_b32 v90, 0 :: v_dual_mov_b32 v89, 0
	v_dual_mov_b32 v35, 0 :: v_dual_mov_b32 v34, 0
	v_dual_mov_b32 v33, 0 :: v_dual_mov_b32 v32, 0
	v_dual_mov_b32 v39, 0 :: v_dual_mov_b32 v38, 0
	v_dual_mov_b32 v37, 0 :: v_dual_mov_b32 v36, 0
	v_dual_mov_b32 v43, 0 :: v_dual_mov_b32 v42, 0
	v_dual_mov_b32 v41, 0 :: v_dual_mov_b32 v40, 0
	v_dual_mov_b32 v47, 0 :: v_dual_mov_b32 v46, 0
	v_dual_mov_b32 v45, 0 :: v_dual_mov_b32 v44, 0
	v_dual_mov_b32 v92, 0 :: v_dual_mov_b32 v91, 0
	v_dual_mov_b32 v94, 0 :: v_dual_mov_b32 v93, 0
	v_dual_mov_b32 v55, 0 :: v_dual_mov_b32 v54, 0
	v_dual_mov_b32 v53, 0 :: v_dual_mov_b32 v52, 0
	v_dual_mov_b32 v59, 0 :: v_dual_mov_b32 v58, 0
	v_dual_mov_b32 v57, 0 :: v_dual_mov_b32 v56, 0
	v_dual_mov_b32 v63, 0 :: v_dual_mov_b32 v62, 0
	v_dual_mov_b32 v61, 0 :: v_dual_mov_b32 v60, 0
	v_dual_mov_b32 v67, 0 :: v_dual_mov_b32 v66, 0
	v_dual_mov_b32 v65, 0 :: v_dual_mov_b32 v64, 0
	v_dual_mov_b32 v96, 0 :: v_dual_mov_b32 v95, 0
	v_dual_mov_b32 v98, 0 :: v_dual_mov_b32 v97, 0
	v_dual_mov_b32 v75, 0 :: v_dual_mov_b32 v74, 0
	v_dual_mov_b32 v73, 0 :: v_dual_mov_b32 v72, 0
	v_dual_mov_b32 v79, 0 :: v_dual_mov_b32 v78, 0
	v_dual_mov_b32 v77, 0 :: v_dual_mov_b32 v76, 0
	s_and_saveexec_b32 s26, vcc_lo
	s_cbranch_execz .LBB293_13
; %bb.15:                               ;   in Loop: Header=BB293_14 Depth=2
	v_dual_mov_b32 v56, 0 :: v_dual_add_nc_u32 v81, s6, v103
	v_dual_mov_b32 v58, 0 :: v_dual_add_nc_u32 v115, s23, v103
	;; [unrolled: 1-line block ×4, first 2 shown]
	ds_load_b128 v[72:75], v81
	ds_load_2addr_b32 v[97:98], v115 offset1:1
	ds_load_2addr_b32 v[95:96], v115 offset0:2 offset1:3
	ds_load_b128 v[64:67], v114
	ds_load_b128 v[76:79], v103
	ds_load_2addr_b64 v[60:63], v116 offset1:1
	v_cmp_gt_u32_e32 vcc_lo, s4, v113
	v_dual_mov_b32 v52, 0 :: v_dual_mov_b32 v53, 0
	v_dual_mov_b32 v54, 0 :: v_dual_mov_b32 v55, 0
	;; [unrolled: 1-line block ×28, first 2 shown]
	s_and_saveexec_b32 s27, vcc_lo
	s_cbranch_execz .LBB293_12
; %bb.16:                               ;   in Loop: Header=BB293_14 Depth=2
	v_dual_mov_b32 v37, 0 :: v_dual_add_nc_u32 v4, 0x408, v115
	v_dual_mov_b32 v36, 0 :: v_dual_add_nc_u32 v5, 0x400, v115
	ds_load_b128 v[52:55], v81 offset:1024
	ds_load_b128 v[44:47], v114 offset:1024
	;; [unrolled: 1-line block ×3, first 2 shown]
	ds_load_2addr_b32 v[91:92], v4 offset1:1
	ds_load_2addr_b32 v[93:94], v5 offset1:1
	ds_load_2addr_b64 v[40:43], v116 offset0:128 offset1:129
	v_cmp_gt_u32_e32 vcc_lo, s4, v112
	v_dual_mov_b32 v38, 0 :: v_dual_mov_b32 v39, 0
	v_dual_mov_b32 v32, 0 :: v_dual_mov_b32 v33, 0
	;; [unrolled: 1-line block ×19, first 2 shown]
	s_and_saveexec_b32 s28, vcc_lo
	s_cbranch_execz .LBB293_11
; %bb.17:                               ;   in Loop: Header=BB293_14 Depth=2
	v_dual_mov_b32 v17, 0 :: v_dual_add_nc_u32 v4, 0x800, v115
	v_dual_mov_b32 v16, 0 :: v_dual_add_nc_u32 v5, 0x808, v115
	v_add3_u32 v6, v103, s22, 0x800
	ds_load_2addr_b32 v[89:90], v4 offset1:1
	ds_load_2addr_b32 v[87:88], v5 offset1:1
	ds_load_b128 v[32:35], v81 offset:2048
	ds_load_b128 v[28:31], v114 offset:2048
	;; [unrolled: 1-line block ×3, first 2 shown]
	ds_load_2addr_b64 v[20:23], v6 offset1:1
	v_cmp_gt_u32_e32 vcc_lo, s4, v111
	v_dual_mov_b32 v18, 0 :: v_dual_mov_b32 v19, 0
	v_dual_mov_b32 v12, 0 :: v_dual_mov_b32 v13, 0
	;; [unrolled: 1-line block ×9, first 2 shown]
	s_and_saveexec_b32 s29, vcc_lo
	s_cbranch_execz .LBB293_10
; %bb.18:                               ;   in Loop: Header=BB293_14 Depth=2
	v_add_nc_u32_e32 v4, 0xc00, v115
	v_add_nc_u32_e32 v5, 0xc08, v115
	v_add3_u32 v8, v103, s22, 0xc00
	ds_load_2addr_b32 v[85:86], v4 offset1:1
	ds_load_2addr_b32 v[83:84], v5 offset1:1
	ds_load_b128 v[12:15], v81 offset:3072
	ds_load_b128 v[4:7], v114 offset:3072
	;; [unrolled: 1-line block ×3, first 2 shown]
	ds_load_2addr_b64 v[8:11], v8 offset1:1
	s_branch .LBB293_10
.LBB293_19:                             ;   in Loop: Header=BB293_8 Depth=1
	; sched_barrier mask(0x00000000)
	s_delay_alu instid0(VALU_DEP_1)
	v_cvt_i32_f32_e32 v0, v110
	s_waitcnt lgkmcnt(0)
	v_cvt_i32_f32_e32 v1, v109
	v_cvt_i32_f32_e32 v2, v108
	;; [unrolled: 1-line block ×4, first 2 shown]
	v_cvt_f32_i32_dpp v0, v0 row_shr:8 row_mask:0xf bank_mask:0xf bound_ctrl:1
	v_cvt_f32_i32_dpp v1, v1 row_shr:8 row_mask:0xf bank_mask:0xf bound_ctrl:1
	;; [unrolled: 1-line block ×5, first 2 shown]
	s_delay_alu instid0(VALU_DEP_4) | instskip(NEXT) | instid1(VALU_DEP_3)
	v_dual_add_f32 v0, v110, v0 :: v_dual_add_f32 v1, v109, v1
	v_dual_add_f32 v2, v108, v2 :: v_dual_add_f32 v3, v107, v3
	s_delay_alu instid0(VALU_DEP_2) | instskip(NEXT) | instid1(VALU_DEP_3)
	v_cvt_i32_f32_e32 v5, v0
	v_cvt_i32_f32_e32 v6, v1
	s_delay_alu instid0(VALU_DEP_3) | instskip(NEXT) | instid1(VALU_DEP_4)
	v_cvt_i32_f32_e32 v7, v2
	v_cvt_i32_f32_e32 v8, v3
	s_delay_alu instid0(VALU_DEP_4) | instskip(NEXT) | instid1(VALU_DEP_4)
	v_cvt_f32_i32_dpp v5, v5 row_shr:4 row_mask:0xf bank_mask:0xf bound_ctrl:1
	v_cvt_f32_i32_dpp v6, v6 row_shr:4 row_mask:0xf bank_mask:0xf bound_ctrl:1
	v_add_f32_e32 v4, v106, v4
	v_cvt_f32_i32_dpp v7, v7 row_shr:4 row_mask:0xf bank_mask:0xf bound_ctrl:1
	v_cvt_f32_i32_dpp v8, v8 row_shr:4 row_mask:0xf bank_mask:0xf bound_ctrl:1
	s_delay_alu instid0(VALU_DEP_4) | instskip(NEXT) | instid1(VALU_DEP_4)
	v_dual_add_f32 v0, v0, v5 :: v_dual_add_f32 v1, v1, v6
	v_cvt_i32_f32_e32 v9, v4
	s_delay_alu instid0(VALU_DEP_3) | instskip(NEXT) | instid1(VALU_DEP_3)
	v_add_f32_e32 v3, v3, v8
	v_cvt_i32_f32_e32 v5, v0
	s_delay_alu instid0(VALU_DEP_4) | instskip(NEXT) | instid1(VALU_DEP_4)
	v_cvt_i32_f32_e32 v6, v1
	v_cvt_f32_i32_dpp v9, v9 row_shr:4 row_mask:0xf bank_mask:0xf bound_ctrl:1
	s_delay_alu instid0(VALU_DEP_4) | instskip(NEXT) | instid1(VALU_DEP_4)
	v_cvt_i32_f32_e32 v8, v3
	v_cvt_f32_i32_dpp v5, v5 row_shr:2 row_mask:0xf bank_mask:0xf bound_ctrl:1
	s_delay_alu instid0(VALU_DEP_4) | instskip(SKIP_1) | instid1(VALU_DEP_4)
	v_cvt_f32_i32_dpp v6, v6 row_shr:2 row_mask:0xf bank_mask:0xf bound_ctrl:1
	v_add_f32_e32 v2, v2, v7
	v_cvt_f32_i32_dpp v8, v8 row_shr:2 row_mask:0xf bank_mask:0xf bound_ctrl:1
	s_delay_alu instid0(VALU_DEP_3) | instskip(NEXT) | instid1(VALU_DEP_3)
	v_dual_add_f32 v4, v4, v9 :: v_dual_add_f32 v1, v1, v6
	v_cvt_i32_f32_e32 v7, v2
	s_delay_alu instid0(VALU_DEP_3) | instskip(NEXT) | instid1(VALU_DEP_3)
	v_add_f32_e32 v3, v3, v8
	v_cvt_i32_f32_e32 v9, v4
	s_delay_alu instid0(VALU_DEP_4) | instskip(NEXT) | instid1(VALU_DEP_4)
	v_cvt_i32_f32_e32 v6, v1
	v_cvt_f32_i32_dpp v7, v7 row_shr:2 row_mask:0xf bank_mask:0xf bound_ctrl:1
	s_delay_alu instid0(VALU_DEP_4) | instskip(NEXT) | instid1(VALU_DEP_4)
	v_cvt_i32_f32_e32 v8, v3
	v_cvt_f32_i32_dpp v9, v9 row_shr:2 row_mask:0xf bank_mask:0xf bound_ctrl:1
	s_delay_alu instid0(VALU_DEP_4) | instskip(NEXT) | instid1(VALU_DEP_4)
	v_cvt_f32_i32_dpp v6, v6 row_shr:1 row_mask:0xf bank_mask:0xf bound_ctrl:1
	v_add_f32_e32 v2, v2, v7
	s_delay_alu instid0(VALU_DEP_4) | instskip(NEXT) | instid1(VALU_DEP_4)
	v_cvt_f32_i32_dpp v10, v8 row_shr:1 row_mask:0xf bank_mask:0xf bound_ctrl:1
	v_add_f32_e32 v4, v4, v9
	s_delay_alu instid0(VALU_DEP_4) | instskip(NEXT) | instid1(VALU_DEP_4)
	v_add_f32_e32 v8, v1, v6
	v_cvt_i32_f32_e32 v7, v2
	s_delay_alu instid0(VALU_DEP_3) | instskip(NEXT) | instid1(VALU_DEP_2)
	v_cvt_i32_f32_e32 v9, v4
	v_cvt_f32_i32_dpp v7, v7 row_shr:1 row_mask:0xf bank_mask:0xf bound_ctrl:1
	v_add_f32_e32 v0, v0, v5
	s_delay_alu instid0(VALU_DEP_3) | instskip(NEXT) | instid1(VALU_DEP_2)
	v_cvt_f32_i32_dpp v9, v9 row_shr:1 row_mask:0xf bank_mask:0xf bound_ctrl:1
	v_cvt_i32_f32_e32 v5, v0
	s_delay_alu instid0(VALU_DEP_1) | instskip(NEXT) | instid1(VALU_DEP_1)
	v_cvt_f32_i32_dpp v5, v5 row_shr:1 row_mask:0xf bank_mask:0xf bound_ctrl:1
	v_add_f32_e32 v11, v0, v5
	v_dual_add_f32 v5, v2, v7 :: v_dual_add_f32 v2, v3, v10
	v_add_f32_e32 v0, v4, v9
	ds_bpermute_b32 v9, v101, v8
	ds_bpermute_b32 v12, v101, v11
	;; [unrolled: 1-line block ×5, first 2 shown]
	s_and_saveexec_b32 s25, s0
	s_cbranch_execz .LBB293_7
; %bb.20:                               ;   in Loop: Header=BB293_8 Depth=1
	v_dual_mov_b32 v14, 0 :: v_dual_mov_b32 v13, 0
	v_dual_mov_b32 v10, 0 :: v_dual_mov_b32 v7, 0
	v_mov_b32_e32 v4, 0
	s_and_not1_b32 vcc_lo, exec_lo, s19
	s_cbranch_vccnz .LBB293_22
; %bb.21:                               ;   in Loop: Header=BB293_8 Depth=1
	v_mul_hi_u32 v4, v80, v102
	v_mov_b32_e32 v14, v82
	s_delay_alu instid0(VALU_DEP_2) | instskip(NEXT) | instid1(VALU_DEP_1)
	v_mul_lo_u32 v4, v4, s8
	v_sub_nc_u32_e32 v4, v80, v4
	s_delay_alu instid0(VALU_DEP_1) | instskip(SKIP_1) | instid1(VALU_DEP_2)
	v_subrev_nc_u32_e32 v7, s8, v4
	v_cmp_le_u32_e32 vcc_lo, s8, v4
	v_cndmask_b32_e32 v4, v4, v7, vcc_lo
	s_delay_alu instid0(VALU_DEP_1) | instskip(SKIP_1) | instid1(VALU_DEP_2)
	v_subrev_nc_u32_e32 v7, s8, v4
	v_cmp_le_u32_e32 vcc_lo, s8, v4
	v_dual_cndmask_b32 v81, v4, v7 :: v_dual_mov_b32 v16, v82
	s_delay_alu instid0(VALU_DEP_1)
	v_dual_mov_b32 v18, v82 :: v_dual_add_nc_u32 v17, s21, v81
	v_add_nc_u32_e32 v13, s17, v81
	v_lshlrev_b64 v[19:20], 1, v[81:82]
	v_add_nc_u32_e32 v15, s20, v81
	v_add_nc_u32_e32 v81, s24, v81
	v_lshlrev_b64 v[17:18], 1, v[17:18]
	v_lshlrev_b64 v[13:14], 1, v[13:14]
	s_delay_alu instid0(VALU_DEP_4) | instskip(SKIP_2) | instid1(VALU_DEP_4)
	v_lshlrev_b64 v[15:16], 1, v[15:16]
	v_add_co_u32 v19, vcc_lo, s10, v19
	v_add_co_ci_u32_e32 v20, vcc_lo, s11, v20, vcc_lo
	v_add_co_u32 v23, vcc_lo, s10, v13
	v_add_co_ci_u32_e32 v24, vcc_lo, s11, v14, vcc_lo
	v_lshlrev_b64 v[21:22], 1, v[81:82]
	v_add_co_u32 v15, vcc_lo, s10, v15
	v_add_co_ci_u32_e32 v16, vcc_lo, s11, v16, vcc_lo
	v_add_co_u32 v17, vcc_lo, s10, v17
	v_add_co_ci_u32_e32 v18, vcc_lo, s11, v18, vcc_lo
	;; [unrolled: 2-line block ×3, first 2 shown]
	s_clause 0x4
	global_load_u16 v14, v[19:20], off
	global_load_u16 v13, v[23:24], off
	;; [unrolled: 1-line block ×5, first 2 shown]
.LBB293_22:                             ;   in Loop: Header=BB293_8 Depth=1
	s_waitcnt vmcnt(4) lgkmcnt(0)
	v_dual_add_f32 v11, v11, v12 :: v_dual_lshlrev_b32 v12, 16, v14
	s_delay_alu instid0(VALU_DEP_1) | instskip(NEXT) | instid1(VALU_DEP_1)
	v_add_f32_e32 v12, v11, v12
	v_and_b32_e32 v11, 0x7f800000, v12
	s_delay_alu instid0(VALU_DEP_1) | instskip(SKIP_1) | instid1(SALU_CYCLE_1)
	v_cmp_ne_u32_e32 vcc_lo, 0x7f800000, v11
                                        ; implicit-def: $vgpr11
	s_and_saveexec_b32 s26, vcc_lo
	s_xor_b32 s26, exec_lo, s26
; %bb.23:                               ;   in Loop: Header=BB293_8 Depth=1
	v_bfe_u32 v11, v12, 16, 1
	s_delay_alu instid0(VALU_DEP_1)
	v_add3_u32 v11, v12, v11, 0x7fff
                                        ; implicit-def: $vgpr12
; %bb.24:                               ;   in Loop: Header=BB293_8 Depth=1
	s_and_not1_saveexec_b32 s26, s26
; %bb.25:                               ;   in Loop: Header=BB293_8 Depth=1
	v_and_b32_e32 v11, 0xffff, v12
	v_or_b32_e32 v14, 0x10000, v12
	s_delay_alu instid0(VALU_DEP_2) | instskip(NEXT) | instid1(VALU_DEP_2)
	v_cmp_eq_u32_e32 vcc_lo, 0, v11
	v_cndmask_b32_e32 v11, v14, v12, vcc_lo
; %bb.26:                               ;   in Loop: Header=BB293_8 Depth=1
	s_or_b32 exec_lo, exec_lo, s26
	v_dual_add_f32 v8, v8, v9 :: v_dual_mov_b32 v81, v82
	s_waitcnt vmcnt(3)
	v_lshlrev_b32_e32 v9, 16, v13
	s_delay_alu instid0(VALU_DEP_2) | instskip(NEXT) | instid1(VALU_DEP_2)
	v_lshlrev_b64 v[12:13], 1, v[80:81]
	v_add_f32_e32 v9, v8, v9
	s_delay_alu instid0(VALU_DEP_1) | instskip(NEXT) | instid1(VALU_DEP_3)
	v_and_b32_e32 v8, 0x7f800000, v9
	v_add_co_u32 v12, vcc_lo, s12, v12
	s_delay_alu instid0(VALU_DEP_4) | instskip(NEXT) | instid1(VALU_DEP_3)
	v_add_co_ci_u32_e32 v13, vcc_lo, s13, v13, vcc_lo
	v_cmp_ne_u32_e32 vcc_lo, 0x7f800000, v8
                                        ; implicit-def: $vgpr8
	global_store_d16_hi_b16 v[12:13], v11, off
	s_and_saveexec_b32 s26, vcc_lo
	s_delay_alu instid0(SALU_CYCLE_1)
	s_xor_b32 s26, exec_lo, s26
; %bb.27:                               ;   in Loop: Header=BB293_8 Depth=1
	v_bfe_u32 v8, v9, 16, 1
	s_delay_alu instid0(VALU_DEP_1)
	v_add3_u32 v8, v9, v8, 0x7fff
                                        ; implicit-def: $vgpr9
; %bb.28:                               ;   in Loop: Header=BB293_8 Depth=1
	s_and_not1_saveexec_b32 s26, s26
; %bb.29:                               ;   in Loop: Header=BB293_8 Depth=1
	v_and_b32_e32 v8, 0xffff, v9
	v_or_b32_e32 v11, 0x10000, v9
	s_delay_alu instid0(VALU_DEP_2) | instskip(NEXT) | instid1(VALU_DEP_2)
	v_cmp_eq_u32_e32 vcc_lo, 0, v8
	v_cndmask_b32_e32 v8, v11, v9, vcc_lo
; %bb.30:                               ;   in Loop: Header=BB293_8 Depth=1
	s_or_b32 exec_lo, exec_lo, s26
	v_add_f32_e32 v5, v5, v6
	s_waitcnt vmcnt(2)
	v_lshlrev_b32_e32 v6, 16, v10
	s_delay_alu instid0(VALU_DEP_1) | instskip(NEXT) | instid1(VALU_DEP_1)
	v_dual_add_f32 v6, v5, v6 :: v_dual_add_nc_u32 v81, s7, v80
	v_lshlrev_b64 v[9:10], 1, v[81:82]
	s_delay_alu instid0(VALU_DEP_2) | instskip(NEXT) | instid1(VALU_DEP_2)
	v_and_b32_e32 v5, 0x7f800000, v6
	v_add_co_u32 v9, vcc_lo, s12, v9
	s_delay_alu instid0(VALU_DEP_3) | instskip(NEXT) | instid1(VALU_DEP_3)
	v_add_co_ci_u32_e32 v10, vcc_lo, s13, v10, vcc_lo
	v_cmp_ne_u32_e32 vcc_lo, 0x7f800000, v5
                                        ; implicit-def: $vgpr5
	global_store_d16_hi_b16 v[9:10], v8, off
	s_and_saveexec_b32 s26, vcc_lo
	s_delay_alu instid0(SALU_CYCLE_1)
	s_xor_b32 s26, exec_lo, s26
; %bb.31:                               ;   in Loop: Header=BB293_8 Depth=1
	v_bfe_u32 v5, v6, 16, 1
	s_delay_alu instid0(VALU_DEP_1)
	v_add3_u32 v5, v6, v5, 0x7fff
                                        ; implicit-def: $vgpr6
; %bb.32:                               ;   in Loop: Header=BB293_8 Depth=1
	s_and_not1_saveexec_b32 s26, s26
; %bb.33:                               ;   in Loop: Header=BB293_8 Depth=1
	v_and_b32_e32 v5, 0xffff, v6
	v_or_b32_e32 v8, 0x10000, v6
	s_delay_alu instid0(VALU_DEP_2) | instskip(NEXT) | instid1(VALU_DEP_2)
	v_cmp_eq_u32_e32 vcc_lo, 0, v5
	v_cndmask_b32_e32 v5, v8, v6, vcc_lo
; %bb.34:                               ;   in Loop: Header=BB293_8 Depth=1
	s_or_b32 exec_lo, exec_lo, s26
	v_dual_add_f32 v2, v2, v3 :: v_dual_add_nc_u32 v81, s7, v81
	s_waitcnt vmcnt(1)
	v_lshlrev_b32_e32 v3, 16, v7
	s_delay_alu instid0(VALU_DEP_2) | instskip(NEXT) | instid1(VALU_DEP_2)
	v_lshlrev_b64 v[6:7], 1, v[81:82]
	v_add_f32_e32 v3, v2, v3
	s_delay_alu instid0(VALU_DEP_1) | instskip(NEXT) | instid1(VALU_DEP_3)
	v_and_b32_e32 v2, 0x7f800000, v3
	v_add_co_u32 v6, vcc_lo, s12, v6
	s_delay_alu instid0(VALU_DEP_4) | instskip(NEXT) | instid1(VALU_DEP_3)
	v_add_co_ci_u32_e32 v7, vcc_lo, s13, v7, vcc_lo
	v_cmp_ne_u32_e32 vcc_lo, 0x7f800000, v2
                                        ; implicit-def: $vgpr2
	global_store_d16_hi_b16 v[6:7], v5, off
	s_and_saveexec_b32 s26, vcc_lo
	s_delay_alu instid0(SALU_CYCLE_1)
	s_xor_b32 s26, exec_lo, s26
; %bb.35:                               ;   in Loop: Header=BB293_8 Depth=1
	v_bfe_u32 v2, v3, 16, 1
	s_delay_alu instid0(VALU_DEP_1)
	v_add3_u32 v2, v3, v2, 0x7fff
                                        ; implicit-def: $vgpr3
; %bb.36:                               ;   in Loop: Header=BB293_8 Depth=1
	s_and_not1_saveexec_b32 s26, s26
; %bb.37:                               ;   in Loop: Header=BB293_8 Depth=1
	v_and_b32_e32 v2, 0xffff, v3
	v_or_b32_e32 v5, 0x10000, v3
	s_delay_alu instid0(VALU_DEP_2) | instskip(NEXT) | instid1(VALU_DEP_2)
	v_cmp_eq_u32_e32 vcc_lo, 0, v2
	v_cndmask_b32_e32 v2, v5, v3, vcc_lo
; %bb.38:                               ;   in Loop: Header=BB293_8 Depth=1
	s_or_b32 exec_lo, exec_lo, s26
	s_waitcnt vmcnt(0)
	v_dual_add_f32 v0, v0, v1 :: v_dual_lshlrev_b32 v1, 16, v4
	v_add_nc_u32_e32 v81, s7, v81
	s_delay_alu instid0(VALU_DEP_2) | instskip(NEXT) | instid1(VALU_DEP_2)
	v_add_f32_e32 v1, v0, v1
	v_lshlrev_b64 v[3:4], 1, v[81:82]
	s_delay_alu instid0(VALU_DEP_2) | instskip(NEXT) | instid1(VALU_DEP_2)
	v_and_b32_e32 v0, 0x7f800000, v1
	v_add_co_u32 v3, vcc_lo, s12, v3
	s_delay_alu instid0(VALU_DEP_3) | instskip(NEXT) | instid1(VALU_DEP_3)
	v_add_co_ci_u32_e32 v4, vcc_lo, s13, v4, vcc_lo
	v_cmp_ne_u32_e32 vcc_lo, 0x7f800000, v0
                                        ; implicit-def: $vgpr0
	global_store_d16_hi_b16 v[3:4], v2, off
	s_and_saveexec_b32 s26, vcc_lo
	s_delay_alu instid0(SALU_CYCLE_1)
	s_xor_b32 s26, exec_lo, s26
; %bb.39:                               ;   in Loop: Header=BB293_8 Depth=1
	v_bfe_u32 v0, v1, 16, 1
	s_delay_alu instid0(VALU_DEP_1)
	v_add3_u32 v0, v1, v0, 0x7fff
                                        ; implicit-def: $vgpr1
; %bb.40:                               ;   in Loop: Header=BB293_8 Depth=1
	s_and_not1_saveexec_b32 s26, s26
	s_cbranch_execz .LBB293_6
; %bb.41:                               ;   in Loop: Header=BB293_8 Depth=1
	v_and_b32_e32 v0, 0xffff, v1
	v_or_b32_e32 v2, 0x10000, v1
	s_delay_alu instid0(VALU_DEP_2) | instskip(NEXT) | instid1(VALU_DEP_2)
	v_cmp_eq_u32_e32 vcc_lo, 0, v0
	v_cndmask_b32_e32 v0, v2, v1, vcc_lo
	s_branch .LBB293_6
.LBB293_42:
	s_nop 0
	s_sendmsg sendmsg(MSG_DEALLOC_VGPRS)
	s_endpgm
	.section	.rodata,"a",@progbits
	.p2align	6, 0x0
	.amdhsa_kernel _Z16wvSplitK_hf_sml_I14__hip_bfloat16Li64ELi1ELi16ELi8ELi4ELi5EEviiiiiiPKT_S3_S3_PS1_ii
		.amdhsa_group_segment_fixed_size 65536
		.amdhsa_private_segment_fixed_size 0
		.amdhsa_kernarg_size 64
		.amdhsa_user_sgpr_count 15
		.amdhsa_user_sgpr_dispatch_ptr 0
		.amdhsa_user_sgpr_queue_ptr 0
		.amdhsa_user_sgpr_kernarg_segment_ptr 1
		.amdhsa_user_sgpr_dispatch_id 0
		.amdhsa_user_sgpr_private_segment_size 0
		.amdhsa_wavefront_size32 1
		.amdhsa_uses_dynamic_stack 0
		.amdhsa_enable_private_segment 0
		.amdhsa_system_sgpr_workgroup_id_x 1
		.amdhsa_system_sgpr_workgroup_id_y 0
		.amdhsa_system_sgpr_workgroup_id_z 0
		.amdhsa_system_sgpr_workgroup_info 0
		.amdhsa_system_vgpr_workitem_id 1
		.amdhsa_next_free_vgpr 117
		.amdhsa_next_free_sgpr 30
		.amdhsa_reserve_vcc 1
		.amdhsa_float_round_mode_32 0
		.amdhsa_float_round_mode_16_64 0
		.amdhsa_float_denorm_mode_32 3
		.amdhsa_float_denorm_mode_16_64 3
		.amdhsa_dx10_clamp 1
		.amdhsa_ieee_mode 1
		.amdhsa_fp16_overflow 0
		.amdhsa_workgroup_processor_mode 1
		.amdhsa_memory_ordered 1
		.amdhsa_forward_progress 0
		.amdhsa_shared_vgpr_count 0
		.amdhsa_exception_fp_ieee_invalid_op 0
		.amdhsa_exception_fp_denorm_src 0
		.amdhsa_exception_fp_ieee_div_zero 0
		.amdhsa_exception_fp_ieee_overflow 0
		.amdhsa_exception_fp_ieee_underflow 0
		.amdhsa_exception_fp_ieee_inexact 0
		.amdhsa_exception_int_div_zero 0
	.end_amdhsa_kernel
	.section	.text._Z16wvSplitK_hf_sml_I14__hip_bfloat16Li64ELi1ELi16ELi8ELi4ELi5EEviiiiiiPKT_S3_S3_PS1_ii,"axG",@progbits,_Z16wvSplitK_hf_sml_I14__hip_bfloat16Li64ELi1ELi16ELi8ELi4ELi5EEviiiiiiPKT_S3_S3_PS1_ii,comdat
.Lfunc_end293:
	.size	_Z16wvSplitK_hf_sml_I14__hip_bfloat16Li64ELi1ELi16ELi8ELi4ELi5EEviiiiiiPKT_S3_S3_PS1_ii, .Lfunc_end293-_Z16wvSplitK_hf_sml_I14__hip_bfloat16Li64ELi1ELi16ELi8ELi4ELi5EEviiiiiiPKT_S3_S3_PS1_ii
                                        ; -- End function
	.section	.AMDGPU.csdata,"",@progbits
; Kernel info:
; codeLenInByte = 6132
; NumSgprs: 32
; NumVgprs: 117
; ScratchSize: 0
; MemoryBound: 0
; FloatMode: 240
; IeeeMode: 1
; LDSByteSize: 65536 bytes/workgroup (compile time only)
; SGPRBlocks: 3
; VGPRBlocks: 14
; NumSGPRsForWavesPerEU: 32
; NumVGPRsForWavesPerEU: 117
; Occupancy: 12
; WaveLimiterHint : 0
; COMPUTE_PGM_RSRC2:SCRATCH_EN: 0
; COMPUTE_PGM_RSRC2:USER_SGPR: 15
; COMPUTE_PGM_RSRC2:TRAP_HANDLER: 0
; COMPUTE_PGM_RSRC2:TGID_X_EN: 1
; COMPUTE_PGM_RSRC2:TGID_Y_EN: 0
; COMPUTE_PGM_RSRC2:TGID_Z_EN: 0
; COMPUTE_PGM_RSRC2:TIDIG_COMP_CNT: 1
	.section	.text._Z12wvSplitK_hf_I14__hip_bfloat16Li64ELi1ELi16ELi8ELi4ELi5EEviiiiiiPKT_S3_S3_PS1_ii,"axG",@progbits,_Z12wvSplitK_hf_I14__hip_bfloat16Li64ELi1ELi16ELi8ELi4ELi5EEviiiiiiPKT_S3_S3_PS1_ii,comdat
	.protected	_Z12wvSplitK_hf_I14__hip_bfloat16Li64ELi1ELi16ELi8ELi4ELi5EEviiiiiiPKT_S3_S3_PS1_ii ; -- Begin function _Z12wvSplitK_hf_I14__hip_bfloat16Li64ELi1ELi16ELi8ELi4ELi5EEviiiiiiPKT_S3_S3_PS1_ii
	.globl	_Z12wvSplitK_hf_I14__hip_bfloat16Li64ELi1ELi16ELi8ELi4ELi5EEviiiiiiPKT_S3_S3_PS1_ii
	.p2align	8
	.type	_Z12wvSplitK_hf_I14__hip_bfloat16Li64ELi1ELi16ELi8ELi4ELi5EEviiiiiiPKT_S3_S3_PS1_ii,@function
_Z12wvSplitK_hf_I14__hip_bfloat16Li64ELi1ELi16ELi8ELi4ELi5EEviiiiiiPKT_S3_S3_PS1_ii: ; @_Z12wvSplitK_hf_I14__hip_bfloat16Li64ELi1ELi16ELi8ELi4ELi5EEviiiiiiPKT_S3_S3_PS1_ii
; %bb.0:
	s_clause 0x1
	s_load_b64 s[18:19], s[0:1], 0x38
	s_load_b128 s[4:7], s[0:1], 0x0
	v_bfe_u32 v1, v0, 10, 10
	s_clause 0x1
	s_load_b64 s[8:9], s[0:1], 0x20
	s_load_b64 s[10:11], s[0:1], 0x10
	v_mov_b32_e32 v113, 1
	s_waitcnt lgkmcnt(0)
	v_mad_u64_u32 v[96:97], null, s15, s18, v[1:2]
	s_delay_alu instid0(VALU_DEP_1) | instskip(SKIP_1) | instid1(VALU_DEP_2)
	v_add_nc_u32_e32 v2, 1, v96
	v_cmp_gt_u32_e32 vcc_lo, s7, v96
	v_cmp_le_u32_e64 s2, s7, v2
	s_delay_alu instid0(VALU_DEP_1) | instskip(NEXT) | instid1(SALU_CYCLE_1)
	s_and_b32 s3, vcc_lo, s2
	s_and_saveexec_b32 s2, s3
; %bb.1:
	v_subrev_nc_u32_e32 v2, s7, v96
	s_add_i32 s3, s7, -1
	s_delay_alu instid0(SALU_CYCLE_1) | instskip(NEXT) | instid1(VALU_DEP_2)
	v_mov_b32_e32 v96, s3
	v_cmp_eq_u32_e32 vcc_lo, -1, v2
	v_cndmask_b32_e64 v113, 0, 1, vcc_lo
; %bb.2:
	s_or_b32 exec_lo, exec_lo, s2
	s_load_b64 s[12:13], s[0:1], 0x28
	v_and_b32_e32 v0, 0x3ff, v0
	s_mul_i32 s2, s6, 5
	s_mov_b32 s14, exec_lo
	s_min_u32 s3, s2, 0x8000
	s_delay_alu instid0(VALU_DEP_1) | instskip(NEXT) | instid1(VALU_DEP_1)
	v_lshlrev_b32_e32 v98, 3, v0
	v_lshl_add_u32 v4, v1, 9, v98
	s_delay_alu instid0(VALU_DEP_1)
	v_cmpx_gt_u32_e64 s3, v4
	s_cbranch_execz .LBB294_5
; %bb.3:
	v_lshlrev_b32_e32 v5, 10, v1
	v_lshlrev_b32_e32 v6, 4, v0
	s_mov_b32 s15, 0
	s_delay_alu instid0(VALU_DEP_1) | instskip(NEXT) | instid1(VALU_DEP_1)
	v_add_co_u32 v2, s2, v5, v6
	v_add_co_ci_u32_e64 v3, null, 0, 0, s2
	v_add_nc_u32_e32 v5, v5, v6
	s_delay_alu instid0(VALU_DEP_3) | instskip(NEXT) | instid1(VALU_DEP_3)
	v_add_co_u32 v2, vcc_lo, s8, v2
	v_add_co_ci_u32_e32 v3, vcc_lo, s9, v3, vcc_lo
	.p2align	6
.LBB294_4:                              ; =>This Inner Loop Header: Depth=1
	global_load_b128 v[6:9], v[2:3], off
	v_add_nc_u32_e32 v4, 0x2000, v4
	v_add_co_u32 v2, vcc_lo, 0x4000, v2
	v_add_co_ci_u32_e32 v3, vcc_lo, 0, v3, vcc_lo
	s_delay_alu instid0(VALU_DEP_3) | instskip(NEXT) | instid1(VALU_DEP_1)
	v_cmp_le_u32_e64 s2, s3, v4
	s_or_b32 s15, s2, s15
	s_waitcnt vmcnt(0)
	ds_store_b128 v5, v[6:9]
	v_add_nc_u32_e32 v5, 0x4000, v5
	s_and_not1_b32 exec_lo, exec_lo, s15
	s_cbranch_execnz .LBB294_4
.LBB294_5:
	s_or_b32 exec_lo, exec_lo, s14
	v_cmp_gt_u32_e32 vcc_lo, s18, v1
	v_cmp_gt_u32_e64 s2, s7, v96
	s_waitcnt lgkmcnt(0)
	s_barrier
	buffer_gl0_inv
	s_and_b32 s2, vcc_lo, s2
	s_delay_alu instid0(SALU_CYCLE_1)
	s_and_saveexec_b32 s3, s2
	s_cbranch_execz .LBB294_124
; %bb.6:
	s_cmp_lg_u32 s4, 0
	s_clause 0x1
	s_load_b64 s[14:15], s[0:1], 0x18
	s_load_b64 s[16:17], s[0:1], 0x30
	s_cselect_b32 s3, -1, 0
	s_add_i32 s20, s4, -8
	s_add_i32 s21, s7, -1
	s_cmp_lg_u64 s[12:13], 0
	v_cvt_f32_u32_e32 v3, s10
	s_cselect_b32 s22, -1, 0
	s_abs_i32 s2, s11
	s_mul_i32 s18, s19, s18
	v_cvt_f32_u32_e32 v1, s2
	s_sub_i32 s25, 0, s2
	s_sub_i32 s24, s18, s7
	s_lshl_b32 s19, s6, 1
	s_lshl_b32 s23, s6, 2
	v_rcp_iflag_f32_e32 v1, v1
	s_sub_i32 s26, 0, s10
	s_add_i32 s24, s24, 2
	s_sub_i32 s27, 1, s2
	v_cmp_eq_u32_e64 s0, 63, v0
	v_lshlrev_b32_e32 v114, 4, v0
	v_mbcnt_lo_u32_b32 v2, -1, 0
	v_mov_b32_e32 v100, 0
	v_mad_u64_u32 v[101:102], null, s6, 3, v[98:99]
	s_waitcnt_depctr 0xfff
	v_dual_mul_f32 v1, 0x4f7ffffe, v1 :: v_dual_add_nc_u32 v116, s19, v98
	s_mov_b32 s11, 0
	v_add_nc_u32_e32 v115, s6, v98
	v_add_nc_u32_e32 v117, s23, v98
	s_delay_alu instid0(VALU_DEP_3) | instskip(NEXT) | instid1(VALU_DEP_1)
	v_cvt_u32_f32_e32 v1, v1
	v_readfirstlane_b32 s1, v1
	v_rcp_iflag_f32_e32 v1, v3
	v_xor_b32_e32 v3, 16, v2
	s_delay_alu instid0(VALU_DEP_2) | instskip(NEXT) | instid1(SALU_CYCLE_1)
	s_mul_i32 s25, s25, s1
	s_mul_hi_u32 s25, s1, s25
	s_delay_alu instid0(VALU_DEP_1)
	v_cmp_gt_i32_e32 vcc_lo, 32, v3
	s_add_i32 s1, s1, s25
	s_cmp_lt_u32 s2, 2
	s_waitcnt_depctr 0xfff
	v_mul_f32_e32 v0, 0x4f7ffffe, v1
	s_cselect_b32 s25, s27, 1
	v_cndmask_b32_e32 v2, v2, v3, vcc_lo
	s_sub_i32 s27, s25, s2
	s_cmp_ge_u32 s25, s2
	v_cvt_u32_f32_e32 v0, v0
	s_cselect_b32 s25, s27, s25
	s_lshr_b32 s27, s1, 31
	v_lshlrev_b32_e32 v118, 2, v2
	s_mul_i32 s27, s27, s2
	v_mul_lo_u32 v1, s26, v0
	s_sub_i32 s27, 2, s27
	s_mul_i32 s25, s25, s10
	s_sub_i32 s28, s27, s2
	s_cmp_ge_u32 s27, s2
	s_cselect_b32 s26, s28, s27
	s_mul_hi_u32 s27, s1, 3
	s_sub_i32 s28, s26, s2
	s_cmp_ge_u32 s26, s2
	s_mul_i32 s27, s27, s2
	s_cselect_b32 s26, s28, s26
	s_sub_i32 s27, 3, s27
	v_mul_hi_u32 v1, v0, v1
	s_sub_i32 s28, s27, s2
	s_cmp_ge_u32 s27, s2
	s_mul_i32 s26, s26, s10
	s_cselect_b32 s27, s28, s27
	s_delay_alu instid0(SALU_CYCLE_1) | instskip(SKIP_1) | instid1(VALU_DEP_1)
	s_sub_i32 s28, s27, s2
	s_cmp_ge_u32 s27, s2
	v_add_nc_u32_e32 v119, v0, v1
	s_cselect_b32 s27, s28, s27
	s_lshr_b32 s1, s1, 30
	s_mul_i32 s27, s27, s10
	s_mul_i32 s1, s1, s2
	s_delay_alu instid0(SALU_CYCLE_1) | instskip(NEXT) | instid1(SALU_CYCLE_1)
	s_sub_i32 s1, 4, s1
	s_sub_i32 s28, s1, s2
	s_cmp_ge_u32 s1, s2
	s_cselect_b32 s1, s28, s1
	s_delay_alu instid0(SALU_CYCLE_1)
	s_sub_i32 s28, s1, s2
	s_cmp_ge_u32 s1, s2
	s_cselect_b32 s29, s28, s1
	s_lshl_b32 s28, s6, 3
	s_mul_i32 s29, s29, s10
	s_mul_i32 s6, s6, 6
	s_branch .LBB294_9
.LBB294_7:                              ;   in Loop: Header=BB294_9 Depth=1
	s_or_b32 exec_lo, exec_lo, s2
	v_add_nc_u32_e32 v99, s7, v99
	s_delay_alu instid0(VALU_DEP_1) | instskip(NEXT) | instid1(VALU_DEP_1)
	v_lshlrev_b64 v[1:2], 1, v[99:100]
	v_add_co_u32 v1, vcc_lo, s16, v1
	s_delay_alu instid0(VALU_DEP_2)
	v_add_co_ci_u32_e32 v2, vcc_lo, s17, v2, vcc_lo
	global_store_d16_hi_b16 v[1:2], v0, off
.LBB294_8:                              ;   in Loop: Header=BB294_9 Depth=1
	s_or_b32 exec_lo, exec_lo, s1
	v_add_nc_u32_e32 v0, s18, v96
	s_waitcnt lgkmcnt(0)
	s_delay_alu instid0(VALU_DEP_1) | instskip(SKIP_1) | instid1(VALU_DEP_2)
	v_add_nc_u32_e32 v1, 1, v0
	v_cmp_le_u32_e32 vcc_lo, s7, v0
	v_cmp_gt_u32_e64 s1, s7, v1
	v_add_nc_u32_e32 v1, s24, v96
	s_delay_alu instid0(VALU_DEP_2) | instskip(NEXT) | instid1(VALU_DEP_1)
	s_or_b32 vcc_lo, vcc_lo, s1
	v_cmp_eq_u32_e64 s1, 1, v1
	v_cndmask_b32_e32 v96, s21, v0, vcc_lo
	s_delay_alu instid0(VALU_DEP_2) | instskip(NEXT) | instid1(VALU_DEP_1)
	s_or_b32 vcc_lo, vcc_lo, s1
	v_cmp_le_u32_e64 s2, s7, v96
	v_cndmask_b32_e32 v113, 0, v113, vcc_lo
	s_delay_alu instid0(VALU_DEP_2) | instskip(NEXT) | instid1(SALU_CYCLE_1)
	s_or_b32 s11, s2, s11
	s_and_not1_b32 exec_lo, exec_lo, s11
	s_cbranch_execz .LBB294_124
.LBB294_9:                              ; =>This Loop Header: Depth=1
                                        ;     Child Loop BB294_16 Depth 2
	v_mov_b32_e32 v122, v100
	v_mov_b32_e32 v123, v100
	;; [unrolled: 1-line block ×5, first 2 shown]
	s_and_not1_b32 vcc_lo, exec_lo, s3
	s_cbranch_vccnz .LBB294_100
; %bb.10:                               ;   in Loop: Header=BB294_9 Depth=1
	v_min_u32_e32 v0, s21, v96
	v_dual_mov_b32 v126, 0 :: v_dual_mov_b32 v97, v114
	v_dual_mov_b32 v125, 0 :: v_dual_mov_b32 v124, 0
	s_delay_alu instid0(VALU_DEP_3) | instskip(SKIP_2) | instid1(VALU_DEP_2)
	v_mul_lo_u32 v99, v0, s5
	v_dual_mov_b32 v123, 0 :: v_dual_mov_b32 v122, 0
	s_mov_b32 s1, 0
	v_lshlrev_b64 v[0:1], 1, v[99:100]
	s_waitcnt lgkmcnt(0)
	s_delay_alu instid0(VALU_DEP_1) | instskip(NEXT) | instid1(VALU_DEP_2)
	v_add_co_u32 v120, vcc_lo, s14, v0
	v_add_co_ci_u32_e32 v121, vcc_lo, s15, v1, vcc_lo
	s_branch .LBB294_16
.LBB294_11:                             ;   in Loop: Header=BB294_16 Depth=2
	s_or_b32 exec_lo, exec_lo, s34
.LBB294_12:                             ;   in Loop: Header=BB294_16 Depth=2
	s_delay_alu instid0(SALU_CYCLE_1)
	s_or_b32 exec_lo, exec_lo, s33
.LBB294_13:                             ;   in Loop: Header=BB294_16 Depth=2
	s_delay_alu instid0(SALU_CYCLE_1)
	s_or_b32 exec_lo, exec_lo, s31
.LBB294_14:                             ;   in Loop: Header=BB294_16 Depth=2
	s_delay_alu instid0(SALU_CYCLE_1)
	s_or_b32 exec_lo, exec_lo, s30
.LBB294_15:                             ;   in Loop: Header=BB294_16 Depth=2
	s_delay_alu instid0(SALU_CYCLE_1)
	s_or_b32 exec_lo, exec_lo, s2
	s_waitcnt vmcnt(0) lgkmcnt(0)
	v_and_b32_e32 v104, 0xffff0000, v37
	v_lshlrev_b32_e32 v105, 16, v37
	v_and_b32_e32 v37, 0xffff0000, v26
	v_and_b32_e32 v102, 0xffff0000, v36
	v_lshlrev_b32_e32 v103, 16, v36
	v_and_b32_e32 v36, 0xffff0000, v25
	v_lshlrev_b32_e32 v25, 16, v25
	v_lshlrev_b32_e32 v106, 16, v38
	;; [unrolled: 1-line block ×3, first 2 shown]
	s_addk_i32 s1, 0x800
	v_mul_f32_e32 v104, v104, v36
	v_and_b32_e32 v99, 0xffff0000, v24
	v_lshlrev_b32_e32 v24, 16, v24
	s_cmp_ge_u32 s1, s4
	v_add_nc_u32_e32 v97, 0x1000, v97
	v_fmac_f32_e32 v104, v105, v25
	v_mul_f32_e32 v102, v102, v99
	s_delay_alu instid0(VALU_DEP_1) | instskip(NEXT) | instid1(VALU_DEP_1)
	v_dual_fmac_f32 v102, v103, v24 :: v_dual_and_b32 v105, 0xffff0000, v39
	v_add_f32_e32 v102, v126, v102
	v_and_b32_e32 v103, 0xffff0000, v38
	v_and_b32_e32 v38, 0xffff0000, v27
	s_delay_alu instid0(VALU_DEP_2) | instskip(NEXT) | instid1(VALU_DEP_2)
	v_dual_add_f32 v102, v102, v104 :: v_dual_mul_f32 v103, v103, v37
	v_dual_mul_f32 v105, v105, v38 :: v_dual_lshlrev_b32 v104, 16, v39
	v_and_b32_e32 v39, 0xffff0000, v20
	s_delay_alu instid0(VALU_DEP_3) | instskip(SKIP_1) | instid1(VALU_DEP_2)
	v_dual_fmac_f32 v103, v106, v26 :: v_dual_lshlrev_b32 v20, 16, v20
	v_and_b32_e32 v106, 0xffff0000, v60
	v_add_f32_e32 v102, v102, v103
	v_lshlrev_b32_e32 v27, 16, v27
	v_lshlrev_b32_e32 v103, 16, v60
	s_delay_alu instid0(VALU_DEP_2) | instskip(SKIP_2) | instid1(VALU_DEP_3)
	v_dual_fmac_f32 v105, v104, v27 :: v_dual_and_b32 v60, 0xffff0000, v21
	v_mul_f32_e32 v104, v106, v39
	v_and_b32_e32 v106, 0xffff0000, v61
	v_add_f32_e32 v102, v102, v105
	s_delay_alu instid0(VALU_DEP_3) | instskip(SKIP_1) | instid1(VALU_DEP_4)
	v_dual_fmac_f32 v104, v103, v20 :: v_dual_lshlrev_b32 v103, 16, v61
	v_lshlrev_b32_e32 v21, 16, v21
	v_dual_mul_f32 v105, v106, v60 :: v_dual_and_b32 v106, 0xffff0000, v62
	s_delay_alu instid0(VALU_DEP_1) | instskip(SKIP_2) | instid1(VALU_DEP_3)
	v_dual_add_f32 v102, v102, v104 :: v_dual_fmac_f32 v105, v103, v21
	v_and_b32_e32 v61, 0xffff0000, v22
	v_lshlrev_b32_e32 v22, 16, v22
	v_dual_add_f32 v102, v102, v105 :: v_dual_lshlrev_b32 v103, 16, v62
	s_delay_alu instid0(VALU_DEP_3) | instskip(SKIP_2) | instid1(VALU_DEP_3)
	v_mul_f32_e32 v104, v106, v61
	v_and_b32_e32 v106, 0xffff0000, v63
	v_and_b32_e32 v62, 0xffff0000, v23
	v_dual_fmac_f32 v104, v103, v22 :: v_dual_lshlrev_b32 v103, 16, v63
	s_delay_alu instid0(VALU_DEP_2) | instskip(SKIP_1) | instid1(VALU_DEP_3)
	v_dual_mul_f32 v105, v106, v62 :: v_dual_and_b32 v106, 0xffff0000, v84
	v_and_b32_e32 v63, 0xffff0000, v12
	v_dual_add_f32 v102, v102, v104 :: v_dual_lshlrev_b32 v23, 16, v23
	v_lshlrev_b32_e32 v12, 16, v12
	s_delay_alu instid0(VALU_DEP_3) | instskip(NEXT) | instid1(VALU_DEP_3)
	v_mul_f32_e32 v104, v106, v63
	v_dual_fmac_f32 v105, v103, v23 :: v_dual_and_b32 v106, 0xffff0000, v85
	v_lshlrev_b32_e32 v103, 16, v84
	v_and_b32_e32 v84, 0xffff0000, v13
	s_delay_alu instid0(VALU_DEP_3) | instskip(NEXT) | instid1(VALU_DEP_3)
	v_add_f32_e32 v102, v102, v105
	v_dual_fmac_f32 v104, v103, v12 :: v_dual_lshlrev_b32 v103, 16, v85
	v_lshlrev_b32_e32 v13, 16, v13
	s_delay_alu instid0(VALU_DEP_4) | instskip(NEXT) | instid1(VALU_DEP_1)
	v_dual_mul_f32 v105, v106, v84 :: v_dual_and_b32 v106, 0xffff0000, v86
	v_dual_add_f32 v102, v102, v104 :: v_dual_fmac_f32 v105, v103, v13
	v_and_b32_e32 v85, 0xffff0000, v14
	v_lshlrev_b32_e32 v14, 16, v14
	s_delay_alu instid0(VALU_DEP_3) | instskip(NEXT) | instid1(VALU_DEP_3)
	v_dual_add_f32 v102, v102, v105 :: v_dual_lshlrev_b32 v103, 16, v86
	v_mul_f32_e32 v104, v106, v85
	v_and_b32_e32 v106, 0xffff0000, v87
	v_and_b32_e32 v86, 0xffff0000, v15
	s_delay_alu instid0(VALU_DEP_3) | instskip(NEXT) | instid1(VALU_DEP_2)
	v_dual_fmac_f32 v104, v103, v14 :: v_dual_lshlrev_b32 v103, 16, v87
	v_mul_f32_e32 v105, v106, v86
	v_and_b32_e32 v106, 0xffff0000, v30
	v_and_b32_e32 v87, 0xffff0000, v0
	s_delay_alu instid0(VALU_DEP_4) | instskip(SKIP_2) | instid1(VALU_DEP_3)
	v_dual_add_f32 v102, v102, v104 :: v_dual_lshlrev_b32 v15, 16, v15
	v_and_b32_e32 v104, 0xffff0000, v92
	v_lshlrev_b32_e32 v92, 16, v92
	v_dual_fmac_f32 v105, v103, v15 :: v_dual_lshlrev_b32 v0, 16, v0
	s_delay_alu instid0(VALU_DEP_1) | instskip(SKIP_2) | instid1(VALU_DEP_2)
	v_add_f32_e32 v102, v102, v105
	v_and_b32_e32 v105, 0xffff0000, v29
	v_lshlrev_b32_e32 v29, 16, v29
	v_mul_f32_e32 v105, v105, v36
	s_delay_alu instid0(VALU_DEP_1) | instskip(SKIP_4) | instid1(VALU_DEP_3)
	v_fmac_f32_e32 v105, v29, v25
	v_dual_mul_f32 v30, v106, v37 :: v_dual_lshlrev_b32 v29, 16, v30
	v_dual_mul_f32 v104, v104, v87 :: v_dual_and_b32 v103, 0xffff0000, v28
	v_lshlrev_b32_e32 v28, 16, v28
	v_and_b32_e32 v106, 0xffff0000, v31
	v_dual_mul_f32 v103, v103, v99 :: v_dual_fmac_f32 v104, v92, v0
	s_delay_alu instid0(VALU_DEP_1) | instskip(SKIP_1) | instid1(VALU_DEP_3)
	v_dual_fmac_f32 v103, v28, v24 :: v_dual_and_b32 v92, 0xffff0000, v93
	v_and_b32_e32 v28, 0xffff0000, v1
	v_dual_add_f32 v102, v102, v104 :: v_dual_lshlrev_b32 v93, 16, v93
	v_fmac_f32_e32 v30, v29, v26
	s_delay_alu instid0(VALU_DEP_3) | instskip(NEXT) | instid1(VALU_DEP_1)
	v_dual_add_f32 v103, v125, v103 :: v_dual_mul_f32 v92, v92, v28
	v_dual_add_f32 v103, v103, v105 :: v_dual_and_b32 v104, 0xffff0000, v52
	s_delay_alu instid0(VALU_DEP_1) | instskip(NEXT) | instid1(VALU_DEP_1)
	v_dual_add_f32 v30, v103, v30 :: v_dual_lshlrev_b32 v1, 16, v1
	v_dual_fmac_f32 v92, v93, v1 :: v_dual_lshlrev_b32 v29, 16, v31
	v_mul_f32_e32 v31, v106, v38
	s_delay_alu instid0(VALU_DEP_2) | instskip(NEXT) | instid1(VALU_DEP_2)
	v_dual_add_f32 v92, v102, v92 :: v_dual_and_b32 v93, 0xffff0000, v53
	v_fmac_f32_e32 v31, v29, v27
	v_dual_mul_f32 v52, v104, v39 :: v_dual_lshlrev_b32 v29, 16, v52
	v_and_b32_e32 v102, 0xffff0000, v94
	s_delay_alu instid0(VALU_DEP_3) | instskip(NEXT) | instid1(VALU_DEP_3)
	v_dual_add_f32 v30, v30, v31 :: v_dual_lshlrev_b32 v31, 16, v53
	v_fmac_f32_e32 v52, v29, v20
	v_mul_f32_e32 v53, v93, v60
	v_lshlrev_b32_e32 v93, 16, v94
	v_and_b32_e32 v94, 0xffff0000, v54
	s_delay_alu instid0(VALU_DEP_4) | instskip(NEXT) | instid1(VALU_DEP_4)
	v_dual_add_f32 v30, v30, v52 :: v_dual_and_b32 v29, 0xffff0000, v2
	v_fmac_f32_e32 v53, v31, v21
	s_delay_alu instid0(VALU_DEP_3) | instskip(SKIP_1) | instid1(VALU_DEP_4)
	v_dual_mul_f32 v52, v94, v61 :: v_dual_lshlrev_b32 v31, 16, v54
	v_and_b32_e32 v54, 0xffff0000, v55
	v_mul_f32_e32 v94, v102, v29
	s_delay_alu instid0(VALU_DEP_4) | instskip(NEXT) | instid1(VALU_DEP_4)
	v_add_f32_e32 v30, v30, v53
	v_dual_fmac_f32 v52, v31, v22 :: v_dual_lshlrev_b32 v31, 16, v55
	s_delay_alu instid0(VALU_DEP_4) | instskip(SKIP_1) | instid1(VALU_DEP_2)
	v_dual_mul_f32 v53, v54, v62 :: v_dual_and_b32 v54, 0xffff0000, v76
	v_and_b32_e32 v55, 0xffff0000, v95
	v_fmac_f32_e32 v53, v31, v23
	v_lshlrev_b32_e32 v31, 16, v76
	v_add_f32_e32 v52, v30, v52
	v_mul_f32_e32 v54, v54, v63
	v_and_b32_e32 v30, 0xffff0000, v3
	v_lshlrev_b32_e32 v76, 16, v95
	s_delay_alu instid0(VALU_DEP_4) | instskip(NEXT) | instid1(VALU_DEP_4)
	v_dual_add_f32 v52, v52, v53 :: v_dual_lshlrev_b32 v3, 16, v3
	v_fmac_f32_e32 v54, v31, v12
	s_delay_alu instid0(VALU_DEP_4) | instskip(SKIP_1) | instid1(VALU_DEP_2)
	v_mul_f32_e32 v31, v55, v30
	v_lshlrev_b32_e32 v53, 16, v77
	v_dual_fmac_f32 v31, v76, v3 :: v_dual_and_b32 v76, 0xffff0000, v16
	v_lshlrev_b32_e32 v16, 16, v16
	s_delay_alu instid0(VALU_DEP_2) | instskip(NEXT) | instid1(VALU_DEP_1)
	v_mul_f32_e32 v76, v76, v99
	v_fmac_f32_e32 v76, v16, v24
	v_lshlrev_b32_e32 v16, 16, v17
	s_delay_alu instid0(VALU_DEP_2) | instskip(SKIP_1) | instid1(VALU_DEP_1)
	v_add_f32_e32 v76, v124, v76
	v_lshlrev_b32_e32 v2, 16, v2
	v_dual_fmac_f32 v94, v93, v2 :: v_dual_and_b32 v93, 0xffff0000, v77
	s_delay_alu instid0(VALU_DEP_1) | instskip(SKIP_1) | instid1(VALU_DEP_2)
	v_mul_f32_e32 v77, v93, v84
	v_and_b32_e32 v93, 0xffff0000, v78
	v_fmac_f32_e32 v77, v53, v13
	v_lshlrev_b32_e32 v53, 16, v78
	s_delay_alu instid0(VALU_DEP_3) | instskip(SKIP_1) | instid1(VALU_DEP_2)
	v_dual_mul_f32 v55, v93, v85 :: v_dual_add_f32 v54, v52, v54
	v_add_f32_e32 v52, v92, v94
	v_dual_fmac_f32 v55, v53, v14 :: v_dual_and_b32 v78, 0xffff0000, v17
	s_delay_alu instid0(VALU_DEP_3) | instskip(SKIP_1) | instid1(VALU_DEP_3)
	v_dual_add_f32 v54, v54, v77 :: v_dual_and_b32 v53, 0xffff0000, v79
	v_lshlrev_b32_e32 v77, 16, v79
	v_dual_mul_f32 v17, v78, v36 :: v_dual_and_b32 v78, 0xffff0000, v19
	s_delay_alu instid0(VALU_DEP_3) | instskip(SKIP_1) | instid1(VALU_DEP_3)
	v_dual_mul_f32 v53, v53, v86 :: v_dual_add_f32 v54, v54, v55
	v_and_b32_e32 v55, 0xffff0000, v18
	v_dual_fmac_f32 v17, v16, v25 :: v_dual_lshlrev_b32 v16, 16, v18
	s_delay_alu instid0(VALU_DEP_3) | instskip(NEXT) | instid1(VALU_DEP_3)
	v_fmac_f32_e32 v53, v77, v15
	v_dual_mul_f32 v18, v55, v37 :: v_dual_and_b32 v77, 0xffff0000, v88
	v_lshlrev_b32_e32 v55, 16, v88
	s_delay_alu instid0(VALU_DEP_4) | instskip(NEXT) | instid1(VALU_DEP_4)
	v_add_f32_e32 v17, v76, v17
	v_add_f32_e32 v53, v54, v53
	s_delay_alu instid0(VALU_DEP_4) | instskip(SKIP_2) | instid1(VALU_DEP_3)
	v_dual_mul_f32 v77, v77, v87 :: v_dual_fmac_f32 v18, v16, v26
	v_dual_mul_f32 v19, v78, v38 :: v_dual_lshlrev_b32 v16, 16, v19
	v_and_b32_e32 v54, 0xffff0000, v44
	v_fmac_f32_e32 v77, v55, v0
	s_delay_alu instid0(VALU_DEP_4) | instskip(NEXT) | instid1(VALU_DEP_4)
	v_dual_add_f32 v17, v17, v18 :: v_dual_add_f32 v126, v52, v31
	v_dual_fmac_f32 v19, v16, v27 :: v_dual_lshlrev_b32 v16, 16, v44
	s_delay_alu instid0(VALU_DEP_4) | instskip(NEXT) | instid1(VALU_DEP_4)
	v_mul_f32_e32 v18, v54, v39
	v_add_f32_e32 v44, v53, v77
	v_and_b32_e32 v53, 0xffff0000, v45
	s_delay_alu instid0(VALU_DEP_3) | instskip(NEXT) | instid1(VALU_DEP_2)
	v_dual_add_f32 v17, v17, v19 :: v_dual_fmac_f32 v18, v16, v20
	v_dual_mul_f32 v19, v53, v60 :: v_dual_lshlrev_b32 v16, 16, v45
	v_and_b32_e32 v53, 0xffff0000, v46
	v_lshlrev_b32_e32 v45, 16, v89
	s_delay_alu instid0(VALU_DEP_4) | instskip(NEXT) | instid1(VALU_DEP_4)
	v_add_f32_e32 v17, v17, v18
	v_dual_fmac_f32 v19, v16, v21 :: v_dual_lshlrev_b32 v16, 16, v46
	s_delay_alu instid0(VALU_DEP_4) | instskip(NEXT) | instid1(VALU_DEP_1)
	v_dual_mul_f32 v18, v53, v61 :: v_dual_lshlrev_b32 v53, 16, v91
	v_dual_add_f32 v17, v17, v19 :: v_dual_fmac_f32 v18, v16, v22
	v_lshlrev_b32_e32 v16, 16, v47
	s_delay_alu instid0(VALU_DEP_2) | instskip(NEXT) | instid1(VALU_DEP_1)
	v_dual_add_f32 v17, v17, v18 :: v_dual_and_b32 v54, 0xffff0000, v89
	v_mul_f32_e32 v54, v54, v28
	s_delay_alu instid0(VALU_DEP_1) | instskip(NEXT) | instid1(VALU_DEP_1)
	v_dual_fmac_f32 v54, v45, v1 :: v_dual_and_b32 v45, 0xffff0000, v47
	v_dual_add_f32 v44, v44, v54 :: v_dual_and_b32 v47, 0xffff0000, v68
	s_delay_alu instid0(VALU_DEP_1) | instskip(SKIP_2) | instid1(VALU_DEP_3)
	v_dual_mul_f32 v19, v45, v62 :: v_dual_mul_f32 v18, v47, v63
	v_and_b32_e32 v47, 0xffff0000, v69
	v_lshlrev_b32_e32 v45, 16, v90
	v_dual_fmac_f32 v19, v16, v23 :: v_dual_lshlrev_b32 v16, 16, v68
	s_delay_alu instid0(VALU_DEP_1) | instskip(NEXT) | instid1(VALU_DEP_4)
	v_dual_add_f32 v17, v17, v19 :: v_dual_fmac_f32 v18, v16, v12
	v_dual_mul_f32 v19, v47, v84 :: v_dual_lshlrev_b32 v16, 16, v69
	v_and_b32_e32 v46, 0xffff0000, v90
	v_and_b32_e32 v47, 0xffff0000, v70
	s_delay_alu instid0(VALU_DEP_4) | instskip(NEXT) | instid1(VALU_DEP_4)
	v_add_f32_e32 v17, v17, v18
	v_fmac_f32_e32 v19, v16, v13
	s_delay_alu instid0(VALU_DEP_4) | instskip(SKIP_2) | instid1(VALU_DEP_4)
	v_mul_f32_e32 v46, v46, v29
	v_lshlrev_b32_e32 v16, 16, v70
	v_dual_mul_f32 v18, v47, v85 :: v_dual_lshlrev_b32 v47, 16, v80
	v_add_f32_e32 v17, v17, v19
	s_delay_alu instid0(VALU_DEP_2) | instskip(NEXT) | instid1(VALU_DEP_1)
	v_dual_fmac_f32 v18, v16, v14 :: v_dual_and_b32 v19, 0xffff0000, v71
	v_dual_mul_f32 v19, v19, v86 :: v_dual_lshlrev_b32 v16, 16, v71
	v_fmac_f32_e32 v46, v45, v2
	s_delay_alu instid0(VALU_DEP_3) | instskip(SKIP_1) | instid1(VALU_DEP_4)
	v_add_f32_e32 v17, v17, v18
	v_and_b32_e32 v45, 0xffff0000, v91
	v_fmac_f32_e32 v19, v16, v15
	s_delay_alu instid0(VALU_DEP_4) | instskip(SKIP_3) | instid1(VALU_DEP_3)
	v_add_f32_e32 v44, v44, v46
	v_and_b32_e32 v46, 0xffff0000, v8
	v_lshlrev_b32_e32 v8, 16, v8
	v_dual_mul_f32 v45, v45, v30 :: v_dual_and_b32 v16, 0xffff0000, v9
	v_mul_f32_e32 v46, v46, v99
	s_delay_alu instid0(VALU_DEP_1) | instskip(NEXT) | instid1(VALU_DEP_3)
	v_dual_fmac_f32 v45, v53, v3 :: v_dual_fmac_f32 v46, v8, v24
	v_dual_mul_f32 v9, v16, v36 :: v_dual_lshlrev_b32 v8, 16, v9
	v_dual_add_f32 v16, v17, v19 :: v_dual_and_b32 v17, 0xffff0000, v10
	s_delay_alu instid0(VALU_DEP_3) | instskip(NEXT) | instid1(VALU_DEP_3)
	v_add_f32_e32 v19, v123, v46
	v_dual_fmac_f32 v9, v8, v25 :: v_dual_lshlrev_b32 v8, 16, v10
	s_delay_alu instid0(VALU_DEP_3) | instskip(NEXT) | instid1(VALU_DEP_2)
	v_dual_mul_f32 v10, v17, v37 :: v_dual_and_b32 v17, 0xffff0000, v11
	v_add_f32_e32 v9, v19, v9
	s_delay_alu instid0(VALU_DEP_2) | instskip(SKIP_1) | instid1(VALU_DEP_4)
	v_dual_fmac_f32 v10, v8, v26 :: v_dual_and_b32 v19, 0xffff0000, v40
	v_and_b32_e32 v18, 0xffff0000, v80
	v_dual_mul_f32 v11, v17, v38 :: v_dual_lshlrev_b32 v8, 16, v11
	v_lshlrev_b32_e32 v17, 16, v81
	s_delay_alu instid0(VALU_DEP_3) | instskip(SKIP_1) | instid1(VALU_DEP_4)
	v_dual_add_f32 v9, v9, v10 :: v_dual_mul_f32 v18, v18, v87
	v_mul_f32_e32 v10, v19, v39
	v_dual_fmac_f32 v11, v8, v27 :: v_dual_lshlrev_b32 v8, 16, v40
	s_delay_alu instid0(VALU_DEP_3) | instskip(SKIP_1) | instid1(VALU_DEP_3)
	v_dual_fmac_f32 v18, v47, v0 :: v_dual_and_b32 v19, 0xffff0000, v82
	v_add_f32_e32 v125, v44, v45
	v_dual_add_f32 v9, v9, v11 :: v_dual_fmac_f32 v10, v8, v20
	s_delay_alu instid0(VALU_DEP_3) | instskip(NEXT) | instid1(VALU_DEP_2)
	v_mul_f32_e32 v19, v19, v29
	v_dual_add_f32 v9, v9, v10 :: v_dual_lshlrev_b32 v8, 16, v41
	v_add_f32_e32 v16, v16, v18
	v_and_b32_e32 v18, 0xffff0000, v81
	s_delay_alu instid0(VALU_DEP_1) | instskip(NEXT) | instid1(VALU_DEP_1)
	v_mul_f32_e32 v18, v18, v28
	v_fmac_f32_e32 v18, v17, v1
	v_and_b32_e32 v17, 0xffff0000, v41
	s_delay_alu instid0(VALU_DEP_1) | instskip(SKIP_1) | instid1(VALU_DEP_2)
	v_mul_f32_e32 v11, v17, v60
	v_lshlrev_b32_e32 v17, 16, v82
	v_fmac_f32_e32 v11, v8, v21
	s_delay_alu instid0(VALU_DEP_2) | instskip(SKIP_2) | instid1(VALU_DEP_4)
	v_fmac_f32_e32 v19, v17, v2
	v_lshlrev_b32_e32 v8, 16, v42
	v_and_b32_e32 v17, 0xffff0000, v56
	v_dual_add_f32 v9, v9, v11 :: v_dual_add_f32 v16, v16, v18
	v_and_b32_e32 v18, 0xffff0000, v43
	s_delay_alu instid0(VALU_DEP_2) | instskip(SKIP_1) | instid1(VALU_DEP_3)
	v_dual_add_f32 v16, v16, v19 :: v_dual_and_b32 v19, 0xffff0000, v57
	v_and_b32_e32 v40, 0xffff0000, v42
	v_mul_f32_e32 v11, v18, v62
	s_delay_alu instid0(VALU_DEP_2) | instskip(NEXT) | instid1(VALU_DEP_1)
	v_dual_mul_f32 v19, v19, v84 :: v_dual_mul_f32 v10, v40, v61
	v_fmac_f32_e32 v10, v8, v22
	s_delay_alu instid0(VALU_DEP_1) | instskip(NEXT) | instid1(VALU_DEP_1)
	v_dual_add_f32 v9, v9, v10 :: v_dual_lshlrev_b32 v8, 16, v43
	v_fmac_f32_e32 v11, v8, v23
	s_delay_alu instid0(VALU_DEP_1) | instskip(SKIP_1) | instid1(VALU_DEP_1)
	v_add_f32_e32 v9, v9, v11
	v_and_b32_e32 v11, 0xffff0000, v4
	v_dual_mul_f32 v11, v11, v99 :: v_dual_lshlrev_b32 v4, 16, v4
	s_delay_alu instid0(VALU_DEP_1) | instskip(SKIP_4) | instid1(VALU_DEP_2)
	v_fmac_f32_e32 v11, v4, v24
	v_lshlrev_b32_e32 v8, 16, v56
	v_lshlrev_b32_e32 v4, 16, v5
	v_mul_f32_e32 v10, v17, v63
	v_lshlrev_b32_e32 v17, 16, v83
	v_dual_add_f32 v11, v122, v11 :: v_dual_fmac_f32 v10, v8, v12
	v_lshlrev_b32_e32 v8, 16, v57
	s_delay_alu instid0(VALU_DEP_2) | instskip(NEXT) | instid1(VALU_DEP_2)
	v_dual_add_f32 v9, v9, v10 :: v_dual_and_b32 v18, 0xffff0000, v83
	v_fmac_f32_e32 v19, v8, v13
	v_and_b32_e32 v10, 0xffff0000, v5
	s_delay_alu instid0(VALU_DEP_2) | instskip(NEXT) | instid1(VALU_DEP_2)
	v_dual_mul_f32 v8, v18, v30 :: v_dual_add_f32 v9, v9, v19
	v_dual_mul_f32 v5, v10, v36 :: v_dual_and_b32 v10, 0xffff0000, v6
	v_and_b32_e32 v19, 0xffff0000, v7
	s_delay_alu instid0(VALU_DEP_2) | instskip(NEXT) | instid1(VALU_DEP_1)
	v_fmac_f32_e32 v5, v4, v25
	v_add_f32_e32 v5, v11, v5
	v_and_b32_e32 v11, 0xffff0000, v59
	s_delay_alu instid0(VALU_DEP_1) | instskip(SKIP_2) | instid1(VALU_DEP_3)
	v_dual_fmac_f32 v8, v17, v3 :: v_dual_mul_f32 v11, v11, v86
	v_lshlrev_b32_e32 v4, 16, v6
	v_mul_f32_e32 v6, v10, v37
	v_add_f32_e32 v124, v16, v8
	s_delay_alu instid0(VALU_DEP_2) | instskip(SKIP_3) | instid1(VALU_DEP_4)
	v_fmac_f32_e32 v6, v4, v26
	v_dual_mul_f32 v7, v19, v38 :: v_dual_lshlrev_b32 v4, 16, v7
	v_and_b32_e32 v19, 0xffff0000, v33
	v_and_b32_e32 v18, 0xffff0000, v58
	v_add_f32_e32 v5, v5, v6
	s_delay_alu instid0(VALU_DEP_4) | instskip(NEXT) | instid1(VALU_DEP_1)
	v_fmac_f32_e32 v7, v4, v27
	v_add_f32_e32 v5, v5, v7
	v_dual_mul_f32 v7, v19, v60 :: v_dual_lshlrev_b32 v10, 16, v58
	v_mul_f32_e32 v18, v18, v85
	s_delay_alu instid0(VALU_DEP_1) | instskip(NEXT) | instid1(VALU_DEP_1)
	v_fmac_f32_e32 v18, v10, v14
	v_dual_add_f32 v9, v9, v18 :: v_dual_and_b32 v10, 0xffff0000, v32
	s_delay_alu instid0(VALU_DEP_1) | instskip(SKIP_1) | instid1(VALU_DEP_1)
	v_mul_f32_e32 v6, v10, v39
	v_lshlrev_b32_e32 v10, 16, v59
	v_fmac_f32_e32 v11, v10, v15
	v_and_b32_e32 v10, 0xffff0000, v35
	s_delay_alu instid0(VALU_DEP_2) | instskip(SKIP_1) | instid1(VALU_DEP_1)
	v_add_f32_e32 v9, v9, v11
	v_and_b32_e32 v11, 0xffff0000, v64
	v_dual_mul_f32 v11, v11, v87 :: v_dual_lshlrev_b32 v4, 16, v32
	s_delay_alu instid0(VALU_DEP_1) | instskip(NEXT) | instid1(VALU_DEP_1)
	v_fmac_f32_e32 v6, v4, v20
	v_dual_add_f32 v5, v5, v6 :: v_dual_lshlrev_b32 v4, 16, v33
	s_delay_alu instid0(VALU_DEP_1) | instskip(NEXT) | instid1(VALU_DEP_1)
	v_fmac_f32_e32 v7, v4, v21
	v_add_f32_e32 v5, v5, v7
	v_mul_f32_e32 v7, v10, v62
	v_and_b32_e32 v18, 0xffff0000, v34
	v_lshlrev_b32_e32 v10, 16, v64
	s_delay_alu instid0(VALU_DEP_1) | instskip(NEXT) | instid1(VALU_DEP_3)
	v_fmac_f32_e32 v11, v10, v0
	v_mul_f32_e32 v6, v18, v61
	v_and_b32_e32 v10, 0xffff0000, v49
	v_lshlrev_b32_e32 v4, 16, v34
	s_delay_alu instid0(VALU_DEP_4) | instskip(NEXT) | instid1(VALU_DEP_2)
	v_dual_add_f32 v9, v9, v11 :: v_dual_and_b32 v18, 0xffff0000, v48
	v_dual_fmac_f32 v6, v4, v22 :: v_dual_and_b32 v11, 0xffff0000, v51
	s_delay_alu instid0(VALU_DEP_1) | instskip(NEXT) | instid1(VALU_DEP_1)
	v_dual_add_f32 v5, v5, v6 :: v_dual_lshlrev_b32 v4, 16, v35
	v_fmac_f32_e32 v7, v4, v23
	s_delay_alu instid0(VALU_DEP_4) | instskip(NEXT) | instid1(VALU_DEP_2)
	v_mul_f32_e32 v6, v18, v63
	v_dual_add_f32 v5, v5, v7 :: v_dual_and_b32 v18, 0xffff0000, v65
	v_dual_mul_f32 v7, v10, v84 :: v_dual_lshlrev_b32 v10, 16, v65
	s_delay_alu instid0(VALU_DEP_2) | instskip(NEXT) | instid1(VALU_DEP_1)
	v_mul_f32_e32 v18, v18, v28
	v_fmac_f32_e32 v18, v10, v1
	v_lshlrev_b32_e32 v4, 16, v48
	s_delay_alu instid0(VALU_DEP_2) | instskip(NEXT) | instid1(VALU_DEP_2)
	v_dual_add_f32 v9, v9, v18 :: v_dual_and_b32 v10, 0xffff0000, v72
	v_fmac_f32_e32 v6, v4, v12
	v_lshlrev_b32_e32 v4, 16, v49
	v_and_b32_e32 v12, 0xffff0000, v50
	s_delay_alu instid0(VALU_DEP_3) | instskip(NEXT) | instid1(VALU_DEP_3)
	v_add_f32_e32 v5, v5, v6
	v_dual_fmac_f32 v7, v4, v13 :: v_dual_lshlrev_b32 v4, 16, v50
	s_delay_alu instid0(VALU_DEP_1) | instskip(SKIP_2) | instid1(VALU_DEP_1)
	v_add_f32_e32 v5, v5, v7
	v_mul_f32_e32 v7, v11, v86
	v_and_b32_e32 v11, 0xffff0000, v66
	v_mul_f32_e32 v11, v11, v29
	v_mul_f32_e32 v6, v12, v85
	v_and_b32_e32 v12, 0xffff0000, v73
	s_delay_alu instid0(VALU_DEP_2) | instskip(NEXT) | instid1(VALU_DEP_1)
	v_fmac_f32_e32 v6, v4, v14
	v_dual_add_f32 v5, v5, v6 :: v_dual_lshlrev_b32 v4, 16, v51
	s_delay_alu instid0(VALU_DEP_1) | instskip(SKIP_1) | instid1(VALU_DEP_2)
	v_dual_fmac_f32 v7, v4, v15 :: v_dual_lshlrev_b32 v4, 16, v72
	v_mul_f32_e32 v6, v10, v87
	v_dual_add_f32 v5, v5, v7 :: v_dual_lshlrev_b32 v10, 16, v66
	s_delay_alu instid0(VALU_DEP_2) | instskip(SKIP_1) | instid1(VALU_DEP_3)
	v_dual_fmac_f32 v6, v4, v0 :: v_dual_and_b32 v7, 0xffff0000, v74
	v_lshlrev_b32_e32 v0, 16, v73
	v_dual_mul_f32 v4, v12, v28 :: v_dual_fmac_f32 v11, v10, v2
	s_delay_alu instid0(VALU_DEP_3) | instskip(SKIP_1) | instid1(VALU_DEP_3)
	v_dual_add_f32 v5, v5, v6 :: v_dual_and_b32 v10, 0xffff0000, v67
	v_lshlrev_b32_e32 v6, 16, v67
	v_fmac_f32_e32 v4, v0, v1
	v_dual_mul_f32 v1, v7, v29 :: v_dual_lshlrev_b32 v0, 16, v74
	s_delay_alu instid0(VALU_DEP_4) | instskip(NEXT) | instid1(VALU_DEP_3)
	v_dual_mul_f32 v10, v10, v30 :: v_dual_and_b32 v7, 0xffff0000, v75
	v_add_f32_e32 v4, v5, v4
	v_add_f32_e32 v5, v9, v11
	s_delay_alu instid0(VALU_DEP_4) | instskip(NEXT) | instid1(VALU_DEP_4)
	v_dual_fmac_f32 v1, v0, v2 :: v_dual_lshlrev_b32 v0, 16, v75
	v_mul_f32_e32 v2, v7, v30
	s_delay_alu instid0(VALU_DEP_2) | instskip(NEXT) | instid1(VALU_DEP_1)
	v_dual_fmac_f32 v10, v6, v3 :: v_dual_add_f32 v1, v4, v1
	v_dual_fmac_f32 v2, v0, v3 :: v_dual_add_f32 v123, v5, v10
	s_delay_alu instid0(VALU_DEP_1)
	v_add_f32_e32 v122, v1, v2
	s_cbranch_scc1 .LBB294_100
.LBB294_16:                             ;   Parent Loop BB294_9 Depth=1
                                        ; =>  This Inner Loop Header: Depth=2
	v_dual_mov_b32 v74, 0 :: v_dual_add_nc_u32 v103, s1, v98
	v_dual_mov_b32 v67, 0 :: v_dual_mov_b32 v66, 0
	v_dual_mov_b32 v65, 0 :: v_dual_mov_b32 v64, 0
	s_delay_alu instid0(VALU_DEP_3) | instskip(SKIP_2) | instid1(VALU_DEP_3)
	v_min_u32_e32 v99, s20, v103
	v_dual_mov_b32 v72, 0 :: v_dual_add_nc_u32 v111, 0x200, v103
	v_dual_mov_b32 v75, 0 :: v_dual_add_nc_u32 v110, 0x400, v103
	v_lshlrev_b64 v[0:1], 1, v[99:100]
	s_delay_alu instid0(VALU_DEP_3) | instskip(SKIP_2) | instid1(VALU_DEP_3)
	v_min_u32_e32 v99, s20, v111
	v_dual_mov_b32 v73, 0 :: v_dual_add_nc_u32 v102, 0x600, v103
	v_dual_mov_b32 v83, 0 :: v_dual_mov_b32 v82, 0
	v_lshlrev_b64 v[2:3], 1, v[99:100]
	v_min_u32_e32 v99, s20, v110
	v_add_co_u32 v0, vcc_lo, v120, v0
	v_add_co_ci_u32_e32 v1, vcc_lo, v121, v1, vcc_lo
	s_waitcnt vmcnt(0)
	s_delay_alu instid0(VALU_DEP_3) | instskip(SKIP_3) | instid1(VALU_DEP_3)
	v_lshlrev_b64 v[4:5], 1, v[99:100]
	v_min_u32_e32 v99, s20, v102
	v_add_co_u32 v2, vcc_lo, v120, v2
	v_add_co_ci_u32_e32 v3, vcc_lo, v121, v3, vcc_lo
	v_lshlrev_b64 v[6:7], 1, v[99:100]
	v_add_co_u32 v4, vcc_lo, v120, v4
	v_add_co_ci_u32_e32 v5, vcc_lo, v121, v5, vcc_lo
	v_dual_mov_b32 v81, 0 :: v_dual_mov_b32 v80, 0
	s_delay_alu instid0(VALU_DEP_4)
	v_add_co_u32 v6, vcc_lo, v120, v6
	v_add_co_ci_u32_e32 v7, vcc_lo, v121, v7, vcc_lo
	s_clause 0x3
	global_load_b128 v[24:27], v[0:1], off slc dlc
	global_load_b128 v[20:23], v[2:3], off slc dlc
	;; [unrolled: 1-line block ×4, first 2 shown]
	v_cmp_gt_u32_e32 vcc_lo, s4, v103
	v_dual_mov_b32 v91, 0 :: v_dual_mov_b32 v90, 0
	v_dual_mov_b32 v89, 0 :: v_dual_mov_b32 v88, 0
	;; [unrolled: 1-line block ×34, first 2 shown]
	s_and_saveexec_b32 s2, vcc_lo
	s_cbranch_execz .LBB294_15
; %bb.17:                               ;   in Loop: Header=BB294_16 Depth=2
	s_mov_b32 s30, exec_lo
                                        ; implicit-def: $vgpr39
	v_cmpx_lt_u32_e32 0x7fff, v103
	s_xor_b32 s30, exec_lo, s30
	s_cbranch_execz .LBB294_19
; %bb.18:                               ;   in Loop: Header=BB294_16 Depth=2
	v_mov_b32_e32 v104, v100
	s_delay_alu instid0(VALU_DEP_1) | instskip(NEXT) | instid1(VALU_DEP_1)
	v_lshlrev_b64 v[4:5], 1, v[103:104]
	v_add_co_u32 v4, vcc_lo, s8, v4
	s_delay_alu instid0(VALU_DEP_2)
	v_add_co_ci_u32_e32 v5, vcc_lo, s9, v5, vcc_lo
	global_load_b128 v[36:39], v[4:5], off
.LBB294_19:                             ;   in Loop: Header=BB294_16 Depth=2
	s_and_not1_saveexec_b32 s30, s30
	s_cbranch_execz .LBB294_21
; %bb.20:                               ;   in Loop: Header=BB294_16 Depth=2
	s_waitcnt vmcnt(0)
	ds_load_b128 v[36:39], v97
.LBB294_21:                             ;   in Loop: Header=BB294_16 Depth=2
	s_or_b32 exec_lo, exec_lo, s30
	v_add_nc_u32_e32 v99, s1, v115
	s_mov_b32 s30, exec_lo
                                        ; implicit-def: $vgpr31
	s_delay_alu instid0(VALU_DEP_1)
	v_cmpx_lt_u32_e32 0x7fff, v99
	s_xor_b32 s30, exec_lo, s30
	s_cbranch_execz .LBB294_23
; %bb.22:                               ;   in Loop: Header=BB294_16 Depth=2
	v_lshlrev_b64 v[4:5], 1, v[99:100]
	s_delay_alu instid0(VALU_DEP_1) | instskip(NEXT) | instid1(VALU_DEP_2)
	v_add_co_u32 v4, vcc_lo, s8, v4
	v_add_co_ci_u32_e32 v5, vcc_lo, s9, v5, vcc_lo
	global_load_b128 v[28:31], v[4:5], off
.LBB294_23:                             ;   in Loop: Header=BB294_16 Depth=2
	s_and_not1_saveexec_b32 s30, s30
	s_cbranch_execz .LBB294_25
; %bb.24:                               ;   in Loop: Header=BB294_16 Depth=2
	v_add_nc_u32_e32 v4, s19, v97
	s_waitcnt vmcnt(0)
	ds_load_b128 v[28:31], v4
.LBB294_25:                             ;   in Loop: Header=BB294_16 Depth=2
	s_or_b32 exec_lo, exec_lo, s30
	v_add_nc_u32_e32 v108, s1, v116
	s_mov_b32 s30, exec_lo
                                        ; implicit-def: $vgpr19
	s_delay_alu instid0(VALU_DEP_1)
	v_cmpx_lt_u32_e32 0x7fff, v108
	s_xor_b32 s30, exec_lo, s30
	s_cbranch_execz .LBB294_27
; %bb.26:                               ;   in Loop: Header=BB294_16 Depth=2
	v_mov_b32_e32 v109, v100
	s_delay_alu instid0(VALU_DEP_1) | instskip(NEXT) | instid1(VALU_DEP_1)
	v_lshlrev_b64 v[4:5], 1, v[108:109]
	v_add_co_u32 v4, vcc_lo, s8, v4
	s_delay_alu instid0(VALU_DEP_2)
	v_add_co_ci_u32_e32 v5, vcc_lo, s9, v5, vcc_lo
	global_load_b128 v[16:19], v[4:5], off
.LBB294_27:                             ;   in Loop: Header=BB294_16 Depth=2
	s_and_not1_saveexec_b32 s30, s30
	s_cbranch_execz .LBB294_29
; %bb.28:                               ;   in Loop: Header=BB294_16 Depth=2
	v_add_nc_u32_e32 v4, s23, v97
	s_waitcnt vmcnt(0)
	ds_load_2addr_b32 v[16:17], v4 offset1:1
	ds_load_2addr_b32 v[18:19], v4 offset0:2 offset1:3
.LBB294_29:                             ;   in Loop: Header=BB294_16 Depth=2
	s_or_b32 exec_lo, exec_lo, s30
	v_add_nc_u32_e32 v106, s1, v101
	s_mov_b32 s30, exec_lo
                                        ; implicit-def: $vgpr11
	s_delay_alu instid0(VALU_DEP_1)
	v_cmpx_lt_u32_e32 0x7fff, v106
	s_xor_b32 s30, exec_lo, s30
	s_cbranch_execz .LBB294_31
; %bb.30:                               ;   in Loop: Header=BB294_16 Depth=2
	v_mov_b32_e32 v107, v100
	s_delay_alu instid0(VALU_DEP_1) | instskip(NEXT) | instid1(VALU_DEP_1)
	v_lshlrev_b64 v[4:5], 1, v[106:107]
	v_add_co_u32 v4, vcc_lo, s8, v4
	s_delay_alu instid0(VALU_DEP_2)
	v_add_co_ci_u32_e32 v5, vcc_lo, s9, v5, vcc_lo
	global_load_b128 v[8:11], v[4:5], off
.LBB294_31:                             ;   in Loop: Header=BB294_16 Depth=2
	s_and_not1_saveexec_b32 s30, s30
	s_cbranch_execz .LBB294_33
; %bb.32:                               ;   in Loop: Header=BB294_16 Depth=2
	v_add_nc_u32_e32 v4, s6, v97
	s_waitcnt vmcnt(0)
	ds_load_b128 v[8:11], v4
.LBB294_33:                             ;   in Loop: Header=BB294_16 Depth=2
	s_or_b32 exec_lo, exec_lo, s30
	v_add_nc_u32_e32 v104, s1, v117
	s_mov_b32 s30, exec_lo
                                        ; implicit-def: $vgpr7
	s_delay_alu instid0(VALU_DEP_1)
	v_cmpx_lt_u32_e32 0x7fff, v104
	s_xor_b32 s30, exec_lo, s30
	s_cbranch_execz .LBB294_35
; %bb.34:                               ;   in Loop: Header=BB294_16 Depth=2
	v_mov_b32_e32 v105, v100
	s_delay_alu instid0(VALU_DEP_1) | instskip(NEXT) | instid1(VALU_DEP_1)
	v_lshlrev_b64 v[4:5], 1, v[104:105]
	v_add_co_u32 v4, vcc_lo, s8, v4
	s_delay_alu instid0(VALU_DEP_2)
	v_add_co_ci_u32_e32 v5, vcc_lo, s9, v5, vcc_lo
	global_load_b128 v[4:7], v[4:5], off
.LBB294_35:                             ;   in Loop: Header=BB294_16 Depth=2
	s_and_not1_saveexec_b32 s30, s30
	s_cbranch_execz .LBB294_37
; %bb.36:                               ;   in Loop: Header=BB294_16 Depth=2
	s_waitcnt vmcnt(0)
	v_add_nc_u32_e32 v4, s28, v97
	ds_load_2addr_b64 v[4:7], v4 offset1:1
.LBB294_37:                             ;   in Loop: Header=BB294_16 Depth=2
	s_or_b32 exec_lo, exec_lo, s30
	v_cmp_gt_u32_e32 vcc_lo, s4, v111
	v_dual_mov_b32 v75, 0 :: v_dual_mov_b32 v74, 0
	v_dual_mov_b32 v73, 0 :: v_dual_mov_b32 v72, 0
	v_dual_mov_b32 v67, 0 :: v_dual_mov_b32 v66, 0
	v_dual_mov_b32 v65, 0 :: v_dual_mov_b32 v64, 0
	v_dual_mov_b32 v83, 0 :: v_dual_mov_b32 v82, 0
	v_dual_mov_b32 v81, 0 :: v_dual_mov_b32 v80, 0
	v_dual_mov_b32 v91, 0 :: v_dual_mov_b32 v90, 0
	v_dual_mov_b32 v89, 0 :: v_dual_mov_b32 v88, 0
	v_dual_mov_b32 v95, 0 :: v_dual_mov_b32 v94, 0
	v_dual_mov_b32 v93, 0 :: v_dual_mov_b32 v92, 0
	v_dual_mov_b32 v51, 0 :: v_dual_mov_b32 v50, 0
	v_dual_mov_b32 v49, 0 :: v_dual_mov_b32 v48, 0
	v_dual_mov_b32 v59, 0 :: v_dual_mov_b32 v58, 0
	v_dual_mov_b32 v57, 0 :: v_dual_mov_b32 v56, 0
	v_dual_mov_b32 v71, 0 :: v_dual_mov_b32 v70, 0
	v_dual_mov_b32 v69, 0 :: v_dual_mov_b32 v68, 0
	v_dual_mov_b32 v79, 0 :: v_dual_mov_b32 v78, 0
	v_dual_mov_b32 v77, 0 :: v_dual_mov_b32 v76, 0
	v_dual_mov_b32 v87, 0 :: v_dual_mov_b32 v86, 0
	v_dual_mov_b32 v85, 0 :: v_dual_mov_b32 v84, 0
	v_dual_mov_b32 v35, 0 :: v_dual_mov_b32 v34, 0
	v_dual_mov_b32 v33, 0 :: v_dual_mov_b32 v32, 0
	v_dual_mov_b32 v43, 0 :: v_dual_mov_b32 v42, 0
	v_dual_mov_b32 v41, 0 :: v_dual_mov_b32 v40, 0
	v_dual_mov_b32 v47, 0 :: v_dual_mov_b32 v46, 0
	v_dual_mov_b32 v45, 0 :: v_dual_mov_b32 v44, 0
	v_dual_mov_b32 v55, 0 :: v_dual_mov_b32 v54, 0
	v_dual_mov_b32 v53, 0 :: v_dual_mov_b32 v52, 0
	v_dual_mov_b32 v63, 0 :: v_dual_mov_b32 v62, 0
	v_dual_mov_b32 v61, 0 :: v_dual_mov_b32 v60, 0
	s_and_saveexec_b32 s30, vcc_lo
	s_cbranch_execz .LBB294_14
; %bb.38:                               ;   in Loop: Header=BB294_16 Depth=2
	s_mov_b32 s31, exec_lo
                                        ; implicit-def: $vgpr63
	v_cmpx_lt_u32_e32 0x7fff, v111
	s_xor_b32 s31, exec_lo, s31
	s_cbranch_execz .LBB294_40
; %bb.39:                               ;   in Loop: Header=BB294_16 Depth=2
	v_mov_b32_e32 v112, v100
	s_delay_alu instid0(VALU_DEP_1) | instskip(NEXT) | instid1(VALU_DEP_1)
	v_lshlrev_b64 v[32:33], 1, v[111:112]
	v_add_co_u32 v32, vcc_lo, s8, v32
	s_delay_alu instid0(VALU_DEP_2)
	v_add_co_ci_u32_e32 v33, vcc_lo, s9, v33, vcc_lo
	global_load_b128 v[60:63], v[32:33], off
.LBB294_40:                             ;   in Loop: Header=BB294_16 Depth=2
	s_and_not1_saveexec_b32 s31, s31
	s_cbranch_execz .LBB294_42
; %bb.41:                               ;   in Loop: Header=BB294_16 Depth=2
	s_waitcnt vmcnt(0)
	ds_load_b128 v[60:63], v97 offset:1024
.LBB294_42:                             ;   in Loop: Header=BB294_16 Depth=2
	s_or_b32 exec_lo, exec_lo, s31
	v_add_nc_u32_e32 v32, 0x200, v99
	s_mov_b32 s31, exec_lo
                                        ; implicit-def: $vgpr55
	s_delay_alu instid0(VALU_DEP_1)
	v_cmpx_lt_u32_e32 0x7fff, v32
	s_xor_b32 s31, exec_lo, s31
	s_cbranch_execz .LBB294_44
; %bb.43:                               ;   in Loop: Header=BB294_16 Depth=2
	v_mov_b32_e32 v33, v100
	s_delay_alu instid0(VALU_DEP_1) | instskip(NEXT) | instid1(VALU_DEP_1)
	v_lshlrev_b64 v[32:33], 1, v[32:33]
	v_add_co_u32 v32, vcc_lo, s8, v32
	s_delay_alu instid0(VALU_DEP_2)
	v_add_co_ci_u32_e32 v33, vcc_lo, s9, v33, vcc_lo
	global_load_b128 v[52:55], v[32:33], off
.LBB294_44:                             ;   in Loop: Header=BB294_16 Depth=2
	s_and_not1_saveexec_b32 s31, s31
	s_cbranch_execz .LBB294_46
; %bb.45:                               ;   in Loop: Header=BB294_16 Depth=2
	v_add_nc_u32_e32 v32, s19, v97
	s_waitcnt vmcnt(0)
	ds_load_b128 v[52:55], v32 offset:1024
.LBB294_46:                             ;   in Loop: Header=BB294_16 Depth=2
	s_or_b32 exec_lo, exec_lo, s31
	v_add_nc_u32_e32 v32, 0x200, v108
	s_mov_b32 s31, exec_lo
                                        ; implicit-def: $vgpr47
	s_delay_alu instid0(VALU_DEP_1)
	v_cmpx_lt_u32_e32 0x7fff, v32
	s_xor_b32 s31, exec_lo, s31
	s_cbranch_execz .LBB294_48
; %bb.47:                               ;   in Loop: Header=BB294_16 Depth=2
	v_mov_b32_e32 v33, v100
	s_delay_alu instid0(VALU_DEP_1) | instskip(NEXT) | instid1(VALU_DEP_1)
	v_lshlrev_b64 v[32:33], 1, v[32:33]
	v_add_co_u32 v32, vcc_lo, s8, v32
	s_delay_alu instid0(VALU_DEP_2)
	v_add_co_ci_u32_e32 v33, vcc_lo, s9, v33, vcc_lo
	global_load_b128 v[44:47], v[32:33], off
.LBB294_48:                             ;   in Loop: Header=BB294_16 Depth=2
	s_and_not1_saveexec_b32 s31, s31
	s_cbranch_execz .LBB294_50
; %bb.49:                               ;   in Loop: Header=BB294_16 Depth=2
	v_add_nc_u32_e32 v32, s23, v97
	s_delay_alu instid0(VALU_DEP_1)
	v_add_nc_u32_e32 v33, 0x400, v32
	v_add_nc_u32_e32 v32, 0x408, v32
	s_waitcnt vmcnt(0)
	ds_load_2addr_b32 v[44:45], v33 offset1:1
	ds_load_2addr_b32 v[46:47], v32 offset1:1
.LBB294_50:                             ;   in Loop: Header=BB294_16 Depth=2
	s_or_b32 exec_lo, exec_lo, s31
	v_add_nc_u32_e32 v32, 0x200, v106
	s_mov_b32 s31, exec_lo
                                        ; implicit-def: $vgpr43
	s_delay_alu instid0(VALU_DEP_1)
	v_cmpx_lt_u32_e32 0x7fff, v32
	s_xor_b32 s31, exec_lo, s31
	s_cbranch_execz .LBB294_52
; %bb.51:                               ;   in Loop: Header=BB294_16 Depth=2
	v_mov_b32_e32 v33, v100
	s_delay_alu instid0(VALU_DEP_1) | instskip(NEXT) | instid1(VALU_DEP_1)
	v_lshlrev_b64 v[32:33], 1, v[32:33]
	v_add_co_u32 v32, vcc_lo, s8, v32
	s_delay_alu instid0(VALU_DEP_2)
	v_add_co_ci_u32_e32 v33, vcc_lo, s9, v33, vcc_lo
	global_load_b128 v[40:43], v[32:33], off
.LBB294_52:                             ;   in Loop: Header=BB294_16 Depth=2
	s_and_not1_saveexec_b32 s31, s31
	s_cbranch_execz .LBB294_54
; %bb.53:                               ;   in Loop: Header=BB294_16 Depth=2
	v_add_nc_u32_e32 v32, s6, v97
	s_waitcnt vmcnt(0)
	ds_load_b128 v[40:43], v32 offset:1024
.LBB294_54:                             ;   in Loop: Header=BB294_16 Depth=2
	s_or_b32 exec_lo, exec_lo, s31
	v_add_nc_u32_e32 v32, 0x200, v104
	s_mov_b32 s31, exec_lo
                                        ; implicit-def: $vgpr35
	s_delay_alu instid0(VALU_DEP_1)
	v_cmpx_lt_u32_e32 0x7fff, v32
	s_xor_b32 s31, exec_lo, s31
	s_cbranch_execz .LBB294_56
; %bb.55:                               ;   in Loop: Header=BB294_16 Depth=2
	v_mov_b32_e32 v33, v100
	s_delay_alu instid0(VALU_DEP_1) | instskip(NEXT) | instid1(VALU_DEP_1)
	v_lshlrev_b64 v[32:33], 1, v[32:33]
	v_add_co_u32 v32, vcc_lo, s8, v32
	s_delay_alu instid0(VALU_DEP_2)
	v_add_co_ci_u32_e32 v33, vcc_lo, s9, v33, vcc_lo
	global_load_b128 v[32:35], v[32:33], off
.LBB294_56:                             ;   in Loop: Header=BB294_16 Depth=2
	s_and_not1_saveexec_b32 s31, s31
	s_cbranch_execz .LBB294_58
; %bb.57:                               ;   in Loop: Header=BB294_16 Depth=2
	s_waitcnt vmcnt(0)
	v_add_nc_u32_e32 v32, s28, v97
	ds_load_2addr_b64 v[32:35], v32 offset0:128 offset1:129
.LBB294_58:                             ;   in Loop: Header=BB294_16 Depth=2
	s_or_b32 exec_lo, exec_lo, s31
	v_cmp_gt_u32_e32 vcc_lo, s4, v110
	v_dual_mov_b32 v75, 0 :: v_dual_mov_b32 v74, 0
	v_dual_mov_b32 v73, 0 :: v_dual_mov_b32 v72, 0
	;; [unrolled: 1-line block ×20, first 2 shown]
	s_and_saveexec_b32 s31, vcc_lo
	s_cbranch_execz .LBB294_13
; %bb.59:                               ;   in Loop: Header=BB294_16 Depth=2
	s_mov_b32 s33, exec_lo
                                        ; implicit-def: $vgpr87
	v_cmpx_lt_u32_e32 0x7fff, v110
	s_xor_b32 s33, exec_lo, s33
	s_cbranch_execz .LBB294_61
; %bb.60:                               ;   in Loop: Header=BB294_16 Depth=2
	v_mov_b32_e32 v111, v100
	s_delay_alu instid0(VALU_DEP_1) | instskip(NEXT) | instid1(VALU_DEP_1)
	v_lshlrev_b64 v[48:49], 1, v[110:111]
	v_add_co_u32 v48, vcc_lo, s8, v48
	s_delay_alu instid0(VALU_DEP_2)
	v_add_co_ci_u32_e32 v49, vcc_lo, s9, v49, vcc_lo
	global_load_b128 v[84:87], v[48:49], off
.LBB294_61:                             ;   in Loop: Header=BB294_16 Depth=2
	s_and_not1_saveexec_b32 s33, s33
	s_cbranch_execz .LBB294_63
; %bb.62:                               ;   in Loop: Header=BB294_16 Depth=2
	s_waitcnt vmcnt(0)
	ds_load_b128 v[84:87], v97 offset:2048
.LBB294_63:                             ;   in Loop: Header=BB294_16 Depth=2
	s_or_b32 exec_lo, exec_lo, s33
	v_add_nc_u32_e32 v48, 0x400, v99
	s_mov_b32 s33, exec_lo
                                        ; implicit-def: $vgpr79
	s_delay_alu instid0(VALU_DEP_1)
	v_cmpx_lt_u32_e32 0x7fff, v48
	s_xor_b32 s33, exec_lo, s33
	s_cbranch_execz .LBB294_65
; %bb.64:                               ;   in Loop: Header=BB294_16 Depth=2
	v_mov_b32_e32 v49, v100
	s_delay_alu instid0(VALU_DEP_1) | instskip(NEXT) | instid1(VALU_DEP_1)
	v_lshlrev_b64 v[48:49], 1, v[48:49]
	v_add_co_u32 v48, vcc_lo, s8, v48
	s_delay_alu instid0(VALU_DEP_2)
	v_add_co_ci_u32_e32 v49, vcc_lo, s9, v49, vcc_lo
	global_load_b128 v[76:79], v[48:49], off
.LBB294_65:                             ;   in Loop: Header=BB294_16 Depth=2
	s_and_not1_saveexec_b32 s33, s33
	s_cbranch_execz .LBB294_67
; %bb.66:                               ;   in Loop: Header=BB294_16 Depth=2
	v_add_nc_u32_e32 v48, s19, v97
	s_waitcnt vmcnt(0)
	ds_load_b128 v[76:79], v48 offset:2048
.LBB294_67:                             ;   in Loop: Header=BB294_16 Depth=2
	s_or_b32 exec_lo, exec_lo, s33
	v_add_nc_u32_e32 v48, 0x400, v108
	s_mov_b32 s33, exec_lo
                                        ; implicit-def: $vgpr71
	s_delay_alu instid0(VALU_DEP_1)
	v_cmpx_lt_u32_e32 0x7fff, v48
	s_xor_b32 s33, exec_lo, s33
	s_cbranch_execz .LBB294_69
; %bb.68:                               ;   in Loop: Header=BB294_16 Depth=2
	v_mov_b32_e32 v49, v100
	s_delay_alu instid0(VALU_DEP_1) | instskip(NEXT) | instid1(VALU_DEP_1)
	v_lshlrev_b64 v[48:49], 1, v[48:49]
	v_add_co_u32 v48, vcc_lo, s8, v48
	s_delay_alu instid0(VALU_DEP_2)
	v_add_co_ci_u32_e32 v49, vcc_lo, s9, v49, vcc_lo
	global_load_b128 v[68:71], v[48:49], off
.LBB294_69:                             ;   in Loop: Header=BB294_16 Depth=2
	s_and_not1_saveexec_b32 s33, s33
	s_cbranch_execz .LBB294_71
; %bb.70:                               ;   in Loop: Header=BB294_16 Depth=2
	v_add_nc_u32_e32 v48, s23, v97
	s_delay_alu instid0(VALU_DEP_1)
	v_add_nc_u32_e32 v49, 0x800, v48
	v_add_nc_u32_e32 v48, 0x808, v48
	s_waitcnt vmcnt(0)
	ds_load_2addr_b32 v[68:69], v49 offset1:1
	ds_load_2addr_b32 v[70:71], v48 offset1:1
.LBB294_71:                             ;   in Loop: Header=BB294_16 Depth=2
	s_or_b32 exec_lo, exec_lo, s33
	v_add_nc_u32_e32 v48, 0x400, v106
	s_mov_b32 s33, exec_lo
                                        ; implicit-def: $vgpr59
	s_delay_alu instid0(VALU_DEP_1)
	v_cmpx_lt_u32_e32 0x7fff, v48
	s_xor_b32 s33, exec_lo, s33
	s_cbranch_execz .LBB294_73
; %bb.72:                               ;   in Loop: Header=BB294_16 Depth=2
	v_mov_b32_e32 v49, v100
	s_delay_alu instid0(VALU_DEP_1) | instskip(NEXT) | instid1(VALU_DEP_1)
	v_lshlrev_b64 v[48:49], 1, v[48:49]
	v_add_co_u32 v48, vcc_lo, s8, v48
	s_delay_alu instid0(VALU_DEP_2)
	v_add_co_ci_u32_e32 v49, vcc_lo, s9, v49, vcc_lo
	global_load_b128 v[56:59], v[48:49], off
.LBB294_73:                             ;   in Loop: Header=BB294_16 Depth=2
	s_and_not1_saveexec_b32 s33, s33
	s_cbranch_execz .LBB294_75
; %bb.74:                               ;   in Loop: Header=BB294_16 Depth=2
	v_add_nc_u32_e32 v48, s6, v97
	s_waitcnt vmcnt(0)
	ds_load_b128 v[56:59], v48 offset:2048
.LBB294_75:                             ;   in Loop: Header=BB294_16 Depth=2
	s_or_b32 exec_lo, exec_lo, s33
	v_add_nc_u32_e32 v48, 0x400, v104
	s_mov_b32 s33, exec_lo
                                        ; implicit-def: $vgpr51
	s_delay_alu instid0(VALU_DEP_1)
	v_cmpx_lt_u32_e32 0x7fff, v48
	s_xor_b32 s33, exec_lo, s33
	s_cbranch_execz .LBB294_77
; %bb.76:                               ;   in Loop: Header=BB294_16 Depth=2
	v_mov_b32_e32 v49, v100
	s_delay_alu instid0(VALU_DEP_1) | instskip(NEXT) | instid1(VALU_DEP_1)
	v_lshlrev_b64 v[48:49], 1, v[48:49]
	v_add_co_u32 v48, vcc_lo, s8, v48
	s_delay_alu instid0(VALU_DEP_2)
	v_add_co_ci_u32_e32 v49, vcc_lo, s9, v49, vcc_lo
	global_load_b128 v[48:51], v[48:49], off
.LBB294_77:                             ;   in Loop: Header=BB294_16 Depth=2
	s_and_not1_saveexec_b32 s33, s33
	s_cbranch_execz .LBB294_79
; %bb.78:                               ;   in Loop: Header=BB294_16 Depth=2
	s_waitcnt vmcnt(0)
	v_add3_u32 v48, v97, s28, 0x800
	ds_load_2addr_b64 v[48:51], v48 offset1:1
.LBB294_79:                             ;   in Loop: Header=BB294_16 Depth=2
	s_or_b32 exec_lo, exec_lo, s33
	v_cmp_gt_u32_e32 vcc_lo, s4, v102
	v_dual_mov_b32 v75, 0 :: v_dual_mov_b32 v74, 0
	v_dual_mov_b32 v73, 0 :: v_dual_mov_b32 v72, 0
	;; [unrolled: 1-line block ×10, first 2 shown]
	s_and_saveexec_b32 s33, vcc_lo
	s_cbranch_execz .LBB294_12
; %bb.80:                               ;   in Loop: Header=BB294_16 Depth=2
	s_mov_b32 s34, exec_lo
                                        ; implicit-def: $vgpr95
	v_cmpx_lt_u32_e32 0x7fff, v102
	s_xor_b32 s34, exec_lo, s34
	s_cbranch_execz .LBB294_82
; %bb.81:                               ;   in Loop: Header=BB294_16 Depth=2
	v_mov_b32_e32 v103, v100
	s_delay_alu instid0(VALU_DEP_1) | instskip(NEXT) | instid1(VALU_DEP_1)
	v_lshlrev_b64 v[64:65], 1, v[102:103]
	v_add_co_u32 v64, vcc_lo, s8, v64
	s_delay_alu instid0(VALU_DEP_2)
	v_add_co_ci_u32_e32 v65, vcc_lo, s9, v65, vcc_lo
	global_load_b128 v[92:95], v[64:65], off
.LBB294_82:                             ;   in Loop: Header=BB294_16 Depth=2
	s_and_not1_saveexec_b32 s34, s34
	s_cbranch_execz .LBB294_84
; %bb.83:                               ;   in Loop: Header=BB294_16 Depth=2
	s_waitcnt vmcnt(0)
	ds_load_b128 v[92:95], v97 offset:3072
.LBB294_84:                             ;   in Loop: Header=BB294_16 Depth=2
	s_or_b32 exec_lo, exec_lo, s34
	v_add_nc_u32_e32 v99, 0x600, v99
	s_mov_b32 s34, exec_lo
                                        ; implicit-def: $vgpr91
	s_delay_alu instid0(VALU_DEP_1)
	v_cmpx_lt_u32_e32 0x7fff, v99
	s_xor_b32 s34, exec_lo, s34
	s_cbranch_execz .LBB294_86
; %bb.85:                               ;   in Loop: Header=BB294_16 Depth=2
	v_lshlrev_b64 v[64:65], 1, v[99:100]
	s_delay_alu instid0(VALU_DEP_1) | instskip(NEXT) | instid1(VALU_DEP_2)
	v_add_co_u32 v64, vcc_lo, s8, v64
	v_add_co_ci_u32_e32 v65, vcc_lo, s9, v65, vcc_lo
	global_load_b128 v[88:91], v[64:65], off
.LBB294_86:                             ;   in Loop: Header=BB294_16 Depth=2
	s_and_not1_saveexec_b32 s34, s34
	s_cbranch_execz .LBB294_88
; %bb.87:                               ;   in Loop: Header=BB294_16 Depth=2
	v_add_nc_u32_e32 v64, s19, v97
	s_waitcnt vmcnt(0)
	ds_load_b128 v[88:91], v64 offset:3072
.LBB294_88:                             ;   in Loop: Header=BB294_16 Depth=2
	s_or_b32 exec_lo, exec_lo, s34
	v_add_nc_u32_e32 v99, 0x600, v108
	s_mov_b32 s34, exec_lo
                                        ; implicit-def: $vgpr83
	s_delay_alu instid0(VALU_DEP_1)
	v_cmpx_lt_u32_e32 0x7fff, v99
	s_xor_b32 s34, exec_lo, s34
	s_cbranch_execz .LBB294_90
; %bb.89:                               ;   in Loop: Header=BB294_16 Depth=2
	v_lshlrev_b64 v[64:65], 1, v[99:100]
	s_delay_alu instid0(VALU_DEP_1) | instskip(NEXT) | instid1(VALU_DEP_2)
	v_add_co_u32 v64, vcc_lo, s8, v64
	v_add_co_ci_u32_e32 v65, vcc_lo, s9, v65, vcc_lo
	global_load_b128 v[80:83], v[64:65], off
.LBB294_90:                             ;   in Loop: Header=BB294_16 Depth=2
	s_and_not1_saveexec_b32 s34, s34
	s_cbranch_execz .LBB294_92
; %bb.91:                               ;   in Loop: Header=BB294_16 Depth=2
	v_add_nc_u32_e32 v64, s23, v97
	s_delay_alu instid0(VALU_DEP_1)
	v_add_nc_u32_e32 v65, 0xc00, v64
	v_add_nc_u32_e32 v64, 0xc08, v64
	s_waitcnt vmcnt(0)
	ds_load_2addr_b32 v[80:81], v65 offset1:1
	ds_load_2addr_b32 v[82:83], v64 offset1:1
.LBB294_92:                             ;   in Loop: Header=BB294_16 Depth=2
	s_or_b32 exec_lo, exec_lo, s34
	v_add_nc_u32_e32 v99, 0x600, v106
	s_mov_b32 s34, exec_lo
                                        ; implicit-def: $vgpr67
	s_delay_alu instid0(VALU_DEP_1)
	v_cmpx_lt_u32_e32 0x7fff, v99
	s_xor_b32 s34, exec_lo, s34
	s_cbranch_execz .LBB294_94
; %bb.93:                               ;   in Loop: Header=BB294_16 Depth=2
	v_lshlrev_b64 v[64:65], 1, v[99:100]
	s_delay_alu instid0(VALU_DEP_1) | instskip(NEXT) | instid1(VALU_DEP_2)
	v_add_co_u32 v64, vcc_lo, s8, v64
	v_add_co_ci_u32_e32 v65, vcc_lo, s9, v65, vcc_lo
	global_load_b128 v[64:67], v[64:65], off
.LBB294_94:                             ;   in Loop: Header=BB294_16 Depth=2
	s_and_not1_saveexec_b32 s34, s34
	s_cbranch_execz .LBB294_96
; %bb.95:                               ;   in Loop: Header=BB294_16 Depth=2
	s_waitcnt vmcnt(0)
	v_add_nc_u32_e32 v64, s6, v97
	ds_load_b128 v[64:67], v64 offset:3072
.LBB294_96:                             ;   in Loop: Header=BB294_16 Depth=2
	s_or_b32 exec_lo, exec_lo, s34
	v_add_nc_u32_e32 v99, 0x600, v104
	s_mov_b32 s34, exec_lo
                                        ; implicit-def: $vgpr75
	s_delay_alu instid0(VALU_DEP_1)
	v_cmpx_lt_u32_e32 0x7fff, v99
	s_xor_b32 s34, exec_lo, s34
	s_cbranch_execz .LBB294_98
; %bb.97:                               ;   in Loop: Header=BB294_16 Depth=2
	v_lshlrev_b64 v[72:73], 1, v[99:100]
	s_delay_alu instid0(VALU_DEP_1) | instskip(NEXT) | instid1(VALU_DEP_2)
	v_add_co_u32 v72, vcc_lo, s8, v72
	v_add_co_ci_u32_e32 v73, vcc_lo, s9, v73, vcc_lo
	global_load_b128 v[72:75], v[72:73], off
.LBB294_98:                             ;   in Loop: Header=BB294_16 Depth=2
	s_and_not1_saveexec_b32 s34, s34
	s_cbranch_execz .LBB294_11
; %bb.99:                               ;   in Loop: Header=BB294_16 Depth=2
	s_waitcnt vmcnt(0)
	v_add3_u32 v72, v97, s28, 0xc00
	ds_load_2addr_b64 v[72:75], v72 offset1:1
	s_branch .LBB294_11
.LBB294_100:                            ;   in Loop: Header=BB294_9 Depth=1
	s_delay_alu instid0(VALU_DEP_1)
	v_cvt_i32_f32_e32 v0, v126
	v_cvt_i32_f32_e32 v1, v125
	;; [unrolled: 1-line block ×4, first 2 shown]
	s_waitcnt vmcnt(0)
	v_cvt_i32_f32_e32 v4, v122
	v_cvt_f32_i32_dpp v0, v0 row_shr:8 row_mask:0xf bank_mask:0xf bound_ctrl:1
	v_cvt_f32_i32_dpp v1, v1 row_shr:8 row_mask:0xf bank_mask:0xf bound_ctrl:1
	;; [unrolled: 1-line block ×5, first 2 shown]
	s_delay_alu instid0(VALU_DEP_4) | instskip(NEXT) | instid1(VALU_DEP_3)
	v_dual_add_f32 v0, v126, v0 :: v_dual_add_f32 v1, v125, v1
	v_dual_add_f32 v2, v124, v2 :: v_dual_add_f32 v3, v123, v3
	s_delay_alu instid0(VALU_DEP_2) | instskip(NEXT) | instid1(VALU_DEP_3)
	v_cvt_i32_f32_e32 v5, v0
	v_cvt_i32_f32_e32 v6, v1
	s_delay_alu instid0(VALU_DEP_3) | instskip(NEXT) | instid1(VALU_DEP_4)
	v_cvt_i32_f32_e32 v7, v2
	v_cvt_i32_f32_e32 v8, v3
	s_delay_alu instid0(VALU_DEP_4) | instskip(NEXT) | instid1(VALU_DEP_4)
	v_cvt_f32_i32_dpp v5, v5 row_shr:4 row_mask:0xf bank_mask:0xf bound_ctrl:1
	v_cvt_f32_i32_dpp v6, v6 row_shr:4 row_mask:0xf bank_mask:0xf bound_ctrl:1
	v_add_f32_e32 v4, v122, v4
	v_cvt_f32_i32_dpp v7, v7 row_shr:4 row_mask:0xf bank_mask:0xf bound_ctrl:1
	v_cvt_f32_i32_dpp v8, v8 row_shr:4 row_mask:0xf bank_mask:0xf bound_ctrl:1
	s_delay_alu instid0(VALU_DEP_4) | instskip(NEXT) | instid1(VALU_DEP_4)
	v_dual_add_f32 v0, v0, v5 :: v_dual_add_f32 v1, v1, v6
	v_cvt_i32_f32_e32 v9, v4
	s_delay_alu instid0(VALU_DEP_3) | instskip(NEXT) | instid1(VALU_DEP_3)
	v_add_f32_e32 v3, v3, v8
	v_cvt_i32_f32_e32 v5, v0
	s_delay_alu instid0(VALU_DEP_4) | instskip(NEXT) | instid1(VALU_DEP_4)
	v_cvt_i32_f32_e32 v6, v1
	v_cvt_f32_i32_dpp v9, v9 row_shr:4 row_mask:0xf bank_mask:0xf bound_ctrl:1
	s_delay_alu instid0(VALU_DEP_4) | instskip(NEXT) | instid1(VALU_DEP_4)
	v_cvt_i32_f32_e32 v8, v3
	v_cvt_f32_i32_dpp v5, v5 row_shr:2 row_mask:0xf bank_mask:0xf bound_ctrl:1
	s_delay_alu instid0(VALU_DEP_4) | instskip(SKIP_1) | instid1(VALU_DEP_4)
	v_cvt_f32_i32_dpp v6, v6 row_shr:2 row_mask:0xf bank_mask:0xf bound_ctrl:1
	v_add_f32_e32 v2, v2, v7
	v_cvt_f32_i32_dpp v8, v8 row_shr:2 row_mask:0xf bank_mask:0xf bound_ctrl:1
	s_delay_alu instid0(VALU_DEP_3) | instskip(NEXT) | instid1(VALU_DEP_3)
	v_dual_add_f32 v4, v4, v9 :: v_dual_add_f32 v1, v1, v6
	v_cvt_i32_f32_e32 v7, v2
	s_delay_alu instid0(VALU_DEP_3) | instskip(NEXT) | instid1(VALU_DEP_3)
	v_add_f32_e32 v3, v3, v8
	v_cvt_i32_f32_e32 v9, v4
	s_delay_alu instid0(VALU_DEP_4) | instskip(NEXT) | instid1(VALU_DEP_4)
	v_cvt_i32_f32_e32 v6, v1
	v_cvt_f32_i32_dpp v7, v7 row_shr:2 row_mask:0xf bank_mask:0xf bound_ctrl:1
	s_delay_alu instid0(VALU_DEP_4) | instskip(NEXT) | instid1(VALU_DEP_4)
	v_cvt_i32_f32_e32 v8, v3
	v_cvt_f32_i32_dpp v9, v9 row_shr:2 row_mask:0xf bank_mask:0xf bound_ctrl:1
	s_delay_alu instid0(VALU_DEP_4) | instskip(NEXT) | instid1(VALU_DEP_4)
	v_cvt_f32_i32_dpp v6, v6 row_shr:1 row_mask:0xf bank_mask:0xf bound_ctrl:1
	v_add_f32_e32 v2, v2, v7
	s_delay_alu instid0(VALU_DEP_4) | instskip(NEXT) | instid1(VALU_DEP_4)
	v_cvt_f32_i32_dpp v10, v8 row_shr:1 row_mask:0xf bank_mask:0xf bound_ctrl:1
	v_add_f32_e32 v4, v4, v9
	s_delay_alu instid0(VALU_DEP_4) | instskip(NEXT) | instid1(VALU_DEP_4)
	v_add_f32_e32 v8, v1, v6
	v_cvt_i32_f32_e32 v7, v2
	s_delay_alu instid0(VALU_DEP_3) | instskip(NEXT) | instid1(VALU_DEP_2)
	v_cvt_i32_f32_e32 v9, v4
	v_cvt_f32_i32_dpp v7, v7 row_shr:1 row_mask:0xf bank_mask:0xf bound_ctrl:1
	v_add_f32_e32 v0, v0, v5
	s_delay_alu instid0(VALU_DEP_3) | instskip(NEXT) | instid1(VALU_DEP_2)
	v_cvt_f32_i32_dpp v9, v9 row_shr:1 row_mask:0xf bank_mask:0xf bound_ctrl:1
	v_cvt_i32_f32_e32 v5, v0
	s_delay_alu instid0(VALU_DEP_1) | instskip(NEXT) | instid1(VALU_DEP_1)
	v_cvt_f32_i32_dpp v5, v5 row_shr:1 row_mask:0xf bank_mask:0xf bound_ctrl:1
	v_add_f32_e32 v11, v0, v5
	v_dual_add_f32 v5, v2, v7 :: v_dual_add_f32 v2, v3, v10
	v_add_f32_e32 v0, v4, v9
	ds_bpermute_b32 v9, v118, v8
	ds_bpermute_b32 v12, v118, v11
	;; [unrolled: 1-line block ×5, first 2 shown]
	s_and_saveexec_b32 s1, s0
	s_cbranch_execz .LBB294_8
; %bb.101:                              ;   in Loop: Header=BB294_9 Depth=1
	v_dual_mov_b32 v14, 0 :: v_dual_mov_b32 v13, 0
	v_dual_mov_b32 v10, 0 :: v_dual_mov_b32 v7, 0
	v_mov_b32_e32 v4, 0
	s_and_not1_b32 vcc_lo, exec_lo, s22
	s_cbranch_vccnz .LBB294_103
; %bb.102:                              ;   in Loop: Header=BB294_9 Depth=1
	v_mul_hi_u32 v4, v96, v119
	s_delay_alu instid0(VALU_DEP_1) | instskip(NEXT) | instid1(VALU_DEP_1)
	v_mul_lo_u32 v4, v4, s10
	v_sub_nc_u32_e32 v4, v96, v4
	s_delay_alu instid0(VALU_DEP_1) | instskip(SKIP_1) | instid1(VALU_DEP_2)
	v_subrev_nc_u32_e32 v7, s10, v4
	v_cmp_le_u32_e32 vcc_lo, s10, v4
	v_cndmask_b32_e32 v4, v4, v7, vcc_lo
	s_delay_alu instid0(VALU_DEP_1) | instskip(SKIP_1) | instid1(VALU_DEP_2)
	v_subrev_nc_u32_e32 v7, s10, v4
	v_cmp_le_u32_e32 vcc_lo, s10, v4
	v_cndmask_b32_e32 v99, v4, v7, vcc_lo
	v_mov_b32_e32 v14, v100
	v_mov_b32_e32 v16, v100
	s_delay_alu instid0(VALU_DEP_3)
	v_dual_mov_b32 v18, v100 :: v_dual_add_nc_u32 v17, s27, v99
	v_add_nc_u32_e32 v13, s25, v99
	v_lshlrev_b64 v[19:20], 1, v[99:100]
	v_add_nc_u32_e32 v15, s26, v99
	v_add_nc_u32_e32 v99, s29, v99
	v_lshlrev_b64 v[17:18], 1, v[17:18]
	v_lshlrev_b64 v[13:14], 1, v[13:14]
	s_delay_alu instid0(VALU_DEP_4) | instskip(SKIP_2) | instid1(VALU_DEP_4)
	v_lshlrev_b64 v[15:16], 1, v[15:16]
	v_add_co_u32 v19, vcc_lo, s12, v19
	v_add_co_ci_u32_e32 v20, vcc_lo, s13, v20, vcc_lo
	v_add_co_u32 v23, vcc_lo, s12, v13
	v_add_co_ci_u32_e32 v24, vcc_lo, s13, v14, vcc_lo
	v_lshlrev_b64 v[21:22], 1, v[99:100]
	v_add_co_u32 v15, vcc_lo, s12, v15
	v_add_co_ci_u32_e32 v16, vcc_lo, s13, v16, vcc_lo
	v_add_co_u32 v17, vcc_lo, s12, v17
	v_add_co_ci_u32_e32 v18, vcc_lo, s13, v18, vcc_lo
	;; [unrolled: 2-line block ×3, first 2 shown]
	s_clause 0x4
	global_load_u16 v14, v[19:20], off
	global_load_u16 v13, v[23:24], off
	;; [unrolled: 1-line block ×5, first 2 shown]
.LBB294_103:                            ;   in Loop: Header=BB294_9 Depth=1
	v_cmp_ne_u32_e32 vcc_lo, 0, v113
	s_and_b32 exec_lo, exec_lo, vcc_lo
	s_cbranch_execz .LBB294_8
; %bb.104:                              ;   in Loop: Header=BB294_9 Depth=1
	s_waitcnt vmcnt(4) lgkmcnt(0)
	v_dual_add_f32 v11, v11, v12 :: v_dual_lshlrev_b32 v12, 16, v14
	s_delay_alu instid0(VALU_DEP_1) | instskip(NEXT) | instid1(VALU_DEP_1)
	v_add_f32_e32 v12, v11, v12
	v_and_b32_e32 v11, 0x7f800000, v12
	s_delay_alu instid0(VALU_DEP_1) | instskip(SKIP_1) | instid1(SALU_CYCLE_1)
	v_cmp_ne_u32_e32 vcc_lo, 0x7f800000, v11
                                        ; implicit-def: $vgpr11
	s_and_saveexec_b32 s2, vcc_lo
	s_xor_b32 s2, exec_lo, s2
; %bb.105:                              ;   in Loop: Header=BB294_9 Depth=1
	v_bfe_u32 v11, v12, 16, 1
	s_delay_alu instid0(VALU_DEP_1)
	v_add3_u32 v11, v12, v11, 0x7fff
                                        ; implicit-def: $vgpr12
; %bb.106:                              ;   in Loop: Header=BB294_9 Depth=1
	s_and_not1_saveexec_b32 s2, s2
; %bb.107:                              ;   in Loop: Header=BB294_9 Depth=1
	v_and_b32_e32 v11, 0xffff, v12
	v_or_b32_e32 v14, 0x10000, v12
	s_delay_alu instid0(VALU_DEP_2) | instskip(NEXT) | instid1(VALU_DEP_2)
	v_cmp_eq_u32_e32 vcc_lo, 0, v11
	v_cndmask_b32_e32 v11, v14, v12, vcc_lo
; %bb.108:                              ;   in Loop: Header=BB294_9 Depth=1
	s_or_b32 exec_lo, exec_lo, s2
	v_add_f32_e32 v8, v8, v9
	s_waitcnt vmcnt(3)
	v_lshlrev_b32_e32 v9, 16, v13
	s_delay_alu instid0(VALU_DEP_1) | instskip(NEXT) | instid1(VALU_DEP_1)
	v_add_f32_e32 v9, v8, v9
	v_dual_mov_b32 v97, v100 :: v_dual_and_b32 v8, 0x7f800000, v9
	s_delay_alu instid0(VALU_DEP_1) | instskip(NEXT) | instid1(VALU_DEP_1)
	v_lshlrev_b64 v[12:13], 1, v[96:97]
	v_add_co_u32 v12, vcc_lo, s16, v12
	s_delay_alu instid0(VALU_DEP_2) | instskip(NEXT) | instid1(VALU_DEP_4)
	v_add_co_ci_u32_e32 v13, vcc_lo, s17, v13, vcc_lo
	v_cmp_ne_u32_e32 vcc_lo, 0x7f800000, v8
                                        ; implicit-def: $vgpr8
	global_store_d16_hi_b16 v[12:13], v11, off
	s_and_saveexec_b32 s2, vcc_lo
	s_delay_alu instid0(SALU_CYCLE_1)
	s_xor_b32 s2, exec_lo, s2
; %bb.109:                              ;   in Loop: Header=BB294_9 Depth=1
	v_bfe_u32 v8, v9, 16, 1
	s_delay_alu instid0(VALU_DEP_1)
	v_add3_u32 v8, v9, v8, 0x7fff
                                        ; implicit-def: $vgpr9
; %bb.110:                              ;   in Loop: Header=BB294_9 Depth=1
	s_and_not1_saveexec_b32 s2, s2
; %bb.111:                              ;   in Loop: Header=BB294_9 Depth=1
	v_and_b32_e32 v8, 0xffff, v9
	v_or_b32_e32 v11, 0x10000, v9
	s_delay_alu instid0(VALU_DEP_2) | instskip(NEXT) | instid1(VALU_DEP_2)
	v_cmp_eq_u32_e32 vcc_lo, 0, v8
	v_cndmask_b32_e32 v8, v11, v9, vcc_lo
; %bb.112:                              ;   in Loop: Header=BB294_9 Depth=1
	s_or_b32 exec_lo, exec_lo, s2
	v_add_f32_e32 v5, v5, v6
	s_waitcnt vmcnt(2)
	v_lshlrev_b32_e32 v6, 16, v10
	s_delay_alu instid0(VALU_DEP_1) | instskip(NEXT) | instid1(VALU_DEP_1)
	v_dual_add_f32 v6, v5, v6 :: v_dual_add_nc_u32 v99, s7, v96
	v_lshlrev_b64 v[9:10], 1, v[99:100]
	s_delay_alu instid0(VALU_DEP_2) | instskip(NEXT) | instid1(VALU_DEP_2)
	v_and_b32_e32 v5, 0x7f800000, v6
	v_add_co_u32 v9, vcc_lo, s16, v9
	s_delay_alu instid0(VALU_DEP_3) | instskip(NEXT) | instid1(VALU_DEP_3)
	v_add_co_ci_u32_e32 v10, vcc_lo, s17, v10, vcc_lo
	v_cmp_ne_u32_e32 vcc_lo, 0x7f800000, v5
                                        ; implicit-def: $vgpr5
	global_store_d16_hi_b16 v[9:10], v8, off
	s_and_saveexec_b32 s2, vcc_lo
	s_delay_alu instid0(SALU_CYCLE_1)
	s_xor_b32 s2, exec_lo, s2
; %bb.113:                              ;   in Loop: Header=BB294_9 Depth=1
	v_bfe_u32 v5, v6, 16, 1
	s_delay_alu instid0(VALU_DEP_1)
	v_add3_u32 v5, v6, v5, 0x7fff
                                        ; implicit-def: $vgpr6
; %bb.114:                              ;   in Loop: Header=BB294_9 Depth=1
	s_and_not1_saveexec_b32 s2, s2
; %bb.115:                              ;   in Loop: Header=BB294_9 Depth=1
	v_and_b32_e32 v5, 0xffff, v6
	v_or_b32_e32 v8, 0x10000, v6
	s_delay_alu instid0(VALU_DEP_2) | instskip(NEXT) | instid1(VALU_DEP_2)
	v_cmp_eq_u32_e32 vcc_lo, 0, v5
	v_cndmask_b32_e32 v5, v8, v6, vcc_lo
; %bb.116:                              ;   in Loop: Header=BB294_9 Depth=1
	s_or_b32 exec_lo, exec_lo, s2
	v_add_f32_e32 v2, v2, v3
	s_waitcnt vmcnt(1)
	v_lshlrev_b32_e32 v3, 16, v7
	v_add_nc_u32_e32 v99, s7, v99
	s_delay_alu instid0(VALU_DEP_2) | instskip(NEXT) | instid1(VALU_DEP_2)
	v_add_f32_e32 v3, v2, v3
	v_lshlrev_b64 v[6:7], 1, v[99:100]
	s_delay_alu instid0(VALU_DEP_2) | instskip(NEXT) | instid1(VALU_DEP_2)
	v_and_b32_e32 v2, 0x7f800000, v3
	v_add_co_u32 v6, vcc_lo, s16, v6
	s_delay_alu instid0(VALU_DEP_3) | instskip(NEXT) | instid1(VALU_DEP_3)
	v_add_co_ci_u32_e32 v7, vcc_lo, s17, v7, vcc_lo
	v_cmp_ne_u32_e32 vcc_lo, 0x7f800000, v2
                                        ; implicit-def: $vgpr2
	global_store_d16_hi_b16 v[6:7], v5, off
	s_and_saveexec_b32 s2, vcc_lo
	s_delay_alu instid0(SALU_CYCLE_1)
	s_xor_b32 s2, exec_lo, s2
; %bb.117:                              ;   in Loop: Header=BB294_9 Depth=1
	v_bfe_u32 v2, v3, 16, 1
	s_delay_alu instid0(VALU_DEP_1)
	v_add3_u32 v2, v3, v2, 0x7fff
                                        ; implicit-def: $vgpr3
; %bb.118:                              ;   in Loop: Header=BB294_9 Depth=1
	s_and_not1_saveexec_b32 s2, s2
; %bb.119:                              ;   in Loop: Header=BB294_9 Depth=1
	v_and_b32_e32 v2, 0xffff, v3
	v_or_b32_e32 v5, 0x10000, v3
	s_delay_alu instid0(VALU_DEP_2) | instskip(NEXT) | instid1(VALU_DEP_2)
	v_cmp_eq_u32_e32 vcc_lo, 0, v2
	v_cndmask_b32_e32 v2, v5, v3, vcc_lo
; %bb.120:                              ;   in Loop: Header=BB294_9 Depth=1
	s_or_b32 exec_lo, exec_lo, s2
	s_waitcnt vmcnt(0)
	v_dual_add_f32 v0, v0, v1 :: v_dual_lshlrev_b32 v1, 16, v4
	v_add_nc_u32_e32 v99, s7, v99
	s_delay_alu instid0(VALU_DEP_2) | instskip(NEXT) | instid1(VALU_DEP_2)
	v_add_f32_e32 v1, v0, v1
	v_lshlrev_b64 v[3:4], 1, v[99:100]
	s_delay_alu instid0(VALU_DEP_2) | instskip(NEXT) | instid1(VALU_DEP_2)
	v_and_b32_e32 v0, 0x7f800000, v1
	v_add_co_u32 v3, vcc_lo, s16, v3
	s_delay_alu instid0(VALU_DEP_3) | instskip(NEXT) | instid1(VALU_DEP_3)
	v_add_co_ci_u32_e32 v4, vcc_lo, s17, v4, vcc_lo
	v_cmp_ne_u32_e32 vcc_lo, 0x7f800000, v0
                                        ; implicit-def: $vgpr0
	global_store_d16_hi_b16 v[3:4], v2, off
	s_and_saveexec_b32 s2, vcc_lo
	s_delay_alu instid0(SALU_CYCLE_1)
	s_xor_b32 s2, exec_lo, s2
; %bb.121:                              ;   in Loop: Header=BB294_9 Depth=1
	v_bfe_u32 v0, v1, 16, 1
	s_delay_alu instid0(VALU_DEP_1)
	v_add3_u32 v0, v1, v0, 0x7fff
                                        ; implicit-def: $vgpr1
; %bb.122:                              ;   in Loop: Header=BB294_9 Depth=1
	s_and_not1_saveexec_b32 s2, s2
	s_cbranch_execz .LBB294_7
; %bb.123:                              ;   in Loop: Header=BB294_9 Depth=1
	v_and_b32_e32 v0, 0xffff, v1
	v_or_b32_e32 v2, 0x10000, v1
	s_delay_alu instid0(VALU_DEP_2) | instskip(NEXT) | instid1(VALU_DEP_2)
	v_cmp_eq_u32_e32 vcc_lo, 0, v0
	v_cndmask_b32_e32 v0, v2, v1, vcc_lo
	s_branch .LBB294_7
.LBB294_124:
	s_nop 0
	s_sendmsg sendmsg(MSG_DEALLOC_VGPRS)
	s_endpgm
	.section	.rodata,"a",@progbits
	.p2align	6, 0x0
	.amdhsa_kernel _Z12wvSplitK_hf_I14__hip_bfloat16Li64ELi1ELi16ELi8ELi4ELi5EEviiiiiiPKT_S3_S3_PS1_ii
		.amdhsa_group_segment_fixed_size 65536
		.amdhsa_private_segment_fixed_size 0
		.amdhsa_kernarg_size 64
		.amdhsa_user_sgpr_count 15
		.amdhsa_user_sgpr_dispatch_ptr 0
		.amdhsa_user_sgpr_queue_ptr 0
		.amdhsa_user_sgpr_kernarg_segment_ptr 1
		.amdhsa_user_sgpr_dispatch_id 0
		.amdhsa_user_sgpr_private_segment_size 0
		.amdhsa_wavefront_size32 1
		.amdhsa_uses_dynamic_stack 0
		.amdhsa_enable_private_segment 0
		.amdhsa_system_sgpr_workgroup_id_x 1
		.amdhsa_system_sgpr_workgroup_id_y 0
		.amdhsa_system_sgpr_workgroup_id_z 0
		.amdhsa_system_sgpr_workgroup_info 0
		.amdhsa_system_vgpr_workitem_id 1
		.amdhsa_next_free_vgpr 127
		.amdhsa_next_free_sgpr 35
		.amdhsa_reserve_vcc 1
		.amdhsa_float_round_mode_32 0
		.amdhsa_float_round_mode_16_64 0
		.amdhsa_float_denorm_mode_32 3
		.amdhsa_float_denorm_mode_16_64 3
		.amdhsa_dx10_clamp 1
		.amdhsa_ieee_mode 1
		.amdhsa_fp16_overflow 0
		.amdhsa_workgroup_processor_mode 1
		.amdhsa_memory_ordered 1
		.amdhsa_forward_progress 0
		.amdhsa_shared_vgpr_count 0
		.amdhsa_exception_fp_ieee_invalid_op 0
		.amdhsa_exception_fp_denorm_src 0
		.amdhsa_exception_fp_ieee_div_zero 0
		.amdhsa_exception_fp_ieee_overflow 0
		.amdhsa_exception_fp_ieee_underflow 0
		.amdhsa_exception_fp_ieee_inexact 0
		.amdhsa_exception_int_div_zero 0
	.end_amdhsa_kernel
	.section	.text._Z12wvSplitK_hf_I14__hip_bfloat16Li64ELi1ELi16ELi8ELi4ELi5EEviiiiiiPKT_S3_S3_PS1_ii,"axG",@progbits,_Z12wvSplitK_hf_I14__hip_bfloat16Li64ELi1ELi16ELi8ELi4ELi5EEviiiiiiPKT_S3_S3_PS1_ii,comdat
.Lfunc_end294:
	.size	_Z12wvSplitK_hf_I14__hip_bfloat16Li64ELi1ELi16ELi8ELi4ELi5EEviiiiiiPKT_S3_S3_PS1_ii, .Lfunc_end294-_Z12wvSplitK_hf_I14__hip_bfloat16Li64ELi1ELi16ELi8ELi4ELi5EEviiiiiiPKT_S3_S3_PS1_ii
                                        ; -- End function
	.section	.AMDGPU.csdata,"",@progbits
; Kernel info:
; codeLenInByte = 8016
; NumSgprs: 37
; NumVgprs: 127
; ScratchSize: 0
; MemoryBound: 0
; FloatMode: 240
; IeeeMode: 1
; LDSByteSize: 65536 bytes/workgroup (compile time only)
; SGPRBlocks: 4
; VGPRBlocks: 15
; NumSGPRsForWavesPerEU: 37
; NumVGPRsForWavesPerEU: 127
; Occupancy: 10
; WaveLimiterHint : 0
; COMPUTE_PGM_RSRC2:SCRATCH_EN: 0
; COMPUTE_PGM_RSRC2:USER_SGPR: 15
; COMPUTE_PGM_RSRC2:TRAP_HANDLER: 0
; COMPUTE_PGM_RSRC2:TGID_X_EN: 1
; COMPUTE_PGM_RSRC2:TGID_Y_EN: 0
; COMPUTE_PGM_RSRC2:TGID_Z_EN: 0
; COMPUTE_PGM_RSRC2:TIDIG_COMP_CNT: 1
	.section	.text._Z16wvSplitK_hf_big_I14__hip_bfloat16Li64ELi1ELi16ELi8ELi4ELi5EEviiiiiiPKT_S3_S3_PS1_ii,"axG",@progbits,_Z16wvSplitK_hf_big_I14__hip_bfloat16Li64ELi1ELi16ELi8ELi4ELi5EEviiiiiiPKT_S3_S3_PS1_ii,comdat
	.protected	_Z16wvSplitK_hf_big_I14__hip_bfloat16Li64ELi1ELi16ELi8ELi4ELi5EEviiiiiiPKT_S3_S3_PS1_ii ; -- Begin function _Z16wvSplitK_hf_big_I14__hip_bfloat16Li64ELi1ELi16ELi8ELi4ELi5EEviiiiiiPKT_S3_S3_PS1_ii
	.globl	_Z16wvSplitK_hf_big_I14__hip_bfloat16Li64ELi1ELi16ELi8ELi4ELi5EEviiiiiiPKT_S3_S3_PS1_ii
	.p2align	8
	.type	_Z16wvSplitK_hf_big_I14__hip_bfloat16Li64ELi1ELi16ELi8ELi4ELi5EEviiiiiiPKT_S3_S3_PS1_ii,@function
_Z16wvSplitK_hf_big_I14__hip_bfloat16Li64ELi1ELi16ELi8ELi4ELi5EEviiiiiiPKT_S3_S3_PS1_ii: ; @_Z16wvSplitK_hf_big_I14__hip_bfloat16Li64ELi1ELi16ELi8ELi4ELi5EEviiiiiiPKT_S3_S3_PS1_ii
; %bb.0:
	s_load_b64 s[20:21], s[0:1], 0x38
	v_bfe_u32 v1, v0, 10, 10
	s_mov_b32 s2, exec_lo
	s_waitcnt lgkmcnt(0)
	s_delay_alu instid0(VALU_DEP_1)
	v_cmpx_gt_u32_e64 s20, v1
	s_cbranch_execz .LBB295_58
; %bb.1:
	s_load_b128 s[16:19], s[0:1], 0x0
	v_mad_u64_u32 v[93:94], null, s15, s20, v[1:2]
	s_delay_alu instid0(VALU_DEP_1) | instskip(SKIP_2) | instid1(VALU_DEP_2)
	v_dual_mov_b32 v99, 1 :: v_dual_add_nc_u32 v2, 1, v93
	s_waitcnt lgkmcnt(0)
	v_cmp_gt_u32_e32 vcc_lo, s19, v93
	v_cmp_le_u32_e64 s2, s19, v2
	s_delay_alu instid0(VALU_DEP_1) | instskip(NEXT) | instid1(SALU_CYCLE_1)
	s_and_b32 s3, vcc_lo, s2
	s_and_saveexec_b32 s2, s3
; %bb.2:
	v_subrev_nc_u32_e32 v2, s19, v93
	s_add_i32 s3, s19, -1
	s_delay_alu instid0(SALU_CYCLE_1) | instskip(NEXT) | instid1(VALU_DEP_2)
	v_mov_b32_e32 v93, s3
	v_cmp_eq_u32_e32 vcc_lo, -1, v2
	v_cndmask_b32_e64 v99, 0, 1, vcc_lo
; %bb.3:
	s_or_b32 exec_lo, exec_lo, s2
	s_abs_i32 s2, s20
	s_abs_i32 s5, s19
	v_cvt_f32_u32_e32 v2, s2
	s_sub_i32 s4, 0, s2
	s_mov_b32 s14, 0
	s_delay_alu instid0(VALU_DEP_1) | instskip(SKIP_2) | instid1(VALU_DEP_1)
	v_rcp_iflag_f32_e32 v2, v2
	s_waitcnt_depctr 0xfff
	v_mul_f32_e32 v2, 0x4f7ffffe, v2
	v_cvt_u32_f32_e32 v2, v2
	s_delay_alu instid0(VALU_DEP_1) | instskip(NEXT) | instid1(VALU_DEP_1)
	v_readfirstlane_b32 s3, v2
	s_mul_i32 s4, s4, s3
	s_delay_alu instid0(SALU_CYCLE_1) | instskip(NEXT) | instid1(SALU_CYCLE_1)
	s_mul_hi_u32 s4, s3, s4
	s_add_i32 s3, s3, s4
	s_ashr_i32 s4, s19, 31
	s_mul_hi_u32 s3, s5, s3
	s_delay_alu instid0(SALU_CYCLE_1) | instskip(NEXT) | instid1(SALU_CYCLE_1)
	s_mul_i32 s3, s3, s2
	s_sub_i32 s3, s5, s3
	s_delay_alu instid0(SALU_CYCLE_1) | instskip(SKIP_2) | instid1(SALU_CYCLE_1)
	s_sub_i32 s5, s3, s2
	s_cmp_ge_u32 s3, s2
	s_cselect_b32 s3, s5, s3
	s_sub_i32 s5, s3, s2
	s_cmp_ge_u32 s3, s2
	s_cselect_b32 s2, s5, s3
	s_add_i32 s3, s20, s19
	s_xor_b32 s2, s2, s4
	s_delay_alu instid0(SALU_CYCLE_1) | instskip(NEXT) | instid1(SALU_CYCLE_1)
	s_sub_i32 s2, s2, s4
	s_sub_i32 s3, s3, s2
	s_cmp_eq_u32 s2, 0
	s_cselect_b32 s3, s19, s3
	s_delay_alu instid0(SALU_CYCLE_1)
	v_cmp_gt_u32_e32 vcc_lo, s3, v93
	s_and_b32 exec_lo, exec_lo, vcc_lo
	s_cbranch_execz .LBB295_58
; %bb.4:
	s_load_b256 s[4:11], s[0:1], 0x10
	s_min_u32 s15, s18, 0x1800
	s_cmp_lg_u32 s16, 0
	s_load_b64 s[12:13], s[0:1], 0x30
	s_cselect_b32 s22, -1, 0
	s_cmp_lg_u32 s18, 0
	v_and_b32_e32 v0, 0x3ff, v0
	s_cselect_b32 s23, -1, 0
	s_lshl_b32 s24, s20, 9
	s_add_i32 s25, s16, -8
	s_add_i32 s26, s19, -1
	v_mbcnt_lo_u32_b32 v100, -1, 0
	v_mov_b32_e32 v95, 0
	s_waitcnt lgkmcnt(0)
	s_cmp_lg_u64 s[10:11], 0
	v_cvt_f32_u32_e32 v3, s4
	s_cselect_b32 s27, -1, 0
	s_abs_i32 s2, s5
	s_mul_i32 s5, s21, s20
	v_cvt_f32_u32_e32 v2, s2
	s_sub_i32 s29, 0, s2
	s_sub_i32 s28, s5, s19
	;; [unrolled: 1-line block ×3, first 2 shown]
	s_add_i32 s28, s28, 2
	v_rcp_iflag_f32_e32 v2, v2
	s_sub_i32 s30, 1, s2
	s_mul_i32 s21, s15, 6
	s_waitcnt_depctr 0xfff
	v_mul_f32_e32 v2, 0x4f7ffffe, v2
	s_delay_alu instid0(VALU_DEP_1) | instskip(NEXT) | instid1(VALU_DEP_1)
	v_cvt_u32_f32_e32 v2, v2
	v_readfirstlane_b32 s0, v2
	v_rcp_iflag_f32_e32 v2, v3
	v_lshlrev_b32_e32 v101, 3, v0
	s_delay_alu instid0(VALU_DEP_2) | instskip(NEXT) | instid1(SALU_CYCLE_1)
	s_mul_i32 s29, s29, s0
	s_mul_hi_u32 s29, s0, s29
	s_delay_alu instid0(SALU_CYCLE_1)
	s_add_i32 s29, s0, s29
	s_cmp_lt_u32 s2, 2
	s_waitcnt_depctr 0xfff
	v_mul_f32_e32 v2, 0x4f7ffffe, v2
	s_cselect_b32 s30, s30, 1
	v_cmp_eq_u32_e64 s0, 63, v0
	s_sub_i32 s31, s30, s2
	s_cmp_ge_u32 s30, s2
	v_cvt_u32_f32_e32 v2, v2
	s_cselect_b32 s30, s31, s30
	s_lshr_b32 s31, s29, 31
	v_lshlrev_b32_e32 v0, 4, v0
	s_mul_i32 s31, s31, s2
	v_mul_lo_u32 v3, s1, v2
	s_sub_i32 s31, 2, s31
	v_lshl_add_u32 v96, v1, 9, v101
	s_sub_i32 s33, s31, s2
	s_cmp_ge_u32 s31, s2
	v_lshl_add_u32 v102, v1, 10, v0
	s_cselect_b32 s1, s33, s31
	s_mul_hi_u32 s31, s29, 3
	s_sub_i32 s33, s1, s2
	s_cmp_ge_u32 s1, s2
	s_mul_i32 s31, s31, s2
	s_cselect_b32 s1, s33, s1
	s_sub_i32 s31, 3, s31
	v_mul_hi_u32 v0, v2, v3
	s_sub_i32 s33, s31, s2
	s_cmp_ge_u32 s31, s2
	v_mad_u64_u32 v[97:98], null, s18, 3, v[96:97]
	s_cselect_b32 s31, s33, s31
	v_lshl_add_u32 v103, s18, 1, v96
	s_sub_i32 s33, s31, s2
	s_cmp_ge_u32 s31, s2
	v_lshl_add_u32 v98, s18, 2, v96
	s_cselect_b32 s31, s33, s31
	s_lshr_b32 s29, s29, 30
	v_add_nc_u32_e32 v104, s18, v96
	s_mul_i32 s29, s29, s2
	v_add_nc_u32_e32 v105, v2, v0
	s_sub_i32 s33, 4, s29
	s_mul_i32 s29, s30, s4
	s_sub_i32 s34, s33, s2
	s_cmp_ge_u32 s33, s2
	s_mul_i32 s30, s1, s4
	s_cselect_b32 s33, s34, s33
	s_mul_i32 s31, s31, s4
	s_sub_i32 s1, s33, s2
	s_cmp_ge_u32 s33, s2
	s_cselect_b32 s35, s1, s33
	s_lshl_b32 s33, s15, 3
	s_lshl_b32 s20, s20, 10
	;; [unrolled: 1-line block ×3, first 2 shown]
	s_mul_i32 s35, s35, s4
	s_lshl_b32 s36, s15, 1
	s_branch .LBB295_7
.LBB295_5:                              ;   in Loop: Header=BB295_7 Depth=1
	s_or_b32 exec_lo, exec_lo, s1
.LBB295_6:                              ;   in Loop: Header=BB295_7 Depth=1
	s_delay_alu instid0(SALU_CYCLE_1) | instskip(NEXT) | instid1(VALU_DEP_1)
	s_or_b32 exec_lo, exec_lo, s2
	v_cmp_le_u32_e32 vcc_lo, s3, v0
	v_mov_b32_e32 v93, v0
	s_or_b32 s14, vcc_lo, s14
	s_delay_alu instid0(SALU_CYCLE_1)
	s_and_not1_b32 exec_lo, exec_lo, s14
	s_cbranch_execz .LBB295_58
.LBB295_7:                              ; =>This Loop Header: Depth=1
                                        ;     Child Loop BB295_14 Depth 2
                                        ;       Child Loop BB295_19 Depth 3
	v_mov_b32_e32 v108, v95
	v_mov_b32_e32 v109, v95
	;; [unrolled: 1-line block ×5, first 2 shown]
	s_and_not1_b32 vcc_lo, exec_lo, s22
	s_mov_b32 s37, 0
	s_cbranch_vccnz .LBB295_28
; %bb.8:                                ;   in Loop: Header=BB295_7 Depth=1
	v_min_u32_e32 v0, s26, v93
	v_cmp_gt_u32_e64 s1, s19, v93
	v_dual_mov_b32 v112, 0 :: v_dual_mov_b32 v111, 0
	v_dual_mov_b32 v110, 0 :: v_dual_mov_b32 v109, 0
	s_delay_alu instid0(VALU_DEP_4) | instskip(SKIP_2) | instid1(VALU_DEP_2)
	v_mul_lo_u32 v94, v0, s17
	v_mov_b32_e32 v108, 0
	s_mov_b32 s38, 0
	v_lshlrev_b64 v[0:1], 1, v[94:95]
	s_delay_alu instid0(VALU_DEP_1) | instskip(NEXT) | instid1(VALU_DEP_2)
	v_add_co_u32 v106, vcc_lo, s6, v0
	v_add_co_ci_u32_e32 v107, vcc_lo, s7, v1, vcc_lo
	s_branch .LBB295_14
.LBB295_9:                              ;   in Loop: Header=BB295_14 Depth=2
	s_or_b32 exec_lo, exec_lo, s42
.LBB295_10:                             ;   in Loop: Header=BB295_14 Depth=2
	s_delay_alu instid0(SALU_CYCLE_1)
	s_or_b32 exec_lo, exec_lo, s41
.LBB295_11:                             ;   in Loop: Header=BB295_14 Depth=2
	s_delay_alu instid0(SALU_CYCLE_1)
	s_or_b32 exec_lo, exec_lo, s40
.LBB295_12:                             ;   in Loop: Header=BB295_14 Depth=2
	s_delay_alu instid0(SALU_CYCLE_1)
	s_or_b32 exec_lo, exec_lo, s39
	s_waitcnt lgkmcnt(4)
	v_and_b32_e32 v117, 0xffff0000, v81
	s_waitcnt vmcnt(3)
	v_and_b32_e32 v118, 0xffff0000, v65
	v_and_b32_e32 v116, 0xffff0000, v64
	v_lshlrev_b32_e32 v81, 16, v81
	v_lshlrev_b32_e32 v65, 16, v65
	v_and_b32_e32 v119, 0xffff0000, v82
	v_dual_mul_f32 v117, v117, v118 :: v_dual_lshlrev_b32 v64, 16, v64
	s_delay_alu instid0(VALU_DEP_1) | instskip(SKIP_4) | instid1(VALU_DEP_3)
	v_dual_fmac_f32 v117, v81, v65 :: v_dual_lshlrev_b32 v82, 16, v82
	v_and_b32_e32 v115, 0xffff0000, v80
	v_lshlrev_b32_e32 v80, 16, v80
	s_waitcnt lgkmcnt(3)
	v_and_b32_e32 v81, 0xffff0000, v76
	v_mul_f32_e32 v115, v115, v116
	s_delay_alu instid0(VALU_DEP_2) | instskip(NEXT) | instid1(VALU_DEP_2)
	v_mul_f32_e32 v81, v81, v116
	v_dual_fmac_f32 v115, v80, v64 :: v_dual_and_b32 v80, 0xffff0000, v66
	v_lshlrev_b32_e32 v66, 16, v66
	s_delay_alu instid0(VALU_DEP_2) | instskip(NEXT) | instid1(VALU_DEP_1)
	v_dual_add_f32 v112, v112, v115 :: v_dual_mul_f32 v115, v119, v80
	v_dual_fmac_f32 v115, v82, v66 :: v_dual_add_f32 v82, v112, v117
	v_and_b32_e32 v117, 0xffff0000, v77
	v_lshlrev_b32_e32 v76, 16, v76
	v_and_b32_e32 v112, 0xffff0000, v83
	v_lshlrev_b32_e32 v83, 16, v83
	v_add_f32_e32 v82, v82, v115
	v_and_b32_e32 v115, 0xffff0000, v67
	v_dual_fmac_f32 v81, v76, v64 :: v_dual_lshlrev_b32 v76, 16, v77
	v_mul_f32_e32 v77, v117, v118
	v_and_b32_e32 v117, 0xffff0000, v78
	v_lshlrev_b32_e32 v67, 16, v67
	s_delay_alu instid0(VALU_DEP_4) | instskip(SKIP_3) | instid1(VALU_DEP_3)
	v_add_f32_e32 v81, v111, v81
	v_mul_f32_e32 v111, v112, v115
	v_dual_fmac_f32 v77, v76, v65 :: v_dual_and_b32 v112, 0xffff0000, v79
	v_lshlrev_b32_e32 v76, 16, v78
	v_dual_mul_f32 v78, v117, v80 :: v_dual_fmac_f32 v111, v83, v67
	s_delay_alu instid0(VALU_DEP_3) | instskip(SKIP_1) | instid1(VALU_DEP_2)
	v_add_f32_e32 v77, v81, v77
	s_waitcnt lgkmcnt(2)
	v_dual_fmac_f32 v78, v76, v66 :: v_dual_and_b32 v83, 0xffff0000, v73
	s_delay_alu instid0(VALU_DEP_1) | instskip(SKIP_3) | instid1(VALU_DEP_2)
	v_dual_add_f32 v77, v77, v78 :: v_dual_lshlrev_b32 v76, 16, v79
	s_waitcnt lgkmcnt(1)
	v_and_b32_e32 v78, 0xffff0000, v68
	v_lshlrev_b32_e32 v68, 16, v68
	v_mul_f32_e32 v78, v78, v116
	s_delay_alu instid0(VALU_DEP_1) | instskip(SKIP_3) | instid1(VALU_DEP_4)
	v_fmac_f32_e32 v78, v68, v64
	v_and_b32_e32 v81, 0xffff0000, v72
	v_dual_mul_f32 v79, v112, v115 :: v_dual_lshlrev_b32 v72, 16, v72
	v_lshlrev_b32_e32 v68, 16, v69
	v_add_f32_e32 v78, v109, v78
	s_delay_alu instid0(VALU_DEP_4) | instskip(NEXT) | instid1(VALU_DEP_1)
	v_mul_f32_e32 v81, v81, v116
	v_dual_fmac_f32 v81, v72, v64 :: v_dual_lshlrev_b32 v72, 16, v73
	v_mul_f32_e32 v73, v83, v118
	s_delay_alu instid0(VALU_DEP_1) | instskip(SKIP_1) | instid1(VALU_DEP_2)
	v_dual_fmac_f32 v73, v72, v65 :: v_dual_and_b32 v72, 0xffff0000, v74
	v_lshlrev_b32_e32 v74, 16, v74
	v_mul_f32_e32 v72, v72, v80
	s_delay_alu instid0(VALU_DEP_1) | instskip(SKIP_2) | instid1(VALU_DEP_3)
	v_dual_fmac_f32 v72, v74, v66 :: v_dual_fmac_f32 v79, v76, v67
	v_and_b32_e32 v74, 0xffff0000, v70
	v_add_f32_e32 v76, v82, v111
	v_add_f32_e32 v77, v77, v79
	;; [unrolled: 1-line block ×3, first 2 shown]
	v_and_b32_e32 v81, 0xffff0000, v69
	s_delay_alu instid0(VALU_DEP_1) | instskip(NEXT) | instid1(VALU_DEP_1)
	v_mul_f32_e32 v69, v81, v118
	v_dual_fmac_f32 v69, v68, v65 :: v_dual_lshlrev_b32 v68, 16, v70
	s_delay_alu instid0(VALU_DEP_4)
	v_add_f32_e32 v73, v79, v73
	v_dual_mul_f32 v70, v74, v80 :: v_dual_and_b32 v79, 0xffff0000, v75
	v_lshlrev_b32_e32 v74, 16, v75
	s_waitcnt lgkmcnt(0)
	v_and_b32_e32 v75, 0xffff0000, v60
	v_lshlrev_b32_e32 v60, 16, v60
	v_add_f32_e32 v72, v73, v72
	v_dual_fmac_f32 v70, v68, v66 :: v_dual_mul_f32 v79, v79, v115
	s_delay_alu instid0(VALU_DEP_4) | instskip(NEXT) | instid1(VALU_DEP_1)
	v_mul_f32_e32 v68, v75, v116
	v_fmac_f32_e32 v68, v60, v64
	v_lshlrev_b32_e32 v60, 16, v61
	v_and_b32_e32 v73, 0xffff0000, v61
	v_dual_add_f32 v69, v78, v69 :: v_dual_and_b32 v64, 0xffff0000, v71
	s_delay_alu instid0(VALU_DEP_4) | instskip(NEXT) | instid1(VALU_DEP_2)
	v_dual_add_f32 v68, v108, v68 :: v_dual_fmac_f32 v79, v74, v67
	v_dual_mul_f32 v61, v73, v118 :: v_dual_mul_f32 v64, v64, v115
	s_delay_alu instid0(VALU_DEP_3) | instskip(NEXT) | instid1(VALU_DEP_2)
	v_add_f32_e32 v69, v69, v70
	v_dual_fmac_f32 v61, v60, v65 :: v_dual_and_b32 v70, 0xffff0000, v62
	v_lshlrev_b32_e32 v60, 16, v62
	s_delay_alu instid0(VALU_DEP_2) | instskip(SKIP_3) | instid1(VALU_DEP_3)
	v_dual_mul_f32 v62, v70, v80 :: v_dual_lshlrev_b32 v71, 16, v71
	s_waitcnt vmcnt(2)
	v_and_b32_e32 v70, 0xffff0000, v44
	v_lshlrev_b32_e32 v44, 16, v44
	v_fmac_f32_e32 v62, v60, v66
	v_dual_fmac_f32 v64, v71, v67 :: v_dual_and_b32 v73, 0xffff0000, v46
	v_and_b32_e32 v65, 0xffff0000, v56
	v_dual_add_f32 v61, v68, v61 :: v_dual_lshlrev_b32 v56, 16, v56
	v_and_b32_e32 v68, 0xffff0000, v45
	s_delay_alu instid0(VALU_DEP_3) | instskip(SKIP_2) | instid1(VALU_DEP_3)
	v_dual_mul_f32 v60, v65, v70 :: v_dual_and_b32 v65, 0xffff0000, v63
	v_and_b32_e32 v66, 0xffff0000, v57
	v_lshlrev_b32_e32 v63, 16, v63
	v_dual_add_f32 v61, v61, v62 :: v_dual_fmac_f32 v60, v56, v44
	v_lshlrev_b32_e32 v45, 16, v45
	v_dual_mul_f32 v65, v65, v115 :: v_dual_lshlrev_b32 v56, 16, v57
	v_mul_f32_e32 v57, v66, v68
	s_delay_alu instid0(VALU_DEP_4) | instskip(NEXT) | instid1(VALU_DEP_3)
	v_add_f32_e32 v60, v76, v60
	v_dual_fmac_f32 v65, v63, v67 :: v_dual_and_b32 v66, 0xffff0000, v58
	v_dual_add_f32 v62, v69, v64 :: v_dual_and_b32 v63, 0xffff0000, v53
	s_delay_alu instid0(VALU_DEP_4) | instskip(SKIP_1) | instid1(VALU_DEP_4)
	v_dual_fmac_f32 v57, v56, v45 :: v_dual_lshlrev_b32 v56, 16, v58
	v_lshlrev_b32_e32 v46, 16, v46
	v_mul_f32_e32 v58, v66, v73
	v_add_f32_e32 v61, v61, v65
	s_delay_alu instid0(VALU_DEP_4) | instskip(SKIP_1) | instid1(VALU_DEP_4)
	v_dual_add_f32 v57, v60, v57 :: v_dual_and_b32 v60, 0xffff0000, v52
	v_lshlrev_b32_e32 v52, 16, v52
	v_fmac_f32_e32 v58, v56, v46
	s_delay_alu instid0(VALU_DEP_1) | instskip(NEXT) | instid1(VALU_DEP_4)
	v_dual_add_f32 v56, v72, v79 :: v_dual_add_f32 v57, v57, v58
	v_mul_f32_e32 v58, v60, v70
	v_and_b32_e32 v60, 0xffff0000, v59
	s_delay_alu instid0(VALU_DEP_2) | instskip(SKIP_2) | instid1(VALU_DEP_2)
	v_dual_fmac_f32 v58, v52, v44 :: v_dual_lshlrev_b32 v59, 16, v59
	v_dual_mul_f32 v53, v63, v68 :: v_dual_lshlrev_b32 v52, 16, v53
	v_and_b32_e32 v63, 0xffff0000, v54
	v_dual_add_f32 v58, v77, v58 :: v_dual_fmac_f32 v53, v52, v45
	v_lshlrev_b32_e32 v52, 16, v54
	s_delay_alu instid0(VALU_DEP_3) | instskip(NEXT) | instid1(VALU_DEP_1)
	v_mul_f32_e32 v54, v63, v73
	v_dual_add_f32 v53, v58, v53 :: v_dual_fmac_f32 v54, v52, v46
	v_and_b32_e32 v64, 0xffff0000, v47
	v_lshlrev_b32_e32 v47, 16, v47
	s_delay_alu instid0(VALU_DEP_3) | instskip(NEXT) | instid1(VALU_DEP_3)
	v_dual_add_f32 v53, v53, v54 :: v_dual_and_b32 v58, 0xffff0000, v48
	v_mul_f32_e32 v60, v60, v64
	v_lshlrev_b32_e32 v48, 16, v48
	v_and_b32_e32 v54, 0xffff0000, v49
	s_delay_alu instid0(VALU_DEP_4) | instskip(NEXT) | instid1(VALU_DEP_1)
	v_mul_f32_e32 v58, v58, v70
	v_fmac_f32_e32 v58, v48, v44
	v_fmac_f32_e32 v60, v59, v47
	v_and_b32_e32 v59, 0xffff0000, v55
	v_dual_mul_f32 v49, v54, v68 :: v_dual_lshlrev_b32 v48, 16, v49
	v_lshlrev_b32_e32 v52, 16, v55
	s_delay_alu instid0(VALU_DEP_3) | instskip(NEXT) | instid1(VALU_DEP_3)
	v_dual_mul_f32 v55, v59, v64 :: v_dual_and_b32 v54, 0xffff0000, v50
	v_dual_fmac_f32 v49, v48, v45 :: v_dual_lshlrev_b32 v48, 16, v50
	s_delay_alu instid0(VALU_DEP_2) | instskip(NEXT) | instid1(VALU_DEP_1)
	v_dual_mul_f32 v50, v54, v73 :: v_dual_fmac_f32 v55, v52, v47
	v_dual_fmac_f32 v50, v48, v46 :: v_dual_add_f32 v53, v53, v55
	v_dual_add_f32 v55, v56, v58 :: v_dual_and_b32 v56, 0xffff0000, v40
	v_lshlrev_b32_e32 v40, 16, v40
	v_and_b32_e32 v48, 0xffff0000, v51
	v_dual_add_f32 v52, v57, v60 :: v_dual_lshlrev_b32 v51, 16, v51
	s_delay_alu instid0(VALU_DEP_4) | instskip(NEXT) | instid1(VALU_DEP_3)
	v_dual_mul_f32 v54, v56, v70 :: v_dual_add_f32 v49, v55, v49
	v_dual_mul_f32 v48, v48, v64 :: v_dual_and_b32 v55, 0xffff0000, v41
	s_delay_alu instid0(VALU_DEP_2) | instskip(NEXT) | instid1(VALU_DEP_2)
	v_fmac_f32_e32 v54, v40, v44
	v_dual_mul_f32 v41, v55, v68 :: v_dual_lshlrev_b32 v40, 16, v41
	v_and_b32_e32 v55, 0xffff0000, v42
	v_add_f32_e32 v49, v49, v50
	v_and_b32_e32 v50, 0xffff0000, v114
	s_delay_alu instid0(VALU_DEP_4) | instskip(SKIP_2) | instid1(VALU_DEP_4)
	v_dual_fmac_f32 v48, v51, v47 :: v_dual_fmac_f32 v41, v40, v45
	v_lshlrev_b32_e32 v40, 16, v42
	v_mul_f32_e32 v42, v55, v73
	v_mul_f32_e32 v50, v50, v70
	s_delay_alu instid0(VALU_DEP_4) | instskip(NEXT) | instid1(VALU_DEP_3)
	v_dual_add_f32 v48, v49, v48 :: v_dual_and_b32 v49, 0xffff0000, v90
	v_dual_fmac_f32 v42, v40, v46 :: v_dual_lshlrev_b32 v51, 16, v92
	v_lshlrev_b32_e32 v40, 16, v114
	s_delay_alu instid0(VALU_DEP_1) | instskip(SKIP_2) | instid1(VALU_DEP_3)
	v_fmac_f32_e32 v50, v40, v44
	v_lshlrev_b32_e32 v40, 16, v90
	v_dual_mul_f32 v44, v49, v68 :: v_dual_and_b32 v49, 0xffff0000, v91
	v_add_f32_e32 v50, v61, v50
	s_delay_alu instid0(VALU_DEP_2) | instskip(NEXT) | instid1(VALU_DEP_3)
	v_fmac_f32_e32 v44, v40, v45
	v_dual_mul_f32 v45, v49, v73 :: v_dual_lshlrev_b32 v40, 16, v91
	s_waitcnt vmcnt(1)
	v_and_b32_e32 v49, 0xffff0000, v20
	v_lshlrev_b32_e32 v20, 16, v20
	v_add_f32_e32 v44, v50, v44
	v_and_b32_e32 v50, 0xffff0000, v21
	v_dual_add_f32 v54, v62, v54 :: v_dual_lshlrev_b32 v21, 16, v21
	v_dual_fmac_f32 v45, v40, v46 :: v_dual_and_b32 v46, 0xffff0000, v37
	s_delay_alu instid0(VALU_DEP_2) | instskip(SKIP_1) | instid1(VALU_DEP_2)
	v_dual_add_f32 v41, v54, v41 :: v_dual_and_b32 v54, 0xffff0000, v22
	v_lshlrev_b32_e32 v22, 16, v22
	v_dual_add_f32 v44, v44, v45 :: v_dual_add_f32 v41, v41, v42
	v_and_b32_e32 v42, 0xffff0000, v43
	s_delay_alu instid0(VALU_DEP_1) | instskip(NEXT) | instid1(VALU_DEP_1)
	v_dual_mul_f32 v42, v42, v64 :: v_dual_lshlrev_b32 v43, 16, v43
	v_dual_fmac_f32 v42, v43, v47 :: v_dual_and_b32 v43, 0xffff0000, v36
	v_lshlrev_b32_e32 v36, 16, v36
	s_delay_alu instid0(VALU_DEP_2) | instskip(NEXT) | instid1(VALU_DEP_1)
	v_dual_mul_f32 v40, v43, v49 :: v_dual_and_b32 v43, 0xffff0000, v92
	v_fmac_f32_e32 v40, v36, v20
	v_dual_mul_f32 v37, v46, v50 :: v_dual_lshlrev_b32 v36, 16, v37
	s_delay_alu instid0(VALU_DEP_3) | instskip(NEXT) | instid1(VALU_DEP_3)
	v_dual_mul_f32 v43, v43, v64 :: v_dual_and_b32 v46, 0xffff0000, v38
	v_add_f32_e32 v40, v52, v40
	s_delay_alu instid0(VALU_DEP_3) | instskip(NEXT) | instid1(VALU_DEP_3)
	v_dual_fmac_f32 v37, v36, v21 :: v_dual_lshlrev_b32 v36, 16, v38
	v_dual_mul_f32 v38, v46, v54 :: v_dual_fmac_f32 v43, v51, v47
	s_delay_alu instid0(VALU_DEP_2) | instskip(NEXT) | instid1(VALU_DEP_2)
	v_dual_add_f32 v37, v40, v37 :: v_dual_and_b32 v40, 0xffff0000, v32
	v_fmac_f32_e32 v38, v36, v22
	v_lshlrev_b32_e32 v32, 16, v32
	s_delay_alu instid0(VALU_DEP_4) | instskip(NEXT) | instid1(VALU_DEP_3)
	v_dual_add_f32 v36, v41, v42 :: v_dual_add_f32 v41, v44, v43
	v_dual_mul_f32 v40, v40, v49 :: v_dual_add_f32 v37, v37, v38
	v_and_b32_e32 v38, 0xffff0000, v33
	v_and_b32_e32 v43, 0xffff0000, v34
	;; [unrolled: 1-line block ×3, first 2 shown]
	s_delay_alu instid0(VALU_DEP_4) | instskip(NEXT) | instid1(VALU_DEP_4)
	v_fmac_f32_e32 v40, v32, v20
	v_dual_mul_f32 v33, v38, v50 :: v_dual_lshlrev_b32 v32, 16, v33
	v_and_b32_e32 v38, 0xffff0000, v23
	s_delay_alu instid0(VALU_DEP_3) | instskip(SKIP_1) | instid1(VALU_DEP_4)
	v_dual_add_f32 v40, v53, v40 :: v_dual_lshlrev_b32 v39, 16, v39
	v_lshlrev_b32_e32 v23, 16, v23
	v_dual_fmac_f32 v33, v32, v21 :: v_dual_lshlrev_b32 v32, 16, v34
	v_dual_mul_f32 v34, v43, v54 :: v_dual_and_b32 v43, 0xffff0000, v35
	s_delay_alu instid0(VALU_DEP_2) | instskip(SKIP_1) | instid1(VALU_DEP_3)
	v_dual_mul_f32 v42, v42, v38 :: v_dual_add_f32 v33, v40, v33
	v_and_b32_e32 v40, 0xffff0000, v28
	v_fmac_f32_e32 v34, v32, v22
	s_delay_alu instid0(VALU_DEP_4) | instskip(SKIP_1) | instid1(VALU_DEP_4)
	v_dual_mul_f32 v35, v43, v38 :: v_dual_lshlrev_b32 v32, 16, v35
	v_lshlrev_b32_e32 v28, 16, v28
	v_mul_f32_e32 v40, v40, v49
	v_dual_fmac_f32 v42, v39, v23 :: v_dual_and_b32 v39, 0xffff0000, v29
	v_add_f32_e32 v33, v33, v34
	v_dual_fmac_f32 v35, v32, v23 :: v_dual_and_b32 v34, 0xffff0000, v24
	s_delay_alu instid0(VALU_DEP_3) | instskip(SKIP_2) | instid1(VALU_DEP_4)
	v_add_f32_e32 v32, v37, v42
	v_lshlrev_b32_e32 v24, 16, v24
	v_and_b32_e32 v37, 0xffff0000, v25
	v_dual_add_f32 v33, v33, v35 :: v_dual_fmac_f32 v40, v28, v20
	v_dual_mul_f32 v29, v39, v50 :: v_dual_lshlrev_b32 v28, 16, v29
	s_delay_alu instid0(VALU_DEP_2) | instskip(NEXT) | instid1(VALU_DEP_2)
	v_dual_mul_f32 v34, v34, v49 :: v_dual_add_f32 v35, v48, v40
	v_dual_fmac_f32 v29, v28, v21 :: v_dual_and_b32 v28, 0xffff0000, v30
	s_delay_alu instid0(VALU_DEP_2) | instskip(SKIP_1) | instid1(VALU_DEP_3)
	v_fmac_f32_e32 v34, v24, v20
	v_lshlrev_b32_e32 v24, 16, v25
	v_dual_add_f32 v29, v35, v29 :: v_dual_lshlrev_b32 v30, 16, v30
	s_delay_alu instid0(VALU_DEP_4) | instskip(NEXT) | instid1(VALU_DEP_4)
	v_dual_mul_f32 v28, v28, v54 :: v_dual_and_b32 v35, 0xffff0000, v31
	v_add_f32_e32 v34, v36, v34
	s_waitcnt vmcnt(0)
	v_and_b32_e32 v36, 0xffff0000, v2
	v_lshlrev_b32_e32 v2, 16, v2
	v_mul_f32_e32 v35, v35, v38
	v_mul_f32_e32 v25, v37, v50
	s_delay_alu instid0(VALU_DEP_1) | instskip(NEXT) | instid1(VALU_DEP_1)
	v_dual_fmac_f32 v25, v24, v21 :: v_dual_lshlrev_b32 v24, 16, v26
	v_add_f32_e32 v25, v34, v25
	v_fmac_f32_e32 v28, v30, v22
	v_and_b32_e32 v30, 0xffff0000, v26
	v_lshlrev_b32_e32 v34, 16, v89
	s_delay_alu instid0(VALU_DEP_3) | instskip(NEXT) | instid1(VALU_DEP_3)
	v_add_f32_e32 v28, v29, v28
	v_mul_f32_e32 v26, v30, v54
	v_lshlrev_b32_e32 v30, 16, v31
	v_and_b32_e32 v31, 0xffff0000, v113
	s_delay_alu instid0(VALU_DEP_3) | instskip(SKIP_1) | instid1(VALU_DEP_3)
	v_dual_fmac_f32 v26, v24, v22 :: v_dual_and_b32 v29, 0xffff0000, v87
	v_lshlrev_b32_e32 v24, 16, v113
	v_mul_f32_e32 v31, v31, v49
	v_fmac_f32_e32 v35, v30, v23
	s_delay_alu instid0(VALU_DEP_4) | instskip(NEXT) | instid1(VALU_DEP_3)
	v_add_f32_e32 v25, v25, v26
	v_dual_fmac_f32 v31, v24, v20 :: v_dual_mul_f32 v24, v29, v50
	s_delay_alu instid0(VALU_DEP_1) | instskip(SKIP_3) | instid1(VALU_DEP_1)
	v_dual_add_f32 v30, v41, v31 :: v_dual_and_b32 v29, 0xffff0000, v88
	v_and_b32_e32 v31, 0xffff0000, v0
	v_lshlrev_b32_e32 v0, 16, v0
	v_lshlrev_b32_e32 v20, 16, v87
	v_fmac_f32_e32 v24, v20, v21
	v_dual_mul_f32 v21, v29, v54 :: v_dual_lshlrev_b32 v20, 16, v88
	v_and_b32_e32 v29, 0xffff0000, v16
	v_lshlrev_b32_e32 v16, 16, v16
	s_delay_alu instid0(VALU_DEP_4) | instskip(NEXT) | instid1(VALU_DEP_4)
	v_add_f32_e32 v24, v30, v24
	v_dual_fmac_f32 v21, v20, v22 :: v_dual_and_b32 v30, 0xffff0000, v1
	s_delay_alu instid0(VALU_DEP_4) | instskip(SKIP_1) | instid1(VALU_DEP_3)
	v_dual_mul_f32 v20, v29, v31 :: v_dual_and_b32 v29, 0xffff0000, v17
	v_lshlrev_b32_e32 v1, 16, v1
	v_add_f32_e32 v21, v24, v21
	s_delay_alu instid0(VALU_DEP_3) | instskip(NEXT) | instid1(VALU_DEP_4)
	v_fmac_f32_e32 v20, v16, v0
	v_dual_mul_f32 v17, v29, v30 :: v_dual_lshlrev_b32 v16, 16, v17
	v_and_b32_e32 v24, 0xffff0000, v3
	v_and_b32_e32 v22, 0xffff0000, v89
	s_delay_alu instid0(VALU_DEP_4) | instskip(NEXT) | instid1(VALU_DEP_4)
	v_dual_add_f32 v20, v32, v20 :: v_dual_lshlrev_b32 v3, 16, v3
	v_fmac_f32_e32 v17, v16, v1
	v_and_b32_e32 v29, 0xffff0000, v18
	s_delay_alu instid0(VALU_DEP_4) | instskip(NEXT) | instid1(VALU_DEP_3)
	v_mul_f32_e32 v22, v22, v38
	v_dual_add_f32 v17, v20, v17 :: v_dual_lshlrev_b32 v16, 16, v18
	s_delay_alu instid0(VALU_DEP_3) | instskip(NEXT) | instid1(VALU_DEP_3)
	v_mul_f32_e32 v18, v29, v36
	v_fmac_f32_e32 v22, v34, v23
	s_delay_alu instid0(VALU_DEP_2) | instskip(NEXT) | instid1(VALU_DEP_2)
	v_fmac_f32_e32 v18, v16, v2
	v_dual_add_f32 v21, v21, v22 :: v_dual_and_b32 v26, 0xffff0000, v27
	v_lshlrev_b32_e32 v27, 16, v27
	s_delay_alu instid0(VALU_DEP_3) | instskip(NEXT) | instid1(VALU_DEP_3)
	v_dual_add_f32 v17, v17, v18 :: v_dual_and_b32 v18, 0xffff0000, v19
	v_dual_mul_f32 v26, v26, v38 :: v_dual_lshlrev_b32 v19, 16, v19
	s_delay_alu instid0(VALU_DEP_2) | instskip(NEXT) | instid1(VALU_DEP_2)
	v_mul_f32_e32 v18, v18, v24
	v_dual_fmac_f32 v26, v27, v23 :: v_dual_and_b32 v23, 0xffff0000, v12
	v_lshlrev_b32_e32 v12, 16, v12
	s_delay_alu instid0(VALU_DEP_3) | instskip(NEXT) | instid1(VALU_DEP_3)
	v_fmac_f32_e32 v18, v19, v3
	v_add_f32_e32 v20, v25, v26
	s_delay_alu instid0(VALU_DEP_4) | instskip(SKIP_3) | instid1(VALU_DEP_4)
	v_dual_mul_f32 v22, v23, v31 :: v_dual_and_b32 v23, 0xffff0000, v13
	v_and_b32_e32 v25, 0xffff0000, v8
	v_lshlrev_b32_e32 v8, 16, v8
	v_add_f32_e32 v112, v17, v18
	v_fmac_f32_e32 v22, v12, v0
	v_dual_mul_f32 v13, v23, v30 :: v_dual_lshlrev_b32 v12, 16, v13
	v_and_b32_e32 v23, 0xffff0000, v14
	s_delay_alu instid0(VALU_DEP_2) | instskip(SKIP_1) | instid1(VALU_DEP_3)
	v_dual_add_f32 v22, v33, v22 :: v_dual_fmac_f32 v13, v12, v1
	v_lshlrev_b32_e32 v12, 16, v14
	v_dual_mul_f32 v14, v23, v36 :: v_dual_mul_f32 v23, v25, v31
	s_delay_alu instid0(VALU_DEP_3) | instskip(SKIP_1) | instid1(VALU_DEP_3)
	v_add_f32_e32 v13, v22, v13
	v_and_b32_e32 v22, 0xffff0000, v9
	v_fmac_f32_e32 v14, v12, v2
	s_delay_alu instid0(VALU_DEP_4) | instskip(NEXT) | instid1(VALU_DEP_3)
	v_dual_fmac_f32 v23, v8, v0 :: v_dual_lshlrev_b32 v8, 16, v9
	v_mul_f32_e32 v9, v22, v30
	s_delay_alu instid0(VALU_DEP_3) | instskip(SKIP_4) | instid1(VALU_DEP_4)
	v_add_f32_e32 v12, v13, v14
	v_and_b32_e32 v13, 0xffff0000, v10
	v_and_b32_e32 v14, 0xffff0000, v15
	v_add_f32_e32 v16, v28, v35
	v_dual_fmac_f32 v9, v8, v1 :: v_dual_lshlrev_b32 v8, 16, v10
	v_dual_mul_f32 v10, v13, v36 :: v_dual_lshlrev_b32 v13, 16, v15
	v_and_b32_e32 v15, 0xffff0000, v4
	v_mul_f32_e32 v14, v14, v24
	v_lshlrev_b32_e32 v4, 16, v4
	s_delay_alu instid0(VALU_DEP_4) | instskip(SKIP_4) | instid1(VALU_DEP_4)
	v_fmac_f32_e32 v10, v8, v2
	v_add_f32_e32 v16, v16, v23
	v_mul_f32_e32 v8, v15, v31
	v_dual_fmac_f32 v14, v13, v3 :: v_dual_and_b32 v13, 0xffff0000, v5
	v_lshlrev_b32_e32 v15, 16, v94
	v_add_f32_e32 v9, v16, v9
	s_delay_alu instid0(VALU_DEP_4) | instskip(NEXT) | instid1(VALU_DEP_4)
	v_fmac_f32_e32 v8, v4, v0
	v_dual_add_f32 v111, v12, v14 :: v_dual_lshlrev_b32 v4, 16, v5
	v_mul_f32_e32 v5, v13, v30
	s_delay_alu instid0(VALU_DEP_3) | instskip(SKIP_1) | instid1(VALU_DEP_3)
	v_dual_add_f32 v8, v20, v8 :: v_dual_and_b32 v13, 0xffff0000, v94
	v_dual_add_f32 v9, v9, v10 :: v_dual_and_b32 v16, 0xffff0000, v84
	v_dual_fmac_f32 v5, v4, v1 :: v_dual_and_b32 v4, 0xffff0000, v6
	s_delay_alu instid0(VALU_DEP_3) | instskip(NEXT) | instid1(VALU_DEP_2)
	v_dual_mul_f32 v13, v13, v31 :: v_dual_lshlrev_b32 v6, 16, v6
	v_dual_add_f32 v5, v8, v5 :: v_dual_and_b32 v10, 0xffff0000, v11
	s_delay_alu instid0(VALU_DEP_3) | instskip(NEXT) | instid1(VALU_DEP_3)
	v_mul_f32_e32 v4, v4, v36
	v_fmac_f32_e32 v13, v15, v0
	v_and_b32_e32 v15, 0xffff0000, v7
	v_lshlrev_b32_e32 v0, 16, v84
	v_mul_f32_e32 v8, v16, v30
	v_fmac_f32_e32 v4, v6, v2
	v_and_b32_e32 v6, 0xffff0000, v85
	v_add_f32_e32 v13, v21, v13
	s_delay_alu instid0(VALU_DEP_4) | instskip(NEXT) | instid1(VALU_DEP_3)
	v_dual_fmac_f32 v8, v0, v1 :: v_dual_lshlrev_b32 v11, 16, v11
	v_dual_mul_f32 v1, v6, v36 :: v_dual_lshlrev_b32 v0, 16, v85
	v_lshlrev_b32_e32 v6, 16, v7
	v_dual_mul_f32 v10, v10, v24 :: v_dual_and_b32 v7, 0xffff0000, v86
	v_mul_f32_e32 v15, v15, v24
	s_delay_alu instid0(VALU_DEP_4) | instskip(SKIP_1) | instid1(VALU_DEP_4)
	v_dual_add_f32 v8, v13, v8 :: v_dual_fmac_f32 v1, v0, v2
	v_lshlrev_b32_e32 v0, 16, v86
	v_mul_f32_e32 v2, v7, v24
	v_fmac_f32_e32 v10, v11, v3
	v_dual_add_f32 v4, v5, v4 :: v_dual_fmac_f32 v15, v6, v3
	v_add_f32_e32 v1, v8, v1
	s_delay_alu instid0(VALU_DEP_4) | instskip(NEXT) | instid1(VALU_DEP_3)
	v_fmac_f32_e32 v2, v0, v3
	v_dual_add_f32 v110, v9, v10 :: v_dual_add_f32 v109, v4, v15
	s_delay_alu instid0(VALU_DEP_2)
	v_add_f32_e32 v108, v1, v2
.LBB295_13:                             ;   in Loop: Header=BB295_14 Depth=2
	s_or_b32 exec_lo, exec_lo, s2
	s_addk_i32 s38, 0x800
	s_delay_alu instid0(SALU_CYCLE_1)
	s_cmp_ge_u32 s38, s16
	s_cbranch_scc1 .LBB295_28
.LBB295_14:                             ;   Parent Loop BB295_7 Depth=1
                                        ; =>  This Loop Header: Depth=2
                                        ;       Child Loop BB295_19 Depth 3
	s_cmp_eq_u32 s38, 0
	s_cselect_b32 s39, -1, 0
	s_add_i32 s2, s37, s15
	s_delay_alu instid0(SALU_CYCLE_1) | instskip(SKIP_1) | instid1(SALU_CYCLE_1)
	s_cmp_eq_u32 s38, s2
	s_cselect_b32 s40, -1, 0
	s_or_b32 s40, s39, s40
	s_delay_alu instid0(SALU_CYCLE_1)
	s_and_not1_b32 vcc_lo, exec_lo, s40
	s_cbranch_vccz .LBB295_16
; %bb.15:                               ;   in Loop: Header=BB295_14 Depth=2
	s_and_saveexec_b32 s2, s1
	s_cbranch_execz .LBB295_13
	s_branch .LBB295_23
.LBB295_16:                             ;   in Loop: Header=BB295_14 Depth=2
	s_and_b32 s39, s39, exec_lo
	s_cselect_b32 s37, s37, s2
	s_and_not1_b32 vcc_lo, exec_lo, s23
	s_waitcnt vmcnt(0)
	s_waitcnt_vscnt null, 0x0
	s_barrier
	buffer_gl0_inv
	s_cbranch_vccnz .LBB295_22
; %bb.17:                               ;   in Loop: Header=BB295_14 Depth=2
	v_dual_mov_b32 v5, v102 :: v_dual_add_nc_u32 v0, s37, v103
	v_add_nc_u32_e32 v1, s37, v97
	v_add_nc_u32_e32 v2, s37, v98
	;; [unrolled: 1-line block ×4, first 2 shown]
	s_mov_b32 s39, 0
	s_mov_b32 s40, 0
                                        ; implicit-def: $sgpr41
	s_branch .LBB295_19
.LBB295_18:                             ;   in Loop: Header=BB295_19 Depth=3
	s_or_b32 exec_lo, exec_lo, s2
	s_delay_alu instid0(SALU_CYCLE_1) | instskip(NEXT) | instid1(SALU_CYCLE_1)
	s_and_b32 s2, exec_lo, s41
	s_or_b32 s39, s2, s39
	s_delay_alu instid0(SALU_CYCLE_1)
	s_and_not1_b32 exec_lo, exec_lo, s39
	s_cbranch_execz .LBB295_21
.LBB295_19:                             ;   Parent Loop BB295_7 Depth=1
                                        ;     Parent Loop BB295_14 Depth=2
                                        ; =>    This Inner Loop Header: Depth=3
	s_delay_alu instid0(VALU_DEP_1) | instskip(SKIP_2) | instid1(VALU_DEP_2)
	v_add_nc_u32_e32 v94, s40, v4
	v_add_nc_u32_e32 v6, s40, v96
	s_or_b32 s41, s41, exec_lo
	v_cmp_gt_u32_e32 vcc_lo, s18, v94
	s_delay_alu instid0(VALU_DEP_2) | instskip(NEXT) | instid1(VALU_DEP_1)
	v_cmp_gt_u32_e64 s2, s15, v6
	s_and_b32 s42, s2, vcc_lo
	s_delay_alu instid0(SALU_CYCLE_1)
	s_and_saveexec_b32 s2, s42
	s_cbranch_execz .LBB295_18
; %bb.20:                               ;   in Loop: Header=BB295_19 Depth=3
	v_lshlrev_b64 v[6:7], 1, v[94:95]
	v_add_nc_u32_e32 v94, s40, v3
	v_add_nc_u32_e32 v26, s36, v5
	;; [unrolled: 1-line block ×3, first 2 shown]
	s_delay_alu instid0(VALU_DEP_3) | instskip(SKIP_3) | instid1(VALU_DEP_3)
	v_lshlrev_b64 v[8:9], 1, v[94:95]
	v_add_nc_u32_e32 v94, s40, v0
	v_add_co_u32 v6, vcc_lo, s8, v6
	v_add_co_ci_u32_e32 v7, vcc_lo, s9, v7, vcc_lo
	v_lshlrev_b64 v[10:11], 1, v[94:95]
	v_add_nc_u32_e32 v94, s40, v1
	v_add_co_u32 v12, vcc_lo, s8, v8
	v_add_co_ci_u32_e32 v13, vcc_lo, s9, v9, vcc_lo
	s_delay_alu instid0(VALU_DEP_3) | instskip(SKIP_3) | instid1(VALU_DEP_3)
	v_lshlrev_b64 v[18:19], 1, v[94:95]
	v_add_nc_u32_e32 v94, s40, v2
	v_add_co_u32 v14, vcc_lo, s8, v10
	v_add_co_ci_u32_e32 v15, vcc_lo, s9, v11, vcc_lo
	v_lshlrev_b64 v[20:21], 1, v[94:95]
	v_add_co_u32 v18, vcc_lo, s8, v18
	v_add_co_ci_u32_e32 v19, vcc_lo, s9, v19, vcc_lo
	s_clause 0x2
	global_load_b128 v[6:9], v[6:7], off
	global_load_b128 v[10:13], v[12:13], off
	;; [unrolled: 1-line block ×3, first 2 shown]
	v_add_co_u32 v22, vcc_lo, s8, v20
	v_add_co_ci_u32_e32 v23, vcc_lo, s9, v21, vcc_lo
	s_clause 0x1
	global_load_b128 v[18:21], v[18:19], off
	global_load_b128 v[22:25], v[22:23], off
	s_add_i32 s40, s40, s24
	s_waitcnt vmcnt(4)
	ds_store_b128 v5, v[6:9]
	s_waitcnt vmcnt(3)
	ds_store_2addr_b64 v26, v[10:11], v[12:13] offset1:1
	s_waitcnt vmcnt(2)
	ds_store_2addr_b32 v27, v14, v15 offset1:1
	ds_store_2addr_b32 v27, v16, v17 offset0:2 offset1:3
	s_cmp_ge_u32 s40, s15
	v_add_nc_u32_e32 v6, s21, v5
	s_cselect_b32 s42, -1, 0
	v_add_nc_u32_e32 v7, s33, v5
	v_add_nc_u32_e32 v5, s20, v5
	s_and_not1_b32 s41, s41, exec_lo
	s_and_b32 s42, s42, exec_lo
	s_waitcnt vmcnt(1)
	ds_store_2addr_b64 v6, v[18:19], v[20:21] offset1:1
	s_or_b32 s41, s41, s42
	s_waitcnt vmcnt(0)
	ds_store_2addr_b64 v7, v[22:23], v[24:25] offset1:1
	s_branch .LBB295_18
.LBB295_21:                             ;   in Loop: Header=BB295_14 Depth=2
	s_or_b32 exec_lo, exec_lo, s39
.LBB295_22:                             ;   in Loop: Header=BB295_14 Depth=2
	s_waitcnt lgkmcnt(0)
	s_barrier
	buffer_gl0_inv
	s_and_saveexec_b32 s2, s1
	s_cbranch_execz .LBB295_13
.LBB295_23:                             ;   in Loop: Header=BB295_14 Depth=2
	v_dual_mov_b32 v85, 0 :: v_dual_add_nc_u32 v118, s38, v101
	s_waitcnt vmcnt(2)
	v_dual_mov_b32 v10, 0 :: v_dual_mov_b32 v9, 0
	v_dual_mov_b32 v8, 0 :: v_dual_mov_b32 v15, 0
	s_delay_alu instid0(VALU_DEP_3) | instskip(SKIP_3) | instid1(VALU_DEP_4)
	v_min_u32_e32 v94, s25, v118
	v_dual_mov_b32 v86, 0 :: v_dual_add_nc_u32 v117, 0x200, v118
	v_add_nc_u32_e32 v116, 0x400, v118
	v_dual_mov_b32 v84, 0 :: v_dual_add_nc_u32 v115, 0x600, v118
	v_lshlrev_b64 v[0:1], 1, v[94:95]
	s_delay_alu instid0(VALU_DEP_4) | instskip(SKIP_2) | instid1(VALU_DEP_3)
	v_min_u32_e32 v94, s25, v117
	v_dual_mov_b32 v14, 0 :: v_dual_mov_b32 v13, 0
	v_dual_mov_b32 v12, 0 :: v_dual_mov_b32 v19, 0
	v_lshlrev_b64 v[2:3], 1, v[94:95]
	v_min_u32_e32 v94, s25, v116
	v_add_co_u32 v0, vcc_lo, v106, v0
	v_add_co_ci_u32_e32 v1, vcc_lo, v107, v1, vcc_lo
	s_waitcnt vmcnt(0)
	s_delay_alu instid0(VALU_DEP_3) | instskip(SKIP_3) | instid1(VALU_DEP_3)
	v_lshlrev_b64 v[4:5], 1, v[94:95]
	v_min_u32_e32 v94, s25, v115
	v_add_co_u32 v2, vcc_lo, v106, v2
	v_add_co_ci_u32_e32 v3, vcc_lo, v107, v3, vcc_lo
	v_lshlrev_b64 v[6:7], 1, v[94:95]
	v_add_co_u32 v4, vcc_lo, v106, v4
	v_add_co_ci_u32_e32 v5, vcc_lo, v107, v5, vcc_lo
	v_mov_b32_e32 v11, 0
	s_delay_alu instid0(VALU_DEP_4)
	v_add_co_u32 v6, vcc_lo, v106, v6
	v_add_co_ci_u32_e32 v7, vcc_lo, v107, v7, vcc_lo
	s_clause 0x3
	global_load_b128 v[64:67], v[0:1], off slc dlc
	global_load_b128 v[44:47], v[2:3], off slc dlc
	;; [unrolled: 1-line block ×4, first 2 shown]
	v_cmp_gt_u32_e32 vcc_lo, s16, v118
	v_dual_mov_b32 v7, 0 :: v_dual_mov_b32 v6, 0
	v_dual_mov_b32 v5, 0 :: v_dual_mov_b32 v4, 0
	;; [unrolled: 1-line block ×33, first 2 shown]
	v_mov_b32_e32 v94, 0
	v_mov_b32_e32 v114, 0
	s_and_saveexec_b32 s39, vcc_lo
	s_cbranch_execz .LBB295_12
; %bb.24:                               ;   in Loop: Header=BB295_14 Depth=2
	v_subrev_nc_u32_e32 v4, s37, v118
	v_cmp_gt_u32_e32 vcc_lo, s16, v117
	v_dual_mov_b32 v56, 0 :: v_dual_mov_b32 v57, 0
	v_dual_mov_b32 v58, 0 :: v_dual_mov_b32 v59, 0
	s_delay_alu instid0(VALU_DEP_4) | instskip(SKIP_2) | instid1(VALU_DEP_3)
	v_dual_mov_b32 v53, 0 :: v_dual_lshlrev_b32 v118, 1, v4
	v_mov_b32_e32 v52, 0
	v_dual_mov_b32 v54, 0 :: v_dual_mov_b32 v55, 0
	v_dual_mov_b32 v48, 0 :: v_dual_add_nc_u32 v119, s36, v118
	v_dual_mov_b32 v49, 0 :: v_dual_mov_b32 v50, 0
	s_delay_alu instid0(VALU_DEP_2) | instskip(SKIP_2) | instid1(VALU_DEP_3)
	v_dual_mov_b32 v51, 0 :: v_dual_add_nc_u32 v120, s36, v119
	v_dual_mov_b32 v41, 0 :: v_dual_mov_b32 v40, 0
	v_dual_mov_b32 v42, 0 :: v_dual_mov_b32 v43, 0
	v_dual_mov_b32 v90, 0 :: v_dual_add_nc_u32 v121, s36, v120
	v_dual_mov_b32 v114, 0 :: v_dual_mov_b32 v91, 0
	v_dual_mov_b32 v92, 0 :: v_dual_mov_b32 v37, 0
	s_delay_alu instid0(VALU_DEP_3)
	v_add_nc_u32_e32 v117, s36, v121
	ds_load_b128 v[80:83], v118
	ds_load_b128 v[76:79], v119
	;; [unrolled: 1-line block ×5, first 2 shown]
	v_dual_mov_b32 v36, 0 :: v_dual_mov_b32 v39, 0
	v_dual_mov_b32 v38, 0 :: v_dual_mov_b32 v33, 0
	;; [unrolled: 1-line block ×19, first 2 shown]
	v_mov_b32_e32 v86, 0
	s_and_saveexec_b32 s40, vcc_lo
	s_cbranch_execz .LBB295_11
; %bb.25:                               ;   in Loop: Header=BB295_14 Depth=2
	ds_load_b128 v[56:59], v118 offset:1024
	ds_load_b128 v[52:55], v119 offset:1024
	;; [unrolled: 1-line block ×4, first 2 shown]
	ds_load_b32 v114, v117 offset:1024
	ds_load_b96 v[90:92], v117 offset:1028
	v_cmp_gt_u32_e32 vcc_lo, s16, v116
	v_dual_mov_b32 v36, 0 :: v_dual_mov_b32 v37, 0
	v_dual_mov_b32 v38, 0 :: v_dual_mov_b32 v39, 0
	v_dual_mov_b32 v32, 0 :: v_dual_mov_b32 v33, 0
	v_dual_mov_b32 v34, 0 :: v_dual_mov_b32 v35, 0
	v_dual_mov_b32 v28, 0 :: v_dual_mov_b32 v29, 0
	v_dual_mov_b32 v30, 0 :: v_dual_mov_b32 v31, 0
	v_dual_mov_b32 v24, 0 :: v_dual_mov_b32 v25, 0
	v_dual_mov_b32 v26, 0 :: v_dual_mov_b32 v27, 0
	v_dual_mov_b32 v113, 0 :: v_dual_mov_b32 v88, 0
	v_dual_mov_b32 v87, 0 :: v_dual_mov_b32 v16, 0
	v_dual_mov_b32 v89, 0 :: v_dual_mov_b32 v18, 0
	v_dual_mov_b32 v17, 0 :: v_dual_mov_b32 v12, 0
	v_dual_mov_b32 v19, 0 :: v_dual_mov_b32 v14, 0
	v_dual_mov_b32 v13, 0 :: v_dual_mov_b32 v8, 0
	v_dual_mov_b32 v15, 0 :: v_dual_mov_b32 v10, 0
	v_dual_mov_b32 v9, 0 :: v_dual_mov_b32 v4, 0
	v_dual_mov_b32 v11, 0 :: v_dual_mov_b32 v6, 0
	v_dual_mov_b32 v5, 0 :: v_dual_mov_b32 v94, 0
	v_dual_mov_b32 v7, 0 :: v_dual_mov_b32 v84, 0
	v_dual_mov_b32 v85, 0 :: v_dual_mov_b32 v86, 0
	s_and_saveexec_b32 s41, vcc_lo
	s_cbranch_execz .LBB295_10
; %bb.26:                               ;   in Loop: Header=BB295_14 Depth=2
	ds_load_b128 v[36:39], v118 offset:2048
	ds_load_b128 v[32:35], v119 offset:2048
	;; [unrolled: 1-line block ×4, first 2 shown]
	ds_load_b32 v113, v117 offset:2048
	ds_load_b96 v[87:89], v117 offset:2052
	v_cmp_gt_u32_e32 vcc_lo, s16, v115
	v_dual_mov_b32 v16, 0 :: v_dual_mov_b32 v17, 0
	v_dual_mov_b32 v18, 0 :: v_dual_mov_b32 v19, 0
	;; [unrolled: 1-line block ×9, first 2 shown]
	v_mov_b32_e32 v84, 0
	v_mov_b32_e32 v86, 0
	s_and_saveexec_b32 s42, vcc_lo
	s_cbranch_execz .LBB295_9
; %bb.27:                               ;   in Loop: Header=BB295_14 Depth=2
	ds_load_b128 v[16:19], v118 offset:3072
	ds_load_b128 v[12:15], v119 offset:3072
	ds_load_b128 v[8:11], v120 offset:3072
	ds_load_b128 v[4:7], v121 offset:3072
	ds_load_b32 v94, v117 offset:3072
	ds_load_b96 v[84:86], v117 offset:3076
	s_branch .LBB295_9
.LBB295_28:                             ;   in Loop: Header=BB295_7 Depth=1
	s_mov_b32 s1, exec_lo
                                        ; implicit-def: $vgpr0
	v_cmpx_le_u32_e64 s19, v93
	s_xor_b32 s1, exec_lo, s1
; %bb.29:                               ;   in Loop: Header=BB295_7 Depth=1
	v_add_nc_u32_e32 v0, s5, v93
                                        ; implicit-def: $vgpr93
                                        ; implicit-def: $vgpr112
                                        ; implicit-def: $vgpr111
                                        ; implicit-def: $vgpr110
                                        ; implicit-def: $vgpr109
                                        ; implicit-def: $vgpr108
; %bb.30:                               ;   in Loop: Header=BB295_7 Depth=1
	s_and_not1_saveexec_b32 s2, s1
	s_cbranch_execz .LBB295_6
; %bb.31:                               ;   in Loop: Header=BB295_7 Depth=1
	v_xor_b32_e32 v0, 16, v100
	v_cvt_i32_f32_e32 v1, v112
	v_cvt_i32_f32_e32 v2, v111
	;; [unrolled: 1-line block ×3, first 2 shown]
	s_waitcnt vmcnt(0)
	v_cvt_i32_f32_e32 v4, v109
	v_cmp_gt_i32_e32 vcc_lo, 32, v0
	v_cvt_f32_i32_dpp v1, v1 row_shr:8 row_mask:0xf bank_mask:0xf bound_ctrl:1
	v_cvt_f32_i32_dpp v2, v2 row_shr:8 row_mask:0xf bank_mask:0xf bound_ctrl:1
	v_cvt_i32_f32_e32 v5, v108
	v_cndmask_b32_e32 v0, v100, v0, vcc_lo
	s_delay_alu instid0(VALU_DEP_1)
	v_dual_add_f32 v2, v111, v2 :: v_dual_lshlrev_b32 v7, 2, v0
	v_cvt_f32_i32_dpp v0, v3 row_shr:8 row_mask:0xf bank_mask:0xf bound_ctrl:1
	v_cvt_f32_i32_dpp v3, v4 row_shr:8 row_mask:0xf bank_mask:0xf bound_ctrl:1
	v_add_f32_e32 v1, v112, v1
	v_cvt_f32_i32_dpp v4, v5 row_shr:8 row_mask:0xf bank_mask:0xf bound_ctrl:1
	v_cvt_i32_f32_e32 v6, v2
	s_delay_alu instid0(VALU_DEP_4) | instskip(NEXT) | instid1(VALU_DEP_4)
	v_dual_add_f32 v0, v110, v0 :: v_dual_add_f32 v3, v109, v3
	v_cvt_i32_f32_e32 v5, v1
	s_delay_alu instid0(VALU_DEP_3) | instskip(NEXT) | instid1(VALU_DEP_3)
	v_cvt_f32_i32_dpp v6, v6 row_shr:4 row_mask:0xf bank_mask:0xf bound_ctrl:1
	v_cvt_i32_f32_e32 v8, v0
	s_delay_alu instid0(VALU_DEP_4) | instskip(NEXT) | instid1(VALU_DEP_4)
	v_cvt_i32_f32_e32 v9, v3
	v_cvt_f32_i32_dpp v5, v5 row_shr:4 row_mask:0xf bank_mask:0xf bound_ctrl:1
	v_add_f32_e32 v4, v108, v4
	s_delay_alu instid0(VALU_DEP_4) | instskip(NEXT) | instid1(VALU_DEP_4)
	v_cvt_f32_i32_dpp v8, v8 row_shr:4 row_mask:0xf bank_mask:0xf bound_ctrl:1
	v_cvt_f32_i32_dpp v9, v9 row_shr:4 row_mask:0xf bank_mask:0xf bound_ctrl:1
	s_delay_alu instid0(VALU_DEP_4) | instskip(NEXT) | instid1(VALU_DEP_4)
	v_add_f32_e32 v1, v1, v5
	v_cvt_i32_f32_e32 v10, v4
	s_delay_alu instid0(VALU_DEP_3) | instskip(NEXT) | instid1(VALU_DEP_3)
	v_dual_add_f32 v2, v2, v6 :: v_dual_add_f32 v3, v3, v9
	v_cvt_i32_f32_e32 v5, v1
	s_delay_alu instid0(VALU_DEP_3) | instskip(NEXT) | instid1(VALU_DEP_3)
	v_cvt_f32_i32_dpp v10, v10 row_shr:4 row_mask:0xf bank_mask:0xf bound_ctrl:1
	v_cvt_i32_f32_e32 v6, v2
	s_delay_alu instid0(VALU_DEP_4) | instskip(NEXT) | instid1(VALU_DEP_4)
	v_cvt_i32_f32_e32 v9, v3
	v_cvt_f32_i32_dpp v5, v5 row_shr:2 row_mask:0xf bank_mask:0xf bound_ctrl:1
	v_add_f32_e32 v0, v0, v8
	s_delay_alu instid0(VALU_DEP_4) | instskip(NEXT) | instid1(VALU_DEP_4)
	v_cvt_f32_i32_dpp v6, v6 row_shr:2 row_mask:0xf bank_mask:0xf bound_ctrl:1
	v_cvt_f32_i32_dpp v9, v9 row_shr:2 row_mask:0xf bank_mask:0xf bound_ctrl:1
	s_delay_alu instid0(VALU_DEP_4) | instskip(NEXT) | instid1(VALU_DEP_4)
	v_dual_add_f32 v1, v1, v5 :: v_dual_add_f32 v4, v4, v10
	v_cvt_i32_f32_e32 v8, v0
	s_delay_alu instid0(VALU_DEP_3) | instskip(NEXT) | instid1(VALU_DEP_3)
	v_add_f32_e32 v3, v3, v9
	v_cvt_i32_f32_e32 v5, v1
	s_delay_alu instid0(VALU_DEP_4) | instskip(NEXT) | instid1(VALU_DEP_4)
	v_cvt_i32_f32_e32 v10, v4
	v_cvt_f32_i32_dpp v8, v8 row_shr:2 row_mask:0xf bank_mask:0xf bound_ctrl:1
	s_delay_alu instid0(VALU_DEP_4) | instskip(NEXT) | instid1(VALU_DEP_4)
	v_cvt_i32_f32_e32 v9, v3
	v_cvt_f32_i32_dpp v5, v5 row_shr:1 row_mask:0xf bank_mask:0xf bound_ctrl:1
	s_delay_alu instid0(VALU_DEP_4) | instskip(SKIP_3) | instid1(VALU_DEP_4)
	v_cvt_f32_i32_dpp v10, v10 row_shr:2 row_mask:0xf bank_mask:0xf bound_ctrl:1
	v_add_f32_e32 v2, v2, v6
	v_add_f32_e32 v0, v0, v8
	v_cvt_f32_i32_dpp v9, v9 row_shr:1 row_mask:0xf bank_mask:0xf bound_ctrl:1
	v_dual_add_f32 v11, v1, v5 :: v_dual_add_f32 v4, v4, v10
	s_delay_alu instid0(VALU_DEP_4) | instskip(NEXT) | instid1(VALU_DEP_4)
	v_cvt_i32_f32_e32 v6, v2
	v_cvt_i32_f32_e32 v8, v0
	s_delay_alu instid0(VALU_DEP_3) | instskip(NEXT) | instid1(VALU_DEP_3)
	v_cvt_i32_f32_e32 v10, v4
	v_cvt_f32_i32_dpp v6, v6 row_shr:1 row_mask:0xf bank_mask:0xf bound_ctrl:1
	s_delay_alu instid0(VALU_DEP_3) | instskip(NEXT) | instid1(VALU_DEP_3)
	v_cvt_f32_i32_dpp v12, v8 row_shr:1 row_mask:0xf bank_mask:0xf bound_ctrl:1
	v_cvt_f32_i32_dpp v10, v10 row_shr:1 row_mask:0xf bank_mask:0xf bound_ctrl:1
	s_delay_alu instid0(VALU_DEP_2)
	v_dual_add_f32 v8, v2, v6 :: v_dual_add_f32 v5, v0, v12
	v_add_f32_e32 v2, v3, v9
	ds_bpermute_b32 v12, v7, v11
	v_add_f32_e32 v0, v4, v10
	ds_bpermute_b32 v9, v7, v8
	ds_bpermute_b32 v6, v7, v5
	;; [unrolled: 1-line block ×4, first 2 shown]
	s_and_saveexec_b32 s1, s0
	s_cbranch_execz .LBB295_56
; %bb.32:                               ;   in Loop: Header=BB295_7 Depth=1
	v_dual_mov_b32 v14, 0 :: v_dual_mov_b32 v13, 0
	v_dual_mov_b32 v10, 0 :: v_dual_mov_b32 v7, 0
	v_mov_b32_e32 v4, 0
	s_and_not1_b32 vcc_lo, exec_lo, s27
	s_cbranch_vccnz .LBB295_34
; %bb.33:                               ;   in Loop: Header=BB295_7 Depth=1
	v_mul_hi_u32 v4, v93, v105
	v_mov_b32_e32 v18, v95
	s_delay_alu instid0(VALU_DEP_2) | instskip(NEXT) | instid1(VALU_DEP_1)
	v_mul_lo_u32 v4, v4, s4
	v_sub_nc_u32_e32 v4, v93, v4
	s_delay_alu instid0(VALU_DEP_1) | instskip(SKIP_1) | instid1(VALU_DEP_2)
	v_subrev_nc_u32_e32 v7, s4, v4
	v_cmp_le_u32_e32 vcc_lo, s4, v4
	v_cndmask_b32_e32 v4, v4, v7, vcc_lo
	s_delay_alu instid0(VALU_DEP_1) | instskip(SKIP_1) | instid1(VALU_DEP_2)
	v_subrev_nc_u32_e32 v7, s4, v4
	v_cmp_le_u32_e32 vcc_lo, s4, v4
	v_cndmask_b32_e32 v94, v4, v7, vcc_lo
	v_mov_b32_e32 v14, v95
	s_delay_alu instid0(VALU_DEP_2)
	v_dual_mov_b32 v16, v95 :: v_dual_add_nc_u32 v17, s31, v94
	v_add_nc_u32_e32 v13, s29, v94
	v_lshlrev_b64 v[19:20], 1, v[94:95]
	v_add_nc_u32_e32 v15, s30, v94
	v_add_nc_u32_e32 v94, s35, v94
	v_lshlrev_b64 v[17:18], 1, v[17:18]
	v_lshlrev_b64 v[13:14], 1, v[13:14]
	s_delay_alu instid0(VALU_DEP_4) | instskip(SKIP_2) | instid1(VALU_DEP_4)
	v_lshlrev_b64 v[15:16], 1, v[15:16]
	v_add_co_u32 v19, vcc_lo, s10, v19
	v_add_co_ci_u32_e32 v20, vcc_lo, s11, v20, vcc_lo
	v_add_co_u32 v23, vcc_lo, s10, v13
	v_add_co_ci_u32_e32 v24, vcc_lo, s11, v14, vcc_lo
	v_lshlrev_b64 v[21:22], 1, v[94:95]
	v_add_co_u32 v15, vcc_lo, s10, v15
	v_add_co_ci_u32_e32 v16, vcc_lo, s11, v16, vcc_lo
	v_add_co_u32 v17, vcc_lo, s10, v17
	v_add_co_ci_u32_e32 v18, vcc_lo, s11, v18, vcc_lo
	;; [unrolled: 2-line block ×3, first 2 shown]
	s_clause 0x4
	global_load_u16 v14, v[19:20], off
	global_load_u16 v13, v[23:24], off
	;; [unrolled: 1-line block ×5, first 2 shown]
.LBB295_34:                             ;   in Loop: Header=BB295_7 Depth=1
	v_cmp_ne_u32_e32 vcc_lo, 0, v99
	s_and_b32 exec_lo, exec_lo, vcc_lo
	s_cbranch_execz .LBB295_56
; %bb.35:                               ;   in Loop: Header=BB295_7 Depth=1
	s_waitcnt vmcnt(4) lgkmcnt(4)
	v_dual_add_f32 v11, v11, v12 :: v_dual_lshlrev_b32 v12, 16, v14
	s_delay_alu instid0(VALU_DEP_1) | instskip(NEXT) | instid1(VALU_DEP_1)
	v_add_f32_e32 v12, v11, v12
	v_and_b32_e32 v11, 0x7f800000, v12
	s_delay_alu instid0(VALU_DEP_1) | instskip(SKIP_1) | instid1(SALU_CYCLE_1)
	v_cmp_ne_u32_e32 vcc_lo, 0x7f800000, v11
                                        ; implicit-def: $vgpr11
	s_and_saveexec_b32 s37, vcc_lo
	s_xor_b32 s37, exec_lo, s37
; %bb.36:                               ;   in Loop: Header=BB295_7 Depth=1
	v_bfe_u32 v11, v12, 16, 1
	s_delay_alu instid0(VALU_DEP_1)
	v_add3_u32 v11, v12, v11, 0x7fff
                                        ; implicit-def: $vgpr12
; %bb.37:                               ;   in Loop: Header=BB295_7 Depth=1
	s_and_not1_saveexec_b32 s37, s37
; %bb.38:                               ;   in Loop: Header=BB295_7 Depth=1
	v_and_b32_e32 v11, 0xffff, v12
	v_or_b32_e32 v14, 0x10000, v12
	s_delay_alu instid0(VALU_DEP_2) | instskip(NEXT) | instid1(VALU_DEP_2)
	v_cmp_eq_u32_e32 vcc_lo, 0, v11
	v_cndmask_b32_e32 v11, v14, v12, vcc_lo
; %bb.39:                               ;   in Loop: Header=BB295_7 Depth=1
	s_or_b32 exec_lo, exec_lo, s37
	s_waitcnt lgkmcnt(3)
	v_add_f32_e32 v8, v8, v9
	s_waitcnt vmcnt(3)
	v_dual_mov_b32 v94, v95 :: v_dual_lshlrev_b32 v9, 16, v13
	s_delay_alu instid0(VALU_DEP_1) | instskip(NEXT) | instid1(VALU_DEP_2)
	v_add_f32_e32 v9, v8, v9
	v_lshlrev_b64 v[12:13], 1, v[93:94]
	s_delay_alu instid0(VALU_DEP_2) | instskip(NEXT) | instid1(VALU_DEP_2)
	v_and_b32_e32 v8, 0x7f800000, v9
	v_add_co_u32 v12, vcc_lo, s12, v12
	s_delay_alu instid0(VALU_DEP_3) | instskip(NEXT) | instid1(VALU_DEP_3)
	v_add_co_ci_u32_e32 v13, vcc_lo, s13, v13, vcc_lo
	v_cmp_ne_u32_e32 vcc_lo, 0x7f800000, v8
                                        ; implicit-def: $vgpr8
	global_store_d16_hi_b16 v[12:13], v11, off
	s_and_saveexec_b32 s37, vcc_lo
	s_delay_alu instid0(SALU_CYCLE_1)
	s_xor_b32 s37, exec_lo, s37
; %bb.40:                               ;   in Loop: Header=BB295_7 Depth=1
	v_bfe_u32 v8, v9, 16, 1
	s_delay_alu instid0(VALU_DEP_1)
	v_add3_u32 v8, v9, v8, 0x7fff
                                        ; implicit-def: $vgpr9
; %bb.41:                               ;   in Loop: Header=BB295_7 Depth=1
	s_and_not1_saveexec_b32 s37, s37
; %bb.42:                               ;   in Loop: Header=BB295_7 Depth=1
	v_and_b32_e32 v8, 0xffff, v9
	v_or_b32_e32 v11, 0x10000, v9
	s_delay_alu instid0(VALU_DEP_2) | instskip(NEXT) | instid1(VALU_DEP_2)
	v_cmp_eq_u32_e32 vcc_lo, 0, v8
	v_cndmask_b32_e32 v8, v11, v9, vcc_lo
; %bb.43:                               ;   in Loop: Header=BB295_7 Depth=1
	s_or_b32 exec_lo, exec_lo, s37
	s_waitcnt lgkmcnt(2)
	v_dual_add_f32 v5, v5, v6 :: v_dual_add_nc_u32 v94, s19, v93
	s_waitcnt vmcnt(2)
	v_lshlrev_b32_e32 v6, 16, v10
	s_delay_alu instid0(VALU_DEP_2) | instskip(NEXT) | instid1(VALU_DEP_2)
	v_lshlrev_b64 v[9:10], 1, v[94:95]
	v_add_f32_e32 v6, v5, v6
	s_delay_alu instid0(VALU_DEP_1) | instskip(NEXT) | instid1(VALU_DEP_3)
	v_and_b32_e32 v5, 0x7f800000, v6
	v_add_co_u32 v9, vcc_lo, s12, v9
	s_delay_alu instid0(VALU_DEP_4) | instskip(NEXT) | instid1(VALU_DEP_3)
	v_add_co_ci_u32_e32 v10, vcc_lo, s13, v10, vcc_lo
	v_cmp_ne_u32_e32 vcc_lo, 0x7f800000, v5
                                        ; implicit-def: $vgpr5
	global_store_d16_hi_b16 v[9:10], v8, off
	s_and_saveexec_b32 s37, vcc_lo
	s_delay_alu instid0(SALU_CYCLE_1)
	s_xor_b32 s37, exec_lo, s37
; %bb.44:                               ;   in Loop: Header=BB295_7 Depth=1
	v_bfe_u32 v5, v6, 16, 1
	s_delay_alu instid0(VALU_DEP_1)
	v_add3_u32 v5, v6, v5, 0x7fff
                                        ; implicit-def: $vgpr6
; %bb.45:                               ;   in Loop: Header=BB295_7 Depth=1
	s_and_not1_saveexec_b32 s37, s37
; %bb.46:                               ;   in Loop: Header=BB295_7 Depth=1
	v_and_b32_e32 v5, 0xffff, v6
	v_or_b32_e32 v8, 0x10000, v6
	s_delay_alu instid0(VALU_DEP_2) | instskip(NEXT) | instid1(VALU_DEP_2)
	v_cmp_eq_u32_e32 vcc_lo, 0, v5
	v_cndmask_b32_e32 v5, v8, v6, vcc_lo
; %bb.47:                               ;   in Loop: Header=BB295_7 Depth=1
	s_or_b32 exec_lo, exec_lo, s37
	s_waitcnt lgkmcnt(1)
	v_add_f32_e32 v2, v2, v3
	s_waitcnt vmcnt(1)
	v_lshlrev_b32_e32 v3, 16, v7
	s_delay_alu instid0(VALU_DEP_1) | instskip(NEXT) | instid1(VALU_DEP_1)
	v_dual_add_f32 v3, v2, v3 :: v_dual_add_nc_u32 v94, s19, v94
	v_lshlrev_b64 v[6:7], 1, v[94:95]
	s_delay_alu instid0(VALU_DEP_2) | instskip(NEXT) | instid1(VALU_DEP_2)
	v_and_b32_e32 v2, 0x7f800000, v3
	v_add_co_u32 v6, vcc_lo, s12, v6
	s_delay_alu instid0(VALU_DEP_3) | instskip(NEXT) | instid1(VALU_DEP_3)
	v_add_co_ci_u32_e32 v7, vcc_lo, s13, v7, vcc_lo
	v_cmp_ne_u32_e32 vcc_lo, 0x7f800000, v2
                                        ; implicit-def: $vgpr2
	global_store_d16_hi_b16 v[6:7], v5, off
	s_and_saveexec_b32 s37, vcc_lo
	s_delay_alu instid0(SALU_CYCLE_1)
	s_xor_b32 s37, exec_lo, s37
; %bb.48:                               ;   in Loop: Header=BB295_7 Depth=1
	v_bfe_u32 v2, v3, 16, 1
	s_delay_alu instid0(VALU_DEP_1)
	v_add3_u32 v2, v3, v2, 0x7fff
                                        ; implicit-def: $vgpr3
; %bb.49:                               ;   in Loop: Header=BB295_7 Depth=1
	s_and_not1_saveexec_b32 s37, s37
; %bb.50:                               ;   in Loop: Header=BB295_7 Depth=1
	v_and_b32_e32 v2, 0xffff, v3
	v_or_b32_e32 v5, 0x10000, v3
	s_delay_alu instid0(VALU_DEP_2) | instskip(NEXT) | instid1(VALU_DEP_2)
	v_cmp_eq_u32_e32 vcc_lo, 0, v2
	v_cndmask_b32_e32 v2, v5, v3, vcc_lo
; %bb.51:                               ;   in Loop: Header=BB295_7 Depth=1
	s_or_b32 exec_lo, exec_lo, s37
	s_waitcnt vmcnt(0) lgkmcnt(0)
	v_dual_add_f32 v0, v0, v1 :: v_dual_lshlrev_b32 v1, 16, v4
	s_delay_alu instid0(VALU_DEP_1) | instskip(NEXT) | instid1(VALU_DEP_1)
	v_dual_add_f32 v1, v0, v1 :: v_dual_add_nc_u32 v94, s19, v94
	v_lshlrev_b64 v[3:4], 1, v[94:95]
	s_delay_alu instid0(VALU_DEP_2) | instskip(NEXT) | instid1(VALU_DEP_2)
	v_and_b32_e32 v0, 0x7f800000, v1
	v_add_co_u32 v3, vcc_lo, s12, v3
	s_delay_alu instid0(VALU_DEP_3) | instskip(NEXT) | instid1(VALU_DEP_3)
	v_add_co_ci_u32_e32 v4, vcc_lo, s13, v4, vcc_lo
	v_cmp_ne_u32_e32 vcc_lo, 0x7f800000, v0
                                        ; implicit-def: $vgpr0
	global_store_d16_hi_b16 v[3:4], v2, off
	s_and_saveexec_b32 s37, vcc_lo
	s_delay_alu instid0(SALU_CYCLE_1)
	s_xor_b32 s37, exec_lo, s37
; %bb.52:                               ;   in Loop: Header=BB295_7 Depth=1
	v_bfe_u32 v0, v1, 16, 1
	s_delay_alu instid0(VALU_DEP_1)
	v_add3_u32 v0, v1, v0, 0x7fff
                                        ; implicit-def: $vgpr1
; %bb.53:                               ;   in Loop: Header=BB295_7 Depth=1
	s_and_not1_saveexec_b32 s37, s37
; %bb.54:                               ;   in Loop: Header=BB295_7 Depth=1
	v_and_b32_e32 v0, 0xffff, v1
	v_or_b32_e32 v2, 0x10000, v1
	s_delay_alu instid0(VALU_DEP_2) | instskip(NEXT) | instid1(VALU_DEP_2)
	v_cmp_eq_u32_e32 vcc_lo, 0, v0
	v_cndmask_b32_e32 v0, v2, v1, vcc_lo
; %bb.55:                               ;   in Loop: Header=BB295_7 Depth=1
	s_or_b32 exec_lo, exec_lo, s37
	v_add_nc_u32_e32 v94, s19, v94
	s_delay_alu instid0(VALU_DEP_1) | instskip(NEXT) | instid1(VALU_DEP_1)
	v_lshlrev_b64 v[1:2], 1, v[94:95]
	v_add_co_u32 v1, vcc_lo, s12, v1
	s_delay_alu instid0(VALU_DEP_2)
	v_add_co_ci_u32_e32 v2, vcc_lo, s13, v2, vcc_lo
	global_store_d16_hi_b16 v[1:2], v0, off
.LBB295_56:                             ;   in Loop: Header=BB295_7 Depth=1
	s_or_b32 exec_lo, exec_lo, s1
	v_add_nc_u32_e32 v0, s5, v93
	s_waitcnt lgkmcnt(0)
	s_delay_alu instid0(VALU_DEP_1) | instskip(SKIP_1) | instid1(VALU_DEP_2)
	v_add_nc_u32_e32 v1, 1, v0
	v_cmp_gt_u32_e32 vcc_lo, s19, v0
	v_cmp_le_u32_e64 s1, s19, v1
	s_delay_alu instid0(VALU_DEP_1) | instskip(NEXT) | instid1(SALU_CYCLE_1)
	s_and_b32 s37, vcc_lo, s1
	s_and_saveexec_b32 s1, s37
	s_cbranch_execz .LBB295_5
; %bb.57:                               ;   in Loop: Header=BB295_7 Depth=1
	v_add_nc_u32_e32 v0, s28, v93
	s_delay_alu instid0(VALU_DEP_1)
	v_cmp_eq_u32_e32 vcc_lo, 1, v0
	v_dual_mov_b32 v0, s26 :: v_dual_cndmask_b32 v99, 0, v99
	s_branch .LBB295_5
.LBB295_58:
	s_nop 0
	s_sendmsg sendmsg(MSG_DEALLOC_VGPRS)
	s_endpgm
	.section	.rodata,"a",@progbits
	.p2align	6, 0x0
	.amdhsa_kernel _Z16wvSplitK_hf_big_I14__hip_bfloat16Li64ELi1ELi16ELi8ELi4ELi5EEviiiiiiPKT_S3_S3_PS1_ii
		.amdhsa_group_segment_fixed_size 65536
		.amdhsa_private_segment_fixed_size 0
		.amdhsa_kernarg_size 64
		.amdhsa_user_sgpr_count 15
		.amdhsa_user_sgpr_dispatch_ptr 0
		.amdhsa_user_sgpr_queue_ptr 0
		.amdhsa_user_sgpr_kernarg_segment_ptr 1
		.amdhsa_user_sgpr_dispatch_id 0
		.amdhsa_user_sgpr_private_segment_size 0
		.amdhsa_wavefront_size32 1
		.amdhsa_uses_dynamic_stack 0
		.amdhsa_enable_private_segment 0
		.amdhsa_system_sgpr_workgroup_id_x 1
		.amdhsa_system_sgpr_workgroup_id_y 0
		.amdhsa_system_sgpr_workgroup_id_z 0
		.amdhsa_system_sgpr_workgroup_info 0
		.amdhsa_system_vgpr_workitem_id 1
		.amdhsa_next_free_vgpr 122
		.amdhsa_next_free_sgpr 43
		.amdhsa_reserve_vcc 1
		.amdhsa_float_round_mode_32 0
		.amdhsa_float_round_mode_16_64 0
		.amdhsa_float_denorm_mode_32 3
		.amdhsa_float_denorm_mode_16_64 3
		.amdhsa_dx10_clamp 1
		.amdhsa_ieee_mode 1
		.amdhsa_fp16_overflow 0
		.amdhsa_workgroup_processor_mode 1
		.amdhsa_memory_ordered 1
		.amdhsa_forward_progress 0
		.amdhsa_shared_vgpr_count 0
		.amdhsa_exception_fp_ieee_invalid_op 0
		.amdhsa_exception_fp_denorm_src 0
		.amdhsa_exception_fp_ieee_div_zero 0
		.amdhsa_exception_fp_ieee_overflow 0
		.amdhsa_exception_fp_ieee_underflow 0
		.amdhsa_exception_fp_ieee_inexact 0
		.amdhsa_exception_int_div_zero 0
	.end_amdhsa_kernel
	.section	.text._Z16wvSplitK_hf_big_I14__hip_bfloat16Li64ELi1ELi16ELi8ELi4ELi5EEviiiiiiPKT_S3_S3_PS1_ii,"axG",@progbits,_Z16wvSplitK_hf_big_I14__hip_bfloat16Li64ELi1ELi16ELi8ELi4ELi5EEviiiiiiPKT_S3_S3_PS1_ii,comdat
.Lfunc_end295:
	.size	_Z16wvSplitK_hf_big_I14__hip_bfloat16Li64ELi1ELi16ELi8ELi4ELi5EEviiiiiiPKT_S3_S3_PS1_ii, .Lfunc_end295-_Z16wvSplitK_hf_big_I14__hip_bfloat16Li64ELi1ELi16ELi8ELi4ELi5EEviiiiiiPKT_S3_S3_PS1_ii
                                        ; -- End function
	.section	.AMDGPU.csdata,"",@progbits
; Kernel info:
; codeLenInByte = 6748
; NumSgprs: 45
; NumVgprs: 122
; ScratchSize: 0
; MemoryBound: 0
; FloatMode: 240
; IeeeMode: 1
; LDSByteSize: 65536 bytes/workgroup (compile time only)
; SGPRBlocks: 5
; VGPRBlocks: 15
; NumSGPRsForWavesPerEU: 45
; NumVGPRsForWavesPerEU: 122
; Occupancy: 10
; WaveLimiterHint : 0
; COMPUTE_PGM_RSRC2:SCRATCH_EN: 0
; COMPUTE_PGM_RSRC2:USER_SGPR: 15
; COMPUTE_PGM_RSRC2:TRAP_HANDLER: 0
; COMPUTE_PGM_RSRC2:TGID_X_EN: 1
; COMPUTE_PGM_RSRC2:TGID_Y_EN: 0
; COMPUTE_PGM_RSRC2:TGID_Z_EN: 0
; COMPUTE_PGM_RSRC2:TIDIG_COMP_CNT: 1
	.section	.text._Z16wvSplitK_hf_sml_I14__hip_bfloat16Li64ELi2ELi16ELi8ELi2ELi5EEviiiiiiPKT_S3_S3_PS1_ii,"axG",@progbits,_Z16wvSplitK_hf_sml_I14__hip_bfloat16Li64ELi2ELi16ELi8ELi2ELi5EEviiiiiiPKT_S3_S3_PS1_ii,comdat
	.protected	_Z16wvSplitK_hf_sml_I14__hip_bfloat16Li64ELi2ELi16ELi8ELi2ELi5EEviiiiiiPKT_S3_S3_PS1_ii ; -- Begin function _Z16wvSplitK_hf_sml_I14__hip_bfloat16Li64ELi2ELi16ELi8ELi2ELi5EEviiiiiiPKT_S3_S3_PS1_ii
	.globl	_Z16wvSplitK_hf_sml_I14__hip_bfloat16Li64ELi2ELi16ELi8ELi2ELi5EEviiiiiiPKT_S3_S3_PS1_ii
	.p2align	8
	.type	_Z16wvSplitK_hf_sml_I14__hip_bfloat16Li64ELi2ELi16ELi8ELi2ELi5EEviiiiiiPKT_S3_S3_PS1_ii,@function
_Z16wvSplitK_hf_sml_I14__hip_bfloat16Li64ELi2ELi16ELi8ELi2ELi5EEviiiiiiPKT_S3_S3_PS1_ii: ; @_Z16wvSplitK_hf_sml_I14__hip_bfloat16Li64ELi2ELi16ELi8ELi2ELi5EEviiiiiiPKT_S3_S3_PS1_ii
; %bb.0:
	s_clause 0x2
	s_load_b128 s[4:7], s[0:1], 0x0
	s_load_b64 s[8:9], s[0:1], 0x10
	s_load_b64 s[10:11], s[0:1], 0x28
	v_and_b32_e32 v2, 0x3ff, v0
	v_bfe_u32 v3, v0, 10, 10
	s_mov_b32 s12, exec_lo
	s_delay_alu instid0(VALU_DEP_2) | instskip(NEXT) | instid1(VALU_DEP_1)
	v_lshlrev_b32_e32 v63, 3, v2
	v_lshl_add_u32 v4, v3, 9, v63
	s_waitcnt lgkmcnt(0)
	s_mul_i32 s2, s6, 5
	s_delay_alu instid0(SALU_CYCLE_1)
	s_min_u32 s3, s2, 0x8000
	s_delay_alu instid0(VALU_DEP_1) | instid1(SALU_CYCLE_1)
	v_cmpx_gt_u32_e64 s3, v4
	s_cbranch_execz .LBB296_3
; %bb.1:
	s_load_b64 s[16:17], s[0:1], 0x20
	v_lshlrev_b32_e32 v5, 10, v3
	v_lshlrev_b32_e32 v6, 4, v2
	s_mov_b32 s13, 0
	s_delay_alu instid0(VALU_DEP_1) | instskip(NEXT) | instid1(VALU_DEP_1)
	v_add_co_u32 v0, s2, v5, v6
	v_add_co_ci_u32_e64 v1, null, 0, 0, s2
	v_add_nc_u32_e32 v5, v5, v6
	s_waitcnt lgkmcnt(0)
	s_delay_alu instid0(VALU_DEP_3) | instskip(NEXT) | instid1(VALU_DEP_3)
	v_add_co_u32 v0, vcc_lo, s16, v0
	v_add_co_ci_u32_e32 v1, vcc_lo, s17, v1, vcc_lo
	.p2align	6
.LBB296_2:                              ; =>This Inner Loop Header: Depth=1
	global_load_b128 v[6:9], v[0:1], off
	v_add_nc_u32_e32 v4, 0x2000, v4
	v_add_co_u32 v0, vcc_lo, 0x4000, v0
	v_add_co_ci_u32_e32 v1, vcc_lo, 0, v1, vcc_lo
	s_delay_alu instid0(VALU_DEP_3) | instskip(NEXT) | instid1(VALU_DEP_1)
	v_cmp_le_u32_e64 s2, s3, v4
	s_or_b32 s13, s2, s13
	s_waitcnt vmcnt(0)
	ds_store_b128 v5, v[6:9]
	v_add_nc_u32_e32 v5, 0x4000, v5
	s_and_not1_b32 exec_lo, exec_lo, s13
	s_cbranch_execnz .LBB296_2
.LBB296_3:
	s_or_b32 exec_lo, exec_lo, s12
	s_load_b64 s[16:17], s[0:1], 0x38
	s_waitcnt lgkmcnt(0)
	s_barrier
	buffer_gl0_inv
	s_mov_b32 s2, exec_lo
	v_cmpx_gt_u32_e64 s16, v3
	s_cbranch_execz .LBB296_58
; %bb.4:
	s_mul_i32 s15, s15, s16
	s_delay_alu instid0(SALU_CYCLE_1) | instskip(NEXT) | instid1(VALU_DEP_1)
	v_add_lshl_u32 v48, s15, v3, 1
	v_cmp_gt_u32_e32 vcc_lo, s7, v48
	s_and_b32 exec_lo, exec_lo, vcc_lo
	s_cbranch_execz .LBB296_58
; %bb.5:
	s_cmp_lg_u32 s4, 0
	v_cvt_f32_u32_e32 v1, s8
	s_cselect_b32 s14, -1, 0
	s_add_i32 s15, s4, -8
	s_add_i32 s18, s7, -1
	s_cmp_lg_u64 s[10:11], 0
	s_clause 0x1
	s_load_b64 s[2:3], s[0:1], 0x18
	s_load_b64 s[12:13], s[0:1], 0x30
	s_cselect_b32 s19, -1, 0
	s_abs_i32 s21, s9
	s_mul_i32 s0, s16, s17
	v_cvt_f32_u32_e32 v0, s21
	s_lshl_b32 s9, s0, 1
	s_sub_i32 s0, 0, s21
	s_sub_i32 s17, 0, s8
	;; [unrolled: 1-line block ×3, first 2 shown]
	v_rcp_iflag_f32_e32 v0, v0
	v_lshlrev_b32_e32 v64, 4, v2
	v_mov_b32_e32 v50, 0
	s_mov_b32 s1, 0
	s_waitcnt_depctr 0xfff
	v_mul_f32_e32 v0, 0x4f7ffffe, v0
	s_delay_alu instid0(VALU_DEP_1) | instskip(NEXT) | instid1(VALU_DEP_1)
	v_cvt_u32_f32_e32 v0, v0
	v_readfirstlane_b32 s16, v0
	v_rcp_iflag_f32_e32 v0, v1
	v_mbcnt_lo_u32_b32 v1, -1, 0
	s_delay_alu instid0(VALU_DEP_2) | instskip(NEXT) | instid1(SALU_CYCLE_1)
	s_mul_i32 s0, s0, s16
	s_mul_hi_u32 s0, s16, s0
	s_delay_alu instid0(VALU_DEP_1)
	v_xor_b32_e32 v3, 16, v1
	s_add_i32 s22, s16, s0
	s_cmp_lt_u32 s21, 2
	v_cmp_eq_u32_e64 s0, 63, v2
	s_cselect_b32 s16, s20, 1
	v_cmp_gt_i32_e32 vcc_lo, 32, v3
	s_sub_i32 s20, s16, s21
	s_cmp_ge_u32 s16, s21
	s_cselect_b32 s20, s20, s16
	s_waitcnt_depctr 0xfff
	v_dual_cndmask_b32 v1, v1, v3 :: v_dual_mul_f32 v0, 0x4f7ffffe, v0
	s_lshr_b32 s16, s22, 31
	s_delay_alu instid0(SALU_CYCLE_1) | instskip(NEXT) | instid1(VALU_DEP_1)
	s_mul_i32 s16, s16, s21
	v_lshlrev_b32_e32 v65, 2, v1
	s_sub_i32 s16, 2, s16
	v_cvt_u32_f32_e32 v0, v0
	s_sub_i32 s23, s16, s21
	s_cmp_ge_u32 s16, s21
	s_cselect_b32 s16, s23, s16
	s_delay_alu instid0(VALU_DEP_1)
	v_mul_lo_u32 v2, s17, v0
	s_mul_hi_u32 s17, s22, 3
	s_sub_i32 s23, s16, s21
	s_cmp_ge_u32 s16, s21
	s_mul_i32 s17, s17, s21
	s_cselect_b32 s23, s23, s16
	s_sub_i32 s17, 3, s17
	s_mul_i32 s16, s6, 6
	s_sub_i32 s24, s17, s21
	s_cmp_ge_u32 s17, s21
	v_mul_hi_u32 v2, v0, v2
	s_cselect_b32 s17, s24, s17
	s_delay_alu instid0(SALU_CYCLE_1) | instskip(SKIP_3) | instid1(VALU_DEP_1)
	s_sub_i32 s24, s17, s21
	s_cmp_ge_u32 s17, s21
	s_cselect_b32 s24, s24, s17
	s_lshr_b32 s17, s22, 30
	v_add_nc_u32_e32 v66, v0, v2
	s_mul_i32 s17, s17, s21
	s_delay_alu instid0(SALU_CYCLE_1)
	s_sub_i32 s22, 4, s17
	s_mul_i32 s17, s20, s8
	s_sub_i32 s25, s22, s21
	s_cmp_ge_u32 s22, s21
	s_mul_i32 s20, s23, s8
	s_cselect_b32 s22, s25, s22
	s_delay_alu instid0(SALU_CYCLE_1)
	s_sub_i32 s23, s22, s21
	s_cmp_ge_u32 s22, s21
	s_mul_i32 s21, s24, s8
	s_cselect_b32 s24, s23, s22
	s_lshl_b32 s22, s6, 3
	s_lshl_b32 s23, s6, 2
	s_mul_i32 s24, s24, s8
	s_lshl_b32 s6, s6, 1
	s_branch .LBB296_8
.LBB296_6:                              ;   in Loop: Header=BB296_8 Depth=1
	s_or_b32 exec_lo, exec_lo, s26
	global_store_d16_hi_b16 v[0:1], v3, off offset:2
.LBB296_7:                              ;   in Loop: Header=BB296_8 Depth=1
	s_or_b32 exec_lo, exec_lo, s25
	v_add_nc_u32_e32 v48, s9, v48
	s_delay_alu instid0(VALU_DEP_1) | instskip(SKIP_1) | instid1(SALU_CYCLE_1)
	v_cmp_le_u32_e32 vcc_lo, s7, v48
	s_or_b32 s1, vcc_lo, s1
	s_and_not1_b32 exec_lo, exec_lo, s1
	s_cbranch_execz .LBB296_58
.LBB296_8:                              ; =>This Loop Header: Depth=1
                                        ;     Child Loop BB296_12 Depth 2
	v_mov_b32_e32 v68, v50
	v_mov_b32_e32 v69, v50
	;; [unrolled: 1-line block ×10, first 2 shown]
	s_and_not1_b32 vcc_lo, exec_lo, s14
	s_cbranch_vccnz .LBB296_15
; %bb.9:                                ;   in Loop: Header=BB296_8 Depth=1
	v_or_b32_e32 v0, 1, v48
	v_min_u32_e32 v2, s18, v48
	s_waitcnt lgkmcnt(0)
	v_dual_mov_b32 v1, v50 :: v_dual_mov_b32 v76, 0
	v_dual_mov_b32 v67, v64 :: v_dual_mov_b32 v74, 0
	v_min_u32_e32 v0, s18, v0
	v_mul_lo_u32 v49, v2, s5
	v_dual_mov_b32 v77, 0 :: v_dual_mov_b32 v72, 0
	v_dual_mov_b32 v75, 0 :: v_dual_mov_b32 v70, 0
	s_delay_alu instid0(VALU_DEP_4)
	v_mul_lo_u32 v0, v0, s5
	v_dual_mov_b32 v73, 0 :: v_dual_mov_b32 v68, 0
	v_lshlrev_b64 v[51:52], 1, v[49:50]
	v_mov_b32_e32 v71, 0
	v_mov_b32_e32 v69, 0
	s_mov_b32 s25, 0
	v_lshlrev_b64 v[53:54], 1, v[0:1]
	s_branch .LBB296_12
.LBB296_10:                             ;   in Loop: Header=BB296_12 Depth=2
	s_or_b32 exec_lo, exec_lo, s27
.LBB296_11:                             ;   in Loop: Header=BB296_12 Depth=2
	s_delay_alu instid0(SALU_CYCLE_1)
	s_or_b32 exec_lo, exec_lo, s26
	s_waitcnt lgkmcnt(1)
	v_and_b32_e32 v83, 0xffff0000, v46
	s_waitcnt vmcnt(3)
	v_and_b32_e32 v84, 0xffff0000, v42
	v_and_b32_e32 v79, 0xffff0000, v45
	v_lshlrev_b32_e32 v46, 16, v46
	v_lshlrev_b32_e32 v42, 16, v42
	v_add_nc_u32_e32 v67, 0x800, v67
	v_mul_f32_e32 v85, v83, v84
	v_and_b32_e32 v78, 0xffff0000, v40
	v_lshlrev_b32_e32 v40, 16, v40
	v_and_b32_e32 v80, 0xffff0000, v41
	v_lshlrev_b32_e32 v45, 16, v45
	v_lshlrev_b32_e32 v41, 16, v41
	v_fmac_f32_e32 v85, v46, v42
	s_waitcnt vmcnt(2)
	v_dual_mul_f32 v82, v79, v80 :: v_dual_and_b32 v87, 0xffff0000, v34
	v_and_b32_e32 v49, 0xffff0000, v44
	s_addk_i32 s25, 0x400
	s_delay_alu instid0(SALU_CYCLE_1) | instskip(NEXT) | instid1(VALU_DEP_2)
	s_cmp_ge_u32 s25, s4
	v_fmac_f32_e32 v82, v45, v41
	s_delay_alu instid0(VALU_DEP_2) | instskip(NEXT) | instid1(VALU_DEP_1)
	v_dual_mul_f32 v81, v49, v78 :: v_dual_lshlrev_b32 v44, 16, v44
	v_fmac_f32_e32 v81, v44, v40
	s_delay_alu instid0(VALU_DEP_1) | instskip(SKIP_2) | instid1(VALU_DEP_3)
	v_add_f32_e32 v76, v76, v81
	v_lshlrev_b32_e32 v34, 16, v34
	v_and_b32_e32 v86, 0xffff0000, v43
	v_dual_add_f32 v76, v76, v82 :: v_dual_and_b32 v81, 0xffff0000, v32
	v_lshlrev_b32_e32 v32, 16, v32
	s_delay_alu instid0(VALU_DEP_2) | instskip(NEXT) | instid1(VALU_DEP_3)
	v_add_f32_e32 v76, v76, v85
	v_mul_f32_e32 v49, v49, v81
	v_and_b32_e32 v85, 0xffff0000, v33
	s_delay_alu instid0(VALU_DEP_1) | instskip(NEXT) | instid1(VALU_DEP_1)
	v_dual_fmac_f32 v49, v44, v32 :: v_dual_mul_f32 v44, v79, v85
	v_add_f32_e32 v49, v77, v49
	v_and_b32_e32 v77, 0xffff0000, v36
	v_and_b32_e32 v82, 0xffff0000, v47
	v_lshlrev_b32_e32 v47, 16, v47
	v_lshlrev_b32_e32 v33, 16, v33
	;; [unrolled: 1-line block ×4, first 2 shown]
	s_delay_alu instid0(VALU_DEP_3) | instskip(NEXT) | instid1(VALU_DEP_1)
	v_fmac_f32_e32 v44, v45, v33
	v_dual_add_f32 v44, v49, v44 :: v_dual_and_b32 v49, 0xffff0000, v37
	s_delay_alu instid0(VALU_DEP_1) | instskip(NEXT) | instid1(VALU_DEP_1)
	v_dual_mul_f32 v88, v49, v80 :: v_dual_lshlrev_b32 v37, 16, v37
	v_dual_fmac_f32 v88, v37, v41 :: v_dual_mul_f32 v45, v83, v87
	s_delay_alu instid0(VALU_DEP_1) | instskip(NEXT) | instid1(VALU_DEP_1)
	v_fmac_f32_e32 v45, v46, v34
	v_dual_add_f32 v44, v44, v45 :: v_dual_mul_f32 v83, v77, v78
	v_dual_mul_f32 v79, v82, v86 :: v_dual_and_b32 v46, 0xffff0000, v35
	v_lshlrev_b32_e32 v35, 16, v35
	s_delay_alu instid0(VALU_DEP_2) | instskip(NEXT) | instid1(VALU_DEP_3)
	v_dual_fmac_f32 v83, v36, v40 :: v_dual_mul_f32 v82, v82, v46
	v_fmac_f32_e32 v79, v47, v43
	s_delay_alu instid0(VALU_DEP_2) | instskip(NEXT) | instid1(VALU_DEP_3)
	v_add_f32_e32 v75, v75, v83
	v_dual_fmac_f32 v82, v47, v35 :: v_dual_mul_f32 v47, v77, v81
	v_and_b32_e32 v77, 0xffff0000, v61
	v_lshlrev_b32_e32 v61, 16, v61
	s_delay_alu instid0(VALU_DEP_3) | instskip(NEXT) | instid1(VALU_DEP_4)
	v_dual_add_f32 v45, v75, v88 :: v_dual_add_f32 v44, v44, v82
	v_dual_fmac_f32 v47, v36, v32 :: v_dual_mul_f32 v36, v49, v85
	v_and_b32_e32 v89, 0xffff0000, v38
	s_delay_alu instid0(VALU_DEP_2) | instskip(NEXT) | instid1(VALU_DEP_3)
	v_add_f32_e32 v47, v73, v47
	v_fmac_f32_e32 v36, v37, v33
	s_delay_alu instid0(VALU_DEP_3) | instskip(SKIP_1) | instid1(VALU_DEP_3)
	v_dual_mul_f32 v83, v89, v84 :: v_dual_lshlrev_b32 v38, 16, v38
	v_mul_f32_e32 v37, v89, v87
	v_dual_mul_f32 v73, v77, v78 :: v_dual_add_f32 v36, v47, v36
	s_delay_alu instid0(VALU_DEP_3) | instskip(NEXT) | instid1(VALU_DEP_3)
	v_fmac_f32_e32 v83, v38, v42
	v_fmac_f32_e32 v37, v38, v34
	s_delay_alu instid0(VALU_DEP_3)
	v_dual_fmac_f32 v73, v61, v40 :: v_dual_lshlrev_b32 v38, 16, v62
	v_add_f32_e32 v75, v76, v79
	v_and_b32_e32 v76, 0xffff0000, v39
	v_and_b32_e32 v79, 0xffff0000, v62
	v_dual_add_f32 v45, v45, v83 :: v_dual_add_f32 v36, v36, v37
	v_add_f32_e32 v37, v74, v73
	s_delay_alu instid0(VALU_DEP_4) | instskip(NEXT) | instid1(VALU_DEP_4)
	v_mul_f32_e32 v49, v76, v86
	v_mul_f32_e32 v47, v79, v80
	v_and_b32_e32 v74, 0xffff0000, v60
	v_lshlrev_b32_e32 v39, 16, v39
	v_dual_mul_f32 v73, v76, v46 :: v_dual_lshlrev_b32 v60, 16, v60
	s_delay_alu instid0(VALU_DEP_4) | instskip(NEXT) | instid1(VALU_DEP_3)
	v_fmac_f32_e32 v47, v38, v41
	v_dual_mul_f32 v76, v74, v86 :: v_dual_fmac_f32 v49, v39, v43
	s_delay_alu instid0(VALU_DEP_3) | instskip(SKIP_1) | instid1(VALU_DEP_4)
	v_fmac_f32_e32 v73, v39, v35
	v_mul_f32_e32 v39, v79, v85
	v_add_f32_e32 v37, v37, v47
	s_delay_alu instid0(VALU_DEP_4) | instskip(SKIP_2) | instid1(VALU_DEP_2)
	v_dual_fmac_f32 v76, v60, v43 :: v_dual_add_f32 v45, v45, v49
	v_and_b32_e32 v49, 0xffff0000, v59
	v_mul_f32_e32 v47, v77, v81
	v_dual_fmac_f32 v39, v38, v33 :: v_dual_mul_f32 v38, v49, v87
	s_delay_alu instid0(VALU_DEP_2) | instskip(SKIP_2) | instid1(VALU_DEP_3)
	v_fmac_f32_e32 v47, v61, v32
	v_and_b32_e32 v61, 0xffff0000, v28
	v_mul_f32_e32 v62, v49, v84
	v_dual_add_f32 v47, v72, v47 :: v_dual_lshlrev_b32 v28, 16, v28
	s_delay_alu instid0(VALU_DEP_3) | instskip(SKIP_1) | instid1(VALU_DEP_3)
	v_mul_f32_e32 v49, v61, v78
	v_mul_f32_e32 v61, v61, v81
	v_add_f32_e32 v39, v47, v39
	v_and_b32_e32 v47, 0xffff0000, v29
	s_delay_alu instid0(VALU_DEP_3) | instskip(SKIP_4) | instid1(VALU_DEP_4)
	v_fmac_f32_e32 v61, v28, v32
	v_lshlrev_b32_e32 v59, 16, v59
	v_fmac_f32_e32 v49, v28, v40
	v_lshlrev_b32_e32 v29, 16, v29
	v_lshlrev_b32_e32 v28, 16, v31
	v_fmac_f32_e32 v62, v59, v42
	v_fmac_f32_e32 v38, v59, v34
	v_mul_f32_e32 v59, v74, v46
	v_add_f32_e32 v49, v71, v49
	s_delay_alu instid0(VALU_DEP_4) | instskip(NEXT) | instid1(VALU_DEP_4)
	v_dual_add_f32 v37, v37, v62 :: v_dual_mul_f32 v62, v47, v80
	v_add_f32_e32 v38, v39, v38
	v_and_b32_e32 v39, 0xffff0000, v30
	v_dual_fmac_f32 v59, v60, v35 :: v_dual_lshlrev_b32 v30, 16, v30
	s_delay_alu instid0(VALU_DEP_4) | instskip(NEXT) | instid1(VALU_DEP_3)
	v_fmac_f32_e32 v62, v29, v41
	v_mul_f32_e32 v60, v39, v84
	s_delay_alu instid0(VALU_DEP_3) | instskip(SKIP_1) | instid1(VALU_DEP_4)
	v_add_f32_e32 v38, v38, v59
	v_and_b32_e32 v59, 0xffff0000, v31
	v_add_f32_e32 v49, v49, v62
	s_delay_alu instid0(VALU_DEP_4) | instskip(NEXT) | instid1(VALU_DEP_1)
	v_dual_mul_f32 v31, v47, v85 :: v_dual_fmac_f32 v60, v30, v42
	v_fmac_f32_e32 v31, v29, v33
	s_delay_alu instid0(VALU_DEP_2) | instskip(SKIP_3) | instid1(VALU_DEP_3)
	v_dual_add_f32 v49, v49, v60 :: v_dual_add_f32 v60, v70, v61
	s_waitcnt lgkmcnt(0)
	v_and_b32_e32 v61, 0xffff0000, v24
	v_dual_mul_f32 v29, v39, v87 :: v_dual_lshlrev_b32 v24, 16, v24
	v_add_f32_e32 v31, v60, v31
	s_delay_alu instid0(VALU_DEP_3) | instskip(NEXT) | instid1(VALU_DEP_3)
	v_dual_mul_f32 v39, v61, v78 :: v_dual_and_b32 v60, 0xffff0000, v25
	v_fmac_f32_e32 v29, v30, v34
	v_lshlrev_b32_e32 v25, 16, v25
	s_delay_alu instid0(VALU_DEP_3) | instskip(NEXT) | instid1(VALU_DEP_3)
	v_fmac_f32_e32 v39, v24, v40
	v_dual_mul_f32 v40, v60, v80 :: v_dual_add_f32 v29, v31, v29
	v_mul_f32_e32 v31, v59, v46
	s_delay_alu instid0(VALU_DEP_3) | instskip(NEXT) | instid1(VALU_DEP_3)
	v_add_f32_e32 v39, v69, v39
	v_fmac_f32_e32 v40, v25, v41
	v_mul_f32_e32 v41, v61, v81
	s_delay_alu instid0(VALU_DEP_4) | instskip(SKIP_1) | instid1(VALU_DEP_3)
	v_fmac_f32_e32 v31, v28, v35
	v_add_f32_e32 v36, v36, v73
	v_fmac_f32_e32 v41, v24, v32
	s_delay_alu instid0(VALU_DEP_3) | instskip(SKIP_1) | instid1(VALU_DEP_3)
	v_dual_mul_f32 v24, v60, v85 :: v_dual_add_f32 v29, v29, v31
	v_and_b32_e32 v31, 0xffff0000, v27
	v_dual_add_f32 v32, v68, v41 :: v_dual_lshlrev_b32 v27, 16, v27
	s_delay_alu instid0(VALU_DEP_2) | instskip(SKIP_2) | instid1(VALU_DEP_3)
	v_dual_fmac_f32 v24, v25, v33 :: v_dual_mul_f32 v33, v31, v86
	v_mul_f32_e32 v31, v31, v46
	v_and_b32_e32 v46, 0xffff0000, v14
	v_add_f32_e32 v24, v32, v24
	v_and_b32_e32 v32, 0xffff0000, v20
	s_delay_alu instid0(VALU_DEP_4) | instskip(SKIP_1) | instid1(VALU_DEP_1)
	v_dual_fmac_f32 v31, v27, v35 :: v_dual_lshlrev_b32 v20, 16, v20
	v_mul_f32_e32 v47, v59, v86
	v_dual_fmac_f32 v47, v28, v43 :: v_dual_lshlrev_b32 v14, 16, v14
	v_add_f32_e32 v28, v39, v40
	s_delay_alu instid0(VALU_DEP_2) | instskip(NEXT) | instid1(VALU_DEP_1)
	v_dual_add_f32 v30, v49, v47 :: v_dual_and_b32 v47, 0xffff0000, v26
	v_dual_mul_f32 v49, v47, v84 :: v_dual_lshlrev_b32 v26, 16, v26
	s_waitcnt vmcnt(1)
	s_delay_alu instid0(VALU_DEP_1) | instskip(SKIP_2) | instid1(VALU_DEP_3)
	v_dual_fmac_f32 v49, v26, v42 :: v_dual_and_b32 v42, 0xffff0000, v19
	v_fmac_f32_e32 v33, v27, v43
	v_and_b32_e32 v27, 0xffff0000, v22
	v_dual_add_f32 v25, v28, v49 :: v_dual_lshlrev_b32 v22, 16, v22
	v_dual_mul_f32 v28, v47, v87 :: v_dual_add_f32 v37, v37, v76
	s_waitcnt vmcnt(0)
	v_and_b32_e32 v47, 0xffff0000, v11
	v_lshlrev_b32_e32 v11, 16, v11
	s_delay_alu instid0(VALU_DEP_3) | instskip(SKIP_2) | instid1(VALU_DEP_3)
	v_dual_fmac_f32 v28, v26, v34 :: v_dual_and_b32 v39, 0xffff0000, v16
	v_lshlrev_b32_e32 v16, 16, v16
	v_and_b32_e32 v34, 0xffff0000, v17
	v_dual_mul_f32 v26, v32, v39 :: v_dual_lshlrev_b32 v17, 16, v17
	s_delay_alu instid0(VALU_DEP_4) | instskip(SKIP_2) | instid1(VALU_DEP_4)
	v_add_f32_e32 v24, v24, v28
	v_and_b32_e32 v28, 0xffff0000, v21
	v_and_b32_e32 v35, 0xffff0000, v18
	v_dual_add_f32 v25, v25, v33 :: v_dual_fmac_f32 v26, v20, v16
	s_delay_alu instid0(VALU_DEP_3) | instskip(SKIP_1) | instid1(VALU_DEP_3)
	v_dual_mul_f32 v40, v28, v34 :: v_dual_and_b32 v33, 0xffff0000, v8
	v_lshlrev_b32_e32 v19, 16, v19
	v_dual_add_f32 v26, v75, v26 :: v_dual_lshlrev_b32 v21, 16, v21
	v_dual_mul_f32 v41, v27, v35 :: v_dual_lshlrev_b32 v18, 16, v18
	v_add_f32_e32 v24, v24, v31
	s_delay_alu instid0(VALU_DEP_3) | instskip(SKIP_1) | instid1(VALU_DEP_4)
	v_fmac_f32_e32 v40, v21, v17
	v_dual_mul_f32 v31, v32, v33 :: v_dual_lshlrev_b32 v8, 16, v8
	v_dual_fmac_f32 v41, v22, v18 :: v_dual_and_b32 v32, 0xffff0000, v23
	s_delay_alu instid0(VALU_DEP_3)
	v_add_f32_e32 v26, v26, v40
	v_and_b32_e32 v40, 0xffff0000, v9
	v_lshlrev_b32_e32 v23, 16, v23
	v_fmac_f32_e32 v31, v20, v8
	v_lshlrev_b32_e32 v9, 16, v9
	v_and_b32_e32 v43, 0xffff0000, v12
	v_mul_f32_e32 v20, v28, v40
	v_mul_f32_e32 v28, v32, v42
	v_dual_add_f32 v31, v44, v31 :: v_dual_lshlrev_b32 v12, 16, v12
	s_delay_alu instid0(VALU_DEP_3) | instskip(NEXT) | instid1(VALU_DEP_3)
	v_fmac_f32_e32 v20, v21, v9
	v_dual_add_f32 v21, v26, v41 :: v_dual_fmac_f32 v28, v23, v19
	v_and_b32_e32 v41, 0xffff0000, v10
	v_lshlrev_b32_e32 v10, 16, v10
	s_delay_alu instid0(VALU_DEP_4) | instskip(NEXT) | instid1(VALU_DEP_4)
	v_add_f32_e32 v20, v31, v20
	v_dual_add_f32 v76, v21, v28 :: v_dual_mul_f32 v21, v43, v33
	s_delay_alu instid0(VALU_DEP_1) | instskip(NEXT) | instid1(VALU_DEP_1)
	v_fmac_f32_e32 v21, v12, v8
	v_add_f32_e32 v21, v36, v21
	v_mul_f32_e32 v36, v46, v41
	s_delay_alu instid0(VALU_DEP_1) | instskip(NEXT) | instid1(VALU_DEP_1)
	v_dual_mul_f32 v27, v27, v41 :: v_dual_fmac_f32 v36, v14, v10
	v_dual_fmac_f32 v27, v22, v10 :: v_dual_mul_f32 v22, v32, v47
	v_and_b32_e32 v32, 0xffff0000, v58
	v_and_b32_e32 v31, 0xffff0000, v13
	s_delay_alu instid0(VALU_DEP_3) | instskip(NEXT) | instid1(VALU_DEP_4)
	v_dual_add_f32 v20, v20, v27 :: v_dual_lshlrev_b32 v13, 16, v13
	v_fmac_f32_e32 v22, v23, v11
	v_mul_f32_e32 v26, v43, v39
	s_delay_alu instid0(VALU_DEP_4) | instskip(SKIP_1) | instid1(VALU_DEP_3)
	v_dual_mul_f32 v44, v31, v34 :: v_dual_and_b32 v27, 0xffff0000, v57
	v_mul_f32_e32 v43, v32, v34
	v_fmac_f32_e32 v26, v12, v16
	v_mul_f32_e32 v12, v31, v40
	s_delay_alu instid0(VALU_DEP_2) | instskip(NEXT) | instid1(VALU_DEP_2)
	v_add_f32_e32 v26, v45, v26
	v_dual_fmac_f32 v12, v13, v9 :: v_dual_mul_f32 v45, v46, v35
	s_delay_alu instid0(VALU_DEP_1) | instskip(NEXT) | instid1(VALU_DEP_2)
	v_add_f32_e32 v12, v21, v12
	v_dual_fmac_f32 v44, v13, v17 :: v_dual_fmac_f32 v45, v14, v18
	v_and_b32_e32 v14, 0xffff0000, v55
	s_delay_alu instid0(VALU_DEP_3) | instskip(NEXT) | instid1(VALU_DEP_3)
	v_dual_add_f32 v12, v12, v36 :: v_dual_lshlrev_b32 v13, 16, v57
	v_add_f32_e32 v26, v26, v44
	s_delay_alu instid0(VALU_DEP_1) | instskip(NEXT) | instid1(VALU_DEP_1)
	v_dual_add_f32 v23, v26, v45 :: v_dual_and_b32 v26, 0xffff0000, v15
	v_dual_mul_f32 v28, v26, v42 :: v_dual_lshlrev_b32 v15, 16, v15
	v_mul_f32_e32 v26, v26, v47
	v_mul_f32_e32 v44, v14, v35
	s_delay_alu instid0(VALU_DEP_2) | instskip(NEXT) | instid1(VALU_DEP_1)
	v_fmac_f32_e32 v26, v15, v11
	v_dual_add_f32 v73, v12, v26 :: v_dual_mul_f32 v12, v27, v33
	v_mul_f32_e32 v26, v32, v40
	v_dual_fmac_f32 v28, v15, v19 :: v_dual_add_f32 v77, v20, v22
	v_and_b32_e32 v20, 0xffff0000, v56
	s_delay_alu instid0(VALU_DEP_4) | instskip(SKIP_1) | instid1(VALU_DEP_2)
	v_dual_fmac_f32 v12, v13, v8 :: v_dual_lshlrev_b32 v21, 16, v58
	v_lshlrev_b32_e32 v22, 16, v56
	v_add_f32_e32 v12, v38, v12
	s_delay_alu instid0(VALU_DEP_3) | instskip(SKIP_1) | instid1(VALU_DEP_2)
	v_fmac_f32_e32 v26, v21, v9
	v_mul_f32_e32 v14, v14, v41
	v_add_f32_e32 v12, v12, v26
	v_and_b32_e32 v26, 0xffff0000, v6
	v_dual_add_f32 v75, v23, v28 :: v_dual_lshlrev_b32 v6, 16, v6
	v_dual_mul_f32 v31, v27, v39 :: v_dual_and_b32 v28, 0xffff0000, v5
	v_and_b32_e32 v23, 0xffff0000, v4
	v_lshlrev_b32_e32 v4, 16, v4
	v_lshlrev_b32_e32 v5, 16, v5
	s_delay_alu instid0(VALU_DEP_4) | instskip(SKIP_2) | instid1(VALU_DEP_3)
	v_fmac_f32_e32 v31, v13, v16
	v_mul_f32_e32 v13, v20, v42
	v_mul_f32_e32 v20, v20, v47
	v_add_f32_e32 v31, v37, v31
	v_lshlrev_b32_e32 v37, 16, v55
	s_delay_alu instid0(VALU_DEP_1) | instskip(NEXT) | instid1(VALU_DEP_4)
	v_dual_fmac_f32 v13, v22, v19 :: v_dual_fmac_f32 v14, v37, v10
	v_fmac_f32_e32 v20, v22, v11
	v_mul_f32_e32 v22, v28, v40
	s_delay_alu instid0(VALU_DEP_3) | instskip(SKIP_1) | instid1(VALU_DEP_3)
	v_add_f32_e32 v12, v12, v14
	v_mul_f32_e32 v14, v23, v33
	v_fmac_f32_e32 v22, v5, v9
	v_fmac_f32_e32 v43, v21, v17
	v_mul_f32_e32 v21, v28, v34
	v_add_f32_e32 v72, v12, v20
	s_delay_alu instid0(VALU_DEP_2) | instskip(NEXT) | instid1(VALU_DEP_1)
	v_dual_fmac_f32 v14, v4, v8 :: v_dual_fmac_f32 v21, v5, v17
	v_dual_mul_f32 v5, v26, v41 :: v_dual_add_f32 v14, v29, v14
	v_dual_add_f32 v15, v31, v43 :: v_dual_fmac_f32 v44, v37, v18
	s_delay_alu instid0(VALU_DEP_2) | instskip(NEXT) | instid1(VALU_DEP_2)
	v_fmac_f32_e32 v5, v6, v10
	v_dual_add_f32 v14, v14, v22 :: v_dual_add_f32 v15, v15, v44
	s_delay_alu instid0(VALU_DEP_1) | instskip(NEXT) | instid1(VALU_DEP_2)
	v_add_f32_e32 v5, v14, v5
	v_dual_add_f32 v74, v15, v13 :: v_dual_and_b32 v15, 0xffff0000, v7
	v_lshlrev_b32_e32 v7, 16, v7
	s_delay_alu instid0(VALU_DEP_2) | instskip(SKIP_1) | instid1(VALU_DEP_1)
	v_mul_f32_e32 v14, v15, v47
	v_mul_f32_e32 v27, v23, v39
	v_dual_fmac_f32 v14, v7, v11 :: v_dual_fmac_f32 v27, v4, v16
	v_mul_f32_e32 v4, v15, v42
	v_and_b32_e32 v15, 0xffff0000, v2
	v_lshlrev_b32_e32 v2, 16, v2
	s_delay_alu instid0(VALU_DEP_4) | instskip(SKIP_2) | instid1(VALU_DEP_3)
	v_dual_add_f32 v70, v5, v14 :: v_dual_add_f32 v27, v30, v27
	v_mul_f32_e32 v30, v26, v35
	v_fmac_f32_e32 v4, v7, v19
	v_add_f32_e32 v13, v27, v21
	v_and_b32_e32 v21, 0xffff0000, v0
	v_lshlrev_b32_e32 v0, 16, v0
	v_and_b32_e32 v27, 0xffff0000, v1
	v_dual_fmac_f32 v30, v6, v18 :: v_dual_lshlrev_b32 v1, 16, v1
	s_delay_alu instid0(VALU_DEP_4) | instskip(NEXT) | instid1(VALU_DEP_1)
	v_mul_f32_e32 v23, v21, v39
	v_dual_fmac_f32 v23, v0, v16 :: v_dual_mul_f32 v16, v27, v34
	s_delay_alu instid0(VALU_DEP_1) | instskip(NEXT) | instid1(VALU_DEP_2)
	v_add_f32_e32 v6, v25, v23
	v_fmac_f32_e32 v16, v1, v17
	s_delay_alu instid0(VALU_DEP_1) | instskip(NEXT) | instid1(VALU_DEP_1)
	v_dual_mul_f32 v17, v21, v33 :: v_dual_add_f32 v6, v6, v16
	v_dual_fmac_f32 v17, v0, v8 :: v_dual_mul_f32 v8, v15, v35
	v_mul_f32_e32 v0, v27, v40
	v_and_b32_e32 v16, 0xffff0000, v3
	v_lshlrev_b32_e32 v3, 16, v3
	s_delay_alu instid0(VALU_DEP_4) | instskip(NEXT) | instid1(VALU_DEP_4)
	v_dual_add_f32 v17, v24, v17 :: v_dual_fmac_f32 v8, v2, v18
	v_fmac_f32_e32 v0, v1, v9
	v_mul_f32_e32 v1, v15, v41
	s_delay_alu instid0(VALU_DEP_3) | instskip(SKIP_1) | instid1(VALU_DEP_3)
	v_dual_mul_f32 v9, v16, v42 :: v_dual_add_f32 v6, v6, v8
	v_add_f32_e32 v13, v13, v30
	v_dual_add_f32 v0, v17, v0 :: v_dual_fmac_f32 v1, v2, v10
	v_mul_f32_e32 v2, v16, v47
	s_delay_alu instid0(VALU_DEP_4) | instskip(NEXT) | instid1(VALU_DEP_3)
	v_fmac_f32_e32 v9, v3, v19
	v_dual_add_f32 v71, v13, v4 :: v_dual_add_f32 v0, v0, v1
	s_delay_alu instid0(VALU_DEP_2) | instskip(NEXT) | instid1(VALU_DEP_1)
	v_dual_fmac_f32 v2, v3, v11 :: v_dual_add_f32 v69, v6, v9
	v_add_f32_e32 v68, v0, v2
	s_cbranch_scc1 .LBB296_15
.LBB296_12:                             ;   Parent Loop BB296_8 Depth=1
                                        ; =>  This Inner Loop Header: Depth=2
	v_add_nc_u32_e32 v12, s25, v63
	v_dual_mov_b32 v56, 0 :: v_dual_mov_b32 v15, 0
	v_dual_mov_b32 v58, 0 :: v_dual_mov_b32 v13, 0
	s_delay_alu instid0(VALU_DEP_3) | instskip(SKIP_3) | instid1(VALU_DEP_4)
	v_min_u32_e32 v49, s15, v12
	v_add_nc_u32_e32 v78, 0x200, v12
	v_dual_mov_b32 v14, 0 :: v_dual_mov_b32 v23, 0
	v_dual_mov_b32 v22, 0 :: v_dual_mov_b32 v27, 0
	v_lshlrev_b64 v[0:1], 1, v[49:50]
	s_delay_alu instid0(VALU_DEP_4) | instskip(SKIP_3) | instid1(VALU_DEP_4)
	v_min_u32_e32 v49, s15, v78
	v_dual_mov_b32 v20, 0 :: v_dual_mov_b32 v25, 0
	v_dual_mov_b32 v26, 0 :: v_dual_mov_b32 v31, 0
	s_waitcnt lgkmcnt(0)
	v_add_co_u32 v4, vcc_lo, s2, v0
	v_add_co_ci_u32_e32 v5, vcc_lo, s3, v1, vcc_lo
	v_lshlrev_b64 v[0:1], 1, v[49:50]
	s_delay_alu instid0(VALU_DEP_3) | instskip(NEXT) | instid1(VALU_DEP_3)
	v_add_co_u32 v2, vcc_lo, v4, v51
	v_add_co_ci_u32_e32 v3, vcc_lo, v5, v52, vcc_lo
	v_dual_mov_b32 v24, 0 :: v_dual_mov_b32 v29, 0
	s_delay_alu instid0(VALU_DEP_4) | instskip(SKIP_3) | instid1(VALU_DEP_4)
	v_add_co_u32 v6, vcc_lo, s2, v0
	v_add_co_ci_u32_e32 v7, vcc_lo, s3, v1, vcc_lo
	v_add_co_u32 v0, vcc_lo, v4, v53
	v_add_co_ci_u32_e32 v1, vcc_lo, v5, v54, vcc_lo
	v_add_co_u32 v4, vcc_lo, v6, v51
	s_delay_alu instid0(VALU_DEP_4)
	v_add_co_ci_u32_e32 v5, vcc_lo, v7, v52, vcc_lo
	v_add_co_u32 v6, vcc_lo, v6, v53
	v_add_co_ci_u32_e32 v7, vcc_lo, v7, v54, vcc_lo
	s_clause 0x3
	global_load_b128 v[40:43], v[2:3], off slc dlc
	global_load_b128 v[32:35], v[0:1], off slc dlc
	;; [unrolled: 1-line block ×4, first 2 shown]
	v_mov_b32_e32 v3, 0
	v_cmp_gt_u32_e32 vcc_lo, s4, v12
	v_dual_mov_b32 v2, 0 :: v_dual_mov_b32 v7, 0
	v_dual_mov_b32 v1, 0 :: v_dual_mov_b32 v0, 0
	v_dual_mov_b32 v5, 0 :: v_dual_mov_b32 v6, 0
	v_dual_mov_b32 v55, 0 :: v_dual_mov_b32 v4, 0
	v_dual_mov_b32 v57, 0 :: v_dual_mov_b32 v12, 0
	v_dual_mov_b32 v21, 0 :: v_dual_mov_b32 v30, 0
	v_dual_mov_b32 v59, 0 :: v_dual_mov_b32 v28, 0
	v_dual_mov_b32 v61, 0 :: v_dual_mov_b32 v60, 0
	v_dual_mov_b32 v39, 0 :: v_dual_mov_b32 v62, 0
	v_dual_mov_b32 v37, 0 :: v_dual_mov_b32 v38, 0
	v_dual_mov_b32 v47, 0 :: v_dual_mov_b32 v36, 0
	v_dual_mov_b32 v45, 0 :: v_dual_mov_b32 v46, 0
	v_mov_b32_e32 v44, 0
	s_and_saveexec_b32 s26, vcc_lo
	s_cbranch_execz .LBB296_11
; %bb.13:                               ;   in Loop: Header=BB296_12 Depth=2
	v_dual_mov_b32 v20, 0 :: v_dual_add_nc_u32 v79, s6, v67
	v_dual_mov_b32 v22, 0 :: v_dual_add_nc_u32 v81, s23, v67
	;; [unrolled: 1-line block ×4, first 2 shown]
	ds_load_b128 v[36:39], v79
	ds_load_2addr_b32 v[61:62], v81 offset1:1
	ds_load_2addr_b32 v[59:60], v81 offset0:2 offset1:3
	ds_load_b128 v[28:31], v80
	ds_load_b128 v[44:47], v67
	ds_load_2addr_b64 v[24:27], v49 offset1:1
	v_cmp_gt_u32_e32 vcc_lo, s4, v78
	v_dual_mov_b32 v23, 0 :: v_dual_mov_b32 v14, 0
	v_dual_mov_b32 v13, 0 :: v_dual_mov_b32 v58, 0
	;; [unrolled: 1-line block ×7, first 2 shown]
	v_mov_b32_e32 v1, 0
	v_mov_b32_e32 v3, 0
	s_and_saveexec_b32 s27, vcc_lo
	s_cbranch_execz .LBB296_10
; %bb.14:                               ;   in Loop: Header=BB296_12 Depth=2
	v_add_nc_u32_e32 v0, 0x408, v81
	v_add_nc_u32_e32 v1, 0x400, v81
	ds_load_b128 v[12:15], v79 offset:1024
	ds_load_b128 v[4:7], v80 offset:1024
	;; [unrolled: 1-line block ×3, first 2 shown]
	ds_load_2addr_b32 v[55:56], v0 offset1:1
	ds_load_2addr_b32 v[57:58], v1 offset1:1
	ds_load_2addr_b64 v[0:3], v49 offset0:128 offset1:129
	s_branch .LBB296_10
.LBB296_15:                             ;   in Loop: Header=BB296_8 Depth=1
	; sched_barrier mask(0x00000000)
	s_delay_alu instid0(VALU_DEP_1)
	v_cvt_i32_f32_e32 v0, v76
	s_waitcnt lgkmcnt(0)
	v_cvt_i32_f32_e32 v1, v77
	v_cvt_i32_f32_e32 v2, v75
	;; [unrolled: 1-line block ×4, first 2 shown]
	v_cvt_f32_i32_dpp v0, v0 row_shr:8 row_mask:0xf bank_mask:0xf bound_ctrl:1
	v_cvt_f32_i32_dpp v1, v1 row_shr:8 row_mask:0xf bank_mask:0xf bound_ctrl:1
	;; [unrolled: 1-line block ×5, first 2 shown]
	s_delay_alu instid0(VALU_DEP_4) | instskip(NEXT) | instid1(VALU_DEP_3)
	v_dual_add_f32 v0, v76, v0 :: v_dual_add_f32 v1, v77, v1
	v_dual_add_f32 v2, v75, v2 :: v_dual_add_f32 v3, v73, v3
	s_delay_alu instid0(VALU_DEP_2) | instskip(NEXT) | instid1(VALU_DEP_3)
	v_cvt_i32_f32_e32 v5, v0
	v_cvt_i32_f32_e32 v6, v1
	s_delay_alu instid0(VALU_DEP_3) | instskip(NEXT) | instid1(VALU_DEP_4)
	v_cvt_i32_f32_e32 v7, v2
	v_cvt_i32_f32_e32 v8, v3
	s_delay_alu instid0(VALU_DEP_4) | instskip(NEXT) | instid1(VALU_DEP_4)
	v_cvt_f32_i32_dpp v5, v5 row_shr:4 row_mask:0xf bank_mask:0xf bound_ctrl:1
	v_cvt_f32_i32_dpp v6, v6 row_shr:4 row_mask:0xf bank_mask:0xf bound_ctrl:1
	v_add_f32_e32 v4, v74, v4
	v_cvt_f32_i32_dpp v7, v7 row_shr:4 row_mask:0xf bank_mask:0xf bound_ctrl:1
	v_cvt_f32_i32_dpp v8, v8 row_shr:4 row_mask:0xf bank_mask:0xf bound_ctrl:1
	s_delay_alu instid0(VALU_DEP_4) | instskip(NEXT) | instid1(VALU_DEP_4)
	v_dual_add_f32 v0, v0, v5 :: v_dual_add_f32 v1, v1, v6
	v_cvt_i32_f32_e32 v9, v4
	s_delay_alu instid0(VALU_DEP_3) | instskip(NEXT) | instid1(VALU_DEP_3)
	v_add_f32_e32 v3, v3, v8
	v_cvt_i32_f32_e32 v5, v0
	s_delay_alu instid0(VALU_DEP_4) | instskip(NEXT) | instid1(VALU_DEP_4)
	v_cvt_i32_f32_e32 v6, v1
	v_cvt_f32_i32_dpp v9, v9 row_shr:4 row_mask:0xf bank_mask:0xf bound_ctrl:1
	s_delay_alu instid0(VALU_DEP_4) | instskip(NEXT) | instid1(VALU_DEP_4)
	v_cvt_i32_f32_e32 v8, v3
	v_cvt_f32_i32_dpp v5, v5 row_shr:2 row_mask:0xf bank_mask:0xf bound_ctrl:1
	s_delay_alu instid0(VALU_DEP_4) | instskip(SKIP_1) | instid1(VALU_DEP_4)
	v_cvt_f32_i32_dpp v6, v6 row_shr:2 row_mask:0xf bank_mask:0xf bound_ctrl:1
	v_add_f32_e32 v2, v2, v7
	v_cvt_f32_i32_dpp v8, v8 row_shr:2 row_mask:0xf bank_mask:0xf bound_ctrl:1
	s_delay_alu instid0(VALU_DEP_3) | instskip(NEXT) | instid1(VALU_DEP_3)
	v_dual_add_f32 v4, v4, v9 :: v_dual_add_f32 v1, v1, v6
	v_cvt_i32_f32_e32 v7, v2
	s_delay_alu instid0(VALU_DEP_3) | instskip(NEXT) | instid1(VALU_DEP_3)
	v_add_f32_e32 v3, v3, v8
	v_cvt_i32_f32_e32 v9, v4
	s_delay_alu instid0(VALU_DEP_4) | instskip(NEXT) | instid1(VALU_DEP_4)
	v_cvt_i32_f32_e32 v6, v1
	v_cvt_f32_i32_dpp v7, v7 row_shr:2 row_mask:0xf bank_mask:0xf bound_ctrl:1
	s_delay_alu instid0(VALU_DEP_4) | instskip(NEXT) | instid1(VALU_DEP_4)
	v_cvt_i32_f32_e32 v8, v3
	v_cvt_f32_i32_dpp v9, v9 row_shr:2 row_mask:0xf bank_mask:0xf bound_ctrl:1
	s_delay_alu instid0(VALU_DEP_4) | instskip(NEXT) | instid1(VALU_DEP_4)
	v_cvt_f32_i32_dpp v6, v6 row_shr:1 row_mask:0xf bank_mask:0xf bound_ctrl:1
	v_add_f32_e32 v2, v2, v7
	s_delay_alu instid0(VALU_DEP_4) | instskip(NEXT) | instid1(VALU_DEP_4)
	v_cvt_f32_i32_dpp v8, v8 row_shr:1 row_mask:0xf bank_mask:0xf bound_ctrl:1
	v_add_f32_e32 v4, v4, v9
	s_delay_alu instid0(VALU_DEP_3) | instskip(NEXT) | instid1(VALU_DEP_3)
	v_cvt_i32_f32_e32 v7, v2
	v_add_f32_e32 v13, v3, v8
	v_cvt_i32_f32_e32 v3, v71
	s_delay_alu instid0(VALU_DEP_4) | instskip(NEXT) | instid1(VALU_DEP_4)
	v_cvt_i32_f32_e32 v9, v4
	v_cvt_f32_i32_dpp v7, v7 row_shr:1 row_mask:0xf bank_mask:0xf bound_ctrl:1
	v_add_f32_e32 v0, v0, v5
	ds_bpermute_b32 v14, v65, v13
	v_cvt_f32_i32_dpp v3, v3 row_shr:8 row_mask:0xf bank_mask:0xf bound_ctrl:1
	v_cvt_f32_i32_dpp v9, v9 row_shr:1 row_mask:0xf bank_mask:0xf bound_ctrl:1
	v_add_f32_e32 v17, v2, v7
	v_cvt_i32_f32_e32 v5, v0
	v_cvt_i32_f32_e32 v2, v72
	v_add_f32_e32 v3, v71, v3
	ds_bpermute_b32 v19, v65, v17
	v_cvt_f32_i32_dpp v5, v5 row_shr:1 row_mask:0xf bank_mask:0xf bound_ctrl:1
	v_cvt_f32_i32_dpp v2, v2 row_shr:8 row_mask:0xf bank_mask:0xf bound_ctrl:1
	v_cvt_i32_f32_e32 v10, v3
	s_delay_alu instid0(VALU_DEP_3)
	v_add_f32_e32 v21, v0, v5
	v_cvt_i32_f32_e32 v5, v69
	v_add_f32_e32 v0, v1, v6
	v_cvt_i32_f32_e32 v6, v68
	v_cvt_f32_i32_dpp v10, v10 row_shr:4 row_mask:0xf bank_mask:0xf bound_ctrl:1
	v_add_f32_e32 v8, v4, v9
	v_cvt_f32_i32_dpp v5, v5 row_shr:8 row_mask:0xf bank_mask:0xf bound_ctrl:1
	v_add_f32_e32 v2, v72, v2
	v_cvt_f32_i32_dpp v6, v6 row_shr:8 row_mask:0xf bank_mask:0xf bound_ctrl:1
	v_cvt_i32_f32_e32 v4, v70
	ds_bpermute_b32 v22, v65, v21
	v_add_f32_e32 v5, v69, v5
	v_cvt_i32_f32_e32 v7, v2
	v_add_f32_e32 v3, v3, v10
	v_cvt_f32_i32_dpp v4, v4 row_shr:8 row_mask:0xf bank_mask:0xf bound_ctrl:1
	ds_bpermute_b32 v1, v65, v0
	v_cvt_i32_f32_e32 v12, v5
	v_cvt_f32_i32_dpp v7, v7 row_shr:4 row_mask:0xf bank_mask:0xf bound_ctrl:1
	v_cvt_i32_f32_e32 v10, v3
	ds_bpermute_b32 v9, v65, v8
	v_cvt_f32_i32_dpp v12, v12 row_shr:4 row_mask:0xf bank_mask:0xf bound_ctrl:1
	v_add_f32_e32 v6, v68, v6
	v_cvt_f32_i32_dpp v10, v10 row_shr:2 row_mask:0xf bank_mask:0xf bound_ctrl:1
	v_add_f32_e32 v4, v70, v4
	s_delay_alu instid0(VALU_DEP_4) | instskip(NEXT) | instid1(VALU_DEP_4)
	v_add_f32_e32 v5, v5, v12
	v_cvt_i32_f32_e32 v15, v6
	s_delay_alu instid0(VALU_DEP_4) | instskip(NEXT) | instid1(VALU_DEP_4)
	v_add_f32_e32 v3, v3, v10
	v_cvt_i32_f32_e32 v11, v4
	s_delay_alu instid0(VALU_DEP_4) | instskip(NEXT) | instid1(VALU_DEP_4)
	v_cvt_i32_f32_e32 v12, v5
	v_cvt_f32_i32_dpp v15, v15 row_shr:4 row_mask:0xf bank_mask:0xf bound_ctrl:1
	s_delay_alu instid0(VALU_DEP_4) | instskip(NEXT) | instid1(VALU_DEP_4)
	v_cvt_i32_f32_e32 v10, v3
	v_cvt_f32_i32_dpp v11, v11 row_shr:4 row_mask:0xf bank_mask:0xf bound_ctrl:1
	s_delay_alu instid0(VALU_DEP_4) | instskip(SKIP_3) | instid1(VALU_DEP_4)
	v_cvt_f32_i32_dpp v12, v12 row_shr:2 row_mask:0xf bank_mask:0xf bound_ctrl:1
	v_add_f32_e32 v2, v2, v7
	v_add_f32_e32 v6, v6, v15
	v_cvt_f32_i32_dpp v10, v10 row_shr:1 row_mask:0xf bank_mask:0xf bound_ctrl:1
	v_add_f32_e32 v5, v5, v12
	s_delay_alu instid0(VALU_DEP_4) | instskip(NEXT) | instid1(VALU_DEP_4)
	v_cvt_i32_f32_e32 v7, v2
	v_cvt_i32_f32_e32 v15, v6
	s_delay_alu instid0(VALU_DEP_4) | instskip(NEXT) | instid1(VALU_DEP_4)
	v_add_f32_e32 v10, v3, v10
	v_cvt_i32_f32_e32 v12, v5
	s_delay_alu instid0(VALU_DEP_4) | instskip(NEXT) | instid1(VALU_DEP_4)
	v_cvt_f32_i32_dpp v7, v7 row_shr:2 row_mask:0xf bank_mask:0xf bound_ctrl:1
	v_cvt_f32_i32_dpp v15, v15 row_shr:2 row_mask:0xf bank_mask:0xf bound_ctrl:1
	s_delay_alu instid0(VALU_DEP_3) | instskip(NEXT) | instid1(VALU_DEP_3)
	v_cvt_f32_i32_dpp v12, v12 row_shr:1 row_mask:0xf bank_mask:0xf bound_ctrl:1
	v_add_f32_e32 v2, v2, v7
	s_delay_alu instid0(VALU_DEP_3) | instskip(NEXT) | instid1(VALU_DEP_2)
	v_add_f32_e32 v7, v6, v15
	v_cvt_i32_f32_e32 v6, v2
	s_delay_alu instid0(VALU_DEP_2) | instskip(NEXT) | instid1(VALU_DEP_2)
	v_cvt_i32_f32_e32 v15, v7
	v_cvt_f32_i32_dpp v6, v6 row_shr:1 row_mask:0xf bank_mask:0xf bound_ctrl:1
	v_add_f32_e32 v4, v4, v11
	s_delay_alu instid0(VALU_DEP_3) | instskip(NEXT) | instid1(VALU_DEP_3)
	v_cvt_f32_i32_dpp v16, v15 row_shr:1 row_mask:0xf bank_mask:0xf bound_ctrl:1
	v_add_f32_e32 v15, v2, v6
	s_delay_alu instid0(VALU_DEP_3) | instskip(NEXT) | instid1(VALU_DEP_3)
	v_cvt_i32_f32_e32 v11, v4
	v_add_f32_e32 v2, v7, v16
	ds_bpermute_b32 v16, v65, v15
	v_cvt_f32_i32_dpp v11, v11 row_shr:2 row_mask:0xf bank_mask:0xf bound_ctrl:1
	ds_bpermute_b32 v3, v65, v2
	v_add_f32_e32 v4, v4, v11
	s_delay_alu instid0(VALU_DEP_1) | instskip(NEXT) | instid1(VALU_DEP_1)
	v_cvt_i32_f32_e32 v11, v4
	v_cvt_f32_i32_dpp v11, v11 row_shr:1 row_mask:0xf bank_mask:0xf bound_ctrl:1
	s_delay_alu instid0(VALU_DEP_1)
	v_add_f32_e32 v6, v4, v11
	v_add_f32_e32 v4, v5, v12
	ds_bpermute_b32 v11, v65, v10
	ds_bpermute_b32 v7, v65, v6
	;; [unrolled: 1-line block ×3, first 2 shown]
	s_and_saveexec_b32 s25, s0
	s_cbranch_execz .LBB296_7
; %bb.16:                               ;   in Loop: Header=BB296_8 Depth=1
	v_dual_mov_b32 v29, 0 :: v_dual_mov_b32 v28, 0
	v_dual_mov_b32 v27, 0 :: v_dual_mov_b32 v26, 0
	;; [unrolled: 1-line block ×4, first 2 shown]
	v_mov_b32_e32 v18, 0
	v_mov_b32_e32 v12, 0
	s_and_not1_b32 vcc_lo, exec_lo, s19
	s_cbranch_vccnz .LBB296_18
; %bb.17:                               ;   in Loop: Header=BB296_8 Depth=1
	v_or_b32_e32 v12, 1, v48
	v_mul_hi_u32 v18, v48, v66
	v_mov_b32_e32 v27, v50
	s_delay_alu instid0(VALU_DEP_3) | instskip(NEXT) | instid1(VALU_DEP_3)
	v_mul_hi_u32 v20, v12, v66
	v_mul_lo_u32 v18, v18, s8
	s_delay_alu instid0(VALU_DEP_2) | instskip(NEXT) | instid1(VALU_DEP_2)
	v_mul_lo_u32 v20, v20, s8
	v_sub_nc_u32_e32 v18, v48, v18
	s_delay_alu instid0(VALU_DEP_2) | instskip(NEXT) | instid1(VALU_DEP_2)
	v_sub_nc_u32_e32 v12, v12, v20
	v_subrev_nc_u32_e32 v20, s8, v18
	v_cmp_le_u32_e32 vcc_lo, s8, v18
	s_delay_alu instid0(VALU_DEP_3) | instskip(NEXT) | instid1(VALU_DEP_3)
	v_subrev_nc_u32_e32 v23, s8, v12
	v_cndmask_b32_e32 v18, v18, v20, vcc_lo
	v_cmp_le_u32_e32 vcc_lo, s8, v12
	s_delay_alu instid0(VALU_DEP_2) | instskip(NEXT) | instid1(VALU_DEP_4)
	v_subrev_nc_u32_e32 v20, s8, v18
	v_cndmask_b32_e32 v12, v12, v23, vcc_lo
	v_cmp_le_u32_e32 vcc_lo, s8, v18
	s_delay_alu instid0(VALU_DEP_2) | instskip(NEXT) | instid1(VALU_DEP_4)
	v_subrev_nc_u32_e32 v23, s8, v12
	v_cndmask_b32_e32 v49, v18, v20, vcc_lo
	v_cmp_le_u32_e32 vcc_lo, s8, v12
	v_mov_b32_e32 v24, v50
	s_delay_alu instid0(VALU_DEP_3) | instskip(SKIP_2) | instid1(VALU_DEP_2)
	v_dual_mov_b32 v26, v50 :: v_dual_add_nc_u32 v31, s21, v49
	v_cndmask_b32_e32 v23, v12, v23, vcc_lo
	v_dual_mov_b32 v30, v50 :: v_dual_add_nc_u32 v25, s17, v49
	v_lshlrev_b64 v[35:36], 1, v[23:24]
	s_delay_alu instid0(VALU_DEP_2) | instskip(SKIP_4) | instid1(VALU_DEP_4)
	v_lshlrev_b64 v[24:25], 1, v[25:26]
	v_add_nc_u32_e32 v26, s17, v23
	v_lshlrev_b64 v[33:34], 1, v[49:50]
	v_dual_mov_b32 v29, v50 :: v_dual_add_nc_u32 v28, s20, v49
	v_dual_mov_b32 v32, v50 :: v_dual_add_nc_u32 v49, s24, v49
	v_lshlrev_b64 v[26:27], 1, v[26:27]
	s_delay_alu instid0(VALU_DEP_4)
	v_add_co_u32 v33, vcc_lo, s10, v33
	v_add_co_ci_u32_e32 v34, vcc_lo, s11, v34, vcc_lo
	v_lshlrev_b64 v[37:38], 1, v[28:29]
	v_add_co_u32 v35, vcc_lo, s10, v35
	v_add_nc_u32_e32 v29, s20, v23
	v_add_co_ci_u32_e32 v36, vcc_lo, s11, v36, vcc_lo
	v_add_co_u32 v24, vcc_lo, s10, v24
	v_add_co_ci_u32_e32 v25, vcc_lo, s11, v25, vcc_lo
	s_delay_alu instid0(VALU_DEP_4)
	v_lshlrev_b64 v[39:40], 1, v[29:30]
	v_add_co_u32 v37, vcc_lo, s10, v37
	v_dual_mov_b32 v29, v50 :: v_dual_add_nc_u32 v28, s21, v23
	v_add_co_ci_u32_e32 v38, vcc_lo, s11, v38, vcc_lo
	v_lshlrev_b64 v[31:32], 1, v[31:32]
	v_add_co_u32 v41, vcc_lo, s10, v26
	v_add_co_ci_u32_e32 v42, vcc_lo, s11, v27, vcc_lo
	v_add_co_u32 v39, vcc_lo, s10, v39
	v_lshlrev_b64 v[26:27], 1, v[28:29]
	v_add_co_ci_u32_e32 v40, vcc_lo, s11, v40, vcc_lo
	v_add_co_u32 v30, vcc_lo, s10, v31
	v_lshlrev_b64 v[28:29], 1, v[49:50]
	v_add_nc_u32_e32 v49, s24, v23
	v_add_co_ci_u32_e32 v31, vcc_lo, s11, v32, vcc_lo
	v_add_co_u32 v43, vcc_lo, s10, v26
	v_add_co_ci_u32_e32 v44, vcc_lo, s11, v27, vcc_lo
	s_delay_alu instid0(VALU_DEP_4) | instskip(SKIP_2) | instid1(VALU_DEP_3)
	v_lshlrev_b64 v[26:27], 1, v[49:50]
	v_add_co_u32 v45, vcc_lo, s10, v28
	v_add_co_ci_u32_e32 v46, vcc_lo, s11, v29, vcc_lo
	v_add_co_u32 v51, vcc_lo, s10, v26
	s_delay_alu instid0(VALU_DEP_4)
	v_add_co_ci_u32_e32 v52, vcc_lo, s11, v27, vcc_lo
	s_clause 0x9
	global_load_u16 v29, v[33:34], off
	global_load_u16 v28, v[35:36], off
	;; [unrolled: 1-line block ×10, first 2 shown]
.LBB296_18:                             ;   in Loop: Header=BB296_8 Depth=1
	s_waitcnt vmcnt(9) lgkmcnt(0)
	v_dual_add_f32 v21, v21, v22 :: v_dual_lshlrev_b32 v22, 16, v29
	s_delay_alu instid0(VALU_DEP_1) | instskip(NEXT) | instid1(VALU_DEP_1)
	v_add_f32_e32 v22, v21, v22
	v_and_b32_e32 v21, 0x7f800000, v22
	s_delay_alu instid0(VALU_DEP_1) | instskip(SKIP_1) | instid1(SALU_CYCLE_1)
	v_cmp_ne_u32_e32 vcc_lo, 0x7f800000, v21
                                        ; implicit-def: $vgpr21
	s_and_saveexec_b32 s26, vcc_lo
	s_xor_b32 s26, exec_lo, s26
; %bb.19:                               ;   in Loop: Header=BB296_8 Depth=1
	v_bfe_u32 v21, v22, 16, 1
	s_delay_alu instid0(VALU_DEP_1)
	v_add3_u32 v21, v22, v21, 0x7fff
                                        ; implicit-def: $vgpr22
; %bb.20:                               ;   in Loop: Header=BB296_8 Depth=1
	s_and_not1_saveexec_b32 s26, s26
; %bb.21:                               ;   in Loop: Header=BB296_8 Depth=1
	v_and_b32_e32 v21, 0xffff, v22
	v_or_b32_e32 v29, 0x10000, v22
	s_delay_alu instid0(VALU_DEP_2) | instskip(NEXT) | instid1(VALU_DEP_2)
	v_cmp_eq_u32_e32 vcc_lo, 0, v21
	v_cndmask_b32_e32 v21, v29, v22, vcc_lo
; %bb.22:                               ;   in Loop: Header=BB296_8 Depth=1
	s_or_b32 exec_lo, exec_lo, s26
	s_waitcnt vmcnt(8)
	v_dual_add_f32 v0, v0, v1 :: v_dual_lshlrev_b32 v1, 16, v28
	v_mov_b32_e32 v49, v50
	s_mov_b32 s26, exec_lo
	s_delay_alu instid0(VALU_DEP_2) | instskip(NEXT) | instid1(VALU_DEP_2)
	v_add_f32_e32 v22, v0, v1
	v_lshlrev_b64 v[0:1], 1, v[48:49]
	s_delay_alu instid0(VALU_DEP_2) | instskip(NEXT) | instid1(VALU_DEP_2)
	v_and_b32_e32 v28, 0x7f800000, v22
	v_add_co_u32 v0, vcc_lo, s12, v0
	s_delay_alu instid0(VALU_DEP_3)
	v_add_co_ci_u32_e32 v1, vcc_lo, s13, v1, vcc_lo
	global_store_d16_hi_b16 v[0:1], v21, off
                                        ; implicit-def: $vgpr21
	v_cmpx_ne_u32_e32 0x7f800000, v28
	s_xor_b32 s26, exec_lo, s26
; %bb.23:                               ;   in Loop: Header=BB296_8 Depth=1
	v_bfe_u32 v21, v22, 16, 1
	s_delay_alu instid0(VALU_DEP_1)
	v_add3_u32 v21, v22, v21, 0x7fff
                                        ; implicit-def: $vgpr22
; %bb.24:                               ;   in Loop: Header=BB296_8 Depth=1
	s_and_not1_saveexec_b32 s26, s26
; %bb.25:                               ;   in Loop: Header=BB296_8 Depth=1
	v_and_b32_e32 v21, 0xffff, v22
	v_or_b32_e32 v28, 0x10000, v22
	s_delay_alu instid0(VALU_DEP_2) | instskip(NEXT) | instid1(VALU_DEP_2)
	v_cmp_eq_u32_e32 vcc_lo, 0, v21
	v_cndmask_b32_e32 v21, v28, v22, vcc_lo
; %bb.26:                               ;   in Loop: Header=BB296_8 Depth=1
	s_or_b32 exec_lo, exec_lo, s26
	v_add_f32_e32 v17, v17, v19
	s_waitcnt vmcnt(7)
	v_lshlrev_b32_e32 v19, 16, v27
	s_mov_b32 s26, exec_lo
	global_store_d16_hi_b16 v[0:1], v21, off offset:2
                                        ; implicit-def: $vgpr0
	v_add_f32_e32 v17, v17, v19
	s_delay_alu instid0(VALU_DEP_1) | instskip(NEXT) | instid1(VALU_DEP_1)
	v_and_b32_e32 v19, 0x7f800000, v17
	v_cmpx_ne_u32_e32 0x7f800000, v19
	s_xor_b32 s26, exec_lo, s26
; %bb.27:                               ;   in Loop: Header=BB296_8 Depth=1
	v_bfe_u32 v0, v17, 16, 1
	s_delay_alu instid0(VALU_DEP_1)
	v_add3_u32 v0, v17, v0, 0x7fff
                                        ; implicit-def: $vgpr17
; %bb.28:                               ;   in Loop: Header=BB296_8 Depth=1
	s_and_not1_saveexec_b32 s26, s26
; %bb.29:                               ;   in Loop: Header=BB296_8 Depth=1
	v_and_b32_e32 v0, 0xffff, v17
	v_or_b32_e32 v1, 0x10000, v17
	s_delay_alu instid0(VALU_DEP_2) | instskip(NEXT) | instid1(VALU_DEP_2)
	v_cmp_eq_u32_e32 vcc_lo, 0, v0
	v_cndmask_b32_e32 v0, v1, v17, vcc_lo
; %bb.30:                               ;   in Loop: Header=BB296_8 Depth=1
	s_or_b32 exec_lo, exec_lo, s26
	v_add_f32_e32 v1, v13, v14
	s_waitcnt vmcnt(6)
	v_lshlrev_b32_e32 v13, 16, v26
	v_add_nc_u32_e32 v49, s7, v48
	s_mov_b32 s26, exec_lo
	s_delay_alu instid0(VALU_DEP_2) | instskip(NEXT) | instid1(VALU_DEP_2)
	v_add_f32_e32 v1, v1, v13
	v_lshlrev_b64 v[13:14], 1, v[49:50]
	s_delay_alu instid0(VALU_DEP_2) | instskip(NEXT) | instid1(VALU_DEP_2)
	v_and_b32_e32 v17, 0x7f800000, v1
	v_add_co_u32 v13, vcc_lo, s12, v13
	s_delay_alu instid0(VALU_DEP_3)
	v_add_co_ci_u32_e32 v14, vcc_lo, s13, v14, vcc_lo
	global_store_d16_hi_b16 v[13:14], v0, off
                                        ; implicit-def: $vgpr0
	v_cmpx_ne_u32_e32 0x7f800000, v17
	s_xor_b32 s26, exec_lo, s26
; %bb.31:                               ;   in Loop: Header=BB296_8 Depth=1
	v_bfe_u32 v0, v1, 16, 1
	s_delay_alu instid0(VALU_DEP_1)
	v_add3_u32 v0, v1, v0, 0x7fff
                                        ; implicit-def: $vgpr1
; %bb.32:                               ;   in Loop: Header=BB296_8 Depth=1
	s_and_not1_saveexec_b32 s26, s26
; %bb.33:                               ;   in Loop: Header=BB296_8 Depth=1
	v_and_b32_e32 v0, 0xffff, v1
	v_or_b32_e32 v13, 0x10000, v1
	s_delay_alu instid0(VALU_DEP_2) | instskip(NEXT) | instid1(VALU_DEP_2)
	v_cmp_eq_u32_e32 vcc_lo, 0, v0
	v_cndmask_b32_e32 v0, v13, v1, vcc_lo
; %bb.34:                               ;   in Loop: Header=BB296_8 Depth=1
	s_or_b32 exec_lo, exec_lo, s26
	v_add_f32_e32 v1, v8, v9
	v_dual_mov_b32 v9, v50 :: v_dual_add_nc_u32 v8, 1, v49
	s_waitcnt vmcnt(5)
	v_lshlrev_b32_e32 v13, 16, v25
	s_mov_b32 s26, exec_lo
	s_delay_alu instid0(VALU_DEP_2) | instskip(NEXT) | instid1(VALU_DEP_2)
	v_lshlrev_b64 v[8:9], 1, v[8:9]
	v_add_f32_e32 v1, v1, v13
	s_delay_alu instid0(VALU_DEP_1) | instskip(NEXT) | instid1(VALU_DEP_3)
	v_and_b32_e32 v13, 0x7f800000, v1
	v_add_co_u32 v8, vcc_lo, s12, v8
	s_delay_alu instid0(VALU_DEP_4)
	v_add_co_ci_u32_e32 v9, vcc_lo, s13, v9, vcc_lo
	global_store_d16_hi_b16 v[8:9], v0, off
                                        ; implicit-def: $vgpr8
	v_cmpx_ne_u32_e32 0x7f800000, v13
	s_xor_b32 s26, exec_lo, s26
; %bb.35:                               ;   in Loop: Header=BB296_8 Depth=1
	v_bfe_u32 v0, v1, 16, 1
	s_delay_alu instid0(VALU_DEP_1)
	v_add3_u32 v8, v1, v0, 0x7fff
                                        ; implicit-def: $vgpr1
; %bb.36:                               ;   in Loop: Header=BB296_8 Depth=1
	s_and_not1_saveexec_b32 s26, s26
; %bb.37:                               ;   in Loop: Header=BB296_8 Depth=1
	v_and_b32_e32 v0, 0xffff, v1
	v_or_b32_e32 v8, 0x10000, v1
	s_delay_alu instid0(VALU_DEP_2) | instskip(NEXT) | instid1(VALU_DEP_2)
	v_cmp_eq_u32_e32 vcc_lo, 0, v0
	v_cndmask_b32_e32 v8, v8, v1, vcc_lo
; %bb.38:                               ;   in Loop: Header=BB296_8 Depth=1
	s_or_b32 exec_lo, exec_lo, s26
	v_dual_add_f32 v0, v15, v16 :: v_dual_add_nc_u32 v49, s7, v49
	s_waitcnt vmcnt(4)
	v_lshlrev_b32_e32 v1, 16, v24
	s_mov_b32 s26, exec_lo
	s_delay_alu instid0(VALU_DEP_1) | instskip(SKIP_1) | instid1(VALU_DEP_2)
	v_add_f32_e32 v9, v0, v1
	v_lshlrev_b64 v[0:1], 1, v[49:50]
	v_and_b32_e32 v13, 0x7f800000, v9
	s_delay_alu instid0(VALU_DEP_2) | instskip(NEXT) | instid1(VALU_DEP_3)
	v_add_co_u32 v0, vcc_lo, s12, v0
	v_add_co_ci_u32_e32 v1, vcc_lo, s13, v1, vcc_lo
	global_store_d16_hi_b16 v[0:1], v8, off
                                        ; implicit-def: $vgpr8
	v_cmpx_ne_u32_e32 0x7f800000, v13
	s_xor_b32 s26, exec_lo, s26
; %bb.39:                               ;   in Loop: Header=BB296_8 Depth=1
	v_bfe_u32 v8, v9, 16, 1
	s_delay_alu instid0(VALU_DEP_1)
	v_add3_u32 v8, v9, v8, 0x7fff
                                        ; implicit-def: $vgpr9
; %bb.40:                               ;   in Loop: Header=BB296_8 Depth=1
	s_and_not1_saveexec_b32 s26, s26
; %bb.41:                               ;   in Loop: Header=BB296_8 Depth=1
	v_and_b32_e32 v8, 0xffff, v9
	v_or_b32_e32 v13, 0x10000, v9
	s_delay_alu instid0(VALU_DEP_2) | instskip(NEXT) | instid1(VALU_DEP_2)
	v_cmp_eq_u32_e32 vcc_lo, 0, v8
	v_cndmask_b32_e32 v8, v13, v9, vcc_lo
; %bb.42:                               ;   in Loop: Header=BB296_8 Depth=1
	s_or_b32 exec_lo, exec_lo, s26
	v_add_f32_e32 v9, v10, v11
	s_waitcnt vmcnt(3)
	v_lshlrev_b32_e32 v10, 16, v23
	s_mov_b32 s26, exec_lo
	global_store_d16_hi_b16 v[0:1], v8, off offset:2
                                        ; implicit-def: $vgpr0
	v_add_f32_e32 v9, v9, v10
	s_delay_alu instid0(VALU_DEP_1) | instskip(NEXT) | instid1(VALU_DEP_1)
	v_and_b32_e32 v10, 0x7f800000, v9
	v_cmpx_ne_u32_e32 0x7f800000, v10
	s_xor_b32 s26, exec_lo, s26
; %bb.43:                               ;   in Loop: Header=BB296_8 Depth=1
	v_bfe_u32 v0, v9, 16, 1
	s_delay_alu instid0(VALU_DEP_1)
	v_add3_u32 v0, v9, v0, 0x7fff
                                        ; implicit-def: $vgpr9
; %bb.44:                               ;   in Loop: Header=BB296_8 Depth=1
	s_and_not1_saveexec_b32 s26, s26
; %bb.45:                               ;   in Loop: Header=BB296_8 Depth=1
	v_and_b32_e32 v0, 0xffff, v9
	v_or_b32_e32 v1, 0x10000, v9
	s_delay_alu instid0(VALU_DEP_2) | instskip(NEXT) | instid1(VALU_DEP_2)
	v_cmp_eq_u32_e32 vcc_lo, 0, v0
	v_cndmask_b32_e32 v0, v1, v9, vcc_lo
; %bb.46:                               ;   in Loop: Header=BB296_8 Depth=1
	s_or_b32 exec_lo, exec_lo, s26
	s_waitcnt vmcnt(2)
	v_dual_add_f32 v1, v6, v7 :: v_dual_lshlrev_b32 v6, 16, v20
	v_add_nc_u32_e32 v49, s7, v49
	s_mov_b32 s26, exec_lo
	s_delay_alu instid0(VALU_DEP_2) | instskip(NEXT) | instid1(VALU_DEP_2)
	v_add_f32_e32 v1, v1, v6
	v_lshlrev_b64 v[6:7], 1, v[49:50]
	s_delay_alu instid0(VALU_DEP_2) | instskip(NEXT) | instid1(VALU_DEP_2)
	v_and_b32_e32 v8, 0x7f800000, v1
	v_add_co_u32 v6, vcc_lo, s12, v6
	s_delay_alu instid0(VALU_DEP_3)
	v_add_co_ci_u32_e32 v7, vcc_lo, s13, v7, vcc_lo
	global_store_d16_hi_b16 v[6:7], v0, off
                                        ; implicit-def: $vgpr0
	v_cmpx_ne_u32_e32 0x7f800000, v8
	s_xor_b32 s26, exec_lo, s26
; %bb.47:                               ;   in Loop: Header=BB296_8 Depth=1
	v_bfe_u32 v0, v1, 16, 1
	s_delay_alu instid0(VALU_DEP_1)
	v_add3_u32 v0, v1, v0, 0x7fff
                                        ; implicit-def: $vgpr1
; %bb.48:                               ;   in Loop: Header=BB296_8 Depth=1
	s_and_not1_saveexec_b32 s26, s26
; %bb.49:                               ;   in Loop: Header=BB296_8 Depth=1
	v_and_b32_e32 v0, 0xffff, v1
	v_or_b32_e32 v6, 0x10000, v1
	s_delay_alu instid0(VALU_DEP_2) | instskip(NEXT) | instid1(VALU_DEP_2)
	v_cmp_eq_u32_e32 vcc_lo, 0, v0
	v_cndmask_b32_e32 v0, v6, v1, vcc_lo
; %bb.50:                               ;   in Loop: Header=BB296_8 Depth=1
	s_or_b32 exec_lo, exec_lo, s26
	s_waitcnt vmcnt(1)
	v_dual_add_f32 v1, v4, v5 :: v_dual_lshlrev_b32 v6, 16, v18
	v_dual_mov_b32 v5, v50 :: v_dual_add_nc_u32 v4, 1, v49
	s_mov_b32 s26, exec_lo
	s_delay_alu instid0(VALU_DEP_2) | instskip(NEXT) | instid1(VALU_DEP_2)
	v_add_f32_e32 v1, v1, v6
	v_lshlrev_b64 v[4:5], 1, v[4:5]
	s_delay_alu instid0(VALU_DEP_2) | instskip(NEXT) | instid1(VALU_DEP_2)
	v_and_b32_e32 v6, 0x7f800000, v1
	v_add_co_u32 v4, vcc_lo, s12, v4
	s_delay_alu instid0(VALU_DEP_3)
	v_add_co_ci_u32_e32 v5, vcc_lo, s13, v5, vcc_lo
	global_store_d16_hi_b16 v[4:5], v0, off
                                        ; implicit-def: $vgpr4
	v_cmpx_ne_u32_e32 0x7f800000, v6
	s_xor_b32 s26, exec_lo, s26
; %bb.51:                               ;   in Loop: Header=BB296_8 Depth=1
	v_bfe_u32 v0, v1, 16, 1
	s_delay_alu instid0(VALU_DEP_1)
	v_add3_u32 v4, v1, v0, 0x7fff
                                        ; implicit-def: $vgpr1
; %bb.52:                               ;   in Loop: Header=BB296_8 Depth=1
	s_and_not1_saveexec_b32 s26, s26
; %bb.53:                               ;   in Loop: Header=BB296_8 Depth=1
	v_and_b32_e32 v0, 0xffff, v1
	v_or_b32_e32 v4, 0x10000, v1
	s_delay_alu instid0(VALU_DEP_2) | instskip(NEXT) | instid1(VALU_DEP_2)
	v_cmp_eq_u32_e32 vcc_lo, 0, v0
	v_cndmask_b32_e32 v4, v4, v1, vcc_lo
; %bb.54:                               ;   in Loop: Header=BB296_8 Depth=1
	s_or_b32 exec_lo, exec_lo, s26
	s_waitcnt vmcnt(0)
	v_dual_add_f32 v0, v2, v3 :: v_dual_lshlrev_b32 v1, 16, v12
	v_add_nc_u32_e32 v49, s7, v49
	s_delay_alu instid0(VALU_DEP_2) | instskip(NEXT) | instid1(VALU_DEP_2)
	v_add_f32_e32 v2, v0, v1
	v_lshlrev_b64 v[0:1], 1, v[49:50]
	s_delay_alu instid0(VALU_DEP_2) | instskip(NEXT) | instid1(VALU_DEP_2)
	v_and_b32_e32 v3, 0x7f800000, v2
	v_add_co_u32 v0, vcc_lo, s12, v0
	s_delay_alu instid0(VALU_DEP_3) | instskip(NEXT) | instid1(VALU_DEP_3)
	v_add_co_ci_u32_e32 v1, vcc_lo, s13, v1, vcc_lo
	v_cmp_ne_u32_e32 vcc_lo, 0x7f800000, v3
                                        ; implicit-def: $vgpr3
	global_store_d16_hi_b16 v[0:1], v4, off
	s_and_saveexec_b32 s26, vcc_lo
	s_delay_alu instid0(SALU_CYCLE_1)
	s_xor_b32 s26, exec_lo, s26
; %bb.55:                               ;   in Loop: Header=BB296_8 Depth=1
	v_bfe_u32 v3, v2, 16, 1
	s_delay_alu instid0(VALU_DEP_1)
	v_add3_u32 v3, v2, v3, 0x7fff
                                        ; implicit-def: $vgpr2
; %bb.56:                               ;   in Loop: Header=BB296_8 Depth=1
	s_and_not1_saveexec_b32 s26, s26
	s_cbranch_execz .LBB296_6
; %bb.57:                               ;   in Loop: Header=BB296_8 Depth=1
	v_and_b32_e32 v3, 0xffff, v2
	v_or_b32_e32 v4, 0x10000, v2
	s_delay_alu instid0(VALU_DEP_2) | instskip(NEXT) | instid1(VALU_DEP_2)
	v_cmp_eq_u32_e32 vcc_lo, 0, v3
	v_cndmask_b32_e32 v3, v4, v2, vcc_lo
	s_branch .LBB296_6
.LBB296_58:
	s_nop 0
	s_sendmsg sendmsg(MSG_DEALLOC_VGPRS)
	s_endpgm
	.section	.rodata,"a",@progbits
	.p2align	6, 0x0
	.amdhsa_kernel _Z16wvSplitK_hf_sml_I14__hip_bfloat16Li64ELi2ELi16ELi8ELi2ELi5EEviiiiiiPKT_S3_S3_PS1_ii
		.amdhsa_group_segment_fixed_size 65536
		.amdhsa_private_segment_fixed_size 0
		.amdhsa_kernarg_size 64
		.amdhsa_user_sgpr_count 15
		.amdhsa_user_sgpr_dispatch_ptr 0
		.amdhsa_user_sgpr_queue_ptr 0
		.amdhsa_user_sgpr_kernarg_segment_ptr 1
		.amdhsa_user_sgpr_dispatch_id 0
		.amdhsa_user_sgpr_private_segment_size 0
		.amdhsa_wavefront_size32 1
		.amdhsa_uses_dynamic_stack 0
		.amdhsa_enable_private_segment 0
		.amdhsa_system_sgpr_workgroup_id_x 1
		.amdhsa_system_sgpr_workgroup_id_y 0
		.amdhsa_system_sgpr_workgroup_id_z 0
		.amdhsa_system_sgpr_workgroup_info 0
		.amdhsa_system_vgpr_workitem_id 1
		.amdhsa_next_free_vgpr 90
		.amdhsa_next_free_sgpr 28
		.amdhsa_reserve_vcc 1
		.amdhsa_float_round_mode_32 0
		.amdhsa_float_round_mode_16_64 0
		.amdhsa_float_denorm_mode_32 3
		.amdhsa_float_denorm_mode_16_64 3
		.amdhsa_dx10_clamp 1
		.amdhsa_ieee_mode 1
		.amdhsa_fp16_overflow 0
		.amdhsa_workgroup_processor_mode 1
		.amdhsa_memory_ordered 1
		.amdhsa_forward_progress 0
		.amdhsa_shared_vgpr_count 0
		.amdhsa_exception_fp_ieee_invalid_op 0
		.amdhsa_exception_fp_denorm_src 0
		.amdhsa_exception_fp_ieee_div_zero 0
		.amdhsa_exception_fp_ieee_overflow 0
		.amdhsa_exception_fp_ieee_underflow 0
		.amdhsa_exception_fp_ieee_inexact 0
		.amdhsa_exception_int_div_zero 0
	.end_amdhsa_kernel
	.section	.text._Z16wvSplitK_hf_sml_I14__hip_bfloat16Li64ELi2ELi16ELi8ELi2ELi5EEviiiiiiPKT_S3_S3_PS1_ii,"axG",@progbits,_Z16wvSplitK_hf_sml_I14__hip_bfloat16Li64ELi2ELi16ELi8ELi2ELi5EEviiiiiiPKT_S3_S3_PS1_ii,comdat
.Lfunc_end296:
	.size	_Z16wvSplitK_hf_sml_I14__hip_bfloat16Li64ELi2ELi16ELi8ELi2ELi5EEviiiiiiPKT_S3_S3_PS1_ii, .Lfunc_end296-_Z16wvSplitK_hf_sml_I14__hip_bfloat16Li64ELi2ELi16ELi8ELi2ELi5EEviiiiiiPKT_S3_S3_PS1_ii
                                        ; -- End function
	.section	.AMDGPU.csdata,"",@progbits
; Kernel info:
; codeLenInByte = 6192
; NumSgprs: 30
; NumVgprs: 90
; ScratchSize: 0
; MemoryBound: 0
; FloatMode: 240
; IeeeMode: 1
; LDSByteSize: 65536 bytes/workgroup (compile time only)
; SGPRBlocks: 3
; VGPRBlocks: 11
; NumSGPRsForWavesPerEU: 30
; NumVGPRsForWavesPerEU: 90
; Occupancy: 16
; WaveLimiterHint : 0
; COMPUTE_PGM_RSRC2:SCRATCH_EN: 0
; COMPUTE_PGM_RSRC2:USER_SGPR: 15
; COMPUTE_PGM_RSRC2:TRAP_HANDLER: 0
; COMPUTE_PGM_RSRC2:TGID_X_EN: 1
; COMPUTE_PGM_RSRC2:TGID_Y_EN: 0
; COMPUTE_PGM_RSRC2:TGID_Z_EN: 0
; COMPUTE_PGM_RSRC2:TIDIG_COMP_CNT: 1
	.section	.text._Z12wvSplitK_hf_I14__hip_bfloat16Li64ELi2ELi16ELi8ELi2ELi5EEviiiiiiPKT_S3_S3_PS1_ii,"axG",@progbits,_Z12wvSplitK_hf_I14__hip_bfloat16Li64ELi2ELi16ELi8ELi2ELi5EEviiiiiiPKT_S3_S3_PS1_ii,comdat
	.protected	_Z12wvSplitK_hf_I14__hip_bfloat16Li64ELi2ELi16ELi8ELi2ELi5EEviiiiiiPKT_S3_S3_PS1_ii ; -- Begin function _Z12wvSplitK_hf_I14__hip_bfloat16Li64ELi2ELi16ELi8ELi2ELi5EEviiiiiiPKT_S3_S3_PS1_ii
	.globl	_Z12wvSplitK_hf_I14__hip_bfloat16Li64ELi2ELi16ELi8ELi2ELi5EEviiiiiiPKT_S3_S3_PS1_ii
	.p2align	8
	.type	_Z12wvSplitK_hf_I14__hip_bfloat16Li64ELi2ELi16ELi8ELi2ELi5EEviiiiiiPKT_S3_S3_PS1_ii,@function
_Z12wvSplitK_hf_I14__hip_bfloat16Li64ELi2ELi16ELi8ELi2ELi5EEviiiiiiPKT_S3_S3_PS1_ii: ; @_Z12wvSplitK_hf_I14__hip_bfloat16Li64ELi2ELi16ELi8ELi2ELi5EEviiiiiiPKT_S3_S3_PS1_ii
; %bb.0:
	s_clause 0x1
	s_load_b64 s[18:19], s[0:1], 0x38
	s_load_b128 s[4:7], s[0:1], 0x0
	v_bfe_u32 v3, v0, 10, 10
	s_clause 0x1
	s_load_b64 s[8:9], s[0:1], 0x20
	s_load_b64 s[10:11], s[0:1], 0x10
	s_mov_b32 s12, 1
	s_delay_alu instid0(SALU_CYCLE_1) | instskip(NEXT) | instid1(SALU_CYCLE_1)
	s_mov_b32 s13, s12
	v_dual_mov_b32 v57, s13 :: v_dual_mov_b32 v56, s12
	s_waitcnt lgkmcnt(0)
	s_mul_i32 s15, s15, s18
	s_delay_alu instid0(SALU_CYCLE_1) | instskip(NEXT) | instid1(VALU_DEP_1)
	v_add_lshl_u32 v58, s15, v3, 1
	v_add_nc_u32_e32 v1, 2, v58
	v_cmp_gt_u32_e32 vcc_lo, s7, v58
	s_delay_alu instid0(VALU_DEP_2) | instskip(NEXT) | instid1(VALU_DEP_1)
	v_cmp_le_u32_e64 s2, s7, v1
	s_and_b32 s2, vcc_lo, s2
	s_delay_alu instid0(SALU_CYCLE_1)
	s_and_saveexec_b32 s14, s2
	s_cbranch_execz .LBB297_6
; %bb.1:
	v_dual_mov_b32 v57, s13 :: v_dual_mov_b32 v56, s12
	s_add_i32 s15, s7, -2
	s_mov_b32 s16, exec_lo
	v_cmpx_ne_u32_e64 s15, v58
	s_cbranch_execz .LBB297_5
; %bb.2:
	v_subrev_nc_u32_e32 v1, s15, v58
	s_mov_b32 s2, 1
	s_mov_b32 s17, 0
	s_mov_b64 s[12:13], 0
	s_mov_b32 s3, s2
	v_cmp_lt_u32_e32 vcc_lo, 1, v1
	v_cndmask_b32_e32 v1, 1, v1, vcc_lo
.LBB297_3:                              ; =>This Inner Loop Header: Depth=1
	s_cmp_lg_u32 s12, 1
	s_cselect_b32 s3, s3, 0
	s_cmp_lg_u32 s12, 0
	s_cselect_b32 s2, s2, 0
	s_add_u32 s12, s12, 1
	v_dual_mov_b32 v57, s3 :: v_dual_mov_b32 v56, s2
	v_cmp_eq_u32_e32 vcc_lo, s12, v1
	s_addc_u32 s13, s13, 0
	s_or_b32 s17, vcc_lo, s17
	s_delay_alu instid0(SALU_CYCLE_1)
	s_and_not1_b32 exec_lo, exec_lo, s17
	s_cbranch_execnz .LBB297_3
; %bb.4:
	s_or_b32 exec_lo, exec_lo, s17
	v_mov_b32_e32 v58, s15
.LBB297_5:
	s_or_b32 exec_lo, exec_lo, s16
.LBB297_6:
	s_delay_alu instid0(SALU_CYCLE_1)
	s_or_b32 exec_lo, exec_lo, s14
	s_load_b64 s[12:13], s[0:1], 0x28
	v_and_b32_e32 v2, 0x3ff, v0
	s_mul_i32 s2, s6, 5
	s_mov_b32 s14, exec_lo
	s_min_u32 s3, s2, 0x8000
	s_delay_alu instid0(VALU_DEP_1) | instskip(NEXT) | instid1(VALU_DEP_1)
	v_lshlrev_b32_e32 v60, 3, v2
	v_lshl_add_u32 v4, v3, 9, v60
	s_delay_alu instid0(VALU_DEP_1)
	v_cmpx_gt_u32_e64 s3, v4
	s_cbranch_execz .LBB297_9
; %bb.7:
	v_lshlrev_b32_e32 v5, 10, v3
	v_lshlrev_b32_e32 v6, 4, v2
	s_mov_b32 s15, 0
	s_delay_alu instid0(VALU_DEP_1) | instskip(NEXT) | instid1(VALU_DEP_1)
	v_add_co_u32 v0, s2, v5, v6
	v_add_co_ci_u32_e64 v1, null, 0, 0, s2
	v_add_nc_u32_e32 v5, v5, v6
	s_delay_alu instid0(VALU_DEP_3) | instskip(NEXT) | instid1(VALU_DEP_3)
	v_add_co_u32 v0, vcc_lo, s8, v0
	v_add_co_ci_u32_e32 v1, vcc_lo, s9, v1, vcc_lo
	.p2align	6
.LBB297_8:                              ; =>This Inner Loop Header: Depth=1
	global_load_b128 v[6:9], v[0:1], off
	v_add_nc_u32_e32 v4, 0x2000, v4
	v_add_co_u32 v0, vcc_lo, 0x4000, v0
	v_add_co_ci_u32_e32 v1, vcc_lo, 0, v1, vcc_lo
	s_delay_alu instid0(VALU_DEP_3) | instskip(NEXT) | instid1(VALU_DEP_1)
	v_cmp_le_u32_e64 s2, s3, v4
	s_or_b32 s15, s2, s15
	s_waitcnt vmcnt(0)
	ds_store_b128 v5, v[6:9]
	v_add_nc_u32_e32 v5, 0x4000, v5
	s_and_not1_b32 exec_lo, exec_lo, s15
	s_cbranch_execnz .LBB297_8
.LBB297_9:
	s_or_b32 exec_lo, exec_lo, s14
	v_cmp_gt_u32_e32 vcc_lo, s18, v3
	v_cmp_gt_u32_e64 s2, s7, v58
	s_waitcnt lgkmcnt(0)
	s_barrier
	buffer_gl0_inv
	s_and_b32 s2, vcc_lo, s2
	s_delay_alu instid0(SALU_CYCLE_1)
	s_and_saveexec_b32 s3, s2
	s_cbranch_execz .LBB297_128
; %bb.10:
	s_cmp_lg_u32 s4, 0
	s_clause 0x1
	s_load_b64 s[14:15], s[0:1], 0x18
	s_load_b64 s[16:17], s[0:1], 0x30
	s_cselect_b32 s3, -1, 0
	s_add_i32 s20, s4, -8
	s_add_i32 s21, s7, -1
	s_cmp_lg_u64 s[12:13], 0
	s_mul_i32 s0, s18, s19
	s_cselect_b32 s22, -1, 0
	s_abs_i32 s2, s11
	s_lshl_b32 s23, s0, 1
	v_cvt_f32_u32_e32 v0, s2
	s_sub_i32 s0, 0, s2
	v_cvt_f32_u32_e32 v3, s10
	s_add_i32 s24, s7, -2
	s_lshl_b32 s25, s6, 1
	v_rcp_iflag_f32_e32 v0, v0
	s_sub_i32 s18, 0, s10
	s_sub_i32 s19, 1, s2
	v_mbcnt_lo_u32_b32 v1, -1, 0
	v_mad_u64_u32 v[63:64], null, s6, 3, v[60:61]
	v_add_nc_u32_e32 v78, s6, v60
	v_lshlrev_b32_e32 v77, 4, v2
	v_add_nc_u32_e32 v79, s25, v60
	s_mov_b32 s11, 0
	s_waitcnt_depctr 0xfff
	v_mul_f32_e32 v0, 0x4f7ffffe, v0
	s_mul_i32 s31, s6, 6
	s_delay_alu instid0(VALU_DEP_1) | instskip(NEXT) | instid1(VALU_DEP_1)
	v_cvt_u32_f32_e32 v0, v0
	v_readfirstlane_b32 s1, v0
	v_rcp_iflag_f32_e32 v0, v3
	s_delay_alu instid0(VALU_DEP_1) | instskip(NEXT) | instid1(SALU_CYCLE_1)
	s_mul_i32 s0, s0, s1
	s_mul_hi_u32 s0, s1, s0
	s_delay_alu instid0(SALU_CYCLE_1)
	s_add_i32 s1, s1, s0
	s_cmp_lt_u32 s2, 2
	s_waitcnt_depctr 0xfff
	v_mul_f32_e32 v0, 0x4f7ffffe, v0
	s_cselect_b32 s19, s19, 1
	v_cmp_eq_u32_e64 s0, 63, v2
	s_sub_i32 s26, s19, s2
	s_cmp_ge_u32 s19, s2
	v_cvt_u32_f32_e32 v0, v0
	s_cselect_b32 s26, s26, s19
	s_lshr_b32 s19, s1, 31
	v_xor_b32_e32 v2, 16, v1
	s_mul_i32 s19, s19, s2
	v_mul_lo_u32 v3, s18, v0
	s_sub_i32 s19, 2, s19
	s_mul_i32 s26, s26, s10
	s_sub_i32 s27, s19, s2
	s_cmp_ge_u32 s19, s2
	v_cmp_gt_i32_e32 vcc_lo, 32, v2
	s_cselect_b32 s19, s27, s19
	s_mul_hi_u32 s27, s1, 3
	s_sub_i32 s28, s19, s2
	s_cmp_ge_u32 s19, s2
	s_mul_i32 s27, s27, s2
	s_cselect_b32 s19, s28, s19
	s_sub_i32 s27, 3, s27
	v_dual_mov_b32 v62, 0 :: v_dual_cndmask_b32 v1, v1, v2
	s_sub_i32 s18, s27, s2
	s_cmp_ge_u32 s27, s2
	v_mul_hi_u32 v2, v0, v3
	s_cselect_b32 s18, s18, s27
	v_lshlrev_b32_e32 v80, 2, v1
	s_sub_i32 s27, s18, s2
	s_cmp_ge_u32 s18, s2
	s_cselect_b32 s29, s27, s18
	s_lshr_b32 s1, s1, 30
	s_delay_alu instid0(VALU_DEP_2)
	v_add_nc_u32_e32 v81, v0, v2
	s_mul_i32 s1, s1, s2
	s_mul_i32 s27, s19, s10
	s_sub_i32 s1, 4, s1
	s_mul_i32 s29, s29, s10
	s_sub_i32 s18, s1, s2
	s_cmp_ge_u32 s1, s2
	s_cselect_b32 s1, s18, s1
	s_delay_alu instid0(SALU_CYCLE_1)
	s_sub_i32 s18, s1, s2
	s_cmp_ge_u32 s1, s2
	s_cselect_b32 s30, s18, s1
	s_lshl_b32 s28, s6, 2
	s_mul_i32 s30, s30, s10
	v_add_nc_u32_e32 v82, s28, v60
	s_lshl_b32 s6, s6, 3
	s_branch .LBB297_13
.LBB297_11:                             ;   in Loop: Header=BB297_13 Depth=1
	s_or_b32 exec_lo, exec_lo, s34
	v_mov_b32_e32 v58, s24
.LBB297_12:                             ;   in Loop: Header=BB297_13 Depth=1
	s_or_b32 exec_lo, exec_lo, s33
	s_delay_alu instid0(VALU_DEP_1) | instskip(SKIP_1) | instid1(SALU_CYCLE_1)
	v_cmp_le_u32_e32 vcc_lo, s7, v58
	s_or_b32 s11, vcc_lo, s11
	s_and_not1_b32 exec_lo, exec_lo, s11
	s_cbranch_execz .LBB297_128
.LBB297_13:                             ; =>This Loop Header: Depth=1
                                        ;     Child Loop BB297_18 Depth 2
                                        ;     Child Loop BB297_126 Depth 2
	v_dual_mov_b32 v59, v62 :: v_dual_add_nc_u32 v64, 1, v58
	v_mov_b32_e32 v83, v62
	v_mov_b32_e32 v84, v62
	;; [unrolled: 1-line block ×9, first 2 shown]
	s_and_not1_b32 vcc_lo, exec_lo, s3
	s_cbranch_vccnz .LBB297_60
; %bb.14:                               ;   in Loop: Header=BB297_13 Depth=1
	v_min_u32_e32 v0, s21, v58
	v_min_u32_e32 v2, s21, v64
	s_waitcnt lgkmcnt(0)
	v_dual_mov_b32 v1, v62 :: v_dual_mov_b32 v92, 0
	v_dual_mov_b32 v89, 0 :: v_dual_mov_b32 v88, 0
	v_mul_lo_u32 v61, v0, s5
	v_mul_lo_u32 v0, v2, s5
	v_dual_mov_b32 v85, v77 :: v_dual_mov_b32 v90, 0
	v_dual_mov_b32 v86, 0 :: v_dual_mov_b32 v91, 0
	;; [unrolled: 1-line block ×3, first 2 shown]
	v_lshlrev_b64 v[65:66], 1, v[61:62]
	v_lshlrev_b64 v[67:68], 1, v[0:1]
	v_mov_b32_e32 v83, 0
	v_mov_b32_e32 v59, 0
	s_mov_b32 s1, 0
	s_branch .LBB297_18
.LBB297_15:                             ;   in Loop: Header=BB297_18 Depth=2
	s_or_b32 exec_lo, exec_lo, s19
.LBB297_16:                             ;   in Loop: Header=BB297_18 Depth=2
	s_delay_alu instid0(SALU_CYCLE_1)
	s_or_b32 exec_lo, exec_lo, s18
.LBB297_17:                             ;   in Loop: Header=BB297_18 Depth=2
	s_delay_alu instid0(SALU_CYCLE_1)
	s_or_b32 exec_lo, exec_lo, s2
	s_waitcnt vmcnt(3)
	v_and_b32_e32 v61, 0xffff0000, v28
	v_and_b32_e32 v69, 0xffff0000, v29
	s_waitcnt vmcnt(0) lgkmcnt(0)
	v_lshlrev_b32_e32 v93, 16, v38
	v_and_b32_e32 v74, 0xffff0000, v37
	v_and_b32_e32 v71, 0xffff0000, v36
	;; [unrolled: 1-line block ×4, first 2 shown]
	s_addk_i32 s1, 0x400
	v_dual_mul_f32 v72, v74, v69 :: v_dual_lshlrev_b32 v73, 16, v36
	v_mul_f32_e32 v70, v71, v61
	v_lshlrev_b32_e32 v75, 16, v37
	v_and_b32_e32 v37, 0xffff0000, v30
	v_lshlrev_b32_e32 v36, 16, v28
	v_lshlrev_b32_e32 v38, 16, v20
	s_cmp_ge_u32 s1, s4
	s_delay_alu instid0(VALU_DEP_2) | instskip(SKIP_2) | instid1(VALU_DEP_3)
	v_dual_fmac_f32 v70, v73, v36 :: v_dual_add_nc_u32 v85, 0x800, v85
	v_and_b32_e32 v96, 0xffff0000, v39
	v_lshlrev_b32_e32 v28, 16, v30
	v_add_f32_e32 v30, v89, v70
	v_dual_mul_f32 v89, v76, v37 :: v_dual_and_b32 v70, 0xffff0000, v20
	v_lshlrev_b32_e32 v20, 16, v21
	v_lshlrev_b32_e32 v55, 16, v55
	s_delay_alu instid0(VALU_DEP_3)
	v_mul_f32_e32 v95, v71, v70
	v_and_b32_e32 v71, 0xffff0000, v21
	v_fmac_f32_e32 v89, v93, v28
	v_lshlrev_b32_e32 v21, 16, v22
	v_lshlrev_b32_e32 v97, 16, v39
	v_fmac_f32_e32 v95, v73, v38
	v_lshlrev_b32_e32 v29, 16, v29
	v_mul_f32_e32 v39, v74, v71
	s_delay_alu instid0(VALU_DEP_3) | instskip(NEXT) | instid1(VALU_DEP_3)
	v_add_f32_e32 v74, v92, v95
	v_fmac_f32_e32 v72, v75, v29
	s_delay_alu instid0(VALU_DEP_3) | instskip(NEXT) | instid1(VALU_DEP_2)
	v_fmac_f32_e32 v39, v75, v20
	v_add_f32_e32 v94, v30, v72
	v_and_b32_e32 v72, 0xffff0000, v31
	s_delay_alu instid0(VALU_DEP_3) | instskip(SKIP_1) | instid1(VALU_DEP_4)
	v_dual_add_f32 v39, v74, v39 :: v_dual_and_b32 v30, 0xffff0000, v22
	v_and_b32_e32 v74, 0xffff0000, v17
	v_add_f32_e32 v75, v94, v89
	s_delay_alu instid0(VALU_DEP_4) | instskip(NEXT) | instid1(VALU_DEP_4)
	v_mul_f32_e32 v73, v96, v72
	v_mul_f32_e32 v22, v76, v30
	v_and_b32_e32 v76, 0xffff0000, v52
	v_lshlrev_b32_e32 v92, 16, v52
	v_lshlrev_b32_e32 v95, 16, v53
	;; [unrolled: 1-line block ×4, first 2 shown]
	s_delay_alu instid0(VALU_DEP_1) | instskip(NEXT) | instid1(VALU_DEP_1)
	v_fmac_f32_e32 v73, v97, v31
	v_add_f32_e32 v75, v75, v73
	v_and_b32_e32 v73, 0xffff0000, v16
	s_delay_alu instid0(VALU_DEP_1) | instskip(SKIP_1) | instid1(VALU_DEP_1)
	v_mul_f32_e32 v16, v76, v73
	v_fmac_f32_e32 v22, v93, v21
	v_add_f32_e32 v89, v39, v22
	v_and_b32_e32 v39, 0xffff0000, v23
	v_lshlrev_b32_e32 v22, 16, v23
	v_lshlrev_b32_e32 v23, 16, v17
	s_delay_alu instid0(VALU_DEP_3) | instskip(SKIP_1) | instid1(VALU_DEP_2)
	v_dual_mul_f32 v94, v96, v39 :: v_dual_and_b32 v17, 0xffff0000, v18
	v_and_b32_e32 v96, 0xffff0000, v54
	v_fmac_f32_e32 v94, v97, v22
	s_delay_alu instid0(VALU_DEP_2) | instskip(SKIP_1) | instid1(VALU_DEP_3)
	v_dual_mul_f32 v98, v96, v17 :: v_dual_lshlrev_b32 v97, 16, v54
	v_and_b32_e32 v93, 0xffff0000, v53
	v_dual_add_f32 v89, v89, v94 :: v_dual_and_b32 v54, 0xffff0000, v8
	s_delay_alu instid0(VALU_DEP_2) | instskip(NEXT) | instid1(VALU_DEP_1)
	v_mul_f32_e32 v53, v93, v74
	v_dual_mul_f32 v76, v76, v54 :: v_dual_fmac_f32 v53, v95, v23
	v_fmac_f32_e32 v16, v92, v52
	s_delay_alu instid0(VALU_DEP_1) | instskip(NEXT) | instid1(VALU_DEP_1)
	v_dual_add_f32 v75, v75, v16 :: v_dual_lshlrev_b32 v16, 16, v18
	v_add_f32_e32 v94, v75, v53
	v_and_b32_e32 v75, 0xffff0000, v9
	v_lshlrev_b32_e32 v9, 16, v9
	v_lshlrev_b32_e32 v53, 16, v8
	s_delay_alu instid0(VALU_DEP_1) | instskip(SKIP_3) | instid1(VALU_DEP_3)
	v_fmac_f32_e32 v76, v92, v53
	v_fmac_f32_e32 v98, v97, v16
	v_and_b32_e32 v18, 0xffff0000, v19
	v_mul_f32_e32 v92, v93, v75
	v_dual_add_f32 v76, v89, v76 :: v_dual_add_f32 v89, v94, v98
	s_delay_alu instid0(VALU_DEP_3) | instskip(NEXT) | instid1(VALU_DEP_3)
	v_dual_mul_f32 v93, v99, v18 :: v_dual_lshlrev_b32 v8, 16, v19
	v_fmac_f32_e32 v92, v95, v9
	s_delay_alu instid0(VALU_DEP_2) | instskip(NEXT) | instid1(VALU_DEP_2)
	v_fmac_f32_e32 v93, v55, v8
	v_add_f32_e32 v76, v76, v92
	v_lshlrev_b32_e32 v92, 16, v24
	v_and_b32_e32 v19, 0xffff0000, v10
	s_delay_alu instid0(VALU_DEP_4) | instskip(NEXT) | instid1(VALU_DEP_2)
	v_dual_add_f32 v89, v89, v93 :: v_dual_lshlrev_b32 v10, 16, v10
	v_dual_mul_f32 v95, v96, v19 :: v_dual_and_b32 v94, 0xffff0000, v24
	s_delay_alu instid0(VALU_DEP_1) | instskip(SKIP_1) | instid1(VALU_DEP_1)
	v_dual_fmac_f32 v95, v97, v10 :: v_dual_mul_f32 v96, v94, v61
	v_dual_mul_f32 v94, v94, v70 :: v_dual_and_b32 v97, 0xffff0000, v25
	v_dual_add_f32 v76, v76, v95 :: v_dual_mul_f32 v93, v97, v69
	s_delay_alu instid0(VALU_DEP_3) | instskip(SKIP_1) | instid1(VALU_DEP_2)
	v_fmac_f32_e32 v96, v92, v36
	v_and_b32_e32 v24, 0xffff0000, v11
	v_dual_add_f32 v88, v88, v96 :: v_dual_lshlrev_b32 v25, 16, v25
	s_delay_alu instid0(VALU_DEP_1) | instskip(SKIP_3) | instid1(VALU_DEP_4)
	v_dual_mul_f32 v98, v99, v24 :: v_dual_fmac_f32 v93, v25, v29
	v_and_b32_e32 v95, 0xffff0000, v26
	v_and_b32_e32 v99, 0xffff0000, v27
	v_lshlrev_b32_e32 v26, 16, v26
	v_dual_add_f32 v88, v88, v93 :: v_dual_lshlrev_b32 v27, 16, v27
	s_delay_alu instid0(VALU_DEP_4) | instskip(NEXT) | instid1(VALU_DEP_4)
	v_dual_mul_f32 v96, v95, v37 :: v_dual_lshlrev_b32 v11, 16, v11
	v_dual_mul_f32 v93, v99, v72 :: v_dual_fmac_f32 v94, v92, v38
	v_mul_f32_e32 v92, v97, v71
	s_delay_alu instid0(VALU_DEP_3) | instskip(NEXT) | instid1(VALU_DEP_3)
	v_fmac_f32_e32 v98, v55, v11
	v_dual_fmac_f32 v96, v26, v28 :: v_dual_fmac_f32 v93, v27, v31
	s_delay_alu instid0(VALU_DEP_4) | instskip(SKIP_1) | instid1(VALU_DEP_3)
	v_add_f32_e32 v90, v90, v94
	v_mul_f32_e32 v94, v95, v30
	v_dual_mul_f32 v95, v99, v39 :: v_dual_add_f32 v88, v88, v96
	v_and_b32_e32 v96, 0xffff0000, v48
	s_delay_alu instid0(VALU_DEP_3) | instskip(SKIP_1) | instid1(VALU_DEP_3)
	v_fmac_f32_e32 v94, v26, v21
	v_fmac_f32_e32 v92, v25, v20
	v_dual_mul_f32 v48, v96, v73 :: v_dual_lshlrev_b32 v25, 16, v48
	v_dual_fmac_f32 v95, v27, v22 :: v_dual_add_f32 v88, v88, v93
	v_and_b32_e32 v93, 0xffff0000, v49
	s_delay_alu instid0(VALU_DEP_4) | instskip(NEXT) | instid1(VALU_DEP_4)
	v_dual_add_f32 v90, v90, v92 :: v_dual_lshlrev_b32 v49, 16, v49
	v_fmac_f32_e32 v48, v25, v52
	v_and_b32_e32 v26, 0xffff0000, v50
	v_lshlrev_b32_e32 v50, 16, v50
	s_delay_alu instid0(VALU_DEP_4) | instskip(NEXT) | instid1(VALU_DEP_1)
	v_dual_add_f32 v55, v90, v94 :: v_dual_and_b32 v90, 0xffff0000, v12
	v_dual_add_f32 v55, v55, v95 :: v_dual_lshlrev_b32 v12, 16, v12
	v_add_f32_e32 v48, v88, v48
	v_mul_f32_e32 v88, v26, v17
	s_delay_alu instid0(VALU_DEP_1) | instskip(SKIP_1) | instid1(VALU_DEP_1)
	v_fmac_f32_e32 v88, v50, v16
	v_mul_f32_e32 v92, v93, v74
	v_fmac_f32_e32 v92, v49, v23
	s_delay_alu instid0(VALU_DEP_1) | instskip(SKIP_1) | instid1(VALU_DEP_1)
	v_add_f32_e32 v27, v48, v92
	v_mul_f32_e32 v48, v96, v54
	v_fmac_f32_e32 v48, v25, v53
	s_delay_alu instid0(VALU_DEP_1) | instskip(NEXT) | instid1(VALU_DEP_1)
	v_dual_mul_f32 v25, v93, v75 :: v_dual_add_f32 v48, v55, v48
	v_dual_fmac_f32 v25, v49, v9 :: v_dual_mul_f32 v26, v26, v19
	v_mul_f32_e32 v49, v90, v61
	v_and_b32_e32 v55, 0xffff0000, v13
	v_lshlrev_b32_e32 v13, 16, v13
	s_delay_alu instid0(VALU_DEP_4) | instskip(NEXT) | instid1(VALU_DEP_4)
	v_dual_add_f32 v25, v48, v25 :: v_dual_fmac_f32 v26, v50, v10
	v_fmac_f32_e32 v49, v12, v36
	v_add_f32_e32 v92, v76, v98
	s_delay_alu instid0(VALU_DEP_3) | instskip(NEXT) | instid1(VALU_DEP_3)
	v_dual_mul_f32 v48, v55, v69 :: v_dual_add_f32 v25, v25, v26
	v_add_f32_e32 v26, v86, v49
	v_dual_mul_f32 v86, v90, v70 :: v_dual_add_f32 v27, v27, v88
	s_delay_alu instid0(VALU_DEP_3) | instskip(NEXT) | instid1(VALU_DEP_2)
	v_fmac_f32_e32 v48, v13, v29
	v_fmac_f32_e32 v86, v12, v38
	v_and_b32_e32 v76, 0xffff0000, v51
	v_lshlrev_b32_e32 v51, 16, v51
	v_mul_f32_e32 v12, v55, v71
	s_delay_alu instid0(VALU_DEP_4) | instskip(NEXT) | instid1(VALU_DEP_4)
	v_add_f32_e32 v55, v91, v86
	v_mul_f32_e32 v88, v76, v18
	v_mul_f32_e32 v50, v76, v24
	s_delay_alu instid0(VALU_DEP_4) | instskip(SKIP_1) | instid1(VALU_DEP_4)
	v_fmac_f32_e32 v12, v13, v20
	v_and_b32_e32 v76, 0xffff0000, v15
	v_dual_fmac_f32 v88, v51, v8 :: v_dual_lshlrev_b32 v15, 16, v15
	v_lshlrev_b32_e32 v13, 16, v44
	s_delay_alu instid0(VALU_DEP_4) | instskip(NEXT) | instid1(VALU_DEP_3)
	v_add_f32_e32 v12, v55, v12
	v_dual_add_f32 v88, v27, v88 :: v_dual_and_b32 v27, 0xffff0000, v14
	s_delay_alu instid0(VALU_DEP_1) | instskip(SKIP_1) | instid1(VALU_DEP_2)
	v_dual_mul_f32 v49, v27, v37 :: v_dual_lshlrev_b32 v14, 16, v14
	v_mul_f32_e32 v27, v27, v30
	v_fmac_f32_e32 v49, v14, v28
	s_delay_alu instid0(VALU_DEP_2) | instskip(NEXT) | instid1(VALU_DEP_1)
	v_fmac_f32_e32 v27, v14, v21
	v_add_f32_e32 v12, v12, v27
	v_dual_add_f32 v26, v26, v48 :: v_dual_lshlrev_b32 v27, 16, v47
	v_mul_f32_e32 v48, v76, v72
	v_mul_f32_e32 v76, v76, v39
	s_delay_alu instid0(VALU_DEP_3) | instskip(NEXT) | instid1(VALU_DEP_3)
	v_dual_add_f32 v26, v26, v49 :: v_dual_and_b32 v49, 0xffff0000, v44
	v_fmac_f32_e32 v48, v15, v31
	s_delay_alu instid0(VALU_DEP_3) | instskip(NEXT) | instid1(VALU_DEP_3)
	v_fmac_f32_e32 v76, v15, v22
	v_mul_f32_e32 v44, v49, v73
	s_delay_alu instid0(VALU_DEP_3) | instskip(SKIP_1) | instid1(VALU_DEP_4)
	v_add_f32_e32 v26, v26, v48
	v_and_b32_e32 v48, 0xffff0000, v45
	v_dual_add_f32 v12, v12, v76 :: v_dual_lshlrev_b32 v45, 16, v45
	s_delay_alu instid0(VALU_DEP_2) | instskip(NEXT) | instid1(VALU_DEP_1)
	v_dual_fmac_f32 v44, v13, v52 :: v_dual_mul_f32 v55, v48, v74
	v_add_f32_e32 v26, v26, v44
	s_delay_alu instid0(VALU_DEP_2) | instskip(NEXT) | instid1(VALU_DEP_1)
	v_dual_fmac_f32 v55, v45, v23 :: v_dual_lshlrev_b32 v44, 16, v46
	v_dual_add_f32 v15, v26, v55 :: v_dual_mul_f32 v26, v49, v54
	s_delay_alu instid0(VALU_DEP_1) | instskip(NEXT) | instid1(VALU_DEP_1)
	v_dual_fmac_f32 v26, v13, v53 :: v_dual_mul_f32 v13, v48, v75
	v_dual_add_f32 v12, v12, v26 :: v_dual_fmac_f32 v13, v45, v9
	v_and_b32_e32 v45, 0xffff0000, v5
	v_lshlrev_b32_e32 v5, 16, v5
	v_and_b32_e32 v14, 0xffff0000, v46
	v_fmac_f32_e32 v50, v51, v11
	v_add_f32_e32 v12, v12, v13
	v_mul_f32_e32 v13, v45, v69
	s_delay_alu instid0(VALU_DEP_4) | instskip(NEXT) | instid1(VALU_DEP_4)
	v_mul_f32_e32 v46, v14, v17
	v_dual_add_f32 v90, v25, v50 :: v_dual_and_b32 v25, 0xffff0000, v47
	v_and_b32_e32 v47, 0xffff0000, v4
	v_lshlrev_b32_e32 v4, 16, v4
	s_delay_alu instid0(VALU_DEP_4) | instskip(NEXT) | instid1(VALU_DEP_3)
	v_dual_fmac_f32 v46, v44, v16 :: v_dual_fmac_f32 v13, v5, v29
	v_mul_f32_e32 v26, v47, v61
	s_delay_alu instid0(VALU_DEP_2) | instskip(SKIP_2) | instid1(VALU_DEP_4)
	v_add_f32_e32 v15, v15, v46
	v_mul_f32_e32 v46, v25, v18
	v_mul_f32_e32 v25, v25, v24
	v_fmac_f32_e32 v26, v4, v36
	s_delay_alu instid0(VALU_DEP_3) | instskip(NEXT) | instid1(VALU_DEP_3)
	v_fmac_f32_e32 v46, v27, v8
	v_fmac_f32_e32 v25, v27, v11
	v_and_b32_e32 v27, 0xffff0000, v0
	v_lshlrev_b32_e32 v0, 16, v0
	v_mul_f32_e32 v14, v14, v19
	v_add_f32_e32 v86, v15, v46
	v_and_b32_e32 v15, 0xffff0000, v6
	v_lshlrev_b32_e32 v6, 16, v6
	s_delay_alu instid0(VALU_DEP_4) | instskip(SKIP_1) | instid1(VALU_DEP_2)
	v_fmac_f32_e32 v14, v44, v10
	v_mul_f32_e32 v44, v47, v70
	v_add_f32_e32 v12, v12, v14
	v_add_f32_e32 v14, v87, v26
	v_mul_f32_e32 v26, v15, v37
	s_delay_alu instid0(VALU_DEP_4) | instskip(NEXT) | instid1(VALU_DEP_3)
	v_fmac_f32_e32 v44, v4, v38
	v_dual_add_f32 v13, v14, v13 :: v_dual_lshlrev_b32 v4, 16, v7
	v_and_b32_e32 v14, 0xffff0000, v7
	s_delay_alu instid0(VALU_DEP_4) | instskip(NEXT) | instid1(VALU_DEP_2)
	v_dual_fmac_f32 v26, v6, v28 :: v_dual_mul_f32 v7, v45, v71
	v_mul_f32_e32 v45, v14, v72
	s_delay_alu instid0(VALU_DEP_2) | instskip(SKIP_1) | instid1(VALU_DEP_4)
	v_dual_add_f32 v13, v13, v26 :: v_dual_add_f32 v26, v84, v44
	v_and_b32_e32 v44, 0xffff0000, v40
	v_fmac_f32_e32 v7, v5, v20
	v_mul_f32_e32 v5, v15, v30
	v_fmac_f32_e32 v45, v4, v31
	s_delay_alu instid0(VALU_DEP_4) | instskip(NEXT) | instid1(VALU_DEP_4)
	v_dual_mul_f32 v40, v44, v73 :: v_dual_lshlrev_b32 v15, 16, v40
	v_dual_add_f32 v7, v26, v7 :: v_dual_and_b32 v26, 0xffff0000, v41
	s_delay_alu instid0(VALU_DEP_4) | instskip(NEXT) | instid1(VALU_DEP_4)
	v_fmac_f32_e32 v5, v6, v21
	v_add_f32_e32 v6, v13, v45
	s_delay_alu instid0(VALU_DEP_4) | instskip(NEXT) | instid1(VALU_DEP_4)
	v_dual_fmac_f32 v40, v15, v52 :: v_dual_lshlrev_b32 v13, 16, v41
	v_mul_f32_e32 v41, v26, v74
	s_delay_alu instid0(VALU_DEP_4) | instskip(SKIP_1) | instid1(VALU_DEP_3)
	v_add_f32_e32 v5, v7, v5
	v_dual_mul_f32 v14, v14, v39 :: v_dual_and_b32 v7, 0xffff0000, v42
	v_dual_add_f32 v6, v6, v40 :: v_dual_fmac_f32 v41, v13, v23
	v_lshlrev_b32_e32 v40, 16, v42
	s_delay_alu instid0(VALU_DEP_3) | instskip(NEXT) | instid1(VALU_DEP_1)
	v_mul_f32_e32 v42, v7, v17
	v_dual_mul_f32 v7, v7, v19 :: v_dual_fmac_f32 v42, v40, v16
	s_delay_alu instid0(VALU_DEP_1) | instskip(SKIP_2) | instid1(VALU_DEP_2)
	v_fmac_f32_e32 v7, v40, v10
	v_fmac_f32_e32 v14, v4, v22
	v_add_f32_e32 v4, v6, v41
	v_dual_add_f32 v5, v5, v14 :: v_dual_and_b32 v6, 0xffff0000, v43
	v_lshlrev_b32_e32 v14, 16, v43
	s_delay_alu instid0(VALU_DEP_3) | instskip(SKIP_3) | instid1(VALU_DEP_3)
	v_add_f32_e32 v4, v4, v42
	v_dual_mul_f32 v42, v44, v54 :: v_dual_mul_f32 v43, v27, v61
	v_and_b32_e32 v44, 0xffff0000, v1
	v_lshlrev_b32_e32 v1, 16, v1
	v_dual_fmac_f32 v42, v15, v53 :: v_dual_mul_f32 v15, v26, v75
	s_delay_alu instid0(VALU_DEP_4) | instskip(NEXT) | instid1(VALU_DEP_4)
	v_fmac_f32_e32 v43, v0, v36
	v_mul_f32_e32 v26, v44, v69
	v_and_b32_e32 v36, 0xffff0000, v2
	s_delay_alu instid0(VALU_DEP_4) | instskip(NEXT) | instid1(VALU_DEP_3)
	v_dual_fmac_f32 v15, v13, v9 :: v_dual_lshlrev_b32 v2, 16, v2
	v_dual_add_f32 v13, v83, v43 :: v_dual_fmac_f32 v26, v1, v29
	s_delay_alu instid0(VALU_DEP_3) | instskip(NEXT) | instid1(VALU_DEP_2)
	v_mul_f32_e32 v29, v36, v37
	v_add_f32_e32 v13, v13, v26
	s_delay_alu instid0(VALU_DEP_2) | instskip(SKIP_1) | instid1(VALU_DEP_2)
	v_dual_fmac_f32 v29, v2, v28 :: v_dual_mul_f32 v26, v27, v70
	v_add_f32_e32 v91, v12, v25
	v_fmac_f32_e32 v26, v0, v38
	s_delay_alu instid0(VALU_DEP_3) | instskip(NEXT) | instid1(VALU_DEP_1)
	v_dual_add_f32 v0, v13, v29 :: v_dual_mul_f32 v13, v44, v71
	v_dual_add_f32 v26, v59, v26 :: v_dual_fmac_f32 v13, v1, v20
	v_dual_mul_f32 v1, v36, v30 :: v_dual_lshlrev_b32 v20, 16, v32
	s_delay_alu instid0(VALU_DEP_2) | instskip(NEXT) | instid1(VALU_DEP_2)
	v_add_f32_e32 v13, v26, v13
	v_fmac_f32_e32 v1, v2, v21
	v_and_b32_e32 v26, 0xffff0000, v33
	s_delay_alu instid0(VALU_DEP_2) | instskip(SKIP_2) | instid1(VALU_DEP_1)
	v_add_f32_e32 v1, v13, v1
	v_lshlrev_b32_e32 v13, 16, v34
	v_add_f32_e32 v5, v5, v42
	v_add_f32_e32 v5, v5, v15
	v_and_b32_e32 v15, 0xffff0000, v3
	v_lshlrev_b32_e32 v3, 16, v3
	s_delay_alu instid0(VALU_DEP_3) | instskip(NEXT) | instid1(VALU_DEP_3)
	v_add_f32_e32 v5, v5, v7
	v_mul_f32_e32 v2, v15, v39
	v_mul_f32_e32 v27, v15, v72
	v_lshlrev_b32_e32 v15, 16, v33
	s_delay_alu instid0(VALU_DEP_3) | instskip(NEXT) | instid1(VALU_DEP_3)
	v_dual_mul_f32 v7, v26, v75 :: v_dual_fmac_f32 v2, v3, v22
	v_fmac_f32_e32 v27, v3, v31
	s_delay_alu instid0(VALU_DEP_2) | instskip(NEXT) | instid1(VALU_DEP_3)
	v_fmac_f32_e32 v7, v15, v9
	v_add_f32_e32 v1, v1, v2
	v_and_b32_e32 v2, 0xffff0000, v34
	s_delay_alu instid0(VALU_DEP_1) | instskip(NEXT) | instid1(VALU_DEP_1)
	v_dual_add_f32 v0, v0, v27 :: v_dual_mul_f32 v17, v2, v17
	v_dual_mul_f32 v2, v2, v19 :: v_dual_fmac_f32 v17, v13, v16
	s_delay_alu instid0(VALU_DEP_1) | instskip(SKIP_1) | instid1(VALU_DEP_1)
	v_fmac_f32_e32 v2, v13, v10
	v_and_b32_e32 v28, 0xffff0000, v32
	v_mul_f32_e32 v3, v28, v54
	s_delay_alu instid0(VALU_DEP_1) | instskip(SKIP_1) | instid1(VALU_DEP_2)
	v_fmac_f32_e32 v3, v20, v53
	v_mul_f32_e32 v41, v6, v18
	v_dual_mul_f32 v6, v6, v24 :: v_dual_add_f32 v1, v1, v3
	v_lshlrev_b32_e32 v3, 16, v35
	s_delay_alu instid0(VALU_DEP_3) | instskip(NEXT) | instid1(VALU_DEP_3)
	v_fmac_f32_e32 v41, v14, v8
	v_fmac_f32_e32 v6, v14, v11
	s_delay_alu instid0(VALU_DEP_4) | instskip(NEXT) | instid1(VALU_DEP_2)
	v_add_f32_e32 v1, v1, v7
	v_dual_add_f32 v87, v4, v41 :: v_dual_add_f32 v84, v5, v6
	s_delay_alu instid0(VALU_DEP_2) | instskip(SKIP_1) | instid1(VALU_DEP_1)
	v_add_f32_e32 v1, v1, v2
	v_mul_f32_e32 v27, v28, v73
	v_dual_fmac_f32 v27, v20, v52 :: v_dual_and_b32 v20, 0xffff0000, v35
	s_delay_alu instid0(VALU_DEP_1) | instskip(NEXT) | instid1(VALU_DEP_2)
	v_add_f32_e32 v0, v0, v27
	v_mul_f32_e32 v7, v20, v24
	v_mul_f32_e32 v9, v20, v18
	s_delay_alu instid0(VALU_DEP_2) | instskip(NEXT) | instid1(VALU_DEP_2)
	v_fmac_f32_e32 v7, v3, v11
	v_fmac_f32_e32 v9, v3, v8
	s_delay_alu instid0(VALU_DEP_2) | instskip(SKIP_1) | instid1(VALU_DEP_1)
	v_add_f32_e32 v59, v1, v7
	v_mul_f32_e32 v21, v26, v74
	v_fmac_f32_e32 v21, v15, v23
	s_delay_alu instid0(VALU_DEP_1) | instskip(NEXT) | instid1(VALU_DEP_1)
	v_add_f32_e32 v0, v0, v21
	v_add_f32_e32 v0, v0, v17
	s_delay_alu instid0(VALU_DEP_1)
	v_add_f32_e32 v83, v0, v9
	s_cbranch_scc1 .LBB297_60
.LBB297_18:                             ;   Parent Loop BB297_13 Depth=1
                                        ; =>  This Inner Loop Header: Depth=2
	v_dual_mov_b32 v35, 0 :: v_dual_add_nc_u32 v70, s1, v60
	v_dual_mov_b32 v33, 0 :: v_dual_mov_b32 v32, 0
	v_dual_mov_b32 v43, 0 :: v_dual_mov_b32 v42, 0
	s_delay_alu instid0(VALU_DEP_3) | instskip(SKIP_2) | instid1(VALU_DEP_3)
	v_min_u32_e32 v61, s20, v70
	v_dual_mov_b32 v34, 0 :: v_dual_add_nc_u32 v69, 0x200, v70
	v_dual_mov_b32 v41, 0 :: v_dual_mov_b32 v40, 0
	v_lshlrev_b64 v[0:1], 1, v[61:62]
	s_delay_alu instid0(VALU_DEP_3) | instskip(SKIP_3) | instid1(VALU_DEP_4)
	v_min_u32_e32 v61, s20, v69
	v_dual_mov_b32 v47, 0 :: v_dual_mov_b32 v46, 0
	v_dual_mov_b32 v45, 0 :: v_dual_mov_b32 v44, 0
	s_waitcnt lgkmcnt(0)
	v_add_co_u32 v4, vcc_lo, s14, v0
	v_add_co_ci_u32_e32 v5, vcc_lo, s15, v1, vcc_lo
	v_lshlrev_b64 v[0:1], 1, v[61:62]
	s_delay_alu instid0(VALU_DEP_3) | instskip(NEXT) | instid1(VALU_DEP_3)
	v_add_co_u32 v2, vcc_lo, v4, v65
	v_add_co_ci_u32_e32 v3, vcc_lo, v5, v66, vcc_lo
	v_dual_mov_b32 v51, 0 :: v_dual_mov_b32 v50, 0
	s_delay_alu instid0(VALU_DEP_4) | instskip(SKIP_3) | instid1(VALU_DEP_4)
	v_add_co_u32 v6, vcc_lo, s14, v0
	v_add_co_ci_u32_e32 v7, vcc_lo, s15, v1, vcc_lo
	v_add_co_u32 v0, vcc_lo, v4, v67
	v_add_co_ci_u32_e32 v1, vcc_lo, v5, v68, vcc_lo
	v_add_co_u32 v4, vcc_lo, v6, v65
	s_delay_alu instid0(VALU_DEP_4)
	v_add_co_ci_u32_e32 v5, vcc_lo, v7, v66, vcc_lo
	v_add_co_u32 v6, vcc_lo, v6, v67
	v_add_co_ci_u32_e32 v7, vcc_lo, v7, v68, vcc_lo
	s_clause 0x3
	global_load_b128 v[28:31], v[2:3], off slc dlc
	global_load_b128 v[20:23], v[0:1], off slc dlc
	;; [unrolled: 1-line block ×4, first 2 shown]
	v_cmp_gt_u32_e32 vcc_lo, s4, v70
	v_dual_mov_b32 v49, 0 :: v_dual_mov_b32 v48, 0
	v_dual_mov_b32 v55, 0 :: v_dual_mov_b32 v54, 0
	;; [unrolled: 1-line block ×7, first 2 shown]
	s_waitcnt vmcnt(5)
	v_dual_mov_b32 v15, 0 :: v_dual_mov_b32 v14, 0
	v_dual_mov_b32 v13, 0 :: v_dual_mov_b32 v12, 0
	v_dual_mov_b32 v27, 0 :: v_dual_mov_b32 v26, 0
	v_dual_mov_b32 v25, 0 :: v_dual_mov_b32 v24, 0
	v_dual_mov_b32 v39, 0 :: v_dual_mov_b32 v38, 0
	v_dual_mov_b32 v37, 0 :: v_dual_mov_b32 v36, 0
	s_and_saveexec_b32 s2, vcc_lo
	s_cbranch_execz .LBB297_17
; %bb.19:                               ;   in Loop: Header=BB297_18 Depth=2
	s_mov_b32 s18, exec_lo
                                        ; implicit-def: $vgpr39
	v_cmpx_lt_u32_e32 0x7fff, v70
	s_xor_b32 s18, exec_lo, s18
	s_cbranch_execz .LBB297_21
; %bb.20:                               ;   in Loop: Header=BB297_18 Depth=2
	v_mov_b32_e32 v71, v62
	s_delay_alu instid0(VALU_DEP_1) | instskip(NEXT) | instid1(VALU_DEP_1)
	v_lshlrev_b64 v[0:1], 1, v[70:71]
	v_add_co_u32 v0, vcc_lo, s8, v0
	s_delay_alu instid0(VALU_DEP_2)
	v_add_co_ci_u32_e32 v1, vcc_lo, s9, v1, vcc_lo
	global_load_b128 v[36:39], v[0:1], off
.LBB297_21:                             ;   in Loop: Header=BB297_18 Depth=2
	s_and_not1_saveexec_b32 s18, s18
	s_cbranch_execz .LBB297_23
; %bb.22:                               ;   in Loop: Header=BB297_18 Depth=2
	s_waitcnt vmcnt(0)
	ds_load_b128 v[36:39], v85
.LBB297_23:                             ;   in Loop: Header=BB297_18 Depth=2
	s_or_b32 exec_lo, exec_lo, s18
	v_add_nc_u32_e32 v61, s1, v78
	s_mov_b32 s18, exec_lo
                                        ; implicit-def: $vgpr27
	s_delay_alu instid0(VALU_DEP_1)
	v_cmpx_lt_u32_e32 0x7fff, v61
	s_xor_b32 s18, exec_lo, s18
	s_cbranch_execz .LBB297_25
; %bb.24:                               ;   in Loop: Header=BB297_18 Depth=2
	v_lshlrev_b64 v[0:1], 1, v[61:62]
	s_delay_alu instid0(VALU_DEP_1) | instskip(NEXT) | instid1(VALU_DEP_2)
	v_add_co_u32 v0, vcc_lo, s8, v0
	v_add_co_ci_u32_e32 v1, vcc_lo, s9, v1, vcc_lo
	global_load_b128 v[24:27], v[0:1], off
.LBB297_25:                             ;   in Loop: Header=BB297_18 Depth=2
	s_and_not1_saveexec_b32 s18, s18
	s_cbranch_execz .LBB297_27
; %bb.26:                               ;   in Loop: Header=BB297_18 Depth=2
	v_add_nc_u32_e32 v0, s25, v85
	s_waitcnt vmcnt(0)
	ds_load_b128 v[24:27], v0
.LBB297_27:                             ;   in Loop: Header=BB297_18 Depth=2
	s_or_b32 exec_lo, exec_lo, s18
	v_add_nc_u32_e32 v75, s1, v79
	s_mov_b32 s18, exec_lo
                                        ; implicit-def: $vgpr15
	s_delay_alu instid0(VALU_DEP_1)
	v_cmpx_lt_u32_e32 0x7fff, v75
	s_xor_b32 s18, exec_lo, s18
	s_cbranch_execz .LBB297_29
; %bb.28:                               ;   in Loop: Header=BB297_18 Depth=2
	v_mov_b32_e32 v76, v62
	s_delay_alu instid0(VALU_DEP_1) | instskip(NEXT) | instid1(VALU_DEP_1)
	v_lshlrev_b64 v[0:1], 1, v[75:76]
	v_add_co_u32 v0, vcc_lo, s8, v0
	s_delay_alu instid0(VALU_DEP_2)
	v_add_co_ci_u32_e32 v1, vcc_lo, s9, v1, vcc_lo
	global_load_b128 v[12:15], v[0:1], off
.LBB297_29:                             ;   in Loop: Header=BB297_18 Depth=2
	s_and_not1_saveexec_b32 s18, s18
	s_cbranch_execz .LBB297_31
; %bb.30:                               ;   in Loop: Header=BB297_18 Depth=2
	v_add_nc_u32_e32 v0, s28, v85
	s_waitcnt vmcnt(0)
	ds_load_2addr_b32 v[12:13], v0 offset1:1
	ds_load_2addr_b32 v[14:15], v0 offset0:2 offset1:3
.LBB297_31:                             ;   in Loop: Header=BB297_18 Depth=2
	s_or_b32 exec_lo, exec_lo, s18
	v_add_nc_u32_e32 v73, s1, v63
	s_mov_b32 s18, exec_lo
                                        ; implicit-def: $vgpr7
	s_delay_alu instid0(VALU_DEP_1)
	v_cmpx_lt_u32_e32 0x7fff, v73
	s_xor_b32 s18, exec_lo, s18
	s_cbranch_execz .LBB297_33
; %bb.32:                               ;   in Loop: Header=BB297_18 Depth=2
	v_mov_b32_e32 v74, v62
	s_delay_alu instid0(VALU_DEP_1) | instskip(NEXT) | instid1(VALU_DEP_1)
	v_lshlrev_b64 v[0:1], 1, v[73:74]
	v_add_co_u32 v0, vcc_lo, s8, v0
	s_delay_alu instid0(VALU_DEP_2)
	v_add_co_ci_u32_e32 v1, vcc_lo, s9, v1, vcc_lo
	global_load_b128 v[4:7], v[0:1], off
.LBB297_33:                             ;   in Loop: Header=BB297_18 Depth=2
	s_and_not1_saveexec_b32 s18, s18
	s_cbranch_execz .LBB297_35
; %bb.34:                               ;   in Loop: Header=BB297_18 Depth=2
	v_add_nc_u32_e32 v0, s31, v85
	s_waitcnt vmcnt(0)
	ds_load_b128 v[4:7], v0
.LBB297_35:                             ;   in Loop: Header=BB297_18 Depth=2
	s_or_b32 exec_lo, exec_lo, s18
	v_add_nc_u32_e32 v71, s1, v82
	s_mov_b32 s18, exec_lo
                                        ; implicit-def: $vgpr3
	s_delay_alu instid0(VALU_DEP_1)
	v_cmpx_lt_u32_e32 0x7fff, v71
	s_xor_b32 s18, exec_lo, s18
	s_cbranch_execz .LBB297_37
; %bb.36:                               ;   in Loop: Header=BB297_18 Depth=2
	v_mov_b32_e32 v72, v62
	s_delay_alu instid0(VALU_DEP_1) | instskip(NEXT) | instid1(VALU_DEP_1)
	v_lshlrev_b64 v[0:1], 1, v[71:72]
	v_add_co_u32 v0, vcc_lo, s8, v0
	s_delay_alu instid0(VALU_DEP_2)
	v_add_co_ci_u32_e32 v1, vcc_lo, s9, v1, vcc_lo
	global_load_b128 v[0:3], v[0:1], off
.LBB297_37:                             ;   in Loop: Header=BB297_18 Depth=2
	s_and_not1_saveexec_b32 s18, s18
	s_cbranch_execz .LBB297_39
; %bb.38:                               ;   in Loop: Header=BB297_18 Depth=2
	s_waitcnt vmcnt(0)
	v_add_nc_u32_e32 v0, s6, v85
	ds_load_2addr_b64 v[0:3], v0 offset1:1
.LBB297_39:                             ;   in Loop: Header=BB297_18 Depth=2
	s_or_b32 exec_lo, exec_lo, s18
	v_cmp_gt_u32_e32 vcc_lo, s4, v69
	v_dual_mov_b32 v35, 0 :: v_dual_mov_b32 v34, 0
	v_dual_mov_b32 v33, 0 :: v_dual_mov_b32 v32, 0
	;; [unrolled: 1-line block ×10, first 2 shown]
	s_and_saveexec_b32 s18, vcc_lo
	s_cbranch_execz .LBB297_16
; %bb.40:                               ;   in Loop: Header=BB297_18 Depth=2
	s_mov_b32 s19, exec_lo
                                        ; implicit-def: $vgpr55
	v_cmpx_lt_u32_e32 0x7fff, v69
	s_xor_b32 s19, exec_lo, s19
	s_cbranch_execz .LBB297_42
; %bb.41:                               ;   in Loop: Header=BB297_18 Depth=2
	v_mov_b32_e32 v70, v62
	s_delay_alu instid0(VALU_DEP_1) | instskip(NEXT) | instid1(VALU_DEP_1)
	v_lshlrev_b64 v[32:33], 1, v[69:70]
	v_add_co_u32 v32, vcc_lo, s8, v32
	s_delay_alu instid0(VALU_DEP_2)
	v_add_co_ci_u32_e32 v33, vcc_lo, s9, v33, vcc_lo
	global_load_b128 v[52:55], v[32:33], off
.LBB297_42:                             ;   in Loop: Header=BB297_18 Depth=2
	s_and_not1_saveexec_b32 s19, s19
	s_cbranch_execz .LBB297_44
; %bb.43:                               ;   in Loop: Header=BB297_18 Depth=2
	s_waitcnt vmcnt(0)
	ds_load_b128 v[52:55], v85 offset:1024
.LBB297_44:                             ;   in Loop: Header=BB297_18 Depth=2
	s_or_b32 exec_lo, exec_lo, s19
	v_add_nc_u32_e32 v61, 0x200, v61
	s_mov_b32 s19, exec_lo
                                        ; implicit-def: $vgpr51
	s_delay_alu instid0(VALU_DEP_1)
	v_cmpx_lt_u32_e32 0x7fff, v61
	s_xor_b32 s19, exec_lo, s19
	s_cbranch_execz .LBB297_46
; %bb.45:                               ;   in Loop: Header=BB297_18 Depth=2
	v_lshlrev_b64 v[32:33], 1, v[61:62]
	s_delay_alu instid0(VALU_DEP_1) | instskip(NEXT) | instid1(VALU_DEP_2)
	v_add_co_u32 v32, vcc_lo, s8, v32
	v_add_co_ci_u32_e32 v33, vcc_lo, s9, v33, vcc_lo
	global_load_b128 v[48:51], v[32:33], off
.LBB297_46:                             ;   in Loop: Header=BB297_18 Depth=2
	s_and_not1_saveexec_b32 s19, s19
	s_cbranch_execz .LBB297_48
; %bb.47:                               ;   in Loop: Header=BB297_18 Depth=2
	v_add_nc_u32_e32 v32, s25, v85
	s_waitcnt vmcnt(0)
	ds_load_b128 v[48:51], v32 offset:1024
.LBB297_48:                             ;   in Loop: Header=BB297_18 Depth=2
	s_or_b32 exec_lo, exec_lo, s19
	v_add_nc_u32_e32 v61, 0x200, v75
	s_mov_b32 s19, exec_lo
                                        ; implicit-def: $vgpr47
	s_delay_alu instid0(VALU_DEP_1)
	v_cmpx_lt_u32_e32 0x7fff, v61
	s_xor_b32 s19, exec_lo, s19
	s_cbranch_execz .LBB297_50
; %bb.49:                               ;   in Loop: Header=BB297_18 Depth=2
	v_lshlrev_b64 v[32:33], 1, v[61:62]
	s_delay_alu instid0(VALU_DEP_1) | instskip(NEXT) | instid1(VALU_DEP_2)
	v_add_co_u32 v32, vcc_lo, s8, v32
	v_add_co_ci_u32_e32 v33, vcc_lo, s9, v33, vcc_lo
	global_load_b128 v[44:47], v[32:33], off
.LBB297_50:                             ;   in Loop: Header=BB297_18 Depth=2
	s_and_not1_saveexec_b32 s19, s19
	s_cbranch_execz .LBB297_52
; %bb.51:                               ;   in Loop: Header=BB297_18 Depth=2
	v_add_nc_u32_e32 v32, s28, v85
	s_delay_alu instid0(VALU_DEP_1)
	v_add_nc_u32_e32 v33, 0x400, v32
	v_add_nc_u32_e32 v32, 0x408, v32
	s_waitcnt vmcnt(0)
	ds_load_2addr_b32 v[44:45], v33 offset1:1
	ds_load_2addr_b32 v[46:47], v32 offset1:1
.LBB297_52:                             ;   in Loop: Header=BB297_18 Depth=2
	s_or_b32 exec_lo, exec_lo, s19
	v_add_nc_u32_e32 v61, 0x200, v73
	s_mov_b32 s19, exec_lo
                                        ; implicit-def: $vgpr43
	s_delay_alu instid0(VALU_DEP_1)
	v_cmpx_lt_u32_e32 0x7fff, v61
	s_xor_b32 s19, exec_lo, s19
	s_cbranch_execz .LBB297_54
; %bb.53:                               ;   in Loop: Header=BB297_18 Depth=2
	v_lshlrev_b64 v[32:33], 1, v[61:62]
	s_delay_alu instid0(VALU_DEP_1) | instskip(NEXT) | instid1(VALU_DEP_2)
	v_add_co_u32 v32, vcc_lo, s8, v32
	v_add_co_ci_u32_e32 v33, vcc_lo, s9, v33, vcc_lo
	global_load_b128 v[40:43], v[32:33], off
.LBB297_54:                             ;   in Loop: Header=BB297_18 Depth=2
	s_and_not1_saveexec_b32 s19, s19
	s_cbranch_execz .LBB297_56
; %bb.55:                               ;   in Loop: Header=BB297_18 Depth=2
	v_add_nc_u32_e32 v32, s31, v85
	s_waitcnt vmcnt(0)
	ds_load_b128 v[40:43], v32 offset:1024
.LBB297_56:                             ;   in Loop: Header=BB297_18 Depth=2
	s_or_b32 exec_lo, exec_lo, s19
	v_add_nc_u32_e32 v61, 0x200, v71
	s_mov_b32 s19, exec_lo
                                        ; implicit-def: $vgpr35
	s_delay_alu instid0(VALU_DEP_1)
	v_cmpx_lt_u32_e32 0x7fff, v61
	s_xor_b32 s19, exec_lo, s19
	s_cbranch_execz .LBB297_58
; %bb.57:                               ;   in Loop: Header=BB297_18 Depth=2
	v_lshlrev_b64 v[32:33], 1, v[61:62]
	s_delay_alu instid0(VALU_DEP_1) | instskip(NEXT) | instid1(VALU_DEP_2)
	v_add_co_u32 v32, vcc_lo, s8, v32
	v_add_co_ci_u32_e32 v33, vcc_lo, s9, v33, vcc_lo
	global_load_b128 v[32:35], v[32:33], off
.LBB297_58:                             ;   in Loop: Header=BB297_18 Depth=2
	s_and_not1_saveexec_b32 s19, s19
	s_cbranch_execz .LBB297_15
; %bb.59:                               ;   in Loop: Header=BB297_18 Depth=2
	s_waitcnt vmcnt(0)
	v_add_nc_u32_e32 v32, s6, v85
	ds_load_2addr_b64 v[32:35], v32 offset0:128 offset1:129
	s_branch .LBB297_15
.LBB297_60:                             ;   in Loop: Header=BB297_13 Depth=1
	s_delay_alu instid0(VALU_DEP_1)
	v_cvt_i32_f32_e32 v0, v89
	s_waitcnt lgkmcnt(0)
	v_cvt_i32_f32_e32 v1, v92
	v_cvt_i32_f32_e32 v2, v88
	;; [unrolled: 1-line block ×4, first 2 shown]
	v_cvt_f32_i32_dpp v0, v0 row_shr:8 row_mask:0xf bank_mask:0xf bound_ctrl:1
	v_cvt_f32_i32_dpp v1, v1 row_shr:8 row_mask:0xf bank_mask:0xf bound_ctrl:1
	;; [unrolled: 1-line block ×5, first 2 shown]
	s_delay_alu instid0(VALU_DEP_4) | instskip(NEXT) | instid1(VALU_DEP_3)
	v_dual_add_f32 v0, v89, v0 :: v_dual_add_f32 v1, v92, v1
	v_dual_add_f32 v2, v88, v2 :: v_dual_add_f32 v3, v90, v3
	s_delay_alu instid0(VALU_DEP_2) | instskip(NEXT) | instid1(VALU_DEP_3)
	v_cvt_i32_f32_e32 v5, v0
	v_cvt_i32_f32_e32 v6, v1
	s_delay_alu instid0(VALU_DEP_3) | instskip(NEXT) | instid1(VALU_DEP_4)
	v_cvt_i32_f32_e32 v7, v2
	v_cvt_i32_f32_e32 v8, v3
	s_delay_alu instid0(VALU_DEP_4) | instskip(NEXT) | instid1(VALU_DEP_4)
	v_cvt_f32_i32_dpp v5, v5 row_shr:4 row_mask:0xf bank_mask:0xf bound_ctrl:1
	v_cvt_f32_i32_dpp v6, v6 row_shr:4 row_mask:0xf bank_mask:0xf bound_ctrl:1
	v_add_f32_e32 v4, v86, v4
	s_delay_alu instid0(VALU_DEP_4) | instskip(SKIP_1) | instid1(VALU_DEP_4)
	v_cvt_f32_i32_dpp v8, v8 row_shr:4 row_mask:0xf bank_mask:0xf bound_ctrl:1
	v_cvt_f32_i32_dpp v7, v7 row_shr:4 row_mask:0xf bank_mask:0xf bound_ctrl:1
	v_dual_add_f32 v0, v0, v5 :: v_dual_add_f32 v1, v1, v6
	s_delay_alu instid0(VALU_DEP_4) | instskip(NEXT) | instid1(VALU_DEP_4)
	v_cvt_i32_f32_e32 v9, v4
	v_add_f32_e32 v3, v3, v8
	s_delay_alu instid0(VALU_DEP_3) | instskip(NEXT) | instid1(VALU_DEP_4)
	v_cvt_i32_f32_e32 v5, v0
	v_cvt_i32_f32_e32 v6, v1
	s_delay_alu instid0(VALU_DEP_4) | instskip(NEXT) | instid1(VALU_DEP_4)
	v_cvt_f32_i32_dpp v9, v9 row_shr:4 row_mask:0xf bank_mask:0xf bound_ctrl:1
	v_cvt_i32_f32_e32 v8, v3
	s_delay_alu instid0(VALU_DEP_4) | instskip(NEXT) | instid1(VALU_DEP_4)
	v_cvt_f32_i32_dpp v5, v5 row_shr:2 row_mask:0xf bank_mask:0xf bound_ctrl:1
	v_cvt_f32_i32_dpp v6, v6 row_shr:2 row_mask:0xf bank_mask:0xf bound_ctrl:1
	v_add_f32_e32 v2, v2, v7
	s_delay_alu instid0(VALU_DEP_4) | instskip(NEXT) | instid1(VALU_DEP_3)
	v_cvt_f32_i32_dpp v8, v8 row_shr:2 row_mask:0xf bank_mask:0xf bound_ctrl:1
	v_dual_add_f32 v4, v4, v9 :: v_dual_add_f32 v1, v1, v6
	s_delay_alu instid0(VALU_DEP_3) | instskip(NEXT) | instid1(VALU_DEP_3)
	v_cvt_i32_f32_e32 v7, v2
	v_add_f32_e32 v3, v3, v8
	s_delay_alu instid0(VALU_DEP_3) | instskip(NEXT) | instid1(VALU_DEP_4)
	v_cvt_i32_f32_e32 v9, v4
	v_cvt_i32_f32_e32 v6, v1
	s_delay_alu instid0(VALU_DEP_4) | instskip(NEXT) | instid1(VALU_DEP_4)
	v_cvt_f32_i32_dpp v7, v7 row_shr:2 row_mask:0xf bank_mask:0xf bound_ctrl:1
	v_cvt_i32_f32_e32 v8, v3
	s_delay_alu instid0(VALU_DEP_4) | instskip(NEXT) | instid1(VALU_DEP_4)
	v_cvt_f32_i32_dpp v9, v9 row_shr:2 row_mask:0xf bank_mask:0xf bound_ctrl:1
	v_cvt_f32_i32_dpp v6, v6 row_shr:1 row_mask:0xf bank_mask:0xf bound_ctrl:1
	s_delay_alu instid0(VALU_DEP_3) | instskip(SKIP_1) | instid1(VALU_DEP_3)
	v_cvt_f32_i32_dpp v8, v8 row_shr:1 row_mask:0xf bank_mask:0xf bound_ctrl:1
	v_add_f32_e32 v0, v0, v5
	v_add_f32_e32 v20, v1, v6
	v_cvt_i32_f32_e32 v1, v87
	s_delay_alu instid0(VALU_DEP_4) | instskip(NEXT) | instid1(VALU_DEP_4)
	v_add_f32_e32 v13, v3, v8
	v_cvt_i32_f32_e32 v5, v0
	v_cvt_i32_f32_e32 v3, v83
	s_delay_alu instid0(VALU_DEP_4)
	v_cvt_f32_i32_dpp v1, v1 row_shr:8 row_mask:0xf bank_mask:0xf bound_ctrl:1
	ds_bpermute_b32 v15, v80, v13
	v_cvt_f32_i32_dpp v5, v5 row_shr:1 row_mask:0xf bank_mask:0xf bound_ctrl:1
	v_add_f32_e32 v2, v2, v7
	v_cvt_f32_i32_dpp v3, v3 row_shr:8 row_mask:0xf bank_mask:0xf bound_ctrl:1
	v_add_f32_e32 v1, v87, v1
	v_add_f32_e32 v4, v4, v9
	;; [unrolled: 1-line block ×3, first 2 shown]
	v_cvt_i32_f32_e32 v7, v2
	v_add_f32_e32 v3, v83, v3
	v_cvt_i32_f32_e32 v6, v1
	v_cvt_i32_f32_e32 v9, v4
	;; [unrolled: 1-line block ×3, first 2 shown]
	v_cvt_f32_i32_dpp v7, v7 row_shr:1 row_mask:0xf bank_mask:0xf bound_ctrl:1
	s_waitcnt vmcnt(0)
	v_cvt_i32_f32_e32 v10, v3
	v_cvt_f32_i32_dpp v6, v6 row_shr:4 row_mask:0xf bank_mask:0xf bound_ctrl:1
	v_cvt_f32_i32_dpp v9, v9 row_shr:1 row_mask:0xf bank_mask:0xf bound_ctrl:1
	;; [unrolled: 1-line block ×3, first 2 shown]
	v_add_f32_e32 v16, v2, v7
	v_cvt_f32_i32_dpp v10, v10 row_shr:4 row_mask:0xf bank_mask:0xf bound_ctrl:1
	s_delay_alu instid0(VALU_DEP_4) | instskip(SKIP_2) | instid1(VALU_DEP_4)
	v_dual_add_f32 v1, v1, v6 :: v_dual_add_f32 v8, v4, v9
	v_cvt_i32_f32_e32 v4, v59
	v_cvt_i32_f32_e32 v2, v84
	v_add_f32_e32 v3, v3, v10
	s_delay_alu instid0(VALU_DEP_4)
	v_cvt_i32_f32_e32 v6, v1
	ds_bpermute_b32 v24, v80, v23
	v_cvt_f32_i32_dpp v4, v4 row_shr:8 row_mask:0xf bank_mask:0xf bound_ctrl:1
	v_cvt_f32_i32_dpp v2, v2 row_shr:8 row_mask:0xf bank_mask:0xf bound_ctrl:1
	v_cvt_i32_f32_e32 v10, v3
	v_cvt_f32_i32_dpp v6, v6 row_shr:2 row_mask:0xf bank_mask:0xf bound_ctrl:1
	v_add_f32_e32 v0, v91, v0
	v_add_f32_e32 v4, v59, v4
	;; [unrolled: 1-line block ×3, first 2 shown]
	v_cvt_f32_i32_dpp v10, v10 row_shr:2 row_mask:0xf bank_mask:0xf bound_ctrl:1
	v_add_f32_e32 v1, v1, v6
	v_cvt_i32_f32_e32 v5, v0
	v_cvt_i32_f32_e32 v11, v4
	;; [unrolled: 1-line block ×3, first 2 shown]
	ds_bpermute_b32 v21, v80, v20
	v_cvt_i32_f32_e32 v6, v1
	v_cvt_f32_i32_dpp v5, v5 row_shr:4 row_mask:0xf bank_mask:0xf bound_ctrl:1
	v_cvt_f32_i32_dpp v11, v11 row_shr:4 row_mask:0xf bank_mask:0xf bound_ctrl:1
	v_add_f32_e32 v3, v3, v10
	v_cvt_f32_i32_dpp v7, v7 row_shr:4 row_mask:0xf bank_mask:0xf bound_ctrl:1
	v_cvt_f32_i32_dpp v6, v6 row_shr:1 row_mask:0xf bank_mask:0xf bound_ctrl:1
	v_add_f32_e32 v0, v0, v5
	v_add_f32_e32 v4, v4, v11
	v_cvt_i32_f32_e32 v10, v3
	ds_bpermute_b32 v18, v80, v16
	ds_bpermute_b32 v9, v80, v8
	v_cvt_i32_f32_e32 v5, v0
	v_cvt_i32_f32_e32 v11, v4
	v_cvt_f32_i32_dpp v10, v10 row_shr:1 row_mask:0xf bank_mask:0xf bound_ctrl:1
	v_add_f32_e32 v6, v1, v6
	s_delay_alu instid0(VALU_DEP_4) | instskip(NEXT) | instid1(VALU_DEP_4)
	v_cvt_f32_i32_dpp v5, v5 row_shr:2 row_mask:0xf bank_mask:0xf bound_ctrl:1
	v_cvt_f32_i32_dpp v11, v11 row_shr:2 row_mask:0xf bank_mask:0xf bound_ctrl:1
	s_delay_alu instid0(VALU_DEP_2) | instskip(NEXT) | instid1(VALU_DEP_2)
	v_add_f32_e32 v0, v0, v5
	v_add_f32_e32 v5, v4, v11
	s_delay_alu instid0(VALU_DEP_2) | instskip(NEXT) | instid1(VALU_DEP_2)
	v_cvt_i32_f32_e32 v4, v0
	v_cvt_i32_f32_e32 v11, v5
	s_delay_alu instid0(VALU_DEP_2) | instskip(SKIP_1) | instid1(VALU_DEP_3)
	v_cvt_f32_i32_dpp v4, v4 row_shr:1 row_mask:0xf bank_mask:0xf bound_ctrl:1
	v_add_f32_e32 v2, v2, v7
	v_cvt_f32_i32_dpp v12, v11 row_shr:1 row_mask:0xf bank_mask:0xf bound_ctrl:1
	s_delay_alu instid0(VALU_DEP_3) | instskip(NEXT) | instid1(VALU_DEP_3)
	v_add_f32_e32 v11, v0, v4
	v_cvt_i32_f32_e32 v7, v2
	s_delay_alu instid0(VALU_DEP_3) | instskip(SKIP_4) | instid1(VALU_DEP_1)
	v_add_f32_e32 v0, v5, v12
	ds_bpermute_b32 v12, v80, v11
	v_cvt_f32_i32_dpp v7, v7 row_shr:2 row_mask:0xf bank_mask:0xf bound_ctrl:1
	ds_bpermute_b32 v1, v80, v0
	v_add_f32_e32 v2, v2, v7
	v_cvt_i32_f32_e32 v7, v2
	s_delay_alu instid0(VALU_DEP_1) | instskip(NEXT) | instid1(VALU_DEP_1)
	v_cvt_f32_i32_dpp v7, v7 row_shr:1 row_mask:0xf bank_mask:0xf bound_ctrl:1
	v_add_f32_e32 v4, v2, v7
	v_add_f32_e32 v2, v3, v10
	ds_bpermute_b32 v7, v80, v6
	ds_bpermute_b32 v5, v80, v4
	;; [unrolled: 1-line block ×3, first 2 shown]
	s_and_saveexec_b32 s18, s0
	s_cbranch_execz .LBB297_123
; %bb.61:                               ;   in Loop: Header=BB297_13 Depth=1
	v_dual_mov_b32 v29, 0 :: v_dual_mov_b32 v28, 0
	v_dual_mov_b32 v27, 0 :: v_dual_mov_b32 v26, 0
	;; [unrolled: 1-line block ×5, first 2 shown]
	s_and_not1_b32 vcc_lo, exec_lo, s22
	s_cbranch_vccnz .LBB297_63
; %bb.62:                               ;   in Loop: Header=BB297_13 Depth=1
	v_mul_hi_u32 v10, v58, v81
	v_mul_hi_u32 v14, v64, v81
	s_delay_alu instid0(VALU_DEP_2) | instskip(NEXT) | instid1(VALU_DEP_2)
	v_mul_lo_u32 v10, v10, s10
	v_mul_lo_u32 v14, v14, s10
	s_delay_alu instid0(VALU_DEP_2) | instskip(NEXT) | instid1(VALU_DEP_2)
	v_sub_nc_u32_e32 v10, v58, v10
	v_sub_nc_u32_e32 v14, v64, v14
	s_delay_alu instid0(VALU_DEP_2) | instskip(SKIP_1) | instid1(VALU_DEP_3)
	v_subrev_nc_u32_e32 v17, s10, v10
	v_cmp_le_u32_e32 vcc_lo, s10, v10
	v_subrev_nc_u32_e32 v19, s10, v14
	s_delay_alu instid0(VALU_DEP_3) | instskip(SKIP_1) | instid1(VALU_DEP_2)
	v_cndmask_b32_e32 v10, v10, v17, vcc_lo
	v_cmp_le_u32_e32 vcc_lo, s10, v14
	v_subrev_nc_u32_e32 v17, s10, v10
	s_delay_alu instid0(VALU_DEP_4) | instskip(SKIP_1) | instid1(VALU_DEP_2)
	v_cndmask_b32_e32 v14, v14, v19, vcc_lo
	v_cmp_le_u32_e32 vcc_lo, s10, v10
	v_subrev_nc_u32_e32 v19, s10, v14
	s_delay_alu instid0(VALU_DEP_4) | instskip(SKIP_2) | instid1(VALU_DEP_3)
	v_cndmask_b32_e32 v61, v10, v17, vcc_lo
	v_cmp_le_u32_e32 vcc_lo, s10, v14
	v_mov_b32_e32 v27, v62
	v_dual_mov_b32 v33, v62 :: v_dual_add_nc_u32 v34, s29, v61
	v_dual_cndmask_b32 v25, v14, v19 :: v_dual_add_nc_u32 v30, s27, v61
	v_mov_b32_e32 v26, v62
	v_lshlrev_b64 v[36:37], 1, v[61:62]
	s_delay_alu instid0(VALU_DEP_3) | instskip(SKIP_1) | instid1(VALU_DEP_4)
	v_dual_mov_b32 v29, v62 :: v_dual_add_nc_u32 v28, s26, v25
	v_dual_mov_b32 v31, v62 :: v_dual_add_nc_u32 v32, s27, v25
	v_lshlrev_b64 v[38:39], 1, v[25:26]
	v_add_nc_u32_e32 v26, s26, v61
	v_add_co_u32 v36, vcc_lo, s12, v36
	v_add_co_ci_u32_e32 v37, vcc_lo, s13, v37, vcc_lo
	s_delay_alu instid0(VALU_DEP_3)
	v_lshlrev_b64 v[26:27], 1, v[26:27]
	v_lshlrev_b64 v[28:29], 1, v[28:29]
	v_add_co_u32 v38, vcc_lo, s12, v38
	v_add_co_ci_u32_e32 v39, vcc_lo, s13, v39, vcc_lo
	v_lshlrev_b64 v[30:31], 1, v[30:31]
	v_add_co_u32 v26, vcc_lo, s12, v26
	v_mov_b32_e32 v35, v62
	v_add_co_ci_u32_e32 v27, vcc_lo, s13, v27, vcc_lo
	v_lshlrev_b64 v[32:33], 1, v[32:33]
	v_add_co_u32 v40, vcc_lo, s12, v28
	v_add_co_ci_u32_e32 v41, vcc_lo, s13, v29, vcc_lo
	v_add_co_u32 v30, vcc_lo, s12, v30
	v_lshlrev_b64 v[28:29], 1, v[34:35]
	v_add_nc_u32_e32 v34, s29, v25
	v_add_co_ci_u32_e32 v31, vcc_lo, s13, v31, vcc_lo
	v_add_co_u32 v32, vcc_lo, s12, v32
	v_add_nc_u32_e32 v61, s30, v61
	v_add_co_ci_u32_e32 v33, vcc_lo, s13, v33, vcc_lo
	v_add_co_u32 v42, vcc_lo, s12, v28
	v_lshlrev_b64 v[34:35], 1, v[34:35]
	v_add_co_ci_u32_e32 v43, vcc_lo, s13, v29, vcc_lo
	v_lshlrev_b64 v[28:29], 1, v[61:62]
	v_add_nc_u32_e32 v61, s30, v25
	s_delay_alu instid0(VALU_DEP_4) | instskip(SKIP_1) | instid1(VALU_DEP_3)
	v_add_co_u32 v34, vcc_lo, s12, v34
	v_add_co_ci_u32_e32 v35, vcc_lo, s13, v35, vcc_lo
	v_lshlrev_b64 v[44:45], 1, v[61:62]
	v_add_co_u32 v46, vcc_lo, s12, v28
	v_add_co_ci_u32_e32 v47, vcc_lo, s13, v29, vcc_lo
	s_delay_alu instid0(VALU_DEP_3) | instskip(NEXT) | instid1(VALU_DEP_4)
	v_add_co_u32 v44, vcc_lo, s12, v44
	v_add_co_ci_u32_e32 v45, vcc_lo, s13, v45, vcc_lo
	s_clause 0x9
	global_load_u16 v29, v[36:37], off
	global_load_u16 v28, v[38:39], off
	;; [unrolled: 1-line block ×10, first 2 shown]
.LBB297_63:                             ;   in Loop: Header=BB297_13 Depth=1
	v_cmp_ne_u32_e32 vcc_lo, 0, v56
	s_and_saveexec_b32 s2, vcc_lo
	s_cbranch_execnz .LBB297_73
; %bb.64:                               ;   in Loop: Header=BB297_13 Depth=1
	s_or_b32 exec_lo, exec_lo, s2
	v_cmp_ne_u32_e64 s1, 0, v57
	s_delay_alu instid0(VALU_DEP_1)
	s_and_saveexec_b32 s19, s1
	s_cbranch_execnz .LBB297_78
.LBB297_65:                             ;   in Loop: Header=BB297_13 Depth=1
	s_or_b32 exec_lo, exec_lo, s19
	v_add_nc_u32_e32 v61, s7, v58
	s_and_saveexec_b32 s19, vcc_lo
	s_cbranch_execnz .LBB297_83
.LBB297_66:                             ;   in Loop: Header=BB297_13 Depth=1
	s_or_b32 exec_lo, exec_lo, s19
	s_and_saveexec_b32 s19, s1
	s_cbranch_execnz .LBB297_88
.LBB297_67:                             ;   in Loop: Header=BB297_13 Depth=1
	s_or_b32 exec_lo, exec_lo, s19
	v_add_nc_u32_e32 v61, s7, v61
	s_and_saveexec_b32 s19, vcc_lo
	s_cbranch_execnz .LBB297_93
.LBB297_68:                             ;   in Loop: Header=BB297_13 Depth=1
	s_or_b32 exec_lo, exec_lo, s19
	s_and_saveexec_b32 s19, s1
	s_cbranch_execnz .LBB297_98
.LBB297_69:                             ;   in Loop: Header=BB297_13 Depth=1
	s_or_b32 exec_lo, exec_lo, s19
	v_add_nc_u32_e32 v61, s7, v61
	s_and_saveexec_b32 s19, vcc_lo
	s_cbranch_execnz .LBB297_103
.LBB297_70:                             ;   in Loop: Header=BB297_13 Depth=1
	s_or_b32 exec_lo, exec_lo, s19
	s_and_saveexec_b32 s19, s1
	s_cbranch_execnz .LBB297_108
.LBB297_71:                             ;   in Loop: Header=BB297_13 Depth=1
	s_or_b32 exec_lo, exec_lo, s19
	v_add_nc_u32_e32 v61, s7, v61
	s_and_saveexec_b32 s2, vcc_lo
	s_cbranch_execnz .LBB297_113
.LBB297_72:                             ;   in Loop: Header=BB297_13 Depth=1
	s_or_b32 exec_lo, exec_lo, s2
	s_delay_alu instid0(SALU_CYCLE_1)
	s_and_b32 exec_lo, exec_lo, s1
	s_cbranch_execnz .LBB297_118
	s_branch .LBB297_123
.LBB297_73:                             ;   in Loop: Header=BB297_13 Depth=1
	s_waitcnt vmcnt(9) lgkmcnt(0)
	v_dual_add_f32 v23, v23, v24 :: v_dual_lshlrev_b32 v24, 16, v29
	s_delay_alu instid0(VALU_DEP_1) | instskip(NEXT) | instid1(VALU_DEP_1)
	v_add_f32_e32 v24, v23, v24
	v_and_b32_e32 v23, 0x7f800000, v24
	s_delay_alu instid0(VALU_DEP_1) | instskip(NEXT) | instid1(VALU_DEP_1)
	v_cmp_ne_u32_e64 s1, 0x7f800000, v23
                                        ; implicit-def: $vgpr23
	s_and_saveexec_b32 s19, s1
	s_delay_alu instid0(SALU_CYCLE_1)
	s_xor_b32 s1, exec_lo, s19
; %bb.74:                               ;   in Loop: Header=BB297_13 Depth=1
	v_bfe_u32 v23, v24, 16, 1
	s_delay_alu instid0(VALU_DEP_1)
	v_add3_u32 v23, v24, v23, 0x7fff
                                        ; implicit-def: $vgpr24
; %bb.75:                               ;   in Loop: Header=BB297_13 Depth=1
	s_and_not1_saveexec_b32 s19, s1
; %bb.76:                               ;   in Loop: Header=BB297_13 Depth=1
	v_and_b32_e32 v23, 0xffff, v24
	v_or_b32_e32 v29, 0x10000, v24
	s_delay_alu instid0(VALU_DEP_2) | instskip(NEXT) | instid1(VALU_DEP_1)
	v_cmp_eq_u32_e64 s1, 0, v23
	v_cndmask_b32_e64 v23, v29, v24, s1
; %bb.77:                               ;   in Loop: Header=BB297_13 Depth=1
	s_or_b32 exec_lo, exec_lo, s19
	v_mov_b32_e32 v59, v62
	s_delay_alu instid0(VALU_DEP_1) | instskip(NEXT) | instid1(VALU_DEP_1)
	v_lshlrev_b64 v[29:30], 1, v[58:59]
	v_add_co_u32 v29, s1, s16, v29
	s_delay_alu instid0(VALU_DEP_1) | instskip(SKIP_3) | instid1(VALU_DEP_1)
	v_add_co_ci_u32_e64 v30, s1, s17, v30, s1
	global_store_d16_hi_b16 v[29:30], v23, off
	s_or_b32 exec_lo, exec_lo, s2
	v_cmp_ne_u32_e64 s1, 0, v57
	s_and_saveexec_b32 s19, s1
	s_cbranch_execz .LBB297_65
.LBB297_78:                             ;   in Loop: Header=BB297_13 Depth=1
	s_waitcnt vmcnt(8) lgkmcnt(0)
	v_dual_add_f32 v20, v20, v21 :: v_dual_lshlrev_b32 v21, 16, v28
	s_delay_alu instid0(VALU_DEP_1) | instskip(NEXT) | instid1(VALU_DEP_1)
	v_add_f32_e32 v21, v20, v21
	v_and_b32_e32 v20, 0x7f800000, v21
	s_delay_alu instid0(VALU_DEP_1) | instskip(NEXT) | instid1(VALU_DEP_1)
	v_cmp_ne_u32_e64 s2, 0x7f800000, v20
                                        ; implicit-def: $vgpr20
	s_and_saveexec_b32 s33, s2
	s_delay_alu instid0(SALU_CYCLE_1)
	s_xor_b32 s2, exec_lo, s33
; %bb.79:                               ;   in Loop: Header=BB297_13 Depth=1
	v_bfe_u32 v20, v21, 16, 1
	s_delay_alu instid0(VALU_DEP_1)
	v_add3_u32 v20, v21, v20, 0x7fff
                                        ; implicit-def: $vgpr21
; %bb.80:                               ;   in Loop: Header=BB297_13 Depth=1
	s_and_not1_saveexec_b32 s33, s2
; %bb.81:                               ;   in Loop: Header=BB297_13 Depth=1
	v_and_b32_e32 v20, 0xffff, v21
	v_or_b32_e32 v23, 0x10000, v21
	s_delay_alu instid0(VALU_DEP_2) | instskip(NEXT) | instid1(VALU_DEP_1)
	v_cmp_eq_u32_e64 s2, 0, v20
	v_cndmask_b32_e64 v20, v23, v21, s2
; %bb.82:                               ;   in Loop: Header=BB297_13 Depth=1
	s_or_b32 exec_lo, exec_lo, s33
	v_mov_b32_e32 v65, v62
	s_delay_alu instid0(VALU_DEP_1) | instskip(NEXT) | instid1(VALU_DEP_1)
	v_lshlrev_b64 v[23:24], 1, v[64:65]
	v_add_co_u32 v23, s2, s16, v23
	s_delay_alu instid0(VALU_DEP_1)
	v_add_co_ci_u32_e64 v24, s2, s17, v24, s2
	global_store_d16_hi_b16 v[23:24], v20, off
	s_or_b32 exec_lo, exec_lo, s19
	v_add_nc_u32_e32 v61, s7, v58
	s_and_saveexec_b32 s19, vcc_lo
	s_cbranch_execz .LBB297_66
.LBB297_83:                             ;   in Loop: Header=BB297_13 Depth=1
	s_waitcnt lgkmcnt(0)
	v_add_f32_e32 v16, v16, v18
	s_waitcnt vmcnt(7)
	v_lshlrev_b32_e32 v18, 16, v27
	s_delay_alu instid0(VALU_DEP_1) | instskip(NEXT) | instid1(VALU_DEP_1)
	v_add_f32_e32 v18, v16, v18
	v_and_b32_e32 v16, 0x7f800000, v18
	s_delay_alu instid0(VALU_DEP_1) | instskip(NEXT) | instid1(VALU_DEP_1)
	v_cmp_ne_u32_e64 s2, 0x7f800000, v16
                                        ; implicit-def: $vgpr16
	s_and_saveexec_b32 s33, s2
	s_delay_alu instid0(SALU_CYCLE_1)
	s_xor_b32 s2, exec_lo, s33
; %bb.84:                               ;   in Loop: Header=BB297_13 Depth=1
	v_bfe_u32 v16, v18, 16, 1
	s_delay_alu instid0(VALU_DEP_1)
	v_add3_u32 v16, v18, v16, 0x7fff
                                        ; implicit-def: $vgpr18
; %bb.85:                               ;   in Loop: Header=BB297_13 Depth=1
	s_and_not1_saveexec_b32 s33, s2
; %bb.86:                               ;   in Loop: Header=BB297_13 Depth=1
	v_and_b32_e32 v16, 0xffff, v18
	v_or_b32_e32 v20, 0x10000, v18
	s_delay_alu instid0(VALU_DEP_2) | instskip(NEXT) | instid1(VALU_DEP_1)
	v_cmp_eq_u32_e64 s2, 0, v16
	v_cndmask_b32_e64 v16, v20, v18, s2
; %bb.87:                               ;   in Loop: Header=BB297_13 Depth=1
	s_or_b32 exec_lo, exec_lo, s33
	v_lshlrev_b64 v[20:21], 1, v[61:62]
	s_delay_alu instid0(VALU_DEP_1) | instskip(NEXT) | instid1(VALU_DEP_1)
	v_add_co_u32 v20, s2, s16, v20
	v_add_co_ci_u32_e64 v21, s2, s17, v21, s2
	global_store_d16_hi_b16 v[20:21], v16, off
	s_or_b32 exec_lo, exec_lo, s19
	s_and_saveexec_b32 s19, s1
	s_cbranch_execz .LBB297_67
.LBB297_88:                             ;   in Loop: Header=BB297_13 Depth=1
	s_waitcnt lgkmcnt(0)
	v_add_f32_e32 v13, v13, v15
	s_waitcnt vmcnt(6)
	v_lshlrev_b32_e32 v15, 16, v26
	s_delay_alu instid0(VALU_DEP_1) | instskip(NEXT) | instid1(VALU_DEP_1)
	v_add_f32_e32 v15, v13, v15
	v_and_b32_e32 v13, 0x7f800000, v15
	s_delay_alu instid0(VALU_DEP_1) | instskip(NEXT) | instid1(VALU_DEP_1)
	v_cmp_ne_u32_e64 s2, 0x7f800000, v13
                                        ; implicit-def: $vgpr13
	s_and_saveexec_b32 s33, s2
	s_delay_alu instid0(SALU_CYCLE_1)
	s_xor_b32 s2, exec_lo, s33
; %bb.89:                               ;   in Loop: Header=BB297_13 Depth=1
	v_bfe_u32 v13, v15, 16, 1
	s_delay_alu instid0(VALU_DEP_1)
	v_add3_u32 v13, v15, v13, 0x7fff
                                        ; implicit-def: $vgpr15
; %bb.90:                               ;   in Loop: Header=BB297_13 Depth=1
	s_and_not1_saveexec_b32 s33, s2
; %bb.91:                               ;   in Loop: Header=BB297_13 Depth=1
	v_and_b32_e32 v13, 0xffff, v15
	v_or_b32_e32 v16, 0x10000, v15
	s_delay_alu instid0(VALU_DEP_2) | instskip(NEXT) | instid1(VALU_DEP_1)
	v_cmp_eq_u32_e64 s2, 0, v13
	v_cndmask_b32_e64 v13, v16, v15, s2
; %bb.92:                               ;   in Loop: Header=BB297_13 Depth=1
	s_or_b32 exec_lo, exec_lo, s33
	v_dual_mov_b32 v16, v62 :: v_dual_add_nc_u32 v15, 1, v61
	s_delay_alu instid0(VALU_DEP_1) | instskip(NEXT) | instid1(VALU_DEP_1)
	v_lshlrev_b64 v[15:16], 1, v[15:16]
	v_add_co_u32 v15, s2, s16, v15
	s_delay_alu instid0(VALU_DEP_1)
	v_add_co_ci_u32_e64 v16, s2, s17, v16, s2
	global_store_d16_hi_b16 v[15:16], v13, off
	s_or_b32 exec_lo, exec_lo, s19
	v_add_nc_u32_e32 v61, s7, v61
	s_and_saveexec_b32 s19, vcc_lo
	s_cbranch_execz .LBB297_68
.LBB297_93:                             ;   in Loop: Header=BB297_13 Depth=1
	s_waitcnt lgkmcnt(0)
	v_add_f32_e32 v8, v8, v9
	s_waitcnt vmcnt(5)
	v_lshlrev_b32_e32 v9, 16, v25
	s_delay_alu instid0(VALU_DEP_1) | instskip(NEXT) | instid1(VALU_DEP_1)
	v_add_f32_e32 v9, v8, v9
	v_and_b32_e32 v8, 0x7f800000, v9
	s_delay_alu instid0(VALU_DEP_1) | instskip(NEXT) | instid1(VALU_DEP_1)
	v_cmp_ne_u32_e64 s2, 0x7f800000, v8
                                        ; implicit-def: $vgpr8
	s_and_saveexec_b32 s33, s2
	s_delay_alu instid0(SALU_CYCLE_1)
	s_xor_b32 s2, exec_lo, s33
; %bb.94:                               ;   in Loop: Header=BB297_13 Depth=1
	v_bfe_u32 v8, v9, 16, 1
	s_delay_alu instid0(VALU_DEP_1)
	v_add3_u32 v8, v9, v8, 0x7fff
                                        ; implicit-def: $vgpr9
; %bb.95:                               ;   in Loop: Header=BB297_13 Depth=1
	s_and_not1_saveexec_b32 s33, s2
; %bb.96:                               ;   in Loop: Header=BB297_13 Depth=1
	v_and_b32_e32 v8, 0xffff, v9
	v_or_b32_e32 v13, 0x10000, v9
	s_delay_alu instid0(VALU_DEP_2) | instskip(NEXT) | instid1(VALU_DEP_1)
	v_cmp_eq_u32_e64 s2, 0, v8
	v_cndmask_b32_e64 v8, v13, v9, s2
; %bb.97:                               ;   in Loop: Header=BB297_13 Depth=1
	s_or_b32 exec_lo, exec_lo, s33
	v_lshlrev_b64 v[15:16], 1, v[61:62]
	s_delay_alu instid0(VALU_DEP_1) | instskip(NEXT) | instid1(VALU_DEP_1)
	v_add_co_u32 v15, s2, s16, v15
	v_add_co_ci_u32_e64 v16, s2, s17, v16, s2
	global_store_d16_hi_b16 v[15:16], v8, off
	s_or_b32 exec_lo, exec_lo, s19
	s_and_saveexec_b32 s19, s1
	s_cbranch_execz .LBB297_69
.LBB297_98:                             ;   in Loop: Header=BB297_13 Depth=1
	s_waitcnt vmcnt(4) lgkmcnt(0)
	v_dual_add_f32 v8, v11, v12 :: v_dual_lshlrev_b32 v9, 16, v22
	s_delay_alu instid0(VALU_DEP_1) | instskip(NEXT) | instid1(VALU_DEP_1)
	v_add_f32_e32 v9, v8, v9
	v_and_b32_e32 v8, 0x7f800000, v9
	s_delay_alu instid0(VALU_DEP_1) | instskip(NEXT) | instid1(VALU_DEP_1)
	v_cmp_ne_u32_e64 s2, 0x7f800000, v8
                                        ; implicit-def: $vgpr8
	s_and_saveexec_b32 s33, s2
	s_delay_alu instid0(SALU_CYCLE_1)
	s_xor_b32 s2, exec_lo, s33
; %bb.99:                               ;   in Loop: Header=BB297_13 Depth=1
	v_bfe_u32 v8, v9, 16, 1
	s_delay_alu instid0(VALU_DEP_1)
	v_add3_u32 v8, v9, v8, 0x7fff
                                        ; implicit-def: $vgpr9
; %bb.100:                              ;   in Loop: Header=BB297_13 Depth=1
	s_and_not1_saveexec_b32 s33, s2
; %bb.101:                              ;   in Loop: Header=BB297_13 Depth=1
	v_and_b32_e32 v8, 0xffff, v9
	v_or_b32_e32 v11, 0x10000, v9
	s_delay_alu instid0(VALU_DEP_2) | instskip(NEXT) | instid1(VALU_DEP_1)
	v_cmp_eq_u32_e64 s2, 0, v8
	v_cndmask_b32_e64 v8, v11, v9, s2
; %bb.102:                              ;   in Loop: Header=BB297_13 Depth=1
	s_or_b32 exec_lo, exec_lo, s33
	v_dual_mov_b32 v12, v62 :: v_dual_add_nc_u32 v11, 1, v61
	s_delay_alu instid0(VALU_DEP_1) | instskip(NEXT) | instid1(VALU_DEP_1)
	v_lshlrev_b64 v[11:12], 1, v[11:12]
	v_add_co_u32 v11, s2, s16, v11
	s_delay_alu instid0(VALU_DEP_1)
	v_add_co_ci_u32_e64 v12, s2, s17, v12, s2
	global_store_d16_hi_b16 v[11:12], v8, off
	s_or_b32 exec_lo, exec_lo, s19
	v_add_nc_u32_e32 v61, s7, v61
	s_and_saveexec_b32 s19, vcc_lo
	s_cbranch_execz .LBB297_70
.LBB297_103:                            ;   in Loop: Header=BB297_13 Depth=1
	s_waitcnt lgkmcnt(0)
	v_add_f32_e32 v6, v6, v7
	s_waitcnt vmcnt(3)
	v_lshlrev_b32_e32 v7, 16, v19
	s_delay_alu instid0(VALU_DEP_1) | instskip(NEXT) | instid1(VALU_DEP_1)
	v_add_f32_e32 v7, v6, v7
	v_and_b32_e32 v6, 0x7f800000, v7
	s_delay_alu instid0(VALU_DEP_1) | instskip(NEXT) | instid1(VALU_DEP_1)
	v_cmp_ne_u32_e64 s2, 0x7f800000, v6
                                        ; implicit-def: $vgpr6
	s_and_saveexec_b32 s33, s2
	s_delay_alu instid0(SALU_CYCLE_1)
	s_xor_b32 s2, exec_lo, s33
; %bb.104:                              ;   in Loop: Header=BB297_13 Depth=1
	v_bfe_u32 v6, v7, 16, 1
	s_delay_alu instid0(VALU_DEP_1)
	v_add3_u32 v6, v7, v6, 0x7fff
                                        ; implicit-def: $vgpr7
; %bb.105:                              ;   in Loop: Header=BB297_13 Depth=1
	s_and_not1_saveexec_b32 s33, s2
; %bb.106:                              ;   in Loop: Header=BB297_13 Depth=1
	v_and_b32_e32 v6, 0xffff, v7
	v_or_b32_e32 v8, 0x10000, v7
	s_delay_alu instid0(VALU_DEP_2) | instskip(NEXT) | instid1(VALU_DEP_1)
	v_cmp_eq_u32_e64 s2, 0, v6
	v_cndmask_b32_e64 v6, v8, v7, s2
; %bb.107:                              ;   in Loop: Header=BB297_13 Depth=1
	s_or_b32 exec_lo, exec_lo, s33
	v_lshlrev_b64 v[7:8], 1, v[61:62]
	s_delay_alu instid0(VALU_DEP_1) | instskip(NEXT) | instid1(VALU_DEP_1)
	v_add_co_u32 v7, s2, s16, v7
	v_add_co_ci_u32_e64 v8, s2, s17, v8, s2
	global_store_d16_hi_b16 v[7:8], v6, off
	s_or_b32 exec_lo, exec_lo, s19
	s_and_saveexec_b32 s19, s1
	s_cbranch_execz .LBB297_71
.LBB297_108:                            ;   in Loop: Header=BB297_13 Depth=1
	s_waitcnt lgkmcnt(0)
	v_add_f32_e32 v4, v4, v5
	s_waitcnt vmcnt(2)
	v_lshlrev_b32_e32 v5, 16, v17
	s_delay_alu instid0(VALU_DEP_1) | instskip(NEXT) | instid1(VALU_DEP_1)
	v_add_f32_e32 v5, v4, v5
	v_and_b32_e32 v4, 0x7f800000, v5
	s_delay_alu instid0(VALU_DEP_1) | instskip(NEXT) | instid1(VALU_DEP_1)
	v_cmp_ne_u32_e64 s2, 0x7f800000, v4
                                        ; implicit-def: $vgpr4
	s_and_saveexec_b32 s33, s2
	s_delay_alu instid0(SALU_CYCLE_1)
	s_xor_b32 s2, exec_lo, s33
; %bb.109:                              ;   in Loop: Header=BB297_13 Depth=1
	v_bfe_u32 v4, v5, 16, 1
	s_delay_alu instid0(VALU_DEP_1)
	v_add3_u32 v4, v5, v4, 0x7fff
                                        ; implicit-def: $vgpr5
; %bb.110:                              ;   in Loop: Header=BB297_13 Depth=1
	s_and_not1_saveexec_b32 s33, s2
; %bb.111:                              ;   in Loop: Header=BB297_13 Depth=1
	v_and_b32_e32 v4, 0xffff, v5
	v_or_b32_e32 v6, 0x10000, v5
	s_delay_alu instid0(VALU_DEP_2) | instskip(NEXT) | instid1(VALU_DEP_1)
	v_cmp_eq_u32_e64 s2, 0, v4
	v_cndmask_b32_e64 v4, v6, v5, s2
; %bb.112:                              ;   in Loop: Header=BB297_13 Depth=1
	s_or_b32 exec_lo, exec_lo, s33
	v_dual_mov_b32 v6, v62 :: v_dual_add_nc_u32 v5, 1, v61
	s_delay_alu instid0(VALU_DEP_1) | instskip(NEXT) | instid1(VALU_DEP_1)
	v_lshlrev_b64 v[5:6], 1, v[5:6]
	v_add_co_u32 v5, s2, s16, v5
	s_delay_alu instid0(VALU_DEP_1)
	v_add_co_ci_u32_e64 v6, s2, s17, v6, s2
	global_store_d16_hi_b16 v[5:6], v4, off
	s_or_b32 exec_lo, exec_lo, s19
	v_add_nc_u32_e32 v61, s7, v61
	s_and_saveexec_b32 s2, vcc_lo
	s_cbranch_execz .LBB297_72
.LBB297_113:                            ;   in Loop: Header=BB297_13 Depth=1
	s_waitcnt vmcnt(1) lgkmcnt(0)
	v_dual_add_f32 v2, v2, v3 :: v_dual_lshlrev_b32 v3, 16, v14
	s_delay_alu instid0(VALU_DEP_1) | instskip(NEXT) | instid1(VALU_DEP_1)
	v_add_f32_e32 v3, v2, v3
	v_and_b32_e32 v2, 0x7f800000, v3
	s_delay_alu instid0(VALU_DEP_1) | instskip(SKIP_1) | instid1(SALU_CYCLE_1)
	v_cmp_ne_u32_e32 vcc_lo, 0x7f800000, v2
                                        ; implicit-def: $vgpr2
	s_and_saveexec_b32 s19, vcc_lo
	s_xor_b32 s19, exec_lo, s19
; %bb.114:                              ;   in Loop: Header=BB297_13 Depth=1
	v_bfe_u32 v2, v3, 16, 1
	s_delay_alu instid0(VALU_DEP_1)
	v_add3_u32 v2, v3, v2, 0x7fff
                                        ; implicit-def: $vgpr3
; %bb.115:                              ;   in Loop: Header=BB297_13 Depth=1
	s_and_not1_saveexec_b32 s19, s19
; %bb.116:                              ;   in Loop: Header=BB297_13 Depth=1
	v_and_b32_e32 v2, 0xffff, v3
	v_or_b32_e32 v4, 0x10000, v3
	s_delay_alu instid0(VALU_DEP_2) | instskip(NEXT) | instid1(VALU_DEP_2)
	v_cmp_eq_u32_e32 vcc_lo, 0, v2
	v_cndmask_b32_e32 v2, v4, v3, vcc_lo
; %bb.117:                              ;   in Loop: Header=BB297_13 Depth=1
	s_or_b32 exec_lo, exec_lo, s19
	v_lshlrev_b64 v[3:4], 1, v[61:62]
	s_delay_alu instid0(VALU_DEP_1) | instskip(NEXT) | instid1(VALU_DEP_2)
	v_add_co_u32 v3, vcc_lo, s16, v3
	v_add_co_ci_u32_e32 v4, vcc_lo, s17, v4, vcc_lo
	global_store_d16_hi_b16 v[3:4], v2, off
	s_or_b32 exec_lo, exec_lo, s2
	s_delay_alu instid0(SALU_CYCLE_1)
	s_and_b32 exec_lo, exec_lo, s1
	s_cbranch_execz .LBB297_123
.LBB297_118:                            ;   in Loop: Header=BB297_13 Depth=1
	s_waitcnt vmcnt(0) lgkmcnt(0)
	v_dual_add_f32 v0, v0, v1 :: v_dual_lshlrev_b32 v1, 16, v10
	s_delay_alu instid0(VALU_DEP_1) | instskip(NEXT) | instid1(VALU_DEP_1)
	v_add_f32_e32 v1, v0, v1
	v_and_b32_e32 v0, 0x7f800000, v1
	s_delay_alu instid0(VALU_DEP_1) | instskip(SKIP_1) | instid1(SALU_CYCLE_1)
	v_cmp_ne_u32_e32 vcc_lo, 0x7f800000, v0
                                        ; implicit-def: $vgpr0
	s_and_saveexec_b32 s1, vcc_lo
	s_xor_b32 s1, exec_lo, s1
; %bb.119:                              ;   in Loop: Header=BB297_13 Depth=1
	v_bfe_u32 v0, v1, 16, 1
	s_delay_alu instid0(VALU_DEP_1)
	v_add3_u32 v0, v1, v0, 0x7fff
                                        ; implicit-def: $vgpr1
; %bb.120:                              ;   in Loop: Header=BB297_13 Depth=1
	s_and_not1_saveexec_b32 s1, s1
; %bb.121:                              ;   in Loop: Header=BB297_13 Depth=1
	v_and_b32_e32 v0, 0xffff, v1
	v_or_b32_e32 v2, 0x10000, v1
	s_delay_alu instid0(VALU_DEP_2) | instskip(NEXT) | instid1(VALU_DEP_2)
	v_cmp_eq_u32_e32 vcc_lo, 0, v0
	v_cndmask_b32_e32 v0, v2, v1, vcc_lo
; %bb.122:                              ;   in Loop: Header=BB297_13 Depth=1
	s_or_b32 exec_lo, exec_lo, s1
	v_add_nc_u32_e32 v61, 1, v61
	s_delay_alu instid0(VALU_DEP_1) | instskip(NEXT) | instid1(VALU_DEP_1)
	v_lshlrev_b64 v[1:2], 1, v[61:62]
	v_add_co_u32 v1, vcc_lo, s16, v1
	s_delay_alu instid0(VALU_DEP_2)
	v_add_co_ci_u32_e32 v2, vcc_lo, s17, v2, vcc_lo
	global_store_d16_hi_b16 v[1:2], v0, off
.LBB297_123:                            ;   in Loop: Header=BB297_13 Depth=1
	s_or_b32 exec_lo, exec_lo, s18
	v_add_nc_u32_e32 v58, s23, v58
	s_delay_alu instid0(VALU_DEP_1) | instskip(SKIP_1) | instid1(VALU_DEP_2)
	v_add_nc_u32_e32 v0, 2, v58
	v_cmp_gt_u32_e32 vcc_lo, s7, v58
	v_cmp_le_u32_e64 s1, s7, v0
	s_delay_alu instid0(VALU_DEP_1) | instskip(NEXT) | instid1(SALU_CYCLE_1)
	s_and_b32 s1, vcc_lo, s1
	s_and_saveexec_b32 s33, s1
	s_cbranch_execz .LBB297_12
; %bb.124:                              ;   in Loop: Header=BB297_13 Depth=1
	s_mov_b32 s34, exec_lo
	v_cmpx_ne_u32_e64 s24, v58
	s_cbranch_execz .LBB297_11
; %bb.125:                              ;   in Loop: Header=BB297_13 Depth=1
	v_subrev_nc_u32_e32 v0, s24, v58
	s_mov_b32 s35, 0
	s_mov_b64 s[18:19], 0
	s_delay_alu instid0(VALU_DEP_1)
	v_cmp_lt_u32_e32 vcc_lo, 1, v0
	v_cndmask_b32_e32 v0, 1, v0, vcc_lo
.LBB297_126:                            ;   Parent Loop BB297_13 Depth=1
                                        ; =>  This Inner Loop Header: Depth=2
	s_cmp_lg_u32 s18, 1
	s_cselect_b32 vcc_lo, -1, 0
	s_cmp_lg_u32 s18, 0
	v_cndmask_b32_e32 v57, 0, v57, vcc_lo
	s_cselect_b32 s1, -1, 0
	s_add_u32 s18, s18, 1
	v_cndmask_b32_e64 v56, 0, v56, s1
	v_cmp_eq_u32_e64 s2, s18, v0
	s_addc_u32 s19, s19, 0
	s_delay_alu instid0(VALU_DEP_1) | instskip(NEXT) | instid1(SALU_CYCLE_1)
	s_or_b32 s35, s2, s35
	s_and_not1_b32 exec_lo, exec_lo, s35
	s_cbranch_execnz .LBB297_126
; %bb.127:                              ;   in Loop: Header=BB297_13 Depth=1
	s_or_b32 exec_lo, exec_lo, s35
	s_branch .LBB297_11
.LBB297_128:
	s_nop 0
	s_sendmsg sendmsg(MSG_DEALLOC_VGPRS)
	s_endpgm
	.section	.rodata,"a",@progbits
	.p2align	6, 0x0
	.amdhsa_kernel _Z12wvSplitK_hf_I14__hip_bfloat16Li64ELi2ELi16ELi8ELi2ELi5EEviiiiiiPKT_S3_S3_PS1_ii
		.amdhsa_group_segment_fixed_size 65536
		.amdhsa_private_segment_fixed_size 0
		.amdhsa_kernarg_size 64
		.amdhsa_user_sgpr_count 15
		.amdhsa_user_sgpr_dispatch_ptr 0
		.amdhsa_user_sgpr_queue_ptr 0
		.amdhsa_user_sgpr_kernarg_segment_ptr 1
		.amdhsa_user_sgpr_dispatch_id 0
		.amdhsa_user_sgpr_private_segment_size 0
		.amdhsa_wavefront_size32 1
		.amdhsa_uses_dynamic_stack 0
		.amdhsa_enable_private_segment 0
		.amdhsa_system_sgpr_workgroup_id_x 1
		.amdhsa_system_sgpr_workgroup_id_y 0
		.amdhsa_system_sgpr_workgroup_id_z 0
		.amdhsa_system_sgpr_workgroup_info 0
		.amdhsa_system_vgpr_workitem_id 1
		.amdhsa_next_free_vgpr 100
		.amdhsa_next_free_sgpr 36
		.amdhsa_reserve_vcc 1
		.amdhsa_float_round_mode_32 0
		.amdhsa_float_round_mode_16_64 0
		.amdhsa_float_denorm_mode_32 3
		.amdhsa_float_denorm_mode_16_64 3
		.amdhsa_dx10_clamp 1
		.amdhsa_ieee_mode 1
		.amdhsa_fp16_overflow 0
		.amdhsa_workgroup_processor_mode 1
		.amdhsa_memory_ordered 1
		.amdhsa_forward_progress 0
		.amdhsa_shared_vgpr_count 0
		.amdhsa_exception_fp_ieee_invalid_op 0
		.amdhsa_exception_fp_denorm_src 0
		.amdhsa_exception_fp_ieee_div_zero 0
		.amdhsa_exception_fp_ieee_overflow 0
		.amdhsa_exception_fp_ieee_underflow 0
		.amdhsa_exception_fp_ieee_inexact 0
		.amdhsa_exception_int_div_zero 0
	.end_amdhsa_kernel
	.section	.text._Z12wvSplitK_hf_I14__hip_bfloat16Li64ELi2ELi16ELi8ELi2ELi5EEviiiiiiPKT_S3_S3_PS1_ii,"axG",@progbits,_Z12wvSplitK_hf_I14__hip_bfloat16Li64ELi2ELi16ELi8ELi2ELi5EEviiiiiiPKT_S3_S3_PS1_ii,comdat
.Lfunc_end297:
	.size	_Z12wvSplitK_hf_I14__hip_bfloat16Li64ELi2ELi16ELi8ELi2ELi5EEviiiiiiPKT_S3_S3_PS1_ii, .Lfunc_end297-_Z12wvSplitK_hf_I14__hip_bfloat16Li64ELi2ELi16ELi8ELi2ELi5EEviiiiiiPKT_S3_S3_PS1_ii
                                        ; -- End function
	.section	.AMDGPU.csdata,"",@progbits
; Kernel info:
; codeLenInByte = 7912
; NumSgprs: 38
; NumVgprs: 100
; ScratchSize: 0
; MemoryBound: 0
; FloatMode: 240
; IeeeMode: 1
; LDSByteSize: 65536 bytes/workgroup (compile time only)
; SGPRBlocks: 4
; VGPRBlocks: 12
; NumSGPRsForWavesPerEU: 38
; NumVGPRsForWavesPerEU: 100
; Occupancy: 12
; WaveLimiterHint : 0
; COMPUTE_PGM_RSRC2:SCRATCH_EN: 0
; COMPUTE_PGM_RSRC2:USER_SGPR: 15
; COMPUTE_PGM_RSRC2:TRAP_HANDLER: 0
; COMPUTE_PGM_RSRC2:TGID_X_EN: 1
; COMPUTE_PGM_RSRC2:TGID_Y_EN: 0
; COMPUTE_PGM_RSRC2:TGID_Z_EN: 0
; COMPUTE_PGM_RSRC2:TIDIG_COMP_CNT: 1
	.section	.text._Z16wvSplitK_hf_big_I14__hip_bfloat16Li64ELi2ELi16ELi8ELi2ELi5EEviiiiiiPKT_S3_S3_PS1_ii,"axG",@progbits,_Z16wvSplitK_hf_big_I14__hip_bfloat16Li64ELi2ELi16ELi8ELi2ELi5EEviiiiiiPKT_S3_S3_PS1_ii,comdat
	.protected	_Z16wvSplitK_hf_big_I14__hip_bfloat16Li64ELi2ELi16ELi8ELi2ELi5EEviiiiiiPKT_S3_S3_PS1_ii ; -- Begin function _Z16wvSplitK_hf_big_I14__hip_bfloat16Li64ELi2ELi16ELi8ELi2ELi5EEviiiiiiPKT_S3_S3_PS1_ii
	.globl	_Z16wvSplitK_hf_big_I14__hip_bfloat16Li64ELi2ELi16ELi8ELi2ELi5EEviiiiiiPKT_S3_S3_PS1_ii
	.p2align	8
	.type	_Z16wvSplitK_hf_big_I14__hip_bfloat16Li64ELi2ELi16ELi8ELi2ELi5EEviiiiiiPKT_S3_S3_PS1_ii,@function
_Z16wvSplitK_hf_big_I14__hip_bfloat16Li64ELi2ELi16ELi8ELi2ELi5EEviiiiiiPKT_S3_S3_PS1_ii: ; @_Z16wvSplitK_hf_big_I14__hip_bfloat16Li64ELi2ELi16ELi8ELi2ELi5EEviiiiiiPKT_S3_S3_PS1_ii
; %bb.0:
	s_load_b64 s[20:21], s[0:1], 0x38
	v_bfe_u32 v1, v0, 10, 10
	s_mov_b32 s2, exec_lo
	s_waitcnt lgkmcnt(0)
	s_delay_alu instid0(VALU_DEP_1)
	v_cmpx_gt_u32_e64 s20, v1
	s_cbranch_execz .LBB298_100
; %bb.1:
	s_load_b128 s[16:19], s[0:1], 0x0
	s_mul_i32 s15, s15, s20
	s_mov_b32 s4, 1
	v_add_lshl_u32 v57, s15, v1, 1
	s_mov_b32 s5, s4
	s_delay_alu instid0(SALU_CYCLE_1) | instskip(NEXT) | instid1(VALU_DEP_2)
	v_dual_mov_b32 v56, s5 :: v_dual_mov_b32 v55, s4
	v_add_nc_u32_e32 v2, 2, v57
	s_waitcnt lgkmcnt(0)
	v_cmp_gt_u32_e32 vcc_lo, s19, v57
	s_delay_alu instid0(VALU_DEP_2) | instskip(NEXT) | instid1(VALU_DEP_1)
	v_cmp_le_u32_e64 s2, s19, v2
	s_and_b32 s2, vcc_lo, s2
	s_delay_alu instid0(SALU_CYCLE_1)
	s_and_saveexec_b32 s6, s2
	s_cbranch_execz .LBB298_7
; %bb.2:
	v_dual_mov_b32 v56, s5 :: v_dual_mov_b32 v55, s4
	s_add_i32 s7, s19, -2
	s_mov_b32 s8, exec_lo
	v_cmpx_ne_u32_e64 s7, v57
	s_cbranch_execz .LBB298_6
; %bb.3:
	v_subrev_nc_u32_e32 v2, s7, v57
	s_mov_b32 s2, 1
	s_mov_b32 s9, 0
	s_mov_b64 s[4:5], 0
	s_mov_b32 s3, s2
	v_cmp_lt_u32_e32 vcc_lo, 1, v2
	v_cndmask_b32_e32 v2, 1, v2, vcc_lo
.LBB298_4:                              ; =>This Inner Loop Header: Depth=1
	s_cmp_lg_u32 s4, 1
	s_cselect_b32 s3, s3, 0
	s_cmp_lg_u32 s4, 0
	s_cselect_b32 s2, s2, 0
	s_add_u32 s4, s4, 1
	v_dual_mov_b32 v56, s3 :: v_dual_mov_b32 v55, s2
	v_cmp_eq_u32_e32 vcc_lo, s4, v2
	s_addc_u32 s5, s5, 0
	s_or_b32 s9, vcc_lo, s9
	s_delay_alu instid0(SALU_CYCLE_1)
	s_and_not1_b32 exec_lo, exec_lo, s9
	s_cbranch_execnz .LBB298_4
; %bb.5:
	s_or_b32 exec_lo, exec_lo, s9
	v_mov_b32_e32 v57, s7
.LBB298_6:
	s_or_b32 exec_lo, exec_lo, s8
.LBB298_7:
	s_delay_alu instid0(SALU_CYCLE_1)
	s_or_b32 exec_lo, exec_lo, s6
	s_lshl_b32 s2, s20, 1
	s_abs_i32 s6, s19
	s_abs_i32 s3, s2
	s_mov_b32 s22, 0
	v_cvt_f32_u32_e32 v2, s3
	s_sub_i32 s5, 0, s3
	s_delay_alu instid0(VALU_DEP_1) | instskip(SKIP_2) | instid1(VALU_DEP_1)
	v_rcp_iflag_f32_e32 v2, v2
	s_waitcnt_depctr 0xfff
	v_mul_f32_e32 v2, 0x4f7ffffe, v2
	v_cvt_u32_f32_e32 v2, v2
	s_delay_alu instid0(VALU_DEP_1) | instskip(NEXT) | instid1(VALU_DEP_1)
	v_readfirstlane_b32 s4, v2
	s_mul_i32 s5, s5, s4
	s_delay_alu instid0(SALU_CYCLE_1) | instskip(NEXT) | instid1(SALU_CYCLE_1)
	s_mul_hi_u32 s5, s4, s5
	s_add_i32 s4, s4, s5
	s_ashr_i32 s5, s19, 31
	s_mul_hi_u32 s4, s6, s4
	s_delay_alu instid0(SALU_CYCLE_1) | instskip(NEXT) | instid1(SALU_CYCLE_1)
	s_mul_i32 s4, s4, s3
	s_sub_i32 s4, s6, s4
	s_delay_alu instid0(SALU_CYCLE_1) | instskip(SKIP_2) | instid1(SALU_CYCLE_1)
	s_sub_i32 s6, s4, s3
	s_cmp_ge_u32 s4, s3
	s_cselect_b32 s4, s6, s4
	s_sub_i32 s6, s4, s3
	s_cmp_ge_u32 s4, s3
	s_cselect_b32 s3, s6, s4
	s_add_i32 s2, s2, s19
	s_xor_b32 s3, s3, s5
	s_delay_alu instid0(SALU_CYCLE_1) | instskip(NEXT) | instid1(SALU_CYCLE_1)
	s_sub_i32 s3, s3, s5
	s_sub_i32 s2, s2, s3
	s_cmp_eq_u32 s3, 0
	s_cselect_b32 s3, s19, s2
	s_delay_alu instid0(SALU_CYCLE_1)
	v_cmp_gt_u32_e32 vcc_lo, s3, v57
	s_and_b32 exec_lo, exec_lo, vcc_lo
	s_cbranch_execz .LBB298_100
; %bb.8:
	s_load_b256 s[4:11], s[0:1], 0x10
	s_min_u32 s23, s18, 0x1800
	s_cmp_lg_u32 s16, 0
	s_mul_i32 s2, s21, s20
	s_cselect_b32 s24, -1, 0
	s_cmp_lg_u32 s18, 0
	s_load_b64 s[12:13], s[0:1], 0x30
	s_cselect_b32 s21, -1, 0
	s_lshl_b32 s25, s20, 9
	s_add_i32 s26, s16, -8
	s_add_i32 s27, s19, -1
	s_lshl_b32 s28, s2, 1
	v_and_b32_e32 v0, 0x3ff, v0
	v_mbcnt_lo_u32_b32 v66, -1, 0
	v_mov_b32_e32 v59, 0
	s_waitcnt lgkmcnt(0)
	s_cmp_lg_u64 s[10:11], 0
	s_cselect_b32 s29, -1, 0
	s_abs_i32 s2, s5
	s_add_i32 s30, s19, -2
	v_cvt_f32_u32_e32 v2, s2
	s_sub_i32 s1, 0, s2
	s_sub_i32 s14, 0, s4
	;; [unrolled: 1-line block ×3, first 2 shown]
	s_mul_i32 s5, s23, 6
	v_rcp_iflag_f32_e32 v2, v2
	s_waitcnt_depctr 0xfff
	v_mul_f32_e32 v2, 0x4f7ffffe, v2
	s_delay_alu instid0(VALU_DEP_1) | instskip(NEXT) | instid1(VALU_DEP_1)
	v_cvt_u32_f32_e32 v2, v2
	v_readfirstlane_b32 s0, v2
	v_cvt_f32_u32_e32 v2, s4
	s_delay_alu instid0(VALU_DEP_2) | instskip(NEXT) | instid1(VALU_DEP_1)
	s_mul_i32 s1, s1, s0
	v_rcp_iflag_f32_e32 v2, v2
	s_mul_hi_u32 s1, s0, s1
	v_lshlrev_b32_e32 v67, 3, v0
	s_add_i32 s1, s0, s1
	s_cmp_lt_u32 s2, 2
	v_cmp_eq_u32_e64 s0, 63, v0
	s_cselect_b32 s15, s15, 1
	v_lshlrev_b32_e32 v0, 4, v0
	s_sub_i32 s31, s15, s2
	s_cmp_ge_u32 s15, s2
	s_waitcnt_depctr 0xfff
	v_mul_f32_e32 v2, 0x4f7ffffe, v2
	s_cselect_b32 s31, s31, s15
	s_lshr_b32 s15, s1, 31
	v_lshl_add_u32 v60, v1, 9, v67
	s_mul_i32 s15, s15, s2
	v_cvt_u32_f32_e32 v2, v2
	s_sub_i32 s15, 2, s15
	v_lshl_add_u32 v68, v1, 10, v0
	s_sub_i32 s33, s15, s2
	s_cmp_ge_u32 s15, s2
	v_mul_lo_u32 v3, s14, v2
	s_cselect_b32 s14, s33, s15
	s_mul_hi_u32 s15, s1, 3
	s_sub_i32 s33, s14, s2
	s_cmp_ge_u32 s14, s2
	s_mul_i32 s15, s15, s2
	s_cselect_b32 s33, s33, s14
	s_sub_i32 s14, 3, s15
	v_mul_hi_u32 v0, v2, v3
	s_sub_i32 s15, s14, s2
	s_cmp_ge_u32 s14, s2
	v_mad_u64_u32 v[61:62], null, s18, 3, v[60:61]
	s_cselect_b32 s14, s15, s14
	v_lshl_add_u32 v69, s18, 1, v60
	s_sub_i32 s15, s14, s2
	s_cmp_ge_u32 s14, s2
	v_lshl_add_u32 v70, s18, 2, v60
	s_cselect_b32 s34, s15, s14
	s_lshr_b32 s1, s1, 30
	v_add_nc_u32_e32 v71, s18, v60
	s_mul_i32 s1, s1, s2
	v_add_nc_u32_e32 v72, v2, v0
	s_sub_i32 s1, 4, s1
	s_mul_i32 s31, s31, s4
	s_sub_i32 s14, s1, s2
	s_cmp_ge_u32 s1, s2
	s_mul_i32 s33, s33, s4
	s_cselect_b32 s1, s14, s1
	s_mul_i32 s34, s34, s4
	s_sub_i32 s14, s1, s2
	s_cmp_ge_u32 s1, s2
	s_cselect_b32 s39, s14, s1
	s_add_u32 s35, s12, 2
	s_addc_u32 s36, s13, 0
	s_lshl_b32 s37, s23, 3
	s_lshl_b32 s20, s20, 10
	;; [unrolled: 1-line block ×3, first 2 shown]
	s_mul_i32 s39, s39, s4
	s_lshl_b32 s40, s23, 1
	s_branch .LBB298_12
.LBB298_9:                              ;   in Loop: Header=BB298_12 Depth=1
	s_or_b32 exec_lo, exec_lo, s43
	v_mov_b32_e32 v57, s30
.LBB298_10:                             ;   in Loop: Header=BB298_12 Depth=1
	s_or_b32 exec_lo, exec_lo, s42
.LBB298_11:                             ;   in Loop: Header=BB298_12 Depth=1
	s_delay_alu instid0(SALU_CYCLE_1) | instskip(NEXT) | instid1(VALU_DEP_1)
	s_or_b32 exec_lo, exec_lo, s41
	v_cmp_le_u32_e32 vcc_lo, s3, v57
	s_or_b32 s22, vcc_lo, s22
	s_delay_alu instid0(SALU_CYCLE_1)
	s_and_not1_b32 exec_lo, exec_lo, s22
	s_cbranch_execz .LBB298_100
.LBB298_12:                             ; =>This Loop Header: Depth=1
                                        ;     Child Loop BB298_17 Depth 2
                                        ;       Child Loop BB298_22 Depth 3
                                        ;     Child Loop BB298_98 Depth 2
	v_mov_b32_e32 v76, v59
	v_mov_b32_e32 v75, v59
	;; [unrolled: 1-line block ×10, first 2 shown]
	s_and_not1_b32 vcc_lo, exec_lo, s24
	s_mov_b32 s14, 0
	s_cbranch_vccnz .LBB298_29
; %bb.13:                               ;   in Loop: Header=BB298_12 Depth=1
	s_waitcnt lgkmcnt(3)
	v_dual_mov_b32 v1, v59 :: v_dual_add_nc_u32 v0, 1, v57
	v_min_u32_e32 v2, s27, v57
	v_cmp_gt_u32_e64 s1, s19, v57
	v_dual_mov_b32 v82, 0 :: v_dual_mov_b32 v79, 0
	s_delay_alu instid0(VALU_DEP_4) | instskip(NEXT) | instid1(VALU_DEP_4)
	v_min_u32_e32 v0, s27, v0
	v_mul_lo_u32 v58, v2, s17
	v_dual_mov_b32 v81, 0 :: v_dual_mov_b32 v78, 0
	v_dual_mov_b32 v80, 0 :: v_dual_mov_b32 v77, 0
	s_delay_alu instid0(VALU_DEP_4) | instskip(SKIP_4) | instid1(VALU_DEP_4)
	v_mul_lo_u32 v0, v0, s17
	v_dual_mov_b32 v74, 0 :: v_dual_mov_b32 v73, 0
	v_lshlrev_b64 v[62:63], 1, v[58:59]
	v_dual_mov_b32 v75, 0 :: v_dual_mov_b32 v76, 0
	s_mov_b32 s15, 0
	v_lshlrev_b64 v[64:65], 1, v[0:1]
	s_branch .LBB298_17
.LBB298_14:                             ;   in Loop: Header=BB298_17 Depth=2
	s_or_b32 exec_lo, exec_lo, s42
.LBB298_15:                             ;   in Loop: Header=BB298_17 Depth=2
	s_delay_alu instid0(SALU_CYCLE_1)
	s_or_b32 exec_lo, exec_lo, s41
	s_waitcnt vmcnt(3)
	v_lshlrev_b32_e32 v85, 16, v44
	s_waitcnt lgkmcnt(4)
	v_and_b32_e32 v83, 0xffff0000, v48
	v_and_b32_e32 v88, 0xffff0000, v46
	v_lshlrev_b32_e32 v46, 16, v46
	v_and_b32_e32 v86, 0xffff0000, v45
	v_lshlrev_b32_e32 v45, 16, v45
	;; [unrolled: 2-line block ×3, first 2 shown]
	s_waitcnt vmcnt(2)
	v_lshlrev_b32_e32 v92, 16, v36
	s_delay_alu instid0(VALU_DEP_3) | instskip(NEXT) | instid1(VALU_DEP_1)
	v_mul_f32_e32 v44, v83, v84
	v_fmac_f32_e32 v44, v48, v85
	s_delay_alu instid0(VALU_DEP_1) | instskip(SKIP_2) | instid1(VALU_DEP_2)
	v_add_f32_e32 v44, v82, v44
	v_and_b32_e32 v82, 0xffff0000, v49
	v_lshlrev_b32_e32 v49, 16, v49
	v_mul_f32_e32 v87, v82, v86
	s_delay_alu instid0(VALU_DEP_1) | instskip(NEXT) | instid1(VALU_DEP_1)
	v_fmac_f32_e32 v87, v49, v45
	v_dual_add_f32 v44, v44, v87 :: v_dual_and_b32 v87, 0xffff0000, v50
	v_and_b32_e32 v90, 0xffff0000, v47
	v_lshlrev_b32_e32 v47, 16, v47
	s_delay_alu instid0(VALU_DEP_3) | instskip(NEXT) | instid1(VALU_DEP_1)
	v_dual_mul_f32 v89, v87, v88 :: v_dual_lshlrev_b32 v50, 16, v50
	v_fmac_f32_e32 v89, v50, v46
	s_delay_alu instid0(VALU_DEP_1) | instskip(SKIP_1) | instid1(VALU_DEP_2)
	v_dual_add_f32 v44, v44, v89 :: v_dual_and_b32 v89, 0xffff0000, v51
	v_lshlrev_b32_e32 v51, 16, v51
	v_mul_f32_e32 v91, v89, v90
	s_delay_alu instid0(VALU_DEP_1) | instskip(NEXT) | instid1(VALU_DEP_1)
	v_fmac_f32_e32 v91, v51, v47
	v_dual_add_f32 v44, v44, v91 :: v_dual_and_b32 v91, 0xffff0000, v36
	s_delay_alu instid0(VALU_DEP_1) | instskip(NEXT) | instid1(VALU_DEP_1)
	v_mul_f32_e32 v36, v83, v91
	v_fmac_f32_e32 v36, v48, v92
	v_and_b32_e32 v48, 0xffff0000, v37
	s_delay_alu instid0(VALU_DEP_2) | instskip(NEXT) | instid1(VALU_DEP_2)
	v_dual_add_f32 v36, v79, v36 :: v_dual_lshlrev_b32 v79, 16, v37
	v_dual_mul_f32 v37, v82, v48 :: v_dual_lshlrev_b32 v82, 16, v38
	s_delay_alu instid0(VALU_DEP_1) | instskip(NEXT) | instid1(VALU_DEP_1)
	v_fmac_f32_e32 v37, v49, v79
	v_dual_add_f32 v36, v36, v37 :: v_dual_and_b32 v49, 0xffff0000, v38
	s_delay_alu instid0(VALU_DEP_1) | instskip(NEXT) | instid1(VALU_DEP_1)
	v_mul_f32_e32 v37, v87, v49
	v_fmac_f32_e32 v37, v50, v82
	s_delay_alu instid0(VALU_DEP_1) | instskip(SKIP_2) | instid1(VALU_DEP_2)
	v_add_f32_e32 v36, v36, v37
	v_and_b32_e32 v50, 0xffff0000, v39
	v_lshlrev_b32_e32 v39, 16, v39
	v_mul_f32_e32 v37, v89, v50
	s_delay_alu instid0(VALU_DEP_1) | instskip(SKIP_3) | instid1(VALU_DEP_3)
	v_fmac_f32_e32 v37, v51, v39
	s_waitcnt lgkmcnt(3)
	v_and_b32_e32 v51, 0xffff0000, v41
	v_lshlrev_b32_e32 v41, 16, v41
	v_dual_add_f32 v37, v36, v37 :: v_dual_and_b32 v36, 0xffff0000, v40
	v_lshlrev_b32_e32 v40, 16, v40
	s_delay_alu instid0(VALU_DEP_2) | instskip(SKIP_1) | instid1(VALU_DEP_2)
	v_mul_f32_e32 v38, v36, v84
	v_mul_f32_e32 v36, v36, v91
	v_fmac_f32_e32 v38, v40, v85
	s_delay_alu instid0(VALU_DEP_1) | instskip(NEXT) | instid1(VALU_DEP_3)
	v_add_f32_e32 v38, v81, v38
	v_dual_mul_f32 v81, v51, v86 :: v_dual_fmac_f32 v36, v40, v92
	s_delay_alu instid0(VALU_DEP_1) | instskip(NEXT) | instid1(VALU_DEP_1)
	v_dual_fmac_f32 v81, v41, v45 :: v_dual_add_f32 v36, v78, v36
	v_dual_add_f32 v38, v38, v81 :: v_dual_and_b32 v81, 0xffff0000, v42
	s_delay_alu instid0(VALU_DEP_1) | instskip(NEXT) | instid1(VALU_DEP_1)
	v_dual_mul_f32 v83, v81, v88 :: v_dual_lshlrev_b32 v42, 16, v42
	v_fmac_f32_e32 v83, v42, v46
	s_delay_alu instid0(VALU_DEP_1) | instskip(SKIP_2) | instid1(VALU_DEP_2)
	v_add_f32_e32 v38, v38, v83
	v_dual_mul_f32 v40, v51, v48 :: v_dual_and_b32 v83, 0xffff0000, v43
	v_lshlrev_b32_e32 v43, 16, v43
	v_dual_mul_f32 v87, v83, v90 :: v_dual_fmac_f32 v40, v41, v79
	s_delay_alu instid0(VALU_DEP_1) | instskip(SKIP_1) | instid1(VALU_DEP_1)
	v_dual_fmac_f32 v87, v43, v47 :: v_dual_add_f32 v36, v36, v40
	v_mul_f32_e32 v40, v81, v49
	v_fmac_f32_e32 v40, v42, v82
	s_waitcnt lgkmcnt(2)
	v_and_b32_e32 v42, 0xffff0000, v33
	s_delay_alu instid0(VALU_DEP_2) | instskip(SKIP_1) | instid1(VALU_DEP_1)
	v_add_f32_e32 v36, v36, v40
	v_mul_f32_e32 v40, v83, v50
	v_dual_fmac_f32 v40, v43, v39 :: v_dual_lshlrev_b32 v43, 16, v33
	s_delay_alu instid0(VALU_DEP_1) | instskip(SKIP_2) | instid1(VALU_DEP_3)
	v_dual_mul_f32 v33, v42, v86 :: v_dual_add_f32 v36, v36, v40
	v_and_b32_e32 v40, 0xffff0000, v32
	v_add_f32_e32 v38, v38, v87
	v_dual_fmac_f32 v33, v43, v45 :: v_dual_lshlrev_b32 v32, 16, v32
	s_delay_alu instid0(VALU_DEP_3) | instskip(NEXT) | instid1(VALU_DEP_1)
	v_mul_f32_e32 v41, v40, v84
	v_fmac_f32_e32 v41, v32, v85
	s_delay_alu instid0(VALU_DEP_1) | instskip(NEXT) | instid1(VALU_DEP_1)
	v_add_f32_e32 v41, v80, v41
	v_add_f32_e32 v33, v41, v33
	v_and_b32_e32 v41, 0xffff0000, v34
	s_delay_alu instid0(VALU_DEP_1) | instskip(NEXT) | instid1(VALU_DEP_1)
	v_dual_mul_f32 v51, v41, v88 :: v_dual_lshlrev_b32 v34, 16, v34
	v_dual_fmac_f32 v51, v34, v46 :: v_dual_mul_f32 v40, v40, v91
	s_delay_alu instid0(VALU_DEP_1) | instskip(NEXT) | instid1(VALU_DEP_2)
	v_add_f32_e32 v33, v33, v51
	v_dual_fmac_f32 v40, v32, v92 :: v_dual_and_b32 v51, 0xffff0000, v35
	s_delay_alu instid0(VALU_DEP_1) | instskip(NEXT) | instid1(VALU_DEP_2)
	v_dual_mul_f32 v78, v51, v90 :: v_dual_lshlrev_b32 v35, 16, v35
	v_add_f32_e32 v32, v74, v40
	v_mul_f32_e32 v40, v42, v48
	s_delay_alu instid0(VALU_DEP_1) | instskip(NEXT) | instid1(VALU_DEP_1)
	v_fmac_f32_e32 v40, v43, v79
	v_add_f32_e32 v32, v32, v40
	v_mul_f32_e32 v40, v41, v49
	s_waitcnt lgkmcnt(1)
	s_delay_alu instid0(VALU_DEP_1) | instskip(SKIP_1) | instid1(VALU_DEP_2)
	v_dual_fmac_f32 v40, v34, v82 :: v_dual_lshlrev_b32 v41, 16, v29
	v_mul_f32_e32 v34, v51, v50
	v_add_f32_e32 v32, v32, v40
	v_and_b32_e32 v40, 0xffff0000, v29
	s_delay_alu instid0(VALU_DEP_1) | instskip(NEXT) | instid1(VALU_DEP_1)
	v_dual_fmac_f32 v34, v35, v39 :: v_dual_mul_f32 v29, v40, v86
	v_add_f32_e32 v32, v32, v34
	v_and_b32_e32 v34, 0xffff0000, v28
	v_fmac_f32_e32 v78, v35, v47
	s_delay_alu instid0(VALU_DEP_4) | instskip(NEXT) | instid1(VALU_DEP_3)
	v_dual_fmac_f32 v29, v41, v45 :: v_dual_lshlrev_b32 v28, 16, v28
	v_mul_f32_e32 v35, v34, v84
	s_delay_alu instid0(VALU_DEP_3) | instskip(NEXT) | instid1(VALU_DEP_2)
	v_add_f32_e32 v33, v33, v78
	v_fmac_f32_e32 v35, v28, v85
	s_delay_alu instid0(VALU_DEP_1) | instskip(NEXT) | instid1(VALU_DEP_1)
	v_add_f32_e32 v35, v77, v35
	v_add_f32_e32 v29, v35, v29
	v_and_b32_e32 v35, 0xffff0000, v30
	v_lshlrev_b32_e32 v30, 16, v30
	s_delay_alu instid0(VALU_DEP_2) | instskip(NEXT) | instid1(VALU_DEP_1)
	v_mul_f32_e32 v42, v35, v88
	v_fmac_f32_e32 v42, v30, v46
	s_delay_alu instid0(VALU_DEP_1) | instskip(SKIP_1) | instid1(VALU_DEP_2)
	v_dual_add_f32 v29, v29, v42 :: v_dual_and_b32 v42, 0xffff0000, v31
	v_lshlrev_b32_e32 v31, 16, v31
	v_mul_f32_e32 v43, v42, v90
	v_mul_f32_e32 v34, v34, v91
	s_delay_alu instid0(VALU_DEP_1) | instskip(NEXT) | instid1(VALU_DEP_1)
	v_dual_fmac_f32 v43, v31, v47 :: v_dual_fmac_f32 v34, v28, v92
	v_add_f32_e32 v29, v29, v43
	s_delay_alu instid0(VALU_DEP_2) | instskip(SKIP_1) | instid1(VALU_DEP_1)
	v_add_f32_e32 v28, v73, v34
	v_mul_f32_e32 v34, v40, v48
	v_fmac_f32_e32 v34, v41, v79
	s_delay_alu instid0(VALU_DEP_1) | instskip(SKIP_2) | instid1(VALU_DEP_1)
	v_add_f32_e32 v28, v28, v34
	v_mul_f32_e32 v34, v35, v49
	s_waitcnt lgkmcnt(0)
	v_dual_fmac_f32 v34, v30, v82 :: v_dual_lshlrev_b32 v35, 16, v25
	s_delay_alu instid0(VALU_DEP_1) | instskip(SKIP_1) | instid1(VALU_DEP_1)
	v_add_f32_e32 v28, v28, v34
	v_and_b32_e32 v34, 0xffff0000, v25
	v_mul_f32_e32 v25, v34, v86
	s_delay_alu instid0(VALU_DEP_1) | instskip(NEXT) | instid1(VALU_DEP_1)
	v_dual_mul_f32 v30, v42, v50 :: v_dual_fmac_f32 v25, v35, v45
	v_fmac_f32_e32 v30, v31, v39
	s_delay_alu instid0(VALU_DEP_1) | instskip(SKIP_2) | instid1(VALU_DEP_2)
	v_add_f32_e32 v28, v28, v30
	v_and_b32_e32 v30, 0xffff0000, v24
	v_lshlrev_b32_e32 v24, 16, v24
	v_mul_f32_e32 v31, v30, v84
	s_delay_alu instid0(VALU_DEP_1) | instskip(NEXT) | instid1(VALU_DEP_1)
	v_dual_mul_f32 v30, v30, v91 :: v_dual_fmac_f32 v31, v24, v85
	v_dual_fmac_f32 v30, v24, v92 :: v_dual_add_f32 v31, v75, v31
	s_delay_alu instid0(VALU_DEP_1) | instskip(NEXT) | instid1(VALU_DEP_2)
	v_add_f32_e32 v24, v76, v30
	v_dual_mul_f32 v30, v34, v48 :: v_dual_add_f32 v25, v31, v25
	s_delay_alu instid0(VALU_DEP_1) | instskip(NEXT) | instid1(VALU_DEP_1)
	v_dual_fmac_f32 v30, v35, v79 :: v_dual_and_b32 v31, 0xffff0000, v26
	v_mul_f32_e32 v40, v31, v88
	s_delay_alu instid0(VALU_DEP_2) | instskip(SKIP_4) | instid1(VALU_DEP_1)
	v_add_f32_e32 v24, v24, v30
	v_mul_f32_e32 v30, v31, v49
	v_and_b32_e32 v31, 0xffff0000, v21
	v_lshlrev_b32_e32 v21, 16, v21
	v_lshlrev_b32_e32 v26, 16, v26
	v_fmac_f32_e32 v40, v26, v46
	s_delay_alu instid0(VALU_DEP_1) | instskip(SKIP_1) | instid1(VALU_DEP_2)
	v_dual_fmac_f32 v30, v26, v82 :: v_dual_add_f32 v25, v25, v40
	v_and_b32_e32 v40, 0xffff0000, v27
	v_dual_add_f32 v24, v24, v30 :: v_dual_lshlrev_b32 v27, 16, v27
	s_delay_alu instid0(VALU_DEP_2) | instskip(NEXT) | instid1(VALU_DEP_1)
	v_mul_f32_e32 v26, v40, v50
	v_dual_mul_f32 v41, v40, v90 :: v_dual_fmac_f32 v26, v27, v39
	s_delay_alu instid0(VALU_DEP_1)
	v_fmac_f32_e32 v41, v27, v47
	s_waitcnt vmcnt(1)
	v_and_b32_e32 v27, 0xffff0000, v16
	v_lshlrev_b32_e32 v16, 16, v16
	v_and_b32_e32 v39, 0xffff0000, v18
	v_add_f32_e32 v24, v24, v26
	v_and_b32_e32 v26, 0xffff0000, v20
	v_lshlrev_b32_e32 v18, 16, v18
	v_and_b32_e32 v34, 0xffff0000, v17
	v_lshlrev_b32_e32 v20, 16, v20
	s_delay_alu instid0(VALU_DEP_4) | instskip(SKIP_1) | instid1(VALU_DEP_4)
	v_dual_mul_f32 v30, v26, v27 :: v_dual_lshlrev_b32 v17, 16, v17
	v_add_f32_e32 v25, v25, v41
	v_mul_f32_e32 v35, v31, v34
	v_and_b32_e32 v41, 0xffff0000, v19
	s_delay_alu instid0(VALU_DEP_4) | instskip(NEXT) | instid1(VALU_DEP_1)
	v_dual_fmac_f32 v30, v20, v16 :: v_dual_lshlrev_b32 v19, 16, v19
	v_dual_fmac_f32 v35, v21, v17 :: v_dual_add_f32 v30, v44, v30
	s_delay_alu instid0(VALU_DEP_1) | instskip(SKIP_1) | instid1(VALU_DEP_2)
	v_dual_add_f32 v30, v30, v35 :: v_dual_and_b32 v35, 0xffff0000, v22
	v_lshlrev_b32_e32 v22, 16, v22
	v_mul_f32_e32 v40, v35, v39
	s_delay_alu instid0(VALU_DEP_1) | instskip(NEXT) | instid1(VALU_DEP_1)
	v_fmac_f32_e32 v40, v22, v18
	v_add_f32_e32 v30, v30, v40
	v_and_b32_e32 v40, 0xffff0000, v23
	s_delay_alu instid0(VALU_DEP_1) | instskip(NEXT) | instid1(VALU_DEP_1)
	v_dual_mul_f32 v42, v40, v41 :: v_dual_lshlrev_b32 v23, 16, v23
	v_fmac_f32_e32 v42, v23, v19
	s_delay_alu instid0(VALU_DEP_1) | instskip(SKIP_3) | instid1(VALU_DEP_2)
	v_add_f32_e32 v82, v30, v42
	s_waitcnt vmcnt(0)
	v_and_b32_e32 v30, 0xffff0000, v12
	v_lshlrev_b32_e32 v12, 16, v12
	v_mul_f32_e32 v26, v26, v30
	s_delay_alu instid0(VALU_DEP_1) | instskip(NEXT) | instid1(VALU_DEP_1)
	v_fmac_f32_e32 v26, v20, v12
	v_add_f32_e32 v20, v37, v26
	v_and_b32_e32 v26, 0xffff0000, v13
	v_lshlrev_b32_e32 v13, 16, v13
	s_delay_alu instid0(VALU_DEP_2) | instskip(NEXT) | instid1(VALU_DEP_1)
	v_mul_f32_e32 v31, v31, v26
	v_fmac_f32_e32 v31, v21, v13
	v_and_b32_e32 v21, 0xffff0000, v14
	v_lshlrev_b32_e32 v14, 16, v14
	s_delay_alu instid0(VALU_DEP_2) | instskip(NEXT) | instid1(VALU_DEP_1)
	v_dual_add_f32 v20, v20, v31 :: v_dual_mul_f32 v31, v35, v21
	v_dual_fmac_f32 v31, v22, v14 :: v_dual_and_b32 v22, 0xffff0000, v15
	v_lshlrev_b32_e32 v15, 16, v15
	s_delay_alu instid0(VALU_DEP_2) | instskip(NEXT) | instid1(VALU_DEP_3)
	v_add_f32_e32 v20, v20, v31
	v_mul_f32_e32 v31, v40, v22
	s_delay_alu instid0(VALU_DEP_1) | instskip(NEXT) | instid1(VALU_DEP_1)
	v_fmac_f32_e32 v31, v23, v15
	v_dual_add_f32 v79, v20, v31 :: v_dual_and_b32 v20, 0xffff0000, v8
	v_lshlrev_b32_e32 v8, 16, v8
	v_and_b32_e32 v31, 0xffff0000, v9
	v_lshlrev_b32_e32 v9, 16, v9
	s_delay_alu instid0(VALU_DEP_4) | instskip(SKIP_1) | instid1(VALU_DEP_4)
	v_mul_f32_e32 v23, v20, v27
	v_mul_f32_e32 v20, v20, v30
	;; [unrolled: 1-line block ×3, first 2 shown]
	s_delay_alu instid0(VALU_DEP_3) | instskip(NEXT) | instid1(VALU_DEP_2)
	v_fmac_f32_e32 v23, v8, v16
	v_dual_fmac_f32 v20, v8, v12 :: v_dual_fmac_f32 v35, v9, v17
	s_delay_alu instid0(VALU_DEP_1) | instskip(SKIP_1) | instid1(VALU_DEP_2)
	v_dual_add_f32 v23, v38, v23 :: v_dual_add_f32 v8, v36, v20
	v_mul_f32_e32 v20, v31, v26
	v_add_f32_e32 v23, v23, v35
	v_and_b32_e32 v35, 0xffff0000, v10
	v_lshlrev_b32_e32 v10, 16, v10
	s_delay_alu instid0(VALU_DEP_2) | instskip(NEXT) | instid1(VALU_DEP_1)
	v_dual_fmac_f32 v20, v9, v13 :: v_dual_mul_f32 v37, v35, v39
	v_dual_mul_f32 v9, v35, v21 :: v_dual_add_f32 v8, v8, v20
	s_delay_alu instid0(VALU_DEP_2) | instskip(NEXT) | instid1(VALU_DEP_2)
	v_fmac_f32_e32 v37, v10, v18
	v_dual_fmac_f32 v9, v10, v14 :: v_dual_and_b32 v10, 0xffff0000, v5
	v_lshlrev_b32_e32 v5, 16, v5
	s_delay_alu instid0(VALU_DEP_3) | instskip(SKIP_1) | instid1(VALU_DEP_4)
	v_add_f32_e32 v23, v23, v37
	v_and_b32_e32 v37, 0xffff0000, v11
	v_dual_add_f32 v8, v8, v9 :: v_dual_lshlrev_b32 v11, 16, v11
	s_delay_alu instid0(VALU_DEP_2) | instskip(NEXT) | instid1(VALU_DEP_1)
	v_mul_f32_e32 v9, v37, v22
	v_dual_mul_f32 v38, v37, v41 :: v_dual_fmac_f32 v9, v11, v15
	s_delay_alu instid0(VALU_DEP_1) | instskip(NEXT) | instid1(VALU_DEP_2)
	v_dual_fmac_f32 v38, v11, v19 :: v_dual_mul_f32 v11, v10, v34
	v_add_f32_e32 v78, v8, v9
	v_and_b32_e32 v8, 0xffff0000, v4
	s_delay_alu instid0(VALU_DEP_3) | instskip(NEXT) | instid1(VALU_DEP_4)
	v_dual_fmac_f32 v11, v5, v17 :: v_dual_lshlrev_b32 v4, 16, v4
	v_add_f32_e32 v81, v23, v38
	s_delay_alu instid0(VALU_DEP_3) | instskip(SKIP_1) | instid1(VALU_DEP_2)
	v_mul_f32_e32 v9, v8, v27
	v_mul_f32_e32 v8, v8, v30
	v_fmac_f32_e32 v9, v4, v16
	s_delay_alu instid0(VALU_DEP_1) | instskip(NEXT) | instid1(VALU_DEP_1)
	v_dual_add_f32 v9, v33, v9 :: v_dual_fmac_f32 v8, v4, v12
	v_add_f32_e32 v9, v9, v11
	v_and_b32_e32 v11, 0xffff0000, v6
	v_lshlrev_b32_e32 v6, 16, v6
	s_delay_alu instid0(VALU_DEP_4) | instskip(SKIP_1) | instid1(VALU_DEP_4)
	v_add_f32_e32 v4, v32, v8
	v_mul_f32_e32 v8, v10, v26
	v_mul_f32_e32 v20, v11, v39
	s_delay_alu instid0(VALU_DEP_2) | instskip(NEXT) | instid1(VALU_DEP_2)
	v_fmac_f32_e32 v8, v5, v13
	v_dual_mul_f32 v5, v11, v21 :: v_dual_fmac_f32 v20, v6, v18
	s_delay_alu instid0(VALU_DEP_2) | instskip(NEXT) | instid1(VALU_DEP_2)
	v_add_f32_e32 v4, v4, v8
	v_dual_add_f32 v9, v9, v20 :: v_dual_and_b32 v20, 0xffff0000, v7
	s_delay_alu instid0(VALU_DEP_3)
	v_fmac_f32_e32 v5, v6, v14
	v_lshlrev_b32_e32 v7, 16, v7
	v_and_b32_e32 v6, 0xffff0000, v1
	v_lshlrev_b32_e32 v1, 16, v1
	v_mul_f32_e32 v23, v20, v41
	v_add_f32_e32 v4, v4, v5
	v_mul_f32_e32 v5, v20, v22
	s_delay_alu instid0(VALU_DEP_3) | instskip(NEXT) | instid1(VALU_DEP_2)
	v_fmac_f32_e32 v23, v7, v19
	v_fmac_f32_e32 v5, v7, v15
	s_delay_alu instid0(VALU_DEP_1) | instskip(SKIP_1) | instid1(VALU_DEP_2)
	v_dual_mul_f32 v7, v6, v34 :: v_dual_add_f32 v74, v4, v5
	v_and_b32_e32 v4, 0xffff0000, v0
	v_dual_fmac_f32 v7, v1, v17 :: v_dual_lshlrev_b32 v0, 16, v0
	s_delay_alu instid0(VALU_DEP_2) | instskip(SKIP_1) | instid1(VALU_DEP_2)
	v_mul_f32_e32 v5, v4, v27
	v_mul_f32_e32 v4, v4, v30
	v_fmac_f32_e32 v5, v0, v16
	s_delay_alu instid0(VALU_DEP_1) | instskip(NEXT) | instid1(VALU_DEP_1)
	v_dual_fmac_f32 v4, v0, v12 :: v_dual_add_f32 v5, v29, v5
	v_add_f32_e32 v0, v28, v4
	v_mul_f32_e32 v4, v6, v26
	s_delay_alu instid0(VALU_DEP_3) | instskip(NEXT) | instid1(VALU_DEP_2)
	v_dual_add_f32 v5, v5, v7 :: v_dual_lshlrev_b32 v6, 16, v53
	v_dual_fmac_f32 v4, v1, v13 :: v_dual_and_b32 v7, 0xffff0000, v2
	s_delay_alu instid0(VALU_DEP_1) | instskip(NEXT) | instid1(VALU_DEP_2)
	v_mul_f32_e32 v8, v7, v39
	v_add_f32_e32 v0, v0, v4
	v_lshlrev_b32_e32 v4, 16, v52
	v_dual_mul_f32 v1, v7, v21 :: v_dual_lshlrev_b32 v2, 16, v2
	s_delay_alu instid0(VALU_DEP_1) | instskip(NEXT) | instid1(VALU_DEP_2)
	v_fmac_f32_e32 v8, v2, v18
	v_fmac_f32_e32 v1, v2, v14
	s_delay_alu instid0(VALU_DEP_2) | instskip(SKIP_1) | instid1(VALU_DEP_3)
	v_dual_add_f32 v5, v5, v8 :: v_dual_and_b32 v8, 0xffff0000, v3
	v_add_f32_e32 v80, v9, v23
	v_dual_add_f32 v0, v0, v1 :: v_dual_lshlrev_b32 v3, 16, v3
	s_delay_alu instid0(VALU_DEP_3) | instskip(SKIP_1) | instid1(VALU_DEP_2)
	v_mul_f32_e32 v1, v8, v22
	v_dual_mul_f32 v9, v8, v41 :: v_dual_lshlrev_b32 v8, 16, v54
	v_fmac_f32_e32 v1, v3, v15
	s_delay_alu instid0(VALU_DEP_2) | instskip(SKIP_1) | instid1(VALU_DEP_3)
	v_fmac_f32_e32 v9, v3, v19
	v_and_b32_e32 v3, 0xffff0000, v52
	v_dual_add_f32 v73, v0, v1 :: v_dual_and_b32 v0, 0xffff0000, v58
	v_lshlrev_b32_e32 v1, 16, v58
	s_delay_alu instid0(VALU_DEP_4) | instskip(NEXT) | instid1(VALU_DEP_3)
	v_add_f32_e32 v77, v5, v9
	v_dual_mul_f32 v5, v3, v34 :: v_dual_mul_f32 v2, v0, v27
	v_mul_f32_e32 v0, v0, v30
	s_delay_alu instid0(VALU_DEP_2) | instskip(NEXT) | instid1(VALU_DEP_2)
	v_dual_fmac_f32 v5, v4, v17 :: v_dual_fmac_f32 v2, v1, v16
	v_dual_fmac_f32 v0, v1, v12 :: v_dual_mul_f32 v1, v3, v26
	s_delay_alu instid0(VALU_DEP_2) | instskip(NEXT) | instid1(VALU_DEP_2)
	v_add_f32_e32 v2, v25, v2
	v_add_f32_e32 v0, v24, v0
	s_delay_alu instid0(VALU_DEP_3) | instskip(NEXT) | instid1(VALU_DEP_3)
	v_fmac_f32_e32 v1, v4, v13
	v_add_f32_e32 v2, v2, v5
	v_and_b32_e32 v5, 0xffff0000, v53
	s_delay_alu instid0(VALU_DEP_1) | instskip(SKIP_1) | instid1(VALU_DEP_2)
	v_dual_add_f32 v0, v0, v1 :: v_dual_mul_f32 v7, v5, v39
	v_mul_f32_e32 v1, v5, v21
	v_fmac_f32_e32 v7, v6, v18
	s_delay_alu instid0(VALU_DEP_2) | instskip(NEXT) | instid1(VALU_DEP_2)
	v_fmac_f32_e32 v1, v6, v14
	v_dual_add_f32 v2, v2, v7 :: v_dual_and_b32 v7, 0xffff0000, v54
	s_delay_alu instid0(VALU_DEP_2) | instskip(NEXT) | instid1(VALU_DEP_2)
	v_add_f32_e32 v0, v0, v1
	v_mul_f32_e32 v9, v7, v41
	v_mul_f32_e32 v1, v7, v22
	s_delay_alu instid0(VALU_DEP_2) | instskip(NEXT) | instid1(VALU_DEP_2)
	v_fmac_f32_e32 v9, v8, v19
	v_fmac_f32_e32 v1, v8, v15
	s_delay_alu instid0(VALU_DEP_2) | instskip(NEXT) | instid1(VALU_DEP_2)
	v_add_f32_e32 v75, v2, v9
	v_add_f32_e32 v76, v0, v1
.LBB298_16:                             ;   in Loop: Header=BB298_17 Depth=2
	s_or_b32 exec_lo, exec_lo, s2
	s_addk_i32 s15, 0x400
	s_delay_alu instid0(SALU_CYCLE_1)
	s_cmp_ge_u32 s15, s16
	s_cbranch_scc1 .LBB298_29
.LBB298_17:                             ;   Parent Loop BB298_12 Depth=1
                                        ; =>  This Loop Header: Depth=2
                                        ;       Child Loop BB298_22 Depth 3
	s_cmp_eq_u32 s15, 0
	s_cselect_b32 s41, -1, 0
	s_add_i32 s2, s14, s23
	s_delay_alu instid0(SALU_CYCLE_1) | instskip(SKIP_1) | instid1(SALU_CYCLE_1)
	s_cmp_eq_u32 s15, s2
	s_cselect_b32 s42, -1, 0
	s_or_b32 s42, s41, s42
	s_delay_alu instid0(SALU_CYCLE_1)
	s_and_not1_b32 vcc_lo, exec_lo, s42
	s_cbranch_vccz .LBB298_19
; %bb.18:                               ;   in Loop: Header=BB298_17 Depth=2
	s_and_saveexec_b32 s2, s1
	s_cbranch_execz .LBB298_16
	s_branch .LBB298_26
.LBB298_19:                             ;   in Loop: Header=BB298_17 Depth=2
	s_and_b32 s41, s41, exec_lo
	s_cselect_b32 s14, s14, s2
	s_and_not1_b32 vcc_lo, exec_lo, s21
	s_waitcnt vmcnt(0) lgkmcnt(0)
	s_waitcnt_vscnt null, 0x0
	s_barrier
	buffer_gl0_inv
	s_cbranch_vccnz .LBB298_25
; %bb.20:                               ;   in Loop: Header=BB298_17 Depth=2
	v_dual_mov_b32 v5, v68 :: v_dual_add_nc_u32 v0, s14, v69
	v_add_nc_u32_e32 v1, s14, v61
	v_add_nc_u32_e32 v2, s14, v70
	;; [unrolled: 1-line block ×4, first 2 shown]
	s_mov_b32 s41, 0
	s_mov_b32 s42, 0
                                        ; implicit-def: $sgpr43
	s_branch .LBB298_22
.LBB298_21:                             ;   in Loop: Header=BB298_22 Depth=3
	s_or_b32 exec_lo, exec_lo, s2
	s_delay_alu instid0(SALU_CYCLE_1) | instskip(NEXT) | instid1(SALU_CYCLE_1)
	s_and_b32 s2, exec_lo, s43
	s_or_b32 s41, s2, s41
	s_delay_alu instid0(SALU_CYCLE_1)
	s_and_not1_b32 exec_lo, exec_lo, s41
	s_cbranch_execz .LBB298_24
.LBB298_22:                             ;   Parent Loop BB298_12 Depth=1
                                        ;     Parent Loop BB298_17 Depth=2
                                        ; =>    This Inner Loop Header: Depth=3
	s_delay_alu instid0(VALU_DEP_1) | instskip(SKIP_2) | instid1(VALU_DEP_2)
	v_add_nc_u32_e32 v58, s42, v4
	v_add_nc_u32_e32 v6, s42, v60
	s_or_b32 s43, s43, exec_lo
	v_cmp_gt_u32_e32 vcc_lo, s18, v58
	s_delay_alu instid0(VALU_DEP_2) | instskip(NEXT) | instid1(VALU_DEP_1)
	v_cmp_gt_u32_e64 s2, s23, v6
	s_and_b32 s44, s2, vcc_lo
	s_delay_alu instid0(SALU_CYCLE_1)
	s_and_saveexec_b32 s2, s44
	s_cbranch_execz .LBB298_21
; %bb.23:                               ;   in Loop: Header=BB298_22 Depth=3
	v_lshlrev_b64 v[6:7], 1, v[58:59]
	v_add_nc_u32_e32 v58, s42, v3
	v_add_nc_u32_e32 v26, s40, v5
	;; [unrolled: 1-line block ×3, first 2 shown]
	s_delay_alu instid0(VALU_DEP_3) | instskip(SKIP_3) | instid1(VALU_DEP_3)
	v_lshlrev_b64 v[8:9], 1, v[58:59]
	v_add_nc_u32_e32 v58, s42, v0
	v_add_co_u32 v6, vcc_lo, s8, v6
	v_add_co_ci_u32_e32 v7, vcc_lo, s9, v7, vcc_lo
	v_lshlrev_b64 v[10:11], 1, v[58:59]
	v_add_nc_u32_e32 v58, s42, v1
	v_add_co_u32 v12, vcc_lo, s8, v8
	v_add_co_ci_u32_e32 v13, vcc_lo, s9, v9, vcc_lo
	s_delay_alu instid0(VALU_DEP_3) | instskip(SKIP_3) | instid1(VALU_DEP_3)
	v_lshlrev_b64 v[18:19], 1, v[58:59]
	v_add_nc_u32_e32 v58, s42, v2
	v_add_co_u32 v14, vcc_lo, s8, v10
	v_add_co_ci_u32_e32 v15, vcc_lo, s9, v11, vcc_lo
	v_lshlrev_b64 v[20:21], 1, v[58:59]
	v_add_co_u32 v18, vcc_lo, s8, v18
	v_add_co_ci_u32_e32 v19, vcc_lo, s9, v19, vcc_lo
	s_clause 0x2
	global_load_b128 v[6:9], v[6:7], off
	global_load_b128 v[10:13], v[12:13], off
	global_load_b128 v[14:17], v[14:15], off
	v_add_co_u32 v22, vcc_lo, s8, v20
	v_add_co_ci_u32_e32 v23, vcc_lo, s9, v21, vcc_lo
	s_clause 0x1
	global_load_b128 v[18:21], v[18:19], off
	global_load_b128 v[22:25], v[22:23], off
	s_add_i32 s42, s42, s25
	s_waitcnt vmcnt(4)
	ds_store_b128 v5, v[6:9]
	s_waitcnt vmcnt(3)
	ds_store_2addr_b64 v26, v[10:11], v[12:13] offset1:1
	s_waitcnt vmcnt(2)
	ds_store_2addr_b32 v27, v14, v15 offset1:1
	ds_store_2addr_b32 v27, v16, v17 offset0:2 offset1:3
	s_cmp_ge_u32 s42, s23
	v_add_nc_u32_e32 v6, s5, v5
	s_cselect_b32 s44, -1, 0
	v_add_nc_u32_e32 v7, s37, v5
	v_add_nc_u32_e32 v5, s20, v5
	s_and_not1_b32 s43, s43, exec_lo
	s_and_b32 s44, s44, exec_lo
	s_waitcnt vmcnt(1)
	ds_store_2addr_b64 v6, v[18:19], v[20:21] offset1:1
	s_or_b32 s43, s43, s44
	s_waitcnt vmcnt(0)
	ds_store_2addr_b64 v7, v[22:23], v[24:25] offset1:1
	s_branch .LBB298_21
.LBB298_24:                             ;   in Loop: Header=BB298_17 Depth=2
	s_or_b32 exec_lo, exec_lo, s41
.LBB298_25:                             ;   in Loop: Header=BB298_17 Depth=2
	s_waitcnt lgkmcnt(0)
	s_barrier
	buffer_gl0_inv
	s_and_saveexec_b32 s2, s1
	s_cbranch_execz .LBB298_16
.LBB298_26:                             ;   in Loop: Header=BB298_17 Depth=2
	v_dual_mov_b32 v54, 0 :: v_dual_add_nc_u32 v83, s15, v67
	v_mov_b32_e32 v52, 0
	s_waitcnt vmcnt(0)
	v_dual_mov_b32 v10, 0 :: v_dual_mov_b32 v23, 0
	s_delay_alu instid0(VALU_DEP_3) | instskip(SKIP_2) | instid1(VALU_DEP_3)
	v_min_u32_e32 v58, s26, v83
	v_dual_mov_b32 v53, 0 :: v_dual_add_nc_u32 v84, 0x200, v83
	v_dual_mov_b32 v8, 0 :: v_dual_mov_b32 v21, 0
	v_lshlrev_b64 v[0:1], 1, v[58:59]
	s_delay_alu instid0(VALU_DEP_3) | instskip(SKIP_2) | instid1(VALU_DEP_4)
	v_min_u32_e32 v58, s26, v84
	v_dual_mov_b32 v22, 0 :: v_dual_mov_b32 v27, 0
	v_dual_mov_b32 v20, 0 :: v_dual_mov_b32 v25, 0
	v_add_co_u32 v4, vcc_lo, s6, v0
	s_waitcnt lgkmcnt(1)
	v_add_co_ci_u32_e32 v5, vcc_lo, s7, v1, vcc_lo
	v_lshlrev_b64 v[0:1], 1, v[58:59]
	s_delay_alu instid0(VALU_DEP_3) | instskip(SKIP_1) | instid1(VALU_DEP_3)
	v_add_co_u32 v2, vcc_lo, v4, v62
	s_waitcnt lgkmcnt(0)
	v_add_co_ci_u32_e32 v3, vcc_lo, v5, v63, vcc_lo
	v_mov_b32_e32 v58, 0
	s_delay_alu instid0(VALU_DEP_4) | instskip(SKIP_3) | instid1(VALU_DEP_4)
	v_add_co_u32 v6, vcc_lo, s6, v0
	v_add_co_ci_u32_e32 v7, vcc_lo, s7, v1, vcc_lo
	v_add_co_u32 v0, vcc_lo, v4, v64
	v_add_co_ci_u32_e32 v1, vcc_lo, v5, v65, vcc_lo
	v_add_co_u32 v4, vcc_lo, v6, v62
	s_delay_alu instid0(VALU_DEP_4)
	v_add_co_ci_u32_e32 v5, vcc_lo, v7, v63, vcc_lo
	v_add_co_u32 v6, vcc_lo, v6, v64
	v_add_co_ci_u32_e32 v7, vcc_lo, v7, v65, vcc_lo
	s_clause 0x3
	global_load_b128 v[44:47], v[2:3], off slc dlc
	global_load_b128 v[36:39], v[0:1], off slc dlc
	;; [unrolled: 1-line block ×4, first 2 shown]
	v_mov_b32_e32 v1, 0
	v_cmp_gt_u32_e32 vcc_lo, s16, v83
	v_dual_mov_b32 v3, 0 :: v_dual_mov_b32 v2, 0
	v_dual_mov_b32 v7, 0 :: v_dual_mov_b32 v0, 0
	;; [unrolled: 1-line block ×13, first 2 shown]
	v_mov_b32_e32 v48, 0
	s_and_saveexec_b32 s41, vcc_lo
	s_cbranch_execz .LBB298_15
; %bb.27:                               ;   in Loop: Header=BB298_17 Depth=2
	v_subrev_nc_u32_e32 v0, s14, v83
	v_cmp_gt_u32_e32 vcc_lo, s16, v84
	v_dual_mov_b32 v9, 0 :: v_dual_mov_b32 v10, 0
	v_dual_mov_b32 v11, 0 :: v_dual_mov_b32 v4, 0
	s_delay_alu instid0(VALU_DEP_4) | instskip(SKIP_1) | instid1(VALU_DEP_2)
	v_dual_mov_b32 v20, 0 :: v_dual_lshlrev_b32 v87, 1, v0
	v_dual_mov_b32 v5, 0 :: v_dual_mov_b32 v6, 0
	v_dual_mov_b32 v21, 0 :: v_dual_add_nc_u32 v86, s40, v87
	v_dual_mov_b32 v7, 0 :: v_dual_mov_b32 v0, 0
	v_dual_mov_b32 v1, 0 :: v_dual_mov_b32 v2, 0
	s_delay_alu instid0(VALU_DEP_3) | instskip(SKIP_1) | instid1(VALU_DEP_2)
	v_dual_mov_b32 v22, 0 :: v_dual_add_nc_u32 v83, s40, v86
	v_dual_mov_b32 v3, 0 :: v_dual_mov_b32 v58, 0
	v_dual_mov_b32 v23, 0 :: v_dual_add_nc_u32 v84, s40, v83
	v_dual_mov_b32 v52, 0 :: v_dual_mov_b32 v53, 0
	v_mov_b32_e32 v54, 0
	s_delay_alu instid0(VALU_DEP_3)
	v_dual_mov_b32 v8, 0 :: v_dual_add_nc_u32 v85, s40, v84
	ds_load_b128 v[48:51], v87
	ds_load_b128 v[40:43], v86
	;; [unrolled: 1-line block ×5, first 2 shown]
	s_and_saveexec_b32 s42, vcc_lo
	s_cbranch_execz .LBB298_14
; %bb.28:                               ;   in Loop: Header=BB298_17 Depth=2
	ds_load_b128 v[20:23], v87 offset:1024
	ds_load_b128 v[8:11], v86 offset:1024
	;; [unrolled: 1-line block ×4, first 2 shown]
	ds_load_b32 v58, v85 offset:1024
	ds_load_b96 v[52:54], v85 offset:1028
	s_branch .LBB298_14
.LBB298_29:                             ;   in Loop: Header=BB298_12 Depth=1
	s_mov_b32 s1, exec_lo
	v_cmpx_le_u32_e64 s19, v57
	s_xor_b32 s1, exec_lo, s1
; %bb.30:                               ;   in Loop: Header=BB298_12 Depth=1
	v_add_nc_u32_e32 v57, s28, v57
                                        ; implicit-def: $vgpr76
                                        ; implicit-def: $vgpr75
                                        ; implicit-def: $vgpr73
                                        ; implicit-def: $vgpr77
                                        ; implicit-def: $vgpr74
                                        ; implicit-def: $vgpr80
                                        ; implicit-def: $vgpr78
                                        ; implicit-def: $vgpr81
                                        ; implicit-def: $vgpr79
                                        ; implicit-def: $vgpr82
; %bb.31:                               ;   in Loop: Header=BB298_12 Depth=1
	s_and_not1_saveexec_b32 s41, s1
	s_cbranch_execz .LBB298_11
; %bb.32:                               ;   in Loop: Header=BB298_12 Depth=1
	v_xor_b32_e32 v0, 16, v66
	s_waitcnt lgkmcnt(3)
	v_cvt_i32_f32_e32 v1, v82
	v_cvt_i32_f32_e32 v2, v79
	s_waitcnt lgkmcnt(0)
	v_cvt_i32_f32_e32 v3, v81
	v_cvt_i32_f32_e32 v4, v78
	v_cmp_gt_i32_e32 vcc_lo, 32, v0
	v_cvt_f32_i32_dpp v1, v1 row_shr:8 row_mask:0xf bank_mask:0xf bound_ctrl:1
	v_cvt_f32_i32_dpp v2, v2 row_shr:8 row_mask:0xf bank_mask:0xf bound_ctrl:1
	v_cvt_i32_f32_e32 v5, v80
	s_delay_alu instid0(VALU_DEP_2) | instskip(SKIP_1) | instid1(VALU_DEP_2)
	v_dual_add_f32 v1, v82, v1 :: v_dual_add_f32 v2, v79, v2
	v_cndmask_b32_e32 v0, v66, v0, vcc_lo
	v_cvt_i32_f32_e32 v6, v2
	s_waitcnt vmcnt(0)
	s_delay_alu instid0(VALU_DEP_2)
	v_lshlrev_b32_e32 v10, 2, v0
	v_cvt_f32_i32_dpp v0, v3 row_shr:8 row_mask:0xf bank_mask:0xf bound_ctrl:1
	v_cvt_f32_i32_dpp v3, v4 row_shr:8 row_mask:0xf bank_mask:0xf bound_ctrl:1
	;; [unrolled: 1-line block ×3, first 2 shown]
	v_cvt_i32_f32_e32 v5, v1
	v_cvt_f32_i32_dpp v6, v6 row_shr:4 row_mask:0xf bank_mask:0xf bound_ctrl:1
	s_delay_alu instid0(VALU_DEP_4) | instskip(NEXT) | instid1(VALU_DEP_3)
	v_add_f32_e32 v3, v78, v3
	v_cvt_f32_i32_dpp v5, v5 row_shr:4 row_mask:0xf bank_mask:0xf bound_ctrl:1
	s_delay_alu instid0(VALU_DEP_2) | instskip(NEXT) | instid1(VALU_DEP_2)
	v_cvt_i32_f32_e32 v8, v3
	v_add_f32_e32 v1, v1, v5
	s_delay_alu instid0(VALU_DEP_2) | instskip(SKIP_1) | instid1(VALU_DEP_3)
	v_cvt_f32_i32_dpp v8, v8 row_shr:4 row_mask:0xf bank_mask:0xf bound_ctrl:1
	v_add_f32_e32 v2, v2, v6
	v_cvt_i32_f32_e32 v5, v1
	s_delay_alu instid0(VALU_DEP_3) | instskip(NEXT) | instid1(VALU_DEP_3)
	v_add_f32_e32 v3, v3, v8
	v_cvt_i32_f32_e32 v6, v2
	s_delay_alu instid0(VALU_DEP_3) | instskip(SKIP_1) | instid1(VALU_DEP_4)
	v_cvt_f32_i32_dpp v5, v5 row_shr:2 row_mask:0xf bank_mask:0xf bound_ctrl:1
	v_add_f32_e32 v4, v80, v4
	v_cvt_i32_f32_e32 v8, v3
	s_delay_alu instid0(VALU_DEP_4) | instskip(NEXT) | instid1(VALU_DEP_4)
	v_cvt_f32_i32_dpp v6, v6 row_shr:2 row_mask:0xf bank_mask:0xf bound_ctrl:1
	v_add_f32_e32 v1, v1, v5
	s_delay_alu instid0(VALU_DEP_4) | instskip(NEXT) | instid1(VALU_DEP_4)
	v_cvt_i32_f32_e32 v9, v4
	v_cvt_f32_i32_dpp v8, v8 row_shr:2 row_mask:0xf bank_mask:0xf bound_ctrl:1
	s_delay_alu instid0(VALU_DEP_3) | instskip(NEXT) | instid1(VALU_DEP_3)
	v_cvt_i32_f32_e32 v5, v1
	v_cvt_f32_i32_dpp v9, v9 row_shr:4 row_mask:0xf bank_mask:0xf bound_ctrl:1
	s_delay_alu instid0(VALU_DEP_3) | instskip(NEXT) | instid1(VALU_DEP_3)
	v_add_f32_e32 v3, v3, v8
	v_cvt_f32_i32_dpp v5, v5 row_shr:1 row_mask:0xf bank_mask:0xf bound_ctrl:1
	s_delay_alu instid0(VALU_DEP_2) | instskip(NEXT) | instid1(VALU_DEP_2)
	v_cvt_i32_f32_e32 v8, v3
	v_add_f32_e32 v22, v1, v5
	v_cvt_i32_f32_e32 v1, v77
	s_delay_alu instid0(VALU_DEP_3) | instskip(SKIP_1) | instid1(VALU_DEP_3)
	v_cvt_f32_i32_dpp v8, v8 row_shr:1 row_mask:0xf bank_mask:0xf bound_ctrl:1
	v_add_f32_e32 v4, v4, v9
	v_cvt_f32_i32_dpp v1, v1 row_shr:8 row_mask:0xf bank_mask:0xf bound_ctrl:1
	s_delay_alu instid0(VALU_DEP_3) | instskip(NEXT) | instid1(VALU_DEP_3)
	v_dual_add_f32 v2, v2, v6 :: v_dual_add_f32 v13, v3, v8
	v_cvt_i32_f32_e32 v9, v4
	v_cvt_i32_f32_e32 v3, v75
	s_delay_alu instid0(VALU_DEP_4) | instskip(NEXT) | instid1(VALU_DEP_4)
	v_add_f32_e32 v1, v77, v1
	v_cvt_i32_f32_e32 v6, v2
	ds_bpermute_b32 v15, v10, v13
	v_cvt_f32_i32_dpp v9, v9 row_shr:2 row_mask:0xf bank_mask:0xf bound_ctrl:1
	v_cvt_f32_i32_dpp v3, v3 row_shr:8 row_mask:0xf bank_mask:0xf bound_ctrl:1
	;; [unrolled: 1-line block ×3, first 2 shown]
	v_add_f32_e32 v0, v81, v0
	s_delay_alu instid0(VALU_DEP_3) | instskip(NEXT) | instid1(VALU_DEP_3)
	v_dual_add_f32 v4, v4, v9 :: v_dual_add_f32 v3, v75, v3
	v_add_f32_e32 v19, v2, v6
	s_delay_alu instid0(VALU_DEP_3)
	v_cvt_i32_f32_e32 v7, v0
	v_cvt_i32_f32_e32 v6, v1
	;; [unrolled: 1-line block ×5, first 2 shown]
	v_cvt_f32_i32_dpp v7, v7 row_shr:4 row_mask:0xf bank_mask:0xf bound_ctrl:1
	v_cvt_f32_i32_dpp v6, v6 row_shr:4 row_mask:0xf bank_mask:0xf bound_ctrl:1
	;; [unrolled: 1-line block ×3, first 2 shown]
	ds_bpermute_b32 v21, v10, v19
	v_cvt_f32_i32_dpp v11, v11 row_shr:4 row_mask:0xf bank_mask:0xf bound_ctrl:1
	v_dual_add_f32 v0, v0, v7 :: v_dual_add_f32 v1, v1, v6
	v_cvt_f32_i32_dpp v9, v9 row_shr:1 row_mask:0xf bank_mask:0xf bound_ctrl:1
	s_delay_alu instid0(VALU_DEP_3) | instskip(NEXT) | instid1(VALU_DEP_3)
	v_add_f32_e32 v3, v3, v11
	v_cvt_i32_f32_e32 v7, v0
	s_delay_alu instid0(VALU_DEP_4) | instskip(SKIP_4) | instid1(VALU_DEP_3)
	v_cvt_i32_f32_e32 v6, v1
	ds_bpermute_b32 v24, v10, v22
	v_cvt_i32_f32_e32 v11, v3
	v_cvt_f32_i32_dpp v7, v7 row_shr:2 row_mask:0xf bank_mask:0xf bound_ctrl:1
	v_cvt_f32_i32_dpp v6, v6 row_shr:2 row_mask:0xf bank_mask:0xf bound_ctrl:1
	;; [unrolled: 1-line block ×3, first 2 shown]
	s_delay_alu instid0(VALU_DEP_3)
	v_add_f32_e32 v0, v0, v7
	v_add_f32_e32 v8, v4, v9
	v_cvt_i32_f32_e32 v4, v76
	v_add_f32_e32 v1, v1, v6
	v_add_f32_e32 v3, v3, v11
	v_cvt_i32_f32_e32 v7, v0
	ds_bpermute_b32 v9, v10, v8
	v_cvt_f32_i32_dpp v4, v4 row_shr:8 row_mask:0xf bank_mask:0xf bound_ctrl:1
	v_cvt_i32_f32_e32 v6, v1
	v_cvt_i32_f32_e32 v11, v3
	v_cvt_f32_i32_dpp v7, v7 row_shr:1 row_mask:0xf bank_mask:0xf bound_ctrl:1
	s_delay_alu instid0(VALU_DEP_4) | instskip(NEXT) | instid1(VALU_DEP_4)
	v_add_f32_e32 v4, v76, v4
	v_cvt_f32_i32_dpp v6, v6 row_shr:1 row_mask:0xf bank_mask:0xf bound_ctrl:1
	s_delay_alu instid0(VALU_DEP_4) | instskip(NEXT) | instid1(VALU_DEP_4)
	v_cvt_f32_i32_dpp v14, v11 row_shr:1 row_mask:0xf bank_mask:0xf bound_ctrl:1
	v_add_f32_e32 v16, v0, v7
	v_cvt_i32_f32_e32 v0, v74
	v_cvt_i32_f32_e32 v12, v4
	v_add_f32_e32 v6, v1, v6
	ds_bpermute_b32 v18, v10, v16
	v_cvt_f32_i32_dpp v0, v0 row_shr:8 row_mask:0xf bank_mask:0xf bound_ctrl:1
	v_cvt_f32_i32_dpp v12, v12 row_shr:4 row_mask:0xf bank_mask:0xf bound_ctrl:1
	s_delay_alu instid0(VALU_DEP_2) | instskip(NEXT) | instid1(VALU_DEP_2)
	v_add_f32_e32 v0, v74, v0
	v_add_f32_e32 v4, v4, v12
	s_delay_alu instid0(VALU_DEP_2) | instskip(NEXT) | instid1(VALU_DEP_2)
	v_cvt_i32_f32_e32 v5, v0
	v_cvt_i32_f32_e32 v12, v4
	s_delay_alu instid0(VALU_DEP_2) | instskip(NEXT) | instid1(VALU_DEP_2)
	v_cvt_f32_i32_dpp v5, v5 row_shr:4 row_mask:0xf bank_mask:0xf bound_ctrl:1
	v_cvt_f32_i32_dpp v12, v12 row_shr:2 row_mask:0xf bank_mask:0xf bound_ctrl:1
	v_add_f32_e32 v2, v73, v2
	s_delay_alu instid0(VALU_DEP_3) | instskip(NEXT) | instid1(VALU_DEP_1)
	v_add_f32_e32 v0, v0, v5
	v_cvt_i32_f32_e32 v5, v0
	s_delay_alu instid0(VALU_DEP_1) | instskip(NEXT) | instid1(VALU_DEP_1)
	v_cvt_f32_i32_dpp v5, v5 row_shr:2 row_mask:0xf bank_mask:0xf bound_ctrl:1
	v_add_f32_e32 v0, v0, v5
	v_add_f32_e32 v5, v4, v12
	v_cvt_i32_f32_e32 v7, v2
	s_delay_alu instid0(VALU_DEP_3) | instskip(NEXT) | instid1(VALU_DEP_3)
	v_cvt_i32_f32_e32 v4, v0
	v_cvt_i32_f32_e32 v12, v5
	s_delay_alu instid0(VALU_DEP_3) | instskip(NEXT) | instid1(VALU_DEP_3)
	v_cvt_f32_i32_dpp v7, v7 row_shr:4 row_mask:0xf bank_mask:0xf bound_ctrl:1
	v_cvt_f32_i32_dpp v4, v4 row_shr:1 row_mask:0xf bank_mask:0xf bound_ctrl:1
	s_delay_alu instid0(VALU_DEP_3) | instskip(NEXT) | instid1(VALU_DEP_2)
	v_cvt_f32_i32_dpp v12, v12 row_shr:1 row_mask:0xf bank_mask:0xf bound_ctrl:1
	v_dual_add_f32 v2, v2, v7 :: v_dual_add_f32 v11, v0, v4
	s_delay_alu instid0(VALU_DEP_2) | instskip(NEXT) | instid1(VALU_DEP_2)
	v_add_f32_e32 v0, v5, v12
	v_cvt_i32_f32_e32 v7, v2
	ds_bpermute_b32 v12, v10, v11
	ds_bpermute_b32 v1, v10, v0
	v_cvt_f32_i32_dpp v7, v7 row_shr:2 row_mask:0xf bank_mask:0xf bound_ctrl:1
	s_delay_alu instid0(VALU_DEP_1) | instskip(NEXT) | instid1(VALU_DEP_1)
	v_add_f32_e32 v2, v2, v7
	v_cvt_i32_f32_e32 v7, v2
	s_delay_alu instid0(VALU_DEP_1) | instskip(NEXT) | instid1(VALU_DEP_1)
	v_cvt_f32_i32_dpp v7, v7 row_shr:1 row_mask:0xf bank_mask:0xf bound_ctrl:1
	v_add_f32_e32 v4, v2, v7
	v_add_f32_e32 v2, v3, v14
	ds_bpermute_b32 v7, v10, v6
	ds_bpermute_b32 v5, v10, v4
	;; [unrolled: 1-line block ×3, first 2 shown]
	s_and_saveexec_b32 s14, s0
	s_cbranch_execz .LBB298_95
; %bb.33:                               ;   in Loop: Header=BB298_12 Depth=1
	v_dual_mov_b32 v29, 0 :: v_dual_mov_b32 v28, 0
	v_dual_mov_b32 v27, 0 :: v_dual_mov_b32 v26, 0
	;; [unrolled: 1-line block ×5, first 2 shown]
	s_and_not1_b32 vcc_lo, exec_lo, s29
	s_cbranch_vccnz .LBB298_35
; %bb.34:                               ;   in Loop: Header=BB298_12 Depth=1
	v_dual_mov_b32 v29, v59 :: v_dual_add_nc_u32 v10, 1, v57
	v_mul_hi_u32 v14, v57, v72
	v_mov_b32_e32 v34, v59
	v_mov_b32_e32 v31, v59
	s_delay_alu instid0(VALU_DEP_4) | instskip(NEXT) | instid1(VALU_DEP_4)
	v_mul_hi_u32 v17, v10, v72
	v_mul_lo_u32 v14, v14, s4
	s_delay_alu instid0(VALU_DEP_2) | instskip(NEXT) | instid1(VALU_DEP_2)
	v_mul_lo_u32 v17, v17, s4
	v_sub_nc_u32_e32 v14, v57, v14
	s_delay_alu instid0(VALU_DEP_2) | instskip(NEXT) | instid1(VALU_DEP_2)
	v_sub_nc_u32_e32 v10, v10, v17
	v_subrev_nc_u32_e32 v17, s4, v14
	v_cmp_le_u32_e32 vcc_lo, s4, v14
	s_delay_alu instid0(VALU_DEP_3) | instskip(NEXT) | instid1(VALU_DEP_3)
	v_subrev_nc_u32_e32 v20, s4, v10
	v_cndmask_b32_e32 v14, v14, v17, vcc_lo
	v_cmp_le_u32_e32 vcc_lo, s4, v10
	s_delay_alu instid0(VALU_DEP_2) | instskip(NEXT) | instid1(VALU_DEP_4)
	v_subrev_nc_u32_e32 v17, s4, v14
	v_cndmask_b32_e32 v10, v10, v20, vcc_lo
	v_cmp_le_u32_e32 vcc_lo, s4, v14
	s_delay_alu instid0(VALU_DEP_3) | instskip(NEXT) | instid1(VALU_DEP_1)
	v_cndmask_b32_e32 v58, v14, v17, vcc_lo
	v_add_nc_u32_e32 v27, s31, v58
	s_delay_alu instid0(VALU_DEP_4) | instskip(SKIP_2) | instid1(VALU_DEP_3)
	v_subrev_nc_u32_e32 v20, s4, v10
	v_cmp_le_u32_e32 vcc_lo, s4, v10
	v_mov_b32_e32 v26, v59
	v_dual_cndmask_b32 v25, v10, v20 :: v_dual_add_nc_u32 v30, s33, v58
	v_mov_b32_e32 v32, v59
	s_delay_alu instid0(VALU_DEP_2) | instskip(NEXT) | instid1(VALU_DEP_3)
	v_lshlrev_b64 v[39:40], 1, v[30:31]
	v_add_nc_u32_e32 v31, s33, v25
	v_lshlrev_b64 v[37:38], 1, v[25:26]
	v_add_nc_u32_e32 v30, s34, v25
	s_delay_alu instid0(VALU_DEP_3) | instskip(SKIP_4) | instid1(VALU_DEP_2)
	v_lshlrev_b64 v[41:42], 1, v[31:32]
	v_mov_b32_e32 v31, v59
	v_lshlrev_b64 v[35:36], 1, v[58:59]
	v_dual_mov_b32 v28, v59 :: v_dual_add_nc_u32 v33, s34, v58
	v_add_nc_u32_e32 v58, s39, v58
	v_lshlrev_b64 v[26:27], 1, v[27:28]
	s_delay_alu instid0(VALU_DEP_4) | instskip(SKIP_4) | instid1(VALU_DEP_4)
	v_add_co_u32 v35, vcc_lo, s10, v35
	v_add_nc_u32_e32 v28, s31, v25
	v_add_co_ci_u32_e32 v36, vcc_lo, s11, v36, vcc_lo
	v_add_co_u32 v37, vcc_lo, s10, v37
	v_add_co_ci_u32_e32 v38, vcc_lo, s11, v38, vcc_lo
	v_lshlrev_b64 v[28:29], 1, v[28:29]
	v_add_co_u32 v26, vcc_lo, s10, v26
	v_add_co_ci_u32_e32 v27, vcc_lo, s11, v27, vcc_lo
	v_add_co_u32 v39, vcc_lo, s10, v39
	v_add_co_ci_u32_e32 v40, vcc_lo, s11, v40, vcc_lo
	v_lshlrev_b64 v[33:34], 1, v[33:34]
	v_add_co_u32 v43, vcc_lo, s10, v28
	v_add_co_ci_u32_e32 v44, vcc_lo, s11, v29, vcc_lo
	v_add_co_u32 v41, vcc_lo, s10, v41
	v_lshlrev_b64 v[28:29], 1, v[30:31]
	v_add_co_ci_u32_e32 v42, vcc_lo, s11, v42, vcc_lo
	v_add_co_u32 v30, vcc_lo, s10, v33
	v_lshlrev_b64 v[32:33], 1, v[58:59]
	v_add_nc_u32_e32 v58, s39, v25
	v_add_co_ci_u32_e32 v31, vcc_lo, s11, v34, vcc_lo
	v_add_co_u32 v45, vcc_lo, s10, v28
	v_add_co_ci_u32_e32 v46, vcc_lo, s11, v29, vcc_lo
	s_delay_alu instid0(VALU_DEP_4) | instskip(SKIP_2) | instid1(VALU_DEP_3)
	v_lshlrev_b64 v[28:29], 1, v[58:59]
	v_add_co_u32 v32, vcc_lo, s10, v32
	v_add_co_ci_u32_e32 v33, vcc_lo, s11, v33, vcc_lo
	v_add_co_u32 v47, vcc_lo, s10, v28
	s_delay_alu instid0(VALU_DEP_4)
	v_add_co_ci_u32_e32 v48, vcc_lo, s11, v29, vcc_lo
	s_clause 0x9
	global_load_u16 v29, v[35:36], off
	global_load_u16 v28, v[37:38], off
	;; [unrolled: 1-line block ×10, first 2 shown]
.LBB298_35:                             ;   in Loop: Header=BB298_12 Depth=1
	v_cmp_ne_u32_e32 vcc_lo, 0, v55
	s_and_saveexec_b32 s2, vcc_lo
	s_cbranch_execnz .LBB298_45
; %bb.36:                               ;   in Loop: Header=BB298_12 Depth=1
	s_or_b32 exec_lo, exec_lo, s2
	v_cmp_ne_u32_e64 s1, 0, v56
	s_delay_alu instid0(VALU_DEP_1)
	s_and_saveexec_b32 s15, s1
	s_cbranch_execnz .LBB298_50
.LBB298_37:                             ;   in Loop: Header=BB298_12 Depth=1
	s_or_b32 exec_lo, exec_lo, s15
	v_add_nc_u32_e32 v58, s19, v57
	s_and_saveexec_b32 s15, vcc_lo
	s_cbranch_execnz .LBB298_55
.LBB298_38:                             ;   in Loop: Header=BB298_12 Depth=1
	s_or_b32 exec_lo, exec_lo, s15
	s_and_saveexec_b32 s15, s1
	s_cbranch_execnz .LBB298_60
.LBB298_39:                             ;   in Loop: Header=BB298_12 Depth=1
	s_or_b32 exec_lo, exec_lo, s15
	v_add_nc_u32_e32 v58, s19, v58
	s_and_saveexec_b32 s15, vcc_lo
	s_cbranch_execnz .LBB298_65
.LBB298_40:                             ;   in Loop: Header=BB298_12 Depth=1
	s_or_b32 exec_lo, exec_lo, s15
	s_and_saveexec_b32 s15, s1
	s_cbranch_execnz .LBB298_70
.LBB298_41:                             ;   in Loop: Header=BB298_12 Depth=1
	s_or_b32 exec_lo, exec_lo, s15
	v_add_nc_u32_e32 v58, s19, v58
	s_and_saveexec_b32 s15, vcc_lo
	s_cbranch_execnz .LBB298_75
.LBB298_42:                             ;   in Loop: Header=BB298_12 Depth=1
	s_or_b32 exec_lo, exec_lo, s15
	s_and_saveexec_b32 s15, s1
	s_cbranch_execnz .LBB298_80
.LBB298_43:                             ;   in Loop: Header=BB298_12 Depth=1
	s_or_b32 exec_lo, exec_lo, s15
	v_add_nc_u32_e32 v58, s19, v58
	s_and_saveexec_b32 s2, vcc_lo
	s_cbranch_execnz .LBB298_85
.LBB298_44:                             ;   in Loop: Header=BB298_12 Depth=1
	s_or_b32 exec_lo, exec_lo, s2
	s_delay_alu instid0(SALU_CYCLE_1)
	s_and_b32 exec_lo, exec_lo, s1
	s_cbranch_execnz .LBB298_90
	s_branch .LBB298_95
.LBB298_45:                             ;   in Loop: Header=BB298_12 Depth=1
	s_waitcnt lgkmcnt(7)
	v_add_f32_e32 v22, v22, v24
	s_waitcnt vmcnt(9)
	v_lshlrev_b32_e32 v24, 16, v29
	s_delay_alu instid0(VALU_DEP_1) | instskip(NEXT) | instid1(VALU_DEP_1)
	v_add_f32_e32 v24, v22, v24
	v_and_b32_e32 v22, 0x7f800000, v24
	s_delay_alu instid0(VALU_DEP_1) | instskip(NEXT) | instid1(VALU_DEP_1)
	v_cmp_ne_u32_e64 s1, 0x7f800000, v22
                                        ; implicit-def: $vgpr22
	s_and_saveexec_b32 s15, s1
	s_delay_alu instid0(SALU_CYCLE_1)
	s_xor_b32 s1, exec_lo, s15
; %bb.46:                               ;   in Loop: Header=BB298_12 Depth=1
	v_bfe_u32 v22, v24, 16, 1
	s_delay_alu instid0(VALU_DEP_1)
	v_add3_u32 v22, v24, v22, 0x7fff
                                        ; implicit-def: $vgpr24
; %bb.47:                               ;   in Loop: Header=BB298_12 Depth=1
	s_and_not1_saveexec_b32 s15, s1
; %bb.48:                               ;   in Loop: Header=BB298_12 Depth=1
	v_and_b32_e32 v22, 0xffff, v24
	v_or_b32_e32 v29, 0x10000, v24
	s_delay_alu instid0(VALU_DEP_2) | instskip(NEXT) | instid1(VALU_DEP_1)
	v_cmp_eq_u32_e64 s1, 0, v22
	v_cndmask_b32_e64 v22, v29, v24, s1
; %bb.49:                               ;   in Loop: Header=BB298_12 Depth=1
	s_or_b32 exec_lo, exec_lo, s15
	v_mov_b32_e32 v58, v59
	s_delay_alu instid0(VALU_DEP_1) | instskip(NEXT) | instid1(VALU_DEP_1)
	v_lshlrev_b64 v[29:30], 1, v[57:58]
	v_add_co_u32 v29, s1, s12, v29
	s_delay_alu instid0(VALU_DEP_1) | instskip(SKIP_3) | instid1(VALU_DEP_1)
	v_add_co_ci_u32_e64 v30, s1, s13, v30, s1
	global_store_d16_hi_b16 v[29:30], v22, off
	s_or_b32 exec_lo, exec_lo, s2
	v_cmp_ne_u32_e64 s1, 0, v56
	s_and_saveexec_b32 s15, s1
	s_cbranch_execz .LBB298_37
.LBB298_50:                             ;   in Loop: Header=BB298_12 Depth=1
	s_waitcnt lgkmcnt(8)
	v_add_f32_e32 v19, v19, v21
	s_waitcnt vmcnt(8)
	v_lshlrev_b32_e32 v21, 16, v28
	s_delay_alu instid0(VALU_DEP_1) | instskip(NEXT) | instid1(VALU_DEP_1)
	v_add_f32_e32 v21, v19, v21
	v_and_b32_e32 v19, 0x7f800000, v21
	s_delay_alu instid0(VALU_DEP_1) | instskip(NEXT) | instid1(VALU_DEP_1)
	v_cmp_ne_u32_e64 s2, 0x7f800000, v19
                                        ; implicit-def: $vgpr19
	s_and_saveexec_b32 s42, s2
	s_delay_alu instid0(SALU_CYCLE_1)
	s_xor_b32 s2, exec_lo, s42
; %bb.51:                               ;   in Loop: Header=BB298_12 Depth=1
	v_bfe_u32 v19, v21, 16, 1
	s_delay_alu instid0(VALU_DEP_1)
	v_add3_u32 v19, v21, v19, 0x7fff
                                        ; implicit-def: $vgpr21
; %bb.52:                               ;   in Loop: Header=BB298_12 Depth=1
	s_and_not1_saveexec_b32 s42, s2
; %bb.53:                               ;   in Loop: Header=BB298_12 Depth=1
	v_and_b32_e32 v19, 0xffff, v21
	v_or_b32_e32 v22, 0x10000, v21
	s_delay_alu instid0(VALU_DEP_2) | instskip(NEXT) | instid1(VALU_DEP_1)
	v_cmp_eq_u32_e64 s2, 0, v19
	v_cndmask_b32_e64 v19, v22, v21, s2
; %bb.54:                               ;   in Loop: Header=BB298_12 Depth=1
	s_or_b32 exec_lo, exec_lo, s42
	v_mov_b32_e32 v58, v59
	s_delay_alu instid0(VALU_DEP_1) | instskip(NEXT) | instid1(VALU_DEP_1)
	v_lshlrev_b64 v[21:22], 1, v[57:58]
	v_add_co_u32 v21, s2, s35, v21
	s_delay_alu instid0(VALU_DEP_1)
	v_add_co_ci_u32_e64 v22, s2, s36, v22, s2
	global_store_d16_hi_b16 v[21:22], v19, off
	s_or_b32 exec_lo, exec_lo, s15
	v_add_nc_u32_e32 v58, s19, v57
	s_and_saveexec_b32 s15, vcc_lo
	s_cbranch_execz .LBB298_38
.LBB298_55:                             ;   in Loop: Header=BB298_12 Depth=1
	s_waitcnt lgkmcnt(5)
	v_add_f32_e32 v16, v16, v18
	s_waitcnt vmcnt(7)
	v_lshlrev_b32_e32 v18, 16, v27
	s_delay_alu instid0(VALU_DEP_1) | instskip(NEXT) | instid1(VALU_DEP_1)
	v_add_f32_e32 v18, v16, v18
	v_and_b32_e32 v16, 0x7f800000, v18
	s_delay_alu instid0(VALU_DEP_1) | instskip(NEXT) | instid1(VALU_DEP_1)
	v_cmp_ne_u32_e64 s2, 0x7f800000, v16
                                        ; implicit-def: $vgpr16
	s_and_saveexec_b32 s42, s2
	s_delay_alu instid0(SALU_CYCLE_1)
	s_xor_b32 s2, exec_lo, s42
; %bb.56:                               ;   in Loop: Header=BB298_12 Depth=1
	v_bfe_u32 v16, v18, 16, 1
	s_delay_alu instid0(VALU_DEP_1)
	v_add3_u32 v16, v18, v16, 0x7fff
                                        ; implicit-def: $vgpr18
; %bb.57:                               ;   in Loop: Header=BB298_12 Depth=1
	s_and_not1_saveexec_b32 s42, s2
; %bb.58:                               ;   in Loop: Header=BB298_12 Depth=1
	v_and_b32_e32 v16, 0xffff, v18
	v_or_b32_e32 v19, 0x10000, v18
	s_delay_alu instid0(VALU_DEP_2) | instskip(NEXT) | instid1(VALU_DEP_1)
	v_cmp_eq_u32_e64 s2, 0, v16
	v_cndmask_b32_e64 v16, v19, v18, s2
; %bb.59:                               ;   in Loop: Header=BB298_12 Depth=1
	s_or_b32 exec_lo, exec_lo, s42
	v_lshlrev_b64 v[18:19], 1, v[58:59]
	s_delay_alu instid0(VALU_DEP_1) | instskip(NEXT) | instid1(VALU_DEP_1)
	v_add_co_u32 v18, s2, s12, v18
	v_add_co_ci_u32_e64 v19, s2, s13, v19, s2
	global_store_d16_hi_b16 v[18:19], v16, off
	s_or_b32 exec_lo, exec_lo, s15
	s_and_saveexec_b32 s15, s1
	s_cbranch_execz .LBB298_39
.LBB298_60:                             ;   in Loop: Header=BB298_12 Depth=1
	s_waitcnt lgkmcnt(9)
	v_add_f32_e32 v13, v13, v15
	s_waitcnt vmcnt(6)
	v_lshlrev_b32_e32 v15, 16, v26
	s_delay_alu instid0(VALU_DEP_1) | instskip(NEXT) | instid1(VALU_DEP_1)
	v_add_f32_e32 v15, v13, v15
	v_and_b32_e32 v13, 0x7f800000, v15
	s_delay_alu instid0(VALU_DEP_1) | instskip(NEXT) | instid1(VALU_DEP_1)
	v_cmp_ne_u32_e64 s2, 0x7f800000, v13
                                        ; implicit-def: $vgpr13
	s_and_saveexec_b32 s42, s2
	s_delay_alu instid0(SALU_CYCLE_1)
	s_xor_b32 s2, exec_lo, s42
; %bb.61:                               ;   in Loop: Header=BB298_12 Depth=1
	v_bfe_u32 v13, v15, 16, 1
	s_delay_alu instid0(VALU_DEP_1)
	v_add3_u32 v13, v15, v13, 0x7fff
                                        ; implicit-def: $vgpr15
; %bb.62:                               ;   in Loop: Header=BB298_12 Depth=1
	s_and_not1_saveexec_b32 s42, s2
; %bb.63:                               ;   in Loop: Header=BB298_12 Depth=1
	v_and_b32_e32 v13, 0xffff, v15
	v_or_b32_e32 v16, 0x10000, v15
	s_delay_alu instid0(VALU_DEP_2) | instskip(NEXT) | instid1(VALU_DEP_1)
	v_cmp_eq_u32_e64 s2, 0, v13
	v_cndmask_b32_e64 v13, v16, v15, s2
; %bb.64:                               ;   in Loop: Header=BB298_12 Depth=1
	s_or_b32 exec_lo, exec_lo, s42
	v_dual_mov_b32 v16, v59 :: v_dual_add_nc_u32 v15, 1, v58
	s_delay_alu instid0(VALU_DEP_1) | instskip(NEXT) | instid1(VALU_DEP_1)
	v_lshlrev_b64 v[15:16], 1, v[15:16]
	v_add_co_u32 v15, s2, s12, v15
	s_delay_alu instid0(VALU_DEP_1)
	v_add_co_ci_u32_e64 v16, s2, s13, v16, s2
	global_store_d16_hi_b16 v[15:16], v13, off
	s_or_b32 exec_lo, exec_lo, s15
	v_add_nc_u32_e32 v58, s19, v58
	s_and_saveexec_b32 s15, vcc_lo
	s_cbranch_execz .LBB298_40
.LBB298_65:                             ;   in Loop: Header=BB298_12 Depth=1
	s_waitcnt lgkmcnt(6)
	v_add_f32_e32 v8, v8, v9
	s_waitcnt vmcnt(5)
	v_lshlrev_b32_e32 v9, 16, v25
	s_delay_alu instid0(VALU_DEP_1) | instskip(NEXT) | instid1(VALU_DEP_1)
	v_add_f32_e32 v9, v8, v9
	v_and_b32_e32 v8, 0x7f800000, v9
	s_delay_alu instid0(VALU_DEP_1) | instskip(NEXT) | instid1(VALU_DEP_1)
	v_cmp_ne_u32_e64 s2, 0x7f800000, v8
                                        ; implicit-def: $vgpr8
	s_and_saveexec_b32 s42, s2
	s_delay_alu instid0(SALU_CYCLE_1)
	s_xor_b32 s2, exec_lo, s42
; %bb.66:                               ;   in Loop: Header=BB298_12 Depth=1
	v_bfe_u32 v8, v9, 16, 1
	s_delay_alu instid0(VALU_DEP_1)
	v_add3_u32 v8, v9, v8, 0x7fff
                                        ; implicit-def: $vgpr9
; %bb.67:                               ;   in Loop: Header=BB298_12 Depth=1
	s_and_not1_saveexec_b32 s42, s2
; %bb.68:                               ;   in Loop: Header=BB298_12 Depth=1
	v_and_b32_e32 v8, 0xffff, v9
	v_or_b32_e32 v13, 0x10000, v9
	s_delay_alu instid0(VALU_DEP_2) | instskip(NEXT) | instid1(VALU_DEP_1)
	v_cmp_eq_u32_e64 s2, 0, v8
	v_cndmask_b32_e64 v8, v13, v9, s2
; %bb.69:                               ;   in Loop: Header=BB298_12 Depth=1
	s_or_b32 exec_lo, exec_lo, s42
	v_lshlrev_b64 v[15:16], 1, v[58:59]
	s_delay_alu instid0(VALU_DEP_1) | instskip(NEXT) | instid1(VALU_DEP_1)
	v_add_co_u32 v15, s2, s12, v15
	v_add_co_ci_u32_e64 v16, s2, s13, v16, s2
	global_store_d16_hi_b16 v[15:16], v8, off
	s_or_b32 exec_lo, exec_lo, s15
	s_and_saveexec_b32 s15, s1
	s_cbranch_execz .LBB298_41
.LBB298_70:                             ;   in Loop: Header=BB298_12 Depth=1
	s_waitcnt vmcnt(4) lgkmcnt(4)
	v_dual_add_f32 v8, v11, v12 :: v_dual_lshlrev_b32 v9, 16, v23
	s_delay_alu instid0(VALU_DEP_1) | instskip(NEXT) | instid1(VALU_DEP_1)
	v_add_f32_e32 v9, v8, v9
	v_and_b32_e32 v8, 0x7f800000, v9
	s_delay_alu instid0(VALU_DEP_1) | instskip(NEXT) | instid1(VALU_DEP_1)
	v_cmp_ne_u32_e64 s2, 0x7f800000, v8
                                        ; implicit-def: $vgpr8
	s_and_saveexec_b32 s42, s2
	s_delay_alu instid0(SALU_CYCLE_1)
	s_xor_b32 s2, exec_lo, s42
; %bb.71:                               ;   in Loop: Header=BB298_12 Depth=1
	v_bfe_u32 v8, v9, 16, 1
	s_delay_alu instid0(VALU_DEP_1)
	v_add3_u32 v8, v9, v8, 0x7fff
                                        ; implicit-def: $vgpr9
; %bb.72:                               ;   in Loop: Header=BB298_12 Depth=1
	s_and_not1_saveexec_b32 s42, s2
; %bb.73:                               ;   in Loop: Header=BB298_12 Depth=1
	v_and_b32_e32 v8, 0xffff, v9
	v_or_b32_e32 v11, 0x10000, v9
	s_delay_alu instid0(VALU_DEP_2) | instskip(NEXT) | instid1(VALU_DEP_1)
	v_cmp_eq_u32_e64 s2, 0, v8
	v_cndmask_b32_e64 v8, v11, v9, s2
; %bb.74:                               ;   in Loop: Header=BB298_12 Depth=1
	s_or_b32 exec_lo, exec_lo, s42
	v_dual_mov_b32 v12, v59 :: v_dual_add_nc_u32 v11, 1, v58
	s_delay_alu instid0(VALU_DEP_1) | instskip(NEXT) | instid1(VALU_DEP_1)
	v_lshlrev_b64 v[11:12], 1, v[11:12]
	v_add_co_u32 v11, s2, s12, v11
	s_delay_alu instid0(VALU_DEP_1)
	v_add_co_ci_u32_e64 v12, s2, s13, v12, s2
	global_store_d16_hi_b16 v[11:12], v8, off
	s_or_b32 exec_lo, exec_lo, s15
	v_add_nc_u32_e32 v58, s19, v58
	s_and_saveexec_b32 s15, vcc_lo
	s_cbranch_execz .LBB298_42
.LBB298_75:                             ;   in Loop: Header=BB298_12 Depth=1
	s_waitcnt vmcnt(3) lgkmcnt(2)
	v_dual_add_f32 v6, v6, v7 :: v_dual_lshlrev_b32 v7, 16, v20
	s_delay_alu instid0(VALU_DEP_1) | instskip(NEXT) | instid1(VALU_DEP_1)
	v_add_f32_e32 v7, v6, v7
	v_and_b32_e32 v6, 0x7f800000, v7
	s_delay_alu instid0(VALU_DEP_1) | instskip(NEXT) | instid1(VALU_DEP_1)
	v_cmp_ne_u32_e64 s2, 0x7f800000, v6
                                        ; implicit-def: $vgpr6
	s_and_saveexec_b32 s42, s2
	s_delay_alu instid0(SALU_CYCLE_1)
	s_xor_b32 s2, exec_lo, s42
; %bb.76:                               ;   in Loop: Header=BB298_12 Depth=1
	v_bfe_u32 v6, v7, 16, 1
	s_delay_alu instid0(VALU_DEP_1)
	v_add3_u32 v6, v7, v6, 0x7fff
                                        ; implicit-def: $vgpr7
; %bb.77:                               ;   in Loop: Header=BB298_12 Depth=1
	s_and_not1_saveexec_b32 s42, s2
; %bb.78:                               ;   in Loop: Header=BB298_12 Depth=1
	v_and_b32_e32 v6, 0xffff, v7
	v_or_b32_e32 v8, 0x10000, v7
	s_delay_alu instid0(VALU_DEP_2) | instskip(NEXT) | instid1(VALU_DEP_1)
	v_cmp_eq_u32_e64 s2, 0, v6
	v_cndmask_b32_e64 v6, v8, v7, s2
; %bb.79:                               ;   in Loop: Header=BB298_12 Depth=1
	s_or_b32 exec_lo, exec_lo, s42
	v_lshlrev_b64 v[7:8], 1, v[58:59]
	s_delay_alu instid0(VALU_DEP_1) | instskip(NEXT) | instid1(VALU_DEP_1)
	v_add_co_u32 v7, s2, s12, v7
	v_add_co_ci_u32_e64 v8, s2, s13, v8, s2
	global_store_d16_hi_b16 v[7:8], v6, off
	s_or_b32 exec_lo, exec_lo, s15
	s_and_saveexec_b32 s15, s1
	s_cbranch_execz .LBB298_43
.LBB298_80:                             ;   in Loop: Header=BB298_12 Depth=1
	s_waitcnt lgkmcnt(1)
	v_add_f32_e32 v4, v4, v5
	s_waitcnt vmcnt(2)
	v_lshlrev_b32_e32 v5, 16, v17
	s_delay_alu instid0(VALU_DEP_1) | instskip(NEXT) | instid1(VALU_DEP_1)
	v_add_f32_e32 v5, v4, v5
	v_and_b32_e32 v4, 0x7f800000, v5
	s_delay_alu instid0(VALU_DEP_1) | instskip(NEXT) | instid1(VALU_DEP_1)
	v_cmp_ne_u32_e64 s2, 0x7f800000, v4
                                        ; implicit-def: $vgpr4
	s_and_saveexec_b32 s42, s2
	s_delay_alu instid0(SALU_CYCLE_1)
	s_xor_b32 s2, exec_lo, s42
; %bb.81:                               ;   in Loop: Header=BB298_12 Depth=1
	v_bfe_u32 v4, v5, 16, 1
	s_delay_alu instid0(VALU_DEP_1)
	v_add3_u32 v4, v5, v4, 0x7fff
                                        ; implicit-def: $vgpr5
; %bb.82:                               ;   in Loop: Header=BB298_12 Depth=1
	s_and_not1_saveexec_b32 s42, s2
; %bb.83:                               ;   in Loop: Header=BB298_12 Depth=1
	v_and_b32_e32 v4, 0xffff, v5
	v_or_b32_e32 v6, 0x10000, v5
	s_delay_alu instid0(VALU_DEP_2) | instskip(NEXT) | instid1(VALU_DEP_1)
	v_cmp_eq_u32_e64 s2, 0, v4
	v_cndmask_b32_e64 v4, v6, v5, s2
; %bb.84:                               ;   in Loop: Header=BB298_12 Depth=1
	s_or_b32 exec_lo, exec_lo, s42
	v_dual_mov_b32 v6, v59 :: v_dual_add_nc_u32 v5, 1, v58
	s_delay_alu instid0(VALU_DEP_1) | instskip(NEXT) | instid1(VALU_DEP_1)
	v_lshlrev_b64 v[5:6], 1, v[5:6]
	v_add_co_u32 v5, s2, s12, v5
	s_delay_alu instid0(VALU_DEP_1)
	v_add_co_ci_u32_e64 v6, s2, s13, v6, s2
	global_store_d16_hi_b16 v[5:6], v4, off
	s_or_b32 exec_lo, exec_lo, s15
	v_add_nc_u32_e32 v58, s19, v58
	s_and_saveexec_b32 s2, vcc_lo
	s_cbranch_execz .LBB298_44
.LBB298_85:                             ;   in Loop: Header=BB298_12 Depth=1
	s_waitcnt vmcnt(1) lgkmcnt(0)
	v_dual_add_f32 v2, v2, v3 :: v_dual_lshlrev_b32 v3, 16, v14
	s_delay_alu instid0(VALU_DEP_1) | instskip(NEXT) | instid1(VALU_DEP_1)
	v_add_f32_e32 v3, v2, v3
	v_and_b32_e32 v2, 0x7f800000, v3
	s_delay_alu instid0(VALU_DEP_1) | instskip(SKIP_1) | instid1(SALU_CYCLE_1)
	v_cmp_ne_u32_e32 vcc_lo, 0x7f800000, v2
                                        ; implicit-def: $vgpr2
	s_and_saveexec_b32 s15, vcc_lo
	s_xor_b32 s15, exec_lo, s15
; %bb.86:                               ;   in Loop: Header=BB298_12 Depth=1
	v_bfe_u32 v2, v3, 16, 1
	s_delay_alu instid0(VALU_DEP_1)
	v_add3_u32 v2, v3, v2, 0x7fff
                                        ; implicit-def: $vgpr3
; %bb.87:                               ;   in Loop: Header=BB298_12 Depth=1
	s_and_not1_saveexec_b32 s15, s15
; %bb.88:                               ;   in Loop: Header=BB298_12 Depth=1
	v_and_b32_e32 v2, 0xffff, v3
	v_or_b32_e32 v4, 0x10000, v3
	s_delay_alu instid0(VALU_DEP_2) | instskip(NEXT) | instid1(VALU_DEP_2)
	v_cmp_eq_u32_e32 vcc_lo, 0, v2
	v_cndmask_b32_e32 v2, v4, v3, vcc_lo
; %bb.89:                               ;   in Loop: Header=BB298_12 Depth=1
	s_or_b32 exec_lo, exec_lo, s15
	v_lshlrev_b64 v[3:4], 1, v[58:59]
	s_delay_alu instid0(VALU_DEP_1) | instskip(NEXT) | instid1(VALU_DEP_2)
	v_add_co_u32 v3, vcc_lo, s12, v3
	v_add_co_ci_u32_e32 v4, vcc_lo, s13, v4, vcc_lo
	global_store_d16_hi_b16 v[3:4], v2, off
	s_or_b32 exec_lo, exec_lo, s2
	s_delay_alu instid0(SALU_CYCLE_1)
	s_and_b32 exec_lo, exec_lo, s1
	s_cbranch_execz .LBB298_95
.LBB298_90:                             ;   in Loop: Header=BB298_12 Depth=1
	s_waitcnt vmcnt(0) lgkmcnt(3)
	v_dual_add_f32 v0, v0, v1 :: v_dual_lshlrev_b32 v1, 16, v10
	s_delay_alu instid0(VALU_DEP_1) | instskip(NEXT) | instid1(VALU_DEP_1)
	v_add_f32_e32 v1, v0, v1
	v_and_b32_e32 v0, 0x7f800000, v1
	s_delay_alu instid0(VALU_DEP_1) | instskip(SKIP_1) | instid1(SALU_CYCLE_1)
	v_cmp_ne_u32_e32 vcc_lo, 0x7f800000, v0
                                        ; implicit-def: $vgpr0
	s_and_saveexec_b32 s1, vcc_lo
	s_xor_b32 s1, exec_lo, s1
; %bb.91:                               ;   in Loop: Header=BB298_12 Depth=1
	v_bfe_u32 v0, v1, 16, 1
	s_delay_alu instid0(VALU_DEP_1)
	v_add3_u32 v0, v1, v0, 0x7fff
                                        ; implicit-def: $vgpr1
; %bb.92:                               ;   in Loop: Header=BB298_12 Depth=1
	s_and_not1_saveexec_b32 s1, s1
; %bb.93:                               ;   in Loop: Header=BB298_12 Depth=1
	v_and_b32_e32 v0, 0xffff, v1
	v_or_b32_e32 v2, 0x10000, v1
	s_delay_alu instid0(VALU_DEP_2) | instskip(NEXT) | instid1(VALU_DEP_2)
	v_cmp_eq_u32_e32 vcc_lo, 0, v0
	v_cndmask_b32_e32 v0, v2, v1, vcc_lo
; %bb.94:                               ;   in Loop: Header=BB298_12 Depth=1
	s_or_b32 exec_lo, exec_lo, s1
	v_add_nc_u32_e32 v58, 1, v58
	s_delay_alu instid0(VALU_DEP_1) | instskip(NEXT) | instid1(VALU_DEP_1)
	v_lshlrev_b64 v[1:2], 1, v[58:59]
	v_add_co_u32 v1, vcc_lo, s12, v1
	s_delay_alu instid0(VALU_DEP_2)
	v_add_co_ci_u32_e32 v2, vcc_lo, s13, v2, vcc_lo
	global_store_d16_hi_b16 v[1:2], v0, off
.LBB298_95:                             ;   in Loop: Header=BB298_12 Depth=1
	s_or_b32 exec_lo, exec_lo, s14
	v_add_nc_u32_e32 v57, s28, v57
	s_delay_alu instid0(VALU_DEP_1) | instskip(SKIP_1) | instid1(VALU_DEP_2)
	v_add_nc_u32_e32 v0, 2, v57
	v_cmp_gt_u32_e32 vcc_lo, s19, v57
	v_cmp_le_u32_e64 s1, s19, v0
	s_delay_alu instid0(VALU_DEP_1) | instskip(NEXT) | instid1(SALU_CYCLE_1)
	s_and_b32 s1, vcc_lo, s1
	s_and_saveexec_b32 s42, s1
	s_cbranch_execz .LBB298_10
; %bb.96:                               ;   in Loop: Header=BB298_12 Depth=1
	s_mov_b32 s43, exec_lo
	v_cmpx_ne_u32_e64 s30, v57
	s_cbranch_execz .LBB298_9
; %bb.97:                               ;   in Loop: Header=BB298_12 Depth=1
	v_subrev_nc_u32_e32 v0, s30, v57
	s_mov_b32 s44, 0
	s_mov_b64 s[14:15], 0
	s_delay_alu instid0(VALU_DEP_1)
	v_cmp_lt_u32_e32 vcc_lo, 1, v0
	v_cndmask_b32_e32 v0, 1, v0, vcc_lo
.LBB298_98:                             ;   Parent Loop BB298_12 Depth=1
                                        ; =>  This Inner Loop Header: Depth=2
	s_cmp_lg_u32 s14, 1
	s_cselect_b32 vcc_lo, -1, 0
	s_cmp_lg_u32 s14, 0
	v_cndmask_b32_e32 v56, 0, v56, vcc_lo
	s_cselect_b32 s1, -1, 0
	s_add_u32 s14, s14, 1
	v_cndmask_b32_e64 v55, 0, v55, s1
	v_cmp_eq_u32_e64 s2, s14, v0
	s_addc_u32 s15, s15, 0
	s_delay_alu instid0(VALU_DEP_1) | instskip(NEXT) | instid1(SALU_CYCLE_1)
	s_or_b32 s44, s2, s44
	s_and_not1_b32 exec_lo, exec_lo, s44
	s_cbranch_execnz .LBB298_98
; %bb.99:                               ;   in Loop: Header=BB298_12 Depth=1
	s_or_b32 exec_lo, exec_lo, s44
	s_branch .LBB298_9
.LBB298_100:
	s_nop 0
	s_sendmsg sendmsg(MSG_DEALLOC_VGPRS)
	s_endpgm
	.section	.rodata,"a",@progbits
	.p2align	6, 0x0
	.amdhsa_kernel _Z16wvSplitK_hf_big_I14__hip_bfloat16Li64ELi2ELi16ELi8ELi2ELi5EEviiiiiiPKT_S3_S3_PS1_ii
		.amdhsa_group_segment_fixed_size 65536
		.amdhsa_private_segment_fixed_size 0
		.amdhsa_kernarg_size 64
		.amdhsa_user_sgpr_count 15
		.amdhsa_user_sgpr_dispatch_ptr 0
		.amdhsa_user_sgpr_queue_ptr 0
		.amdhsa_user_sgpr_kernarg_segment_ptr 1
		.amdhsa_user_sgpr_dispatch_id 0
		.amdhsa_user_sgpr_private_segment_size 0
		.amdhsa_wavefront_size32 1
		.amdhsa_uses_dynamic_stack 0
		.amdhsa_enable_private_segment 0
		.amdhsa_system_sgpr_workgroup_id_x 1
		.amdhsa_system_sgpr_workgroup_id_y 0
		.amdhsa_system_sgpr_workgroup_id_z 0
		.amdhsa_system_sgpr_workgroup_info 0
		.amdhsa_system_vgpr_workitem_id 1
		.amdhsa_next_free_vgpr 93
		.amdhsa_next_free_sgpr 45
		.amdhsa_reserve_vcc 1
		.amdhsa_float_round_mode_32 0
		.amdhsa_float_round_mode_16_64 0
		.amdhsa_float_denorm_mode_32 3
		.amdhsa_float_denorm_mode_16_64 3
		.amdhsa_dx10_clamp 1
		.amdhsa_ieee_mode 1
		.amdhsa_fp16_overflow 0
		.amdhsa_workgroup_processor_mode 1
		.amdhsa_memory_ordered 1
		.amdhsa_forward_progress 0
		.amdhsa_shared_vgpr_count 0
		.amdhsa_exception_fp_ieee_invalid_op 0
		.amdhsa_exception_fp_denorm_src 0
		.amdhsa_exception_fp_ieee_div_zero 0
		.amdhsa_exception_fp_ieee_overflow 0
		.amdhsa_exception_fp_ieee_underflow 0
		.amdhsa_exception_fp_ieee_inexact 0
		.amdhsa_exception_int_div_zero 0
	.end_amdhsa_kernel
	.section	.text._Z16wvSplitK_hf_big_I14__hip_bfloat16Li64ELi2ELi16ELi8ELi2ELi5EEviiiiiiPKT_S3_S3_PS1_ii,"axG",@progbits,_Z16wvSplitK_hf_big_I14__hip_bfloat16Li64ELi2ELi16ELi8ELi2ELi5EEviiiiiiPKT_S3_S3_PS1_ii,comdat
.Lfunc_end298:
	.size	_Z16wvSplitK_hf_big_I14__hip_bfloat16Li64ELi2ELi16ELi8ELi2ELi5EEviiiiiiPKT_S3_S3_PS1_ii, .Lfunc_end298-_Z16wvSplitK_hf_big_I14__hip_bfloat16Li64ELi2ELi16ELi8ELi2ELi5EEviiiiiiPKT_S3_S3_PS1_ii
                                        ; -- End function
	.section	.AMDGPU.csdata,"",@progbits
; Kernel info:
; codeLenInByte = 7756
; NumSgprs: 47
; NumVgprs: 93
; ScratchSize: 0
; MemoryBound: 0
; FloatMode: 240
; IeeeMode: 1
; LDSByteSize: 65536 bytes/workgroup (compile time only)
; SGPRBlocks: 5
; VGPRBlocks: 11
; NumSGPRsForWavesPerEU: 47
; NumVGPRsForWavesPerEU: 93
; Occupancy: 16
; WaveLimiterHint : 0
; COMPUTE_PGM_RSRC2:SCRATCH_EN: 0
; COMPUTE_PGM_RSRC2:USER_SGPR: 15
; COMPUTE_PGM_RSRC2:TRAP_HANDLER: 0
; COMPUTE_PGM_RSRC2:TGID_X_EN: 1
; COMPUTE_PGM_RSRC2:TGID_Y_EN: 0
; COMPUTE_PGM_RSRC2:TGID_Z_EN: 0
; COMPUTE_PGM_RSRC2:TIDIG_COMP_CNT: 1
	.section	.text._Z16wvSplitK_hf_sml_I14__hip_bfloat16Li64ELi3ELi16ELi8ELi2ELi5EEviiiiiiPKT_S3_S3_PS1_ii,"axG",@progbits,_Z16wvSplitK_hf_sml_I14__hip_bfloat16Li64ELi3ELi16ELi8ELi2ELi5EEviiiiiiPKT_S3_S3_PS1_ii,comdat
	.protected	_Z16wvSplitK_hf_sml_I14__hip_bfloat16Li64ELi3ELi16ELi8ELi2ELi5EEviiiiiiPKT_S3_S3_PS1_ii ; -- Begin function _Z16wvSplitK_hf_sml_I14__hip_bfloat16Li64ELi3ELi16ELi8ELi2ELi5EEviiiiiiPKT_S3_S3_PS1_ii
	.globl	_Z16wvSplitK_hf_sml_I14__hip_bfloat16Li64ELi3ELi16ELi8ELi2ELi5EEviiiiiiPKT_S3_S3_PS1_ii
	.p2align	8
	.type	_Z16wvSplitK_hf_sml_I14__hip_bfloat16Li64ELi3ELi16ELi8ELi2ELi5EEviiiiiiPKT_S3_S3_PS1_ii,@function
_Z16wvSplitK_hf_sml_I14__hip_bfloat16Li64ELi3ELi16ELi8ELi2ELi5EEviiiiiiPKT_S3_S3_PS1_ii: ; @_Z16wvSplitK_hf_sml_I14__hip_bfloat16Li64ELi3ELi16ELi8ELi2ELi5EEviiiiiiPKT_S3_S3_PS1_ii
; %bb.0:
	s_clause 0x2
	s_load_b128 s[4:7], s[0:1], 0x0
	s_load_b64 s[8:9], s[0:1], 0x10
	s_load_b64 s[10:11], s[0:1], 0x28
	v_and_b32_e32 v3, 0x3ff, v0
	v_bfe_u32 v0, v0, 10, 10
	s_mov_b32 s12, exec_lo
	s_delay_alu instid0(VALU_DEP_2) | instskip(NEXT) | instid1(VALU_DEP_1)
	v_lshlrev_b32_e32 v74, 3, v3
	v_lshl_add_u32 v4, v0, 9, v74
	s_waitcnt lgkmcnt(0)
	s_mul_i32 s2, s6, 5
	s_delay_alu instid0(SALU_CYCLE_1)
	s_min_u32 s3, s2, 0x8000
	s_delay_alu instid0(VALU_DEP_1) | instid1(SALU_CYCLE_1)
	v_cmpx_gt_u32_e64 s3, v4
	s_cbranch_execz .LBB299_3
; %bb.1:
	s_load_b64 s[16:17], s[0:1], 0x20
	v_lshlrev_b32_e32 v5, 10, v0
	v_lshlrev_b32_e32 v6, 4, v3
	s_mov_b32 s13, 0
	s_delay_alu instid0(VALU_DEP_1) | instskip(NEXT) | instid1(VALU_DEP_1)
	v_add_co_u32 v1, s2, v5, v6
	v_add_co_ci_u32_e64 v2, null, 0, 0, s2
	v_add_nc_u32_e32 v5, v5, v6
	s_waitcnt lgkmcnt(0)
	s_delay_alu instid0(VALU_DEP_3) | instskip(NEXT) | instid1(VALU_DEP_3)
	v_add_co_u32 v1, vcc_lo, s16, v1
	v_add_co_ci_u32_e32 v2, vcc_lo, s17, v2, vcc_lo
	.p2align	6
.LBB299_2:                              ; =>This Inner Loop Header: Depth=1
	global_load_b128 v[6:9], v[1:2], off
	v_add_nc_u32_e32 v4, 0x2000, v4
	v_add_co_u32 v1, vcc_lo, 0x4000, v1
	v_add_co_ci_u32_e32 v2, vcc_lo, 0, v2, vcc_lo
	s_delay_alu instid0(VALU_DEP_3) | instskip(NEXT) | instid1(VALU_DEP_1)
	v_cmp_le_u32_e64 s2, s3, v4
	s_or_b32 s13, s2, s13
	s_waitcnt vmcnt(0)
	ds_store_b128 v5, v[6:9]
	v_add_nc_u32_e32 v5, 0x4000, v5
	s_and_not1_b32 exec_lo, exec_lo, s13
	s_cbranch_execnz .LBB299_2
.LBB299_3:
	s_or_b32 exec_lo, exec_lo, s12
	s_load_b64 s[16:17], s[0:1], 0x38
	s_waitcnt lgkmcnt(0)
	s_barrier
	buffer_gl0_inv
	s_mov_b32 s2, exec_lo
	v_cmpx_gt_u32_e64 s16, v0
	s_cbranch_execz .LBB299_78
; %bb.4:
	v_mad_u64_u32 v[1:2], null, s15, s16, v[0:1]
	s_delay_alu instid0(VALU_DEP_1) | instskip(NEXT) | instid1(VALU_DEP_1)
	v_lshl_add_u32 v56, v1, 1, v1
	v_cmp_gt_u32_e32 vcc_lo, s7, v56
	s_and_b32 exec_lo, exec_lo, vcc_lo
	s_cbranch_execz .LBB299_78
; %bb.5:
	s_cmp_lg_u32 s4, 0
	v_cvt_f32_u32_e32 v1, s8
	s_cselect_b32 s14, -1, 0
	s_add_i32 s15, s4, -8
	s_add_i32 s18, s7, -1
	s_cmp_lg_u64 s[10:11], 0
	v_rcp_iflag_f32_e32 v1, v1
	s_cselect_b32 s19, -1, 0
	s_abs_i32 s21, s9
	s_clause 0x1
	s_load_b64 s[2:3], s[0:1], 0x18
	s_load_b64 s[12:13], s[0:1], 0x30
	v_cvt_f32_u32_e32 v0, s21
	s_sub_i32 s9, 0, s21
	s_mul_i32 s16, s16, s17
	s_sub_i32 s17, 0, s8
	s_sub_i32 s20, 1, s21
	v_rcp_iflag_f32_e32 v0, v0
	v_dual_mov_b32 v58, 0 :: v_dual_lshlrev_b32 v75, 4, v3
	s_mov_b32 s1, 0
	s_mul_i32 s16, s16, 3
	s_waitcnt_depctr 0xfff
	v_dual_mul_f32 v1, 0x4f7ffffe, v1 :: v_dual_mul_f32 v0, 0x4f7ffffe, v0
	s_delay_alu instid0(VALU_DEP_1) | instskip(NEXT) | instid1(VALU_DEP_2)
	v_cvt_u32_f32_e32 v1, v1
	v_cvt_u32_f32_e32 v0, v0
	s_delay_alu instid0(VALU_DEP_2) | instskip(NEXT) | instid1(VALU_DEP_2)
	v_mul_lo_u32 v2, s17, v1
	v_readfirstlane_b32 s0, v0
	v_mbcnt_lo_u32_b32 v0, -1, 0
	s_delay_alu instid0(VALU_DEP_3) | instskip(NEXT) | instid1(VALU_DEP_3)
	v_mul_hi_u32 v2, v1, v2
	s_mul_i32 s9, s9, s0
	s_delay_alu instid0(SALU_CYCLE_1) | instskip(NEXT) | instid1(SALU_CYCLE_1)
	s_mul_hi_u32 s9, s0, s9
	s_add_i32 s22, s0, s9
	s_cmp_lt_u32 s21, 2
	v_cmp_eq_u32_e64 s0, 63, v3
	s_cselect_b32 s9, s20, 1
	v_xor_b32_e32 v3, 16, v0
	s_sub_i32 s20, s9, s21
	s_cmp_ge_u32 s9, s21
	v_add_nc_u32_e32 v77, v1, v2
	s_cselect_b32 s20, s20, s9
	s_lshr_b32 s9, s22, 31
	v_cmp_gt_i32_e32 vcc_lo, 32, v3
	s_mul_i32 s9, s9, s21
	s_delay_alu instid0(SALU_CYCLE_1)
	s_sub_i32 s23, 2, s9
	s_mul_i32 s9, s6, 6
	s_sub_i32 s24, s23, s21
	s_cmp_ge_u32 s23, s21
	v_cndmask_b32_e32 v0, v0, v3, vcc_lo
	s_cselect_b32 s17, s24, s23
	s_mul_hi_u32 s23, s22, 3
	s_sub_i32 s24, s17, s21
	s_cmp_ge_u32 s17, s21
	s_mul_i32 s23, s23, s21
	s_cselect_b32 s24, s24, s17
	s_sub_i32 s17, 3, s23
	v_lshlrev_b32_e32 v76, 2, v0
	s_sub_i32 s23, s17, s21
	s_cmp_ge_u32 s17, s21
	s_cselect_b32 s17, s23, s17
	s_delay_alu instid0(SALU_CYCLE_1) | instskip(SKIP_3) | instid1(SALU_CYCLE_1)
	s_sub_i32 s23, s17, s21
	s_cmp_ge_u32 s17, s21
	s_cselect_b32 s23, s23, s17
	s_lshr_b32 s17, s22, 30
	s_mul_i32 s17, s17, s21
	s_delay_alu instid0(SALU_CYCLE_1)
	s_sub_i32 s22, 4, s17
	s_mul_i32 s17, s20, s8
	s_sub_i32 s25, s22, s21
	s_cmp_ge_u32 s22, s21
	s_mul_i32 s20, s24, s8
	s_cselect_b32 s22, s25, s22
	s_delay_alu instid0(SALU_CYCLE_1)
	s_sub_i32 s24, s22, s21
	s_cmp_ge_u32 s22, s21
	s_mul_i32 s21, s23, s8
	s_cselect_b32 s24, s24, s22
	s_lshl_b32 s22, s6, 3
	s_lshl_b32 s23, s6, 2
	s_mul_i32 s24, s24, s8
	s_lshl_b32 s6, s6, 1
	s_branch .LBB299_8
.LBB299_6:                              ;   in Loop: Header=BB299_8 Depth=1
	s_or_b32 exec_lo, exec_lo, s26
	v_add_nc_u32_e32 v57, 2, v57
	s_delay_alu instid0(VALU_DEP_1) | instskip(NEXT) | instid1(VALU_DEP_1)
	v_lshlrev_b64 v[1:2], 1, v[57:58]
	v_add_co_u32 v1, vcc_lo, s12, v1
	s_delay_alu instid0(VALU_DEP_2)
	v_add_co_ci_u32_e32 v2, vcc_lo, s13, v2, vcc_lo
	global_store_d16_hi_b16 v[1:2], v0, off
.LBB299_7:                              ;   in Loop: Header=BB299_8 Depth=1
	s_or_b32 exec_lo, exec_lo, s25
	v_add_nc_u32_e32 v56, s16, v56
	s_delay_alu instid0(VALU_DEP_1) | instskip(SKIP_1) | instid1(SALU_CYCLE_1)
	v_cmp_le_u32_e32 vcc_lo, s7, v56
	s_or_b32 s1, vcc_lo, s1
	s_and_not1_b32 exec_lo, exec_lo, s1
	s_cbranch_execz .LBB299_78
.LBB299_8:                              ; =>This Loop Header: Depth=1
                                        ;     Child Loop BB299_12 Depth 2
	v_dual_mov_b32 v80, v58 :: v_dual_add_nc_u32 v59, 2, v56
	v_mov_b32_e32 v79, v58
	v_mov_b32_e32 v81, v58
	v_mov_b32_e32 v82, v58
	v_mov_b32_e32 v83, v58
	v_mov_b32_e32 v86, v58
	v_mov_b32_e32 v87, v58
	v_mov_b32_e32 v85, v58
	v_mov_b32_e32 v84, v58
	v_mov_b32_e32 v88, v58
	v_mov_b32_e32 v90, v58
	v_mov_b32_e32 v92, v58
	v_mov_b32_e32 v91, v58
	v_mov_b32_e32 v93, v58
	v_mov_b32_e32 v89, v58
	s_and_not1_b32 vcc_lo, exec_lo, s14
	s_cbranch_vccnz .LBB299_15
; %bb.9:                                ;   in Loop: Header=BB299_8 Depth=1
	s_waitcnt lgkmcnt(0)
	v_dual_mov_b32 v1, v58 :: v_dual_add_nc_u32 v0, 1, v56
	v_min_u32_e32 v2, s18, v56
	v_min_u32_e32 v4, s18, v59
	v_dual_mov_b32 v3, v58 :: v_dual_mov_b32 v78, v75
	s_delay_alu instid0(VALU_DEP_4) | instskip(NEXT) | instid1(VALU_DEP_4)
	v_min_u32_e32 v0, s18, v0
	v_mul_lo_u32 v57, v2, s5
	s_delay_alu instid0(VALU_DEP_4) | instskip(SKIP_1) | instid1(VALU_DEP_4)
	v_mul_lo_u32 v2, v4, s5
	v_dual_mov_b32 v89, 0 :: v_dual_mov_b32 v92, 0
	v_mul_lo_u32 v0, v0, s5
	v_dual_mov_b32 v93, 0 :: v_dual_mov_b32 v90, 0
	v_dual_mov_b32 v91, 0 :: v_dual_mov_b32 v88, 0
	v_lshlrev_b64 v[60:61], 1, v[57:58]
	v_lshlrev_b64 v[62:63], 1, v[2:3]
	v_dual_mov_b32 v84, 0 :: v_dual_mov_b32 v85, 0
	v_lshlrev_b64 v[64:65], 1, v[0:1]
	v_dual_mov_b32 v87, 0 :: v_dual_mov_b32 v86, 0
	v_dual_mov_b32 v83, 0 :: v_dual_mov_b32 v82, 0
	;; [unrolled: 1-line block ×3, first 2 shown]
	v_mov_b32_e32 v79, 0
	s_mov_b32 s25, 0
	s_branch .LBB299_12
.LBB299_10:                             ;   in Loop: Header=BB299_12 Depth=2
	s_or_b32 exec_lo, exec_lo, s27
.LBB299_11:                             ;   in Loop: Header=BB299_12 Depth=2
	s_delay_alu instid0(SALU_CYCLE_1)
	s_or_b32 exec_lo, exec_lo, s26
	s_waitcnt lgkmcnt(1)
	v_and_b32_e32 v95, 0xffff0000, v53
	v_and_b32_e32 v98, 0xffff0000, v54
	s_waitcnt vmcnt(5)
	v_and_b32_e32 v99, 0xffff0000, v50
	v_and_b32_e32 v97, 0xffff0000, v49
	;; [unrolled: 1-line block ×3, first 2 shown]
	s_waitcnt vmcnt(4)
	v_and_b32_e32 v103, 0xffff0000, v45
	v_and_b32_e32 v94, 0xffff0000, v48
	v_lshlrev_b32_e32 v45, 16, v45
	v_mul_f32_e32 v100, v95, v97
	v_and_b32_e32 v106, 0xffff0000, v46
	v_dual_mul_f32 v105, v95, v103 :: v_dual_lshlrev_b32 v48, 16, v48
	v_dual_mul_f32 v96, v57, v94 :: v_dual_lshlrev_b32 v53, 16, v53
	v_lshlrev_b32_e32 v52, 16, v52
	v_and_b32_e32 v102, 0xffff0000, v55
	v_lshlrev_b32_e32 v46, 16, v46
	v_lshlrev_b32_e32 v55, 16, v55
	s_delay_alu instid0(VALU_DEP_4)
	v_dual_fmac_f32 v105, v53, v45 :: v_dual_fmac_f32 v96, v52, v48
	v_and_b32_e32 v101, 0xffff0000, v44
	s_addk_i32 s25, 0x400
	s_waitcnt vmcnt(3)
	v_lshlrev_b32_e32 v109, 16, v39
	s_cmp_ge_u32 s25, s4
	v_dual_add_f32 v89, v89, v96 :: v_dual_lshlrev_b32 v54, 16, v54
	v_and_b32_e32 v104, 0xffff0000, v51
	v_lshlrev_b32_e32 v50, 16, v50
	v_mul_f32_e32 v96, v98, v99
	v_lshlrev_b32_e32 v51, 16, v51
	s_delay_alu instid0(VALU_DEP_4) | instskip(NEXT) | instid1(VALU_DEP_3)
	v_dual_mul_f32 v107, v102, v104 :: v_dual_add_nc_u32 v78, 0x800, v78
	v_dual_fmac_f32 v96, v54, v50 :: v_dual_lshlrev_b32 v49, 16, v49
	s_delay_alu instid0(VALU_DEP_1) | instskip(NEXT) | instid1(VALU_DEP_1)
	v_dual_fmac_f32 v107, v55, v51 :: v_dual_fmac_f32 v100, v53, v49
	v_add_f32_e32 v89, v89, v100
	v_lshlrev_b32_e32 v100, 16, v44
	v_mul_f32_e32 v44, v57, v101
	s_delay_alu instid0(VALU_DEP_3) | instskip(NEXT) | instid1(VALU_DEP_2)
	v_add_f32_e32 v89, v89, v96
	v_fmac_f32_e32 v44, v52, v100
	s_delay_alu instid0(VALU_DEP_1) | instskip(NEXT) | instid1(VALU_DEP_1)
	v_dual_add_f32 v44, v93, v44 :: v_dual_mul_f32 v93, v98, v106
	v_dual_add_f32 v96, v44, v105 :: v_dual_and_b32 v105, 0xffff0000, v36
	s_delay_alu instid0(VALU_DEP_2) | instskip(SKIP_1) | instid1(VALU_DEP_3)
	v_dual_fmac_f32 v93, v54, v46 :: v_dual_add_f32 v44, v89, v107
	v_and_b32_e32 v107, 0xffff0000, v38
	v_dual_mul_f32 v36, v57, v105 :: v_dual_lshlrev_b32 v89, 16, v36
	s_delay_alu instid0(VALU_DEP_3) | instskip(NEXT) | instid1(VALU_DEP_2)
	v_add_f32_e32 v57, v96, v93
	v_fmac_f32_e32 v36, v52, v89
	v_and_b32_e32 v93, 0xffff0000, v37
	v_lshlrev_b32_e32 v52, 16, v37
	s_delay_alu instid0(VALU_DEP_3) | instskip(NEXT) | instid1(VALU_DEP_3)
	v_add_f32_e32 v36, v91, v36
	v_dual_mul_f32 v37, v95, v93 :: v_dual_and_b32 v96, 0xffff0000, v47
	s_delay_alu instid0(VALU_DEP_1) | instskip(SKIP_1) | instid1(VALU_DEP_2)
	v_fmac_f32_e32 v37, v53, v52
	v_lshlrev_b32_e32 v53, 16, v38
	v_dual_mul_f32 v95, v102, v96 :: v_dual_add_f32 v36, v36, v37
	v_dual_mul_f32 v38, v98, v107 :: v_dual_and_b32 v91, 0xffff0000, v40
	s_delay_alu instid0(VALU_DEP_1)
	v_fmac_f32_e32 v38, v54, v53
	v_lshlrev_b32_e32 v98, 16, v40
	v_and_b32_e32 v54, 0xffff0000, v39
	v_and_b32_e32 v37, 0xffff0000, v41
	v_dual_mul_f32 v40, v91, v94 :: v_dual_lshlrev_b32 v47, 16, v47
	v_add_f32_e32 v36, v36, v38
	s_delay_alu instid0(VALU_DEP_4) | instskip(NEXT) | instid1(VALU_DEP_3)
	v_mul_f32_e32 v102, v102, v54
	v_dual_mul_f32 v108, v37, v97 :: v_dual_fmac_f32 v95, v55, v47
	s_delay_alu instid0(VALU_DEP_2) | instskip(SKIP_4) | instid1(VALU_DEP_4)
	v_fmac_f32_e32 v102, v55, v109
	v_dual_mul_f32 v55, v91, v101 :: v_dual_fmac_f32 v40, v98, v48
	v_lshlrev_b32_e32 v41, 16, v41
	v_mul_f32_e32 v91, v91, v105
	v_add_f32_e32 v57, v57, v95
	v_fmac_f32_e32 v55, v98, v100
	v_dual_add_f32 v40, v92, v40 :: v_dual_and_b32 v39, 0xffff0000, v42
	v_fmac_f32_e32 v108, v41, v49
	s_delay_alu instid0(VALU_DEP_3) | instskip(NEXT) | instid1(VALU_DEP_3)
	v_dual_add_f32 v55, v90, v55 :: v_dual_lshlrev_b32 v42, 16, v42
	v_dual_fmac_f32 v91, v98, v89 :: v_dual_mul_f32 v90, v39, v106
	s_delay_alu instid0(VALU_DEP_3)
	v_add_f32_e32 v38, v40, v108
	v_add_f32_e32 v40, v36, v102
	v_and_b32_e32 v36, 0xffff0000, v43
	v_mul_f32_e32 v92, v39, v99
	v_lshlrev_b32_e32 v43, 16, v43
	v_mul_f32_e32 v39, v39, v107
	v_add_f32_e32 v88, v88, v91
	s_delay_alu instid0(VALU_DEP_4) | instskip(NEXT) | instid1(VALU_DEP_3)
	v_dual_mul_f32 v95, v36, v104 :: v_dual_fmac_f32 v92, v42, v50
	v_fmac_f32_e32 v39, v42, v53
	s_delay_alu instid0(VALU_DEP_2) | instskip(NEXT) | instid1(VALU_DEP_3)
	v_dual_fmac_f32 v90, v42, v46 :: v_dual_fmac_f32 v95, v43, v51
	v_add_f32_e32 v38, v38, v92
	v_mul_f32_e32 v92, v37, v103
	s_delay_alu instid0(VALU_DEP_2) | instskip(NEXT) | instid1(VALU_DEP_2)
	v_dual_mul_f32 v37, v37, v93 :: v_dual_add_f32 v38, v38, v95
	v_fmac_f32_e32 v92, v41, v45
	s_delay_alu instid0(VALU_DEP_2) | instskip(NEXT) | instid1(VALU_DEP_2)
	v_fmac_f32_e32 v37, v41, v52
	v_add_f32_e32 v55, v55, v92
	s_delay_alu instid0(VALU_DEP_2) | instskip(NEXT) | instid1(VALU_DEP_2)
	v_add_f32_e32 v37, v88, v37
	v_add_f32_e32 v41, v55, v90
	v_and_b32_e32 v55, 0xffff0000, v72
	s_delay_alu instid0(VALU_DEP_3) | instskip(SKIP_2) | instid1(VALU_DEP_4)
	v_dual_mul_f32 v90, v36, v96 :: v_dual_add_f32 v37, v37, v39
	v_and_b32_e32 v88, 0xffff0000, v73
	v_lshlrev_b32_e32 v42, 16, v72
	v_dual_mul_f32 v72, v55, v94 :: v_dual_lshlrev_b32 v73, 16, v73
	s_delay_alu instid0(VALU_DEP_3) | instskip(SKIP_1) | instid1(VALU_DEP_3)
	v_mul_f32_e32 v91, v88, v97
	v_mul_f32_e32 v36, v36, v54
	v_fmac_f32_e32 v72, v42, v48
	s_delay_alu instid0(VALU_DEP_3) | instskip(NEXT) | instid1(VALU_DEP_3)
	v_dual_fmac_f32 v90, v43, v47 :: v_dual_fmac_f32 v91, v73, v49
	v_dual_fmac_f32 v36, v43, v109 :: v_dual_and_b32 v43, 0xffff0000, v70
	s_delay_alu instid0(VALU_DEP_2) | instskip(NEXT) | instid1(VALU_DEP_4)
	v_add_f32_e32 v39, v41, v90
	v_add_f32_e32 v41, v84, v72
	v_mul_f32_e32 v90, v88, v103
	s_delay_alu instid0(VALU_DEP_2) | instskip(SKIP_1) | instid1(VALU_DEP_1)
	v_add_f32_e32 v41, v41, v91
	v_dual_add_f32 v36, v37, v36 :: v_dual_mul_f32 v37, v55, v101
	v_dual_fmac_f32 v37, v42, v100 :: v_dual_lshlrev_b32 v70, 16, v70
	v_and_b32_e32 v84, 0xffff0000, v71
	v_lshlrev_b32_e32 v71, 16, v71
	s_delay_alu instid0(VALU_DEP_3) | instskip(NEXT) | instid1(VALU_DEP_3)
	v_dual_add_f32 v37, v85, v37 :: v_dual_mul_f32 v72, v43, v99
	v_mul_f32_e32 v91, v84, v104
	v_dual_mul_f32 v85, v43, v106 :: v_dual_fmac_f32 v90, v73, v45
	s_delay_alu instid0(VALU_DEP_3) | instskip(NEXT) | instid1(VALU_DEP_3)
	v_dual_mul_f32 v43, v43, v107 :: v_dual_fmac_f32 v72, v70, v50
	v_fmac_f32_e32 v91, v71, v51
	v_mul_f32_e32 v55, v55, v105
	s_delay_alu instid0(VALU_DEP_3) | instskip(NEXT) | instid1(VALU_DEP_4)
	v_fmac_f32_e32 v43, v70, v53
	v_add_f32_e32 v41, v41, v72
	s_delay_alu instid0(VALU_DEP_3) | instskip(SKIP_3) | instid1(VALU_DEP_3)
	v_dual_add_f32 v72, v37, v90 :: v_dual_fmac_f32 v55, v42, v89
	v_dual_mul_f32 v42, v88, v93 :: v_dual_fmac_f32 v85, v70, v46
	v_and_b32_e32 v70, 0xffff0000, v34
	v_lshlrev_b32_e32 v34, 16, v34
	v_fmac_f32_e32 v42, v73, v52
	s_delay_alu instid0(VALU_DEP_4) | instskip(SKIP_4) | instid1(VALU_DEP_4)
	v_dual_add_f32 v37, v41, v91 :: v_dual_add_f32 v72, v72, v85
	v_and_b32_e32 v41, 0xffff0000, v32
	v_lshlrev_b32_e32 v73, 16, v32
	v_mul_f32_e32 v85, v84, v96
	v_mul_f32_e32 v84, v84, v54
	v_dual_mul_f32 v32, v41, v94 :: v_dual_add_f32 v55, v87, v55
	s_delay_alu instid0(VALU_DEP_1) | instskip(NEXT) | instid1(VALU_DEP_2)
	v_dual_fmac_f32 v32, v73, v48 :: v_dual_and_b32 v87, 0xffff0000, v33
	v_dual_add_f32 v42, v55, v42 :: v_dual_lshlrev_b32 v55, 16, v33
	s_delay_alu instid0(VALU_DEP_2) | instskip(NEXT) | instid1(VALU_DEP_3)
	v_add_f32_e32 v32, v86, v32
	v_dual_mul_f32 v86, v70, v99 :: v_dual_mul_f32 v33, v87, v97
	s_delay_alu instid0(VALU_DEP_3) | instskip(NEXT) | instid1(VALU_DEP_2)
	v_add_f32_e32 v42, v42, v43
	v_dual_fmac_f32 v86, v34, v50 :: v_dual_fmac_f32 v33, v55, v49
	s_delay_alu instid0(VALU_DEP_1) | instskip(NEXT) | instid1(VALU_DEP_1)
	v_add_f32_e32 v33, v32, v33
	v_dual_fmac_f32 v84, v71, v109 :: v_dual_add_f32 v33, v33, v86
	s_delay_alu instid0(VALU_DEP_1) | instskip(SKIP_2) | instid1(VALU_DEP_2)
	v_dual_fmac_f32 v85, v71, v47 :: v_dual_add_f32 v32, v42, v84
	v_dual_mul_f32 v43, v41, v101 :: v_dual_and_b32 v42, 0xffff0000, v35
	v_mul_f32_e32 v41, v41, v105
	v_dual_mul_f32 v84, v42, v104 :: v_dual_lshlrev_b32 v35, 16, v35
	s_delay_alu instid0(VALU_DEP_4) | instskip(NEXT) | instid1(VALU_DEP_4)
	v_dual_add_f32 v71, v72, v85 :: v_dual_mul_f32 v72, v87, v103
	v_fmac_f32_e32 v43, v73, v100
	s_delay_alu instid0(VALU_DEP_4) | instskip(SKIP_1) | instid1(VALU_DEP_4)
	v_fmac_f32_e32 v41, v73, v89
	v_mul_f32_e32 v73, v87, v93
	v_fmac_f32_e32 v72, v55, v45
	s_delay_alu instid0(VALU_DEP_4)
	v_add_f32_e32 v43, v83, v43
	v_mul_f32_e32 v83, v70, v106
	v_add_f32_e32 v41, v82, v41
	v_fmac_f32_e32 v73, v55, v52
	s_waitcnt lgkmcnt(0)
	v_dual_mul_f32 v55, v70, v107 :: v_dual_and_b32 v70, 0xffff0000, v28
	v_and_b32_e32 v82, 0xffff0000, v29
	s_delay_alu instid0(VALU_DEP_3) | instskip(NEXT) | instid1(VALU_DEP_3)
	v_add_f32_e32 v41, v41, v73
	v_dual_mul_f32 v28, v70, v94 :: v_dual_lshlrev_b32 v73, 16, v28
	v_add_f32_e32 v43, v43, v72
	v_mul_f32_e32 v72, v42, v96
	v_fmac_f32_e32 v84, v35, v51
	v_mul_f32_e32 v42, v42, v54
	v_fmac_f32_e32 v28, v73, v48
	v_lshlrev_b32_e32 v48, 16, v29
	v_dual_fmac_f32 v72, v35, v47 :: v_dual_fmac_f32 v83, v34, v46
	v_add_f32_e32 v33, v33, v84
	v_mul_f32_e32 v29, v82, v97
	v_dual_fmac_f32 v42, v35, v109 :: v_dual_add_f32 v35, v81, v28
	s_delay_alu instid0(VALU_DEP_4) | instskip(NEXT) | instid1(VALU_DEP_3)
	v_add_f32_e32 v43, v43, v83
	v_fmac_f32_e32 v29, v48, v49
	v_mul_f32_e32 v49, v82, v103
	s_delay_alu instid0(VALU_DEP_2)
	v_add_f32_e32 v29, v35, v29
	v_and_b32_e32 v35, 0xffff0000, v31
	v_dual_fmac_f32 v55, v34, v53 :: v_dual_add_f32 v34, v43, v72
	v_and_b32_e32 v43, 0xffff0000, v30
	v_lshlrev_b32_e32 v30, 16, v30
	v_lshlrev_b32_e32 v31, 16, v31
	s_delay_alu instid0(VALU_DEP_4) | instskip(SKIP_1) | instid1(VALU_DEP_2)
	v_add_f32_e32 v41, v41, v55
	v_fmac_f32_e32 v49, v48, v45
	v_dual_mul_f32 v55, v70, v105 :: v_dual_add_f32 v28, v41, v42
	v_mul_f32_e32 v42, v43, v99
	s_delay_alu instid0(VALU_DEP_1) | instskip(NEXT) | instid1(VALU_DEP_1)
	v_fmac_f32_e32 v42, v30, v50
	v_dual_mul_f32 v50, v35, v104 :: v_dual_add_f32 v29, v29, v42
	v_mul_f32_e32 v42, v82, v93
	s_delay_alu instid0(VALU_DEP_2) | instskip(NEXT) | instid1(VALU_DEP_2)
	v_fmac_f32_e32 v50, v31, v51
	v_dual_fmac_f32 v42, v48, v52 :: v_dual_mul_f32 v41, v70, v101
	v_mul_f32_e32 v45, v43, v106
	v_mul_f32_e32 v43, v43, v107
	s_delay_alu instid0(VALU_DEP_4)
	v_add_f32_e32 v29, v29, v50
	s_waitcnt vmcnt(2)
	v_dual_fmac_f32 v41, v73, v100 :: v_dual_and_b32 v50, 0xffff0000, v22
	v_fmac_f32_e32 v45, v30, v46
	v_dual_fmac_f32 v43, v30, v53 :: v_dual_mul_f32 v46, v35, v96
	s_waitcnt vmcnt(1)
	s_delay_alu instid0(VALU_DEP_3) | instskip(SKIP_3) | instid1(VALU_DEP_4)
	v_dual_add_f32 v41, v80, v41 :: v_dual_and_b32 v52, 0xffff0000, v16
	v_lshlrev_b32_e32 v16, 16, v16
	v_and_b32_e32 v48, 0xffff0000, v20
	v_fmac_f32_e32 v46, v31, v47
	v_dual_add_f32 v41, v41, v49 :: v_dual_lshlrev_b32 v30, 16, v20
	v_and_b32_e32 v49, 0xffff0000, v26
	v_dual_fmac_f32 v55, v73, v89 :: v_dual_lshlrev_b32 v26, 16, v26
	s_delay_alu instid0(VALU_DEP_3) | instskip(NEXT) | instid1(VALU_DEP_3)
	v_add_f32_e32 v41, v41, v45
	v_mul_f32_e32 v51, v49, v50
	s_delay_alu instid0(VALU_DEP_2) | instskip(SKIP_4) | instid1(VALU_DEP_2)
	v_dual_add_f32 v20, v41, v46 :: v_dual_and_b32 v41, 0xffff0000, v25
	v_and_b32_e32 v47, 0xffff0000, v24
	v_lshlrev_b32_e32 v25, 16, v25
	v_dual_add_f32 v45, v79, v55 :: v_dual_lshlrev_b32 v24, 16, v24
	v_dual_mul_f32 v35, v35, v54 :: v_dual_and_b32 v46, 0xffff0000, v21
	v_dual_add_f32 v42, v45, v42 :: v_dual_and_b32 v55, 0xffff0000, v19
	v_mul_f32_e32 v45, v47, v48
	v_lshlrev_b32_e32 v19, 16, v19
	s_delay_alu instid0(VALU_DEP_2) | instskip(SKIP_1) | instid1(VALU_DEP_2)
	v_dual_add_f32 v42, v42, v43 :: v_dual_fmac_f32 v45, v24, v30
	v_lshlrev_b32_e32 v43, 16, v21
	v_dual_mul_f32 v21, v41, v46 :: v_dual_add_f32 v44, v44, v45
	v_fmac_f32_e32 v35, v31, v109
	s_delay_alu instid0(VALU_DEP_2) | instskip(NEXT) | instid1(VALU_DEP_2)
	v_fmac_f32_e32 v21, v25, v43
	v_add_f32_e32 v35, v42, v35
	s_delay_alu instid0(VALU_DEP_2) | instskip(SKIP_4) | instid1(VALU_DEP_3)
	v_dual_add_f32 v31, v44, v21 :: v_dual_and_b32 v44, 0xffff0000, v27
	v_lshlrev_b32_e32 v27, 16, v27
	v_lshlrev_b32_e32 v45, 16, v22
	v_and_b32_e32 v22, 0xffff0000, v23
	v_lshlrev_b32_e32 v21, 16, v23
	v_fmac_f32_e32 v51, v26, v45
	s_delay_alu instid0(VALU_DEP_1) | instskip(SKIP_2) | instid1(VALU_DEP_2)
	v_add_f32_e32 v31, v31, v51
	v_and_b32_e32 v51, 0xffff0000, v17
	v_mul_f32_e32 v23, v44, v22
	v_dual_mul_f32 v42, v41, v51 :: v_dual_lshlrev_b32 v17, 16, v17
	v_mul_f32_e32 v53, v47, v52
	s_delay_alu instid0(VALU_DEP_3) | instskip(NEXT) | instid1(VALU_DEP_2)
	v_fmac_f32_e32 v23, v27, v21
	v_dual_fmac_f32 v42, v25, v17 :: v_dual_fmac_f32 v53, v24, v16
	s_delay_alu instid0(VALU_DEP_2) | instskip(NEXT) | instid1(VALU_DEP_2)
	v_add_f32_e32 v89, v31, v23
	v_add_f32_e32 v31, v57, v53
	v_mul_f32_e32 v57, v44, v55
	s_waitcnt vmcnt(0)
	s_delay_alu instid0(VALU_DEP_2) | instskip(SKIP_4) | instid1(VALU_DEP_4)
	v_dual_add_f32 v31, v31, v42 :: v_dual_and_b32 v42, 0xffff0000, v9
	v_and_b32_e32 v53, 0xffff0000, v8
	v_lshlrev_b32_e32 v8, 16, v8
	v_lshlrev_b32_e32 v9, 16, v9
	v_fmac_f32_e32 v57, v27, v19
	v_mul_f32_e32 v47, v47, v53
	s_delay_alu instid0(VALU_DEP_1) | instskip(NEXT) | instid1(VALU_DEP_1)
	v_fmac_f32_e32 v47, v24, v8
	v_add_f32_e32 v40, v40, v47
	v_mul_f32_e32 v24, v41, v42
	v_and_b32_e32 v41, 0xffff0000, v10
	v_lshlrev_b32_e32 v10, 16, v10
	v_and_b32_e32 v47, 0xffff0000, v12
	s_delay_alu instid0(VALU_DEP_4) | instskip(NEXT) | instid1(VALU_DEP_4)
	v_dual_fmac_f32 v24, v25, v9 :: v_dual_and_b32 v23, 0xffff0000, v18
	v_dual_mul_f32 v25, v49, v41 :: v_dual_lshlrev_b32 v18, 16, v18
	v_lshlrev_b32_e32 v12, 16, v12
	s_delay_alu instid0(VALU_DEP_2) | instskip(SKIP_1) | instid1(VALU_DEP_2)
	v_dual_add_f32 v24, v40, v24 :: v_dual_fmac_f32 v25, v26, v10
	v_mul_f32_e32 v40, v47, v48
	v_add_f32_e32 v24, v24, v25
	v_dual_mul_f32 v54, v49, v23 :: v_dual_and_b32 v49, 0xffff0000, v13
	s_delay_alu instid0(VALU_DEP_3) | instskip(NEXT) | instid1(VALU_DEP_2)
	v_dual_fmac_f32 v40, v12, v30 :: v_dual_lshlrev_b32 v13, 16, v13
	v_fmac_f32_e32 v54, v26, v18
	v_and_b32_e32 v26, 0xffff0000, v11
	v_lshlrev_b32_e32 v11, 16, v11
	v_mul_f32_e32 v25, v49, v46
	s_delay_alu instid0(VALU_DEP_4) | instskip(NEXT) | instid1(VALU_DEP_2)
	v_add_f32_e32 v31, v31, v54
	v_dual_mul_f32 v44, v44, v26 :: v_dual_fmac_f32 v25, v13, v43
	s_delay_alu instid0(VALU_DEP_2) | instskip(NEXT) | instid1(VALU_DEP_2)
	v_add_f32_e32 v93, v31, v57
	v_dual_fmac_f32 v44, v27, v11 :: v_dual_and_b32 v31, 0xffff0000, v14
	v_dual_add_f32 v27, v38, v40 :: v_dual_lshlrev_b32 v14, 16, v14
	s_delay_alu instid0(VALU_DEP_2) | instskip(SKIP_1) | instid1(VALU_DEP_3)
	v_dual_mul_f32 v38, v31, v50 :: v_dual_add_f32 v91, v24, v44
	v_mul_f32_e32 v24, v47, v52
	v_add_f32_e32 v25, v27, v25
	s_delay_alu instid0(VALU_DEP_3) | instskip(NEXT) | instid1(VALU_DEP_3)
	v_dual_fmac_f32 v38, v14, v45 :: v_dual_and_b32 v27, 0xffff0000, v15
	v_dual_fmac_f32 v24, v12, v16 :: v_dual_lshlrev_b32 v15, 16, v15
	s_delay_alu instid0(VALU_DEP_2) | instskip(SKIP_1) | instid1(VALU_DEP_4)
	v_mul_f32_e32 v44, v27, v22
	v_mul_f32_e32 v40, v49, v51
	v_dual_add_f32 v25, v25, v38 :: v_dual_mul_f32 v38, v47, v53
	s_delay_alu instid0(VALU_DEP_4) | instskip(NEXT) | instid1(VALU_DEP_3)
	v_add_f32_e32 v24, v39, v24
	v_dual_mul_f32 v39, v31, v23 :: v_dual_fmac_f32 v40, v13, v17
	v_fmac_f32_e32 v44, v15, v21
	s_delay_alu instid0(VALU_DEP_4) | instskip(SKIP_1) | instid1(VALU_DEP_4)
	v_fmac_f32_e32 v38, v12, v8
	v_mul_f32_e32 v12, v49, v42
	v_dual_fmac_f32 v39, v14, v18 :: v_dual_add_f32 v24, v24, v40
	s_delay_alu instid0(VALU_DEP_4) | instskip(NEXT) | instid1(VALU_DEP_4)
	v_add_f32_e32 v92, v25, v44
	v_add_f32_e32 v36, v36, v38
	v_dual_mul_f32 v40, v27, v55 :: v_dual_and_b32 v25, 0xffff0000, v68
	s_delay_alu instid0(VALU_DEP_4) | instskip(SKIP_1) | instid1(VALU_DEP_3)
	v_dual_add_f32 v24, v24, v39 :: v_dual_mul_f32 v27, v27, v26
	v_lshlrev_b32_e32 v44, 16, v67
	v_fmac_f32_e32 v40, v15, v19
	s_delay_alu instid0(VALU_DEP_4) | instskip(NEXT) | instid1(VALU_DEP_2)
	v_mul_f32_e32 v38, v25, v48
	v_add_f32_e32 v90, v24, v40
	v_and_b32_e32 v24, 0xffff0000, v69
	s_delay_alu instid0(VALU_DEP_1) | instskip(SKIP_1) | instid1(VALU_DEP_1)
	v_mul_f32_e32 v40, v24, v51
	v_fmac_f32_e32 v12, v13, v9
	v_dual_add_f32 v12, v36, v12 :: v_dual_mul_f32 v13, v31, v41
	v_dual_mul_f32 v36, v24, v46 :: v_dual_lshlrev_b32 v31, 16, v68
	s_delay_alu instid0(VALU_DEP_2) | instskip(NEXT) | instid1(VALU_DEP_2)
	v_dual_fmac_f32 v13, v14, v10 :: v_dual_lshlrev_b32 v14, 16, v69
	v_fmac_f32_e32 v38, v31, v30
	s_delay_alu instid0(VALU_DEP_2) | instskip(NEXT) | instid1(VALU_DEP_3)
	v_add_f32_e32 v12, v12, v13
	v_dual_fmac_f32 v40, v14, v17 :: v_dual_fmac_f32 v27, v15, v11
	s_delay_alu instid0(VALU_DEP_3) | instskip(SKIP_2) | instid1(VALU_DEP_4)
	v_add_f32_e32 v13, v37, v38
	v_dual_fmac_f32 v36, v14, v43 :: v_dual_and_b32 v37, 0xffff0000, v66
	v_lshlrev_b32_e32 v38, 16, v66
	v_add_f32_e32 v88, v12, v27
	v_mul_f32_e32 v12, v24, v42
	v_and_b32_e32 v24, 0xffff0000, v4
	v_dual_mul_f32 v39, v37, v50 :: v_dual_lshlrev_b32 v4, 16, v4
	s_delay_alu instid0(VALU_DEP_3) | instskip(NEXT) | instid1(VALU_DEP_3)
	v_dual_mul_f32 v49, v37, v23 :: v_dual_fmac_f32 v12, v14, v9
	v_dual_mul_f32 v14, v37, v41 :: v_dual_mul_f32 v27, v24, v48
	s_delay_alu instid0(VALU_DEP_3) | instskip(NEXT) | instid1(VALU_DEP_3)
	v_fmac_f32_e32 v39, v38, v45
	v_fmac_f32_e32 v49, v38, v18
	s_delay_alu instid0(VALU_DEP_3) | instskip(SKIP_2) | instid1(VALU_DEP_2)
	v_dual_fmac_f32 v14, v38, v10 :: v_dual_mul_f32 v15, v25, v52
	v_mul_f32_e32 v25, v25, v53
	v_fmac_f32_e32 v27, v4, v30
	v_fmac_f32_e32 v25, v31, v8
	s_delay_alu instid0(VALU_DEP_1) | instskip(NEXT) | instid1(VALU_DEP_1)
	v_add_f32_e32 v25, v32, v25
	v_add_f32_e32 v12, v25, v12
	s_delay_alu instid0(VALU_DEP_1) | instskip(SKIP_3) | instid1(VALU_DEP_3)
	v_add_f32_e32 v12, v12, v14
	v_and_b32_e32 v14, 0xffff0000, v6
	v_dual_add_f32 v13, v13, v36 :: v_dual_lshlrev_b32 v6, 16, v6
	v_and_b32_e32 v36, 0xffff0000, v67
	v_dual_mul_f32 v32, v14, v50 :: v_dual_fmac_f32 v15, v31, v16
	s_delay_alu instid0(VALU_DEP_3) | instskip(NEXT) | instid1(VALU_DEP_2)
	v_add_f32_e32 v13, v13, v39
	v_dual_mul_f32 v47, v36, v22 :: v_dual_fmac_f32 v32, v6, v45
	s_delay_alu instid0(VALU_DEP_3) | instskip(NEXT) | instid1(VALU_DEP_2)
	v_add_f32_e32 v15, v71, v15
	v_fmac_f32_e32 v47, v44, v21
	s_delay_alu instid0(VALU_DEP_1) | instskip(NEXT) | instid1(VALU_DEP_1)
	v_dual_add_f32 v15, v15, v40 :: v_dual_add_f32 v84, v13, v47
	v_add_f32_e32 v13, v15, v49
	v_mul_f32_e32 v15, v36, v55
	s_delay_alu instid0(VALU_DEP_1) | instskip(NEXT) | instid1(VALU_DEP_1)
	v_fmac_f32_e32 v15, v44, v19
	v_add_f32_e32 v85, v13, v15
	v_mul_f32_e32 v15, v36, v26
	v_add_f32_e32 v13, v33, v27
	v_mul_f32_e32 v27, v24, v52
	v_mul_f32_e32 v24, v24, v53
	s_delay_alu instid0(VALU_DEP_4) | instskip(NEXT) | instid1(VALU_DEP_3)
	v_fmac_f32_e32 v15, v44, v11
	v_fmac_f32_e32 v27, v4, v16
	s_delay_alu instid0(VALU_DEP_3) | instskip(NEXT) | instid1(VALU_DEP_3)
	v_fmac_f32_e32 v24, v4, v8
	v_dual_add_f32 v87, v12, v15 :: v_dual_and_b32 v12, 0xffff0000, v0
	s_delay_alu instid0(VALU_DEP_3) | instskip(SKIP_2) | instid1(VALU_DEP_4)
	v_dual_add_f32 v27, v34, v27 :: v_dual_lshlrev_b32 v0, 16, v0
	v_mul_f32_e32 v34, v14, v23
	v_mul_f32_e32 v14, v14, v41
	;; [unrolled: 1-line block ×3, first 2 shown]
	v_add_f32_e32 v24, v28, v24
	s_delay_alu instid0(VALU_DEP_4) | instskip(NEXT) | instid1(VALU_DEP_4)
	v_fmac_f32_e32 v34, v6, v18
	v_fmac_f32_e32 v14, v6, v10
	s_delay_alu instid0(VALU_DEP_4) | instskip(NEXT) | instid1(VALU_DEP_1)
	v_fmac_f32_e32 v4, v0, v30
	v_dual_add_f32 v4, v29, v4 :: v_dual_and_b32 v31, 0xffff0000, v5
	v_lshlrev_b32_e32 v5, 16, v5
	s_delay_alu instid0(VALU_DEP_2) | instskip(NEXT) | instid1(VALU_DEP_1)
	v_mul_f32_e32 v25, v31, v46
	v_fmac_f32_e32 v25, v5, v43
	s_delay_alu instid0(VALU_DEP_1) | instskip(SKIP_1) | instid1(VALU_DEP_1)
	v_add_f32_e32 v13, v13, v25
	v_and_b32_e32 v25, 0xffff0000, v7
	v_dual_mul_f32 v36, v25, v22 :: v_dual_lshlrev_b32 v7, 16, v7
	v_mul_f32_e32 v15, v25, v55
	v_mul_f32_e32 v6, v25, v26
	s_delay_alu instid0(VALU_DEP_3) | instskip(NEXT) | instid1(VALU_DEP_3)
	v_fmac_f32_e32 v36, v7, v21
	v_fmac_f32_e32 v15, v7, v19
	s_delay_alu instid0(VALU_DEP_3) | instskip(SKIP_1) | instid1(VALU_DEP_2)
	v_dual_fmac_f32 v6, v7, v11 :: v_dual_mul_f32 v7, v12, v52
	v_mul_f32_e32 v12, v12, v53
	v_fmac_f32_e32 v7, v0, v16
	s_delay_alu instid0(VALU_DEP_2) | instskip(NEXT) | instid1(VALU_DEP_1)
	v_fmac_f32_e32 v12, v0, v8
	v_dual_add_f32 v7, v20, v7 :: v_dual_add_f32 v12, v35, v12
	v_mul_f32_e32 v33, v31, v51
	v_add_f32_e32 v13, v13, v32
	s_delay_alu instid0(VALU_DEP_2) | instskip(NEXT) | instid1(VALU_DEP_1)
	v_fmac_f32_e32 v33, v5, v17
	v_dual_add_f32 v86, v13, v36 :: v_dual_add_f32 v27, v27, v33
	s_delay_alu instid0(VALU_DEP_1) | instskip(SKIP_2) | instid1(VALU_DEP_2)
	v_add_f32_e32 v13, v27, v34
	v_and_b32_e32 v27, 0xffff0000, v1
	v_lshlrev_b32_e32 v1, 16, v1
	v_dual_add_f32 v83, v13, v15 :: v_dual_mul_f32 v28, v27, v46
	v_mul_f32_e32 v16, v27, v51
	v_mul_f32_e32 v0, v27, v42
	s_delay_alu instid0(VALU_DEP_3) | instskip(NEXT) | instid1(VALU_DEP_3)
	v_fmac_f32_e32 v28, v1, v43
	v_fmac_f32_e32 v16, v1, v17
	s_delay_alu instid0(VALU_DEP_3) | instskip(NEXT) | instid1(VALU_DEP_3)
	v_fmac_f32_e32 v0, v1, v9
	v_dual_add_f32 v4, v4, v28 :: v_dual_mul_f32 v31, v31, v42
	s_delay_alu instid0(VALU_DEP_1) | instskip(SKIP_2) | instid1(VALU_DEP_2)
	v_dual_add_f32 v0, v12, v0 :: v_dual_fmac_f32 v31, v5, v9
	v_and_b32_e32 v5, 0xffff0000, v2
	v_lshlrev_b32_e32 v2, 16, v2
	v_dual_add_f32 v24, v24, v31 :: v_dual_mul_f32 v29, v5, v50
	v_mul_f32_e32 v8, v5, v23
	v_mul_f32_e32 v1, v5, v41
	s_delay_alu instid0(VALU_DEP_3) | instskip(NEXT) | instid1(VALU_DEP_4)
	v_dual_add_f32 v5, v7, v16 :: v_dual_add_f32 v14, v24, v14
	v_dual_fmac_f32 v29, v2, v45 :: v_dual_and_b32 v24, 0xffff0000, v3
	s_delay_alu instid0(VALU_DEP_4) | instskip(NEXT) | instid1(VALU_DEP_4)
	v_dual_fmac_f32 v8, v2, v18 :: v_dual_lshlrev_b32 v3, 16, v3
	v_fmac_f32_e32 v1, v2, v10
	s_delay_alu instid0(VALU_DEP_3) | instskip(SKIP_3) | instid1(VALU_DEP_4)
	v_mul_f32_e32 v22, v24, v22
	v_mul_f32_e32 v7, v24, v55
	;; [unrolled: 1-line block ×3, first 2 shown]
	v_dual_add_f32 v4, v4, v29 :: v_dual_add_f32 v5, v5, v8
	v_fmac_f32_e32 v22, v3, v21
	s_delay_alu instid0(VALU_DEP_4) | instskip(NEXT) | instid1(VALU_DEP_4)
	v_dual_fmac_f32 v7, v3, v19 :: v_dual_add_f32 v0, v0, v1
	v_fmac_f32_e32 v2, v3, v11
	v_add_f32_e32 v82, v14, v6
	s_delay_alu instid0(VALU_DEP_3) | instskip(NEXT) | instid1(VALU_DEP_3)
	v_dual_add_f32 v81, v4, v22 :: v_dual_add_f32 v80, v5, v7
	v_add_f32_e32 v79, v0, v2
	s_cbranch_scc1 .LBB299_15
.LBB299_12:                             ;   Parent Loop BB299_8 Depth=1
                                        ; =>  This Inner Loop Header: Depth=2
	v_add_nc_u32_e32 v12, s25, v74
	v_dual_mov_b32 v66, 0 :: v_dual_mov_b32 v15, 0
	v_dual_mov_b32 v68, 0 :: v_dual_mov_b32 v13, 0
	s_delay_alu instid0(VALU_DEP_3) | instskip(SKIP_3) | instid1(VALU_DEP_4)
	v_min_u32_e32 v57, s15, v12
	v_add_nc_u32_e32 v94, 0x200, v12
	v_dual_mov_b32 v14, 0 :: v_dual_mov_b32 v27, 0
	v_dual_mov_b32 v26, 0 :: v_dual_mov_b32 v31, 0
	v_lshlrev_b64 v[0:1], 1, v[57:58]
	s_delay_alu instid0(VALU_DEP_4) | instskip(SKIP_3) | instid1(VALU_DEP_4)
	v_min_u32_e32 v57, s15, v94
	v_dual_mov_b32 v24, 0 :: v_dual_mov_b32 v29, 0
	v_dual_mov_b32 v30, 0 :: v_dual_mov_b32 v35, 0
	s_waitcnt lgkmcnt(0)
	v_add_co_u32 v6, vcc_lo, s2, v0
	v_add_co_ci_u32_e32 v7, vcc_lo, s3, v1, vcc_lo
	v_lshlrev_b64 v[0:1], 1, v[57:58]
	s_delay_alu instid0(VALU_DEP_3) | instskip(NEXT) | instid1(VALU_DEP_3)
	v_add_co_u32 v2, vcc_lo, v6, v60
	v_add_co_ci_u32_e32 v3, vcc_lo, v7, v61, vcc_lo
	v_add_co_u32 v4, vcc_lo, v6, v64
	v_add_co_ci_u32_e32 v5, vcc_lo, v7, v65, vcc_lo
	;; [unrolled: 2-line block ×4, first 2 shown]
	s_delay_alu instid0(VALU_DEP_4) | instskip(NEXT) | instid1(VALU_DEP_4)
	v_add_co_u32 v6, vcc_lo, v10, v60
	v_add_co_ci_u32_e32 v7, vcc_lo, v11, v61, vcc_lo
	v_add_co_u32 v8, vcc_lo, v10, v64
	v_add_co_ci_u32_e32 v9, vcc_lo, v11, v65, vcc_lo
	;; [unrolled: 2-line block ×3, first 2 shown]
	s_clause 0x5
	global_load_b128 v[48:51], v[2:3], off slc dlc
	global_load_b128 v[44:47], v[4:5], off slc dlc
	;; [unrolled: 1-line block ×6, first 2 shown]
	v_mov_b32_e32 v3, 0
	v_cmp_gt_u32_e32 vcc_lo, s4, v12
	v_dual_mov_b32 v2, 0 :: v_dual_mov_b32 v7, 0
	v_dual_mov_b32 v1, 0 :: v_dual_mov_b32 v0, 0
	;; [unrolled: 1-line block ×13, first 2 shown]
	v_mov_b32_e32 v52, 0
	s_and_saveexec_b32 s26, vcc_lo
	s_cbranch_execz .LBB299_11
; %bb.13:                               ;   in Loop: Header=BB299_12 Depth=2
	v_dual_mov_b32 v24, 0 :: v_dual_add_nc_u32 v95, s6, v78
	v_dual_mov_b32 v26, 0 :: v_dual_add_nc_u32 v97, s23, v78
	;; [unrolled: 1-line block ×4, first 2 shown]
	ds_load_b128 v[40:43], v95
	ds_load_2addr_b32 v[72:73], v97 offset1:1
	ds_load_2addr_b32 v[70:71], v97 offset0:2 offset1:3
	ds_load_b128 v[32:35], v96
	ds_load_b128 v[52:55], v78
	ds_load_2addr_b64 v[28:31], v57 offset1:1
	v_cmp_gt_u32_e32 vcc_lo, s4, v94
	v_dual_mov_b32 v27, 0 :: v_dual_mov_b32 v14, 0
	v_dual_mov_b32 v13, 0 :: v_dual_mov_b32 v68, 0
	;; [unrolled: 1-line block ×7, first 2 shown]
	v_mov_b32_e32 v1, 0
	v_mov_b32_e32 v3, 0
	s_and_saveexec_b32 s27, vcc_lo
	s_cbranch_execz .LBB299_10
; %bb.14:                               ;   in Loop: Header=BB299_12 Depth=2
	v_add_nc_u32_e32 v0, 0x408, v97
	v_add_nc_u32_e32 v1, 0x400, v97
	ds_load_b128 v[12:15], v95 offset:1024
	ds_load_b128 v[4:7], v96 offset:1024
	;; [unrolled: 1-line block ×3, first 2 shown]
	ds_load_2addr_b32 v[66:67], v0 offset1:1
	ds_load_2addr_b32 v[68:69], v1 offset1:1
	ds_load_2addr_b64 v[0:3], v57 offset0:128 offset1:129
	s_branch .LBB299_10
.LBB299_15:                             ;   in Loop: Header=BB299_8 Depth=1
	; sched_barrier mask(0x00000000)
	s_delay_alu instid0(VALU_DEP_1)
	v_cvt_i32_f32_e32 v0, v89
	s_waitcnt lgkmcnt(0)
	v_cvt_i32_f32_e32 v3, v92
	v_cvt_i32_f32_e32 v1, v93
	;; [unrolled: 1-line block ×4, first 2 shown]
	v_cvt_f32_i32_dpp v0, v0 row_shr:8 row_mask:0xf bank_mask:0xf bound_ctrl:1
	v_cvt_f32_i32_dpp v3, v3 row_shr:8 row_mask:0xf bank_mask:0xf bound_ctrl:1
	;; [unrolled: 1-line block ×5, first 2 shown]
	s_delay_alu instid0(VALU_DEP_4) | instskip(NEXT) | instid1(VALU_DEP_3)
	v_dual_add_f32 v0, v89, v0 :: v_dual_add_f32 v3, v92, v3
	v_dual_add_f32 v1, v93, v1 :: v_dual_add_f32 v2, v91, v2
	s_delay_alu instid0(VALU_DEP_2) | instskip(NEXT) | instid1(VALU_DEP_3)
	v_cvt_i32_f32_e32 v5, v0
	v_cvt_i32_f32_e32 v8, v3
	s_delay_alu instid0(VALU_DEP_3) | instskip(NEXT) | instid1(VALU_DEP_4)
	v_cvt_i32_f32_e32 v6, v1
	v_cvt_i32_f32_e32 v7, v2
	s_delay_alu instid0(VALU_DEP_4) | instskip(NEXT) | instid1(VALU_DEP_4)
	v_cvt_f32_i32_dpp v5, v5 row_shr:4 row_mask:0xf bank_mask:0xf bound_ctrl:1
	v_cvt_f32_i32_dpp v8, v8 row_shr:4 row_mask:0xf bank_mask:0xf bound_ctrl:1
	s_delay_alu instid0(VALU_DEP_4) | instskip(SKIP_2) | instid1(VALU_DEP_4)
	v_cvt_f32_i32_dpp v6, v6 row_shr:4 row_mask:0xf bank_mask:0xf bound_ctrl:1
	v_add_f32_e32 v4, v90, v4
	v_cvt_f32_i32_dpp v7, v7 row_shr:4 row_mask:0xf bank_mask:0xf bound_ctrl:1
	v_dual_add_f32 v0, v0, v5 :: v_dual_add_f32 v3, v3, v8
	s_delay_alu instid0(VALU_DEP_4) | instskip(NEXT) | instid1(VALU_DEP_4)
	v_add_f32_e32 v1, v1, v6
	v_cvt_i32_f32_e32 v9, v4
	s_delay_alu instid0(VALU_DEP_3) | instskip(NEXT) | instid1(VALU_DEP_4)
	v_cvt_i32_f32_e32 v5, v0
	v_cvt_i32_f32_e32 v8, v3
	s_delay_alu instid0(VALU_DEP_4) | instskip(NEXT) | instid1(VALU_DEP_4)
	v_cvt_i32_f32_e32 v6, v1
	v_cvt_f32_i32_dpp v9, v9 row_shr:4 row_mask:0xf bank_mask:0xf bound_ctrl:1
	s_delay_alu instid0(VALU_DEP_4) | instskip(NEXT) | instid1(VALU_DEP_4)
	v_cvt_f32_i32_dpp v5, v5 row_shr:2 row_mask:0xf bank_mask:0xf bound_ctrl:1
	v_cvt_f32_i32_dpp v8, v8 row_shr:2 row_mask:0xf bank_mask:0xf bound_ctrl:1
	s_delay_alu instid0(VALU_DEP_4) | instskip(NEXT) | instid1(VALU_DEP_4)
	v_cvt_f32_i32_dpp v6, v6 row_shr:2 row_mask:0xf bank_mask:0xf bound_ctrl:1
	v_add_f32_e32 v4, v4, v9
	s_delay_alu instid0(VALU_DEP_3) | instskip(NEXT) | instid1(VALU_DEP_3)
	v_dual_add_f32 v2, v2, v7 :: v_dual_add_f32 v3, v3, v8
	v_add_f32_e32 v1, v1, v6
	s_delay_alu instid0(VALU_DEP_3) | instskip(NEXT) | instid1(VALU_DEP_3)
	v_cvt_i32_f32_e32 v9, v4
	v_cvt_i32_f32_e32 v7, v2
	s_delay_alu instid0(VALU_DEP_4) | instskip(NEXT) | instid1(VALU_DEP_4)
	v_cvt_i32_f32_e32 v8, v3
	v_cvt_i32_f32_e32 v6, v1
	s_delay_alu instid0(VALU_DEP_4) | instskip(NEXT) | instid1(VALU_DEP_4)
	v_cvt_f32_i32_dpp v9, v9 row_shr:2 row_mask:0xf bank_mask:0xf bound_ctrl:1
	v_cvt_f32_i32_dpp v7, v7 row_shr:2 row_mask:0xf bank_mask:0xf bound_ctrl:1
	s_delay_alu instid0(VALU_DEP_4) | instskip(NEXT) | instid1(VALU_DEP_4)
	v_cvt_f32_i32_dpp v8, v8 row_shr:1 row_mask:0xf bank_mask:0xf bound_ctrl:1
	v_cvt_f32_i32_dpp v6, v6 row_shr:1 row_mask:0xf bank_mask:0xf bound_ctrl:1
	s_delay_alu instid0(VALU_DEP_3) | instskip(NEXT) | instid1(VALU_DEP_3)
	v_add_f32_e32 v2, v2, v7
	v_add_f32_e32 v24, v3, v8
	v_cvt_i32_f32_e32 v3, v84
	s_delay_alu instid0(VALU_DEP_3) | instskip(NEXT) | instid1(VALU_DEP_2)
	v_cvt_i32_f32_e32 v7, v2
	v_cvt_f32_i32_dpp v3, v3 row_shr:8 row_mask:0xf bank_mask:0xf bound_ctrl:1
	s_delay_alu instid0(VALU_DEP_2) | instskip(SKIP_1) | instid1(VALU_DEP_3)
	v_cvt_f32_i32_dpp v7, v7 row_shr:1 row_mask:0xf bank_mask:0xf bound_ctrl:1
	v_add_f32_e32 v0, v0, v5
	v_add_f32_e32 v3, v84, v3
	ds_bpermute_b32 v25, v76, v24
	v_add_f32_e32 v29, v2, v7
	v_cvt_i32_f32_e32 v5, v0
	v_cvt_i32_f32_e32 v2, v88
	;; [unrolled: 1-line block ×3, first 2 shown]
	ds_bpermute_b32 v30, v76, v29
	v_cvt_f32_i32_dpp v5, v5 row_shr:1 row_mask:0xf bank_mask:0xf bound_ctrl:1
	v_cvt_f32_i32_dpp v2, v2 row_shr:8 row_mask:0xf bank_mask:0xf bound_ctrl:1
	;; [unrolled: 1-line block ×3, first 2 shown]
	v_add_f32_e32 v4, v4, v9
	s_delay_alu instid0(VALU_DEP_4) | instskip(SKIP_1) | instid1(VALU_DEP_4)
	v_add_f32_e32 v33, v0, v5
	v_cvt_i32_f32_e32 v5, v87
	v_add_f32_e32 v3, v3, v8
	s_delay_alu instid0(VALU_DEP_4)
	v_cvt_i32_f32_e32 v9, v4
	ds_bpermute_b32 v34, v76, v33
	v_cvt_f32_i32_dpp v5, v5 row_shr:8 row_mask:0xf bank_mask:0xf bound_ctrl:1
	v_cvt_i32_f32_e32 v8, v3
	v_cvt_f32_i32_dpp v9, v9 row_shr:1 row_mask:0xf bank_mask:0xf bound_ctrl:1
	v_add_f32_e32 v0, v1, v6
	v_cvt_i32_f32_e32 v6, v86
	v_dual_add_f32 v2, v88, v2 :: v_dual_add_f32 v5, v87, v5
	v_cvt_f32_i32_dpp v8, v8 row_shr:2 row_mask:0xf bank_mask:0xf bound_ctrl:1
	v_add_f32_e32 v19, v4, v9
	s_delay_alu instid0(VALU_DEP_4)
	v_cvt_f32_i32_dpp v6, v6 row_shr:8 row_mask:0xf bank_mask:0xf bound_ctrl:1
	v_cvt_i32_f32_e32 v4, v85
	v_cvt_i32_f32_e32 v7, v2
	v_add_f32_e32 v3, v3, v8
	v_cvt_i32_f32_e32 v10, v5
	v_add_f32_e32 v6, v86, v6
	v_cvt_f32_i32_dpp v4, v4 row_shr:8 row_mask:0xf bank_mask:0xf bound_ctrl:1
	v_cvt_f32_i32_dpp v7, v7 row_shr:4 row_mask:0xf bank_mask:0xf bound_ctrl:1
	v_cvt_i32_f32_e32 v8, v3
	v_cvt_f32_i32_dpp v10, v10 row_shr:4 row_mask:0xf bank_mask:0xf bound_ctrl:1
	v_cvt_i32_f32_e32 v11, v6
	ds_bpermute_b32 v1, v76, v0
	v_add_f32_e32 v2, v2, v7
	v_cvt_f32_i32_dpp v8, v8 row_shr:1 row_mask:0xf bank_mask:0xf bound_ctrl:1
	v_add_f32_e32 v5, v5, v10
	v_cvt_f32_i32_dpp v11, v11 row_shr:4 row_mask:0xf bank_mask:0xf bound_ctrl:1
	ds_bpermute_b32 v20, v76, v19
	v_cvt_i32_f32_e32 v7, v2
	v_add_f32_e32 v21, v3, v8
	v_cvt_i32_f32_e32 v3, v82
	v_add_f32_e32 v6, v6, v11
	v_cvt_i32_f32_e32 v10, v5
	v_cvt_f32_i32_dpp v7, v7 row_shr:2 row_mask:0xf bank_mask:0xf bound_ctrl:1
	ds_bpermute_b32 v22, v76, v21
	v_cvt_f32_i32_dpp v3, v3 row_shr:8 row_mask:0xf bank_mask:0xf bound_ctrl:1
	v_add_f32_e32 v4, v85, v4
	v_cvt_f32_i32_dpp v10, v10 row_shr:2 row_mask:0xf bank_mask:0xf bound_ctrl:1
	v_cvt_i32_f32_e32 v11, v6
	s_delay_alu instid0(VALU_DEP_4) | instskip(NEXT) | instid1(VALU_DEP_4)
	v_add_f32_e32 v3, v82, v3
	v_cvt_i32_f32_e32 v9, v4
	s_delay_alu instid0(VALU_DEP_4) | instskip(NEXT) | instid1(VALU_DEP_4)
	v_add_f32_e32 v5, v5, v10
	v_cvt_f32_i32_dpp v11, v11 row_shr:2 row_mask:0xf bank_mask:0xf bound_ctrl:1
	s_delay_alu instid0(VALU_DEP_3) | instskip(NEXT) | instid1(VALU_DEP_3)
	v_cvt_f32_i32_dpp v9, v9 row_shr:4 row_mask:0xf bank_mask:0xf bound_ctrl:1
	v_cvt_i32_f32_e32 v10, v5
	s_delay_alu instid0(VALU_DEP_2) | instskip(NEXT) | instid1(VALU_DEP_2)
	v_add_f32_e32 v4, v4, v9
	v_cvt_f32_i32_dpp v10, v10 row_shr:1 row_mask:0xf bank_mask:0xf bound_ctrl:1
	s_delay_alu instid0(VALU_DEP_2) | instskip(NEXT) | instid1(VALU_DEP_2)
	v_cvt_i32_f32_e32 v9, v4
	v_add_f32_e32 v12, v5, v10
	v_cvt_i32_f32_e32 v5, v80
	v_cvt_i32_f32_e32 v10, v3
	s_delay_alu instid0(VALU_DEP_4) | instskip(NEXT) | instid1(VALU_DEP_3)
	v_cvt_f32_i32_dpp v9, v9 row_shr:2 row_mask:0xf bank_mask:0xf bound_ctrl:1
	v_cvt_f32_i32_dpp v5, v5 row_shr:8 row_mask:0xf bank_mask:0xf bound_ctrl:1
	v_add_f32_e32 v2, v2, v7
	s_delay_alu instid0(VALU_DEP_4) | instskip(NEXT) | instid1(VALU_DEP_4)
	v_cvt_f32_i32_dpp v10, v10 row_shr:4 row_mask:0xf bank_mask:0xf bound_ctrl:1
	v_add_f32_e32 v4, v4, v9
	s_delay_alu instid0(VALU_DEP_4) | instskip(NEXT) | instid1(VALU_DEP_4)
	v_add_f32_e32 v5, v80, v5
	v_cvt_i32_f32_e32 v7, v2
	s_delay_alu instid0(VALU_DEP_4) | instskip(NEXT) | instid1(VALU_DEP_4)
	v_add_f32_e32 v3, v3, v10
	v_cvt_i32_f32_e32 v9, v4
	s_delay_alu instid0(VALU_DEP_4) | instskip(NEXT) | instid1(VALU_DEP_4)
	v_cvt_i32_f32_e32 v14, v5
	v_cvt_f32_i32_dpp v7, v7 row_shr:1 row_mask:0xf bank_mask:0xf bound_ctrl:1
	s_delay_alu instid0(VALU_DEP_4) | instskip(NEXT) | instid1(VALU_DEP_4)
	v_cvt_i32_f32_e32 v10, v3
	v_cvt_f32_i32_dpp v9, v9 row_shr:1 row_mask:0xf bank_mask:0xf bound_ctrl:1
	s_delay_alu instid0(VALU_DEP_4) | instskip(SKIP_1) | instid1(VALU_DEP_4)
	v_cvt_f32_i32_dpp v14, v14 row_shr:4 row_mask:0xf bank_mask:0xf bound_ctrl:1
	v_add_f32_e32 v6, v6, v11
	v_cvt_f32_i32_dpp v10, v10 row_shr:2 row_mask:0xf bank_mask:0xf bound_ctrl:1
	v_add_f32_e32 v26, v2, v7
	v_cvt_i32_f32_e32 v2, v83
	v_add_f32_e32 v5, v5, v14
	v_cvt_i32_f32_e32 v11, v6
	v_add_f32_e32 v3, v3, v10
	ds_bpermute_b32 v27, v76, v26
	v_cvt_f32_i32_dpp v2, v2 row_shr:8 row_mask:0xf bank_mask:0xf bound_ctrl:1
	v_cvt_i32_f32_e32 v14, v5
	v_cvt_f32_i32_dpp v11, v11 row_shr:1 row_mask:0xf bank_mask:0xf bound_ctrl:1
	v_cvt_i32_f32_e32 v10, v3
	s_delay_alu instid0(VALU_DEP_4) | instskip(NEXT) | instid1(VALU_DEP_4)
	v_add_f32_e32 v2, v83, v2
	v_cvt_f32_i32_dpp v14, v14 row_shr:2 row_mask:0xf bank_mask:0xf bound_ctrl:1
	v_add_f32_e32 v16, v4, v9
	v_add_f32_e32 v8, v6, v11
	v_cvt_i32_f32_e32 v4, v81
	v_cvt_i32_f32_e32 v6, v79
	v_add_f32_e32 v5, v5, v14
	v_cvt_i32_f32_e32 v7, v2
	v_cvt_f32_i32_dpp v10, v10 row_shr:1 row_mask:0xf bank_mask:0xf bound_ctrl:1
	v_cvt_f32_i32_dpp v4, v4 row_shr:8 row_mask:0xf bank_mask:0xf bound_ctrl:1
	;; [unrolled: 1-line block ×3, first 2 shown]
	ds_bpermute_b32 v17, v76, v16
	v_cvt_f32_i32_dpp v7, v7 row_shr:4 row_mask:0xf bank_mask:0xf bound_ctrl:1
	v_add_f32_e32 v10, v3, v10
	v_add_f32_e32 v4, v81, v4
	;; [unrolled: 1-line block ×3, first 2 shown]
	v_cvt_i32_f32_e32 v14, v5
	v_add_f32_e32 v2, v2, v7
	ds_bpermute_b32 v9, v76, v8
	v_cvt_i32_f32_e32 v11, v4
	v_cvt_i32_f32_e32 v15, v6
	v_cvt_f32_i32_dpp v18, v14 row_shr:1 row_mask:0xf bank_mask:0xf bound_ctrl:1
	v_cvt_i32_f32_e32 v7, v2
	s_delay_alu instid0(VALU_DEP_4) | instskip(NEXT) | instid1(VALU_DEP_4)
	v_cvt_f32_i32_dpp v11, v11 row_shr:4 row_mask:0xf bank_mask:0xf bound_ctrl:1
	v_cvt_f32_i32_dpp v15, v15 row_shr:4 row_mask:0xf bank_mask:0xf bound_ctrl:1
	s_delay_alu instid0(VALU_DEP_3) | instskip(NEXT) | instid1(VALU_DEP_3)
	v_cvt_f32_i32_dpp v7, v7 row_shr:2 row_mask:0xf bank_mask:0xf bound_ctrl:1
	v_add_f32_e32 v4, v4, v11
	s_delay_alu instid0(VALU_DEP_3) | instskip(NEXT) | instid1(VALU_DEP_3)
	v_add_f32_e32 v6, v6, v15
	v_add_f32_e32 v2, v2, v7
	s_delay_alu instid0(VALU_DEP_3) | instskip(NEXT) | instid1(VALU_DEP_3)
	v_cvt_i32_f32_e32 v11, v4
	v_cvt_i32_f32_e32 v15, v6
	s_delay_alu instid0(VALU_DEP_2) | instskip(NEXT) | instid1(VALU_DEP_2)
	v_cvt_f32_i32_dpp v11, v11 row_shr:2 row_mask:0xf bank_mask:0xf bound_ctrl:1
	v_cvt_f32_i32_dpp v15, v15 row_shr:2 row_mask:0xf bank_mask:0xf bound_ctrl:1
	s_delay_alu instid0(VALU_DEP_2) | instskip(NEXT) | instid1(VALU_DEP_2)
	v_add_f32_e32 v4, v4, v11
	v_add_f32_e32 v7, v6, v15
	v_cvt_i32_f32_e32 v6, v2
	ds_bpermute_b32 v13, v76, v12
	v_cvt_i32_f32_e32 v11, v4
	v_cvt_i32_f32_e32 v15, v7
	v_cvt_f32_i32_dpp v6, v6 row_shr:1 row_mask:0xf bank_mask:0xf bound_ctrl:1
	s_delay_alu instid0(VALU_DEP_3) | instskip(NEXT) | instid1(VALU_DEP_3)
	v_cvt_f32_i32_dpp v11, v11 row_shr:1 row_mask:0xf bank_mask:0xf bound_ctrl:1
	v_cvt_f32_i32_dpp v15, v15 row_shr:1 row_mask:0xf bank_mask:0xf bound_ctrl:1
	s_delay_alu instid0(VALU_DEP_3) | instskip(NEXT) | instid1(VALU_DEP_3)
	v_add_f32_e32 v14, v2, v6
	v_add_f32_e32 v6, v4, v11
	;; [unrolled: 1-line block ×3, first 2 shown]
	s_delay_alu instid0(VALU_DEP_4)
	v_add_f32_e32 v2, v7, v15
	ds_bpermute_b32 v15, v76, v14
	ds_bpermute_b32 v11, v76, v10
	ds_bpermute_b32 v7, v76, v6
	ds_bpermute_b32 v5, v76, v4
	ds_bpermute_b32 v3, v76, v2
	s_and_saveexec_b32 s25, s0
	s_cbranch_execz .LBB299_7
; %bb.16:                               ;   in Loop: Header=BB299_8 Depth=1
	v_dual_mov_b32 v44, 0 :: v_dual_mov_b32 v43, 0
	v_dual_mov_b32 v42, 0 :: v_dual_mov_b32 v41, 0
	;; [unrolled: 1-line block ×7, first 2 shown]
	v_mov_b32_e32 v18, 0
	s_and_not1_b32 vcc_lo, exec_lo, s19
	s_cbranch_vccnz .LBB299_18
; %bb.17:                               ;   in Loop: Header=BB299_8 Depth=1
	v_mul_hi_u32 v23, v56, v77
	v_mul_hi_u32 v28, v59, v77
	v_mov_b32_e32 v39, v58
	v_mov_b32_e32 v53, v58
	;; [unrolled: 1-line block ×4, first 2 shown]
	v_mul_lo_u32 v23, v23, s8
	v_mul_lo_u32 v28, v28, s8
	s_delay_alu instid0(VALU_DEP_2) | instskip(NEXT) | instid1(VALU_DEP_2)
	v_sub_nc_u32_e32 v23, v56, v23
	v_sub_nc_u32_e32 v28, v59, v28
	s_delay_alu instid0(VALU_DEP_2) | instskip(SKIP_1) | instid1(VALU_DEP_3)
	v_cmp_le_u32_e32 vcc_lo, s8, v23
	v_add_nc_u32_e32 v18, 1, v56
	v_subrev_nc_u32_e32 v35, s8, v28
	s_delay_alu instid0(VALU_DEP_2) | instskip(NEXT) | instid1(VALU_DEP_1)
	v_mul_hi_u32 v31, v18, v77
	v_mul_lo_u32 v31, v31, s8
	s_delay_alu instid0(VALU_DEP_1) | instskip(SKIP_1) | instid1(VALU_DEP_2)
	v_sub_nc_u32_e32 v18, v18, v31
	v_subrev_nc_u32_e32 v31, s8, v23
	v_subrev_nc_u32_e32 v37, s8, v18
	s_delay_alu instid0(VALU_DEP_2) | instskip(SKIP_1) | instid1(VALU_DEP_2)
	v_cndmask_b32_e32 v23, v23, v31, vcc_lo
	v_cmp_le_u32_e32 vcc_lo, s8, v28
	v_subrev_nc_u32_e32 v31, s8, v23
	v_cndmask_b32_e32 v28, v28, v35, vcc_lo
	v_cmp_le_u32_e32 vcc_lo, s8, v18
	s_delay_alu instid0(VALU_DEP_2) | instskip(SKIP_3) | instid1(VALU_DEP_3)
	v_subrev_nc_u32_e32 v35, s8, v28
	v_cndmask_b32_e32 v18, v18, v37, vcc_lo
	v_cmp_le_u32_e32 vcc_lo, s8, v23
	v_mov_b32_e32 v32, v58
	v_subrev_nc_u32_e32 v37, s8, v18
	v_cndmask_b32_e32 v57, v23, v31, vcc_lo
	v_cmp_le_u32_e32 vcc_lo, s8, v28
	v_mov_b32_e32 v36, v58
	v_mov_b32_e32 v38, v58
	s_delay_alu instid0(VALU_DEP_4) | instskip(SKIP_4) | instid1(VALU_DEP_4)
	v_lshlrev_b64 v[42:43], 1, v[57:58]
	v_cndmask_b32_e32 v35, v28, v35, vcc_lo
	v_cmp_le_u32_e32 vcc_lo, s8, v18
	v_dual_mov_b32 v41, v58 :: v_dual_add_nc_u32 v50, s20, v57
	v_add_nc_u32_e32 v62, s21, v57
	v_lshlrev_b64 v[44:45], 1, v[35:36]
	v_cndmask_b32_e32 v31, v18, v37, vcc_lo
	v_add_nc_u32_e32 v37, s17, v57
	v_add_co_u32 v42, vcc_lo, s10, v42
	v_add_co_ci_u32_e32 v43, vcc_lo, s11, v43, vcc_lo
	s_delay_alu instid0(VALU_DEP_4) | instskip(NEXT) | instid1(VALU_DEP_4)
	v_lshlrev_b64 v[46:47], 1, v[31:32]
	v_lshlrev_b64 v[36:37], 1, v[37:38]
	v_add_nc_u32_e32 v38, s17, v31
	v_add_co_u32 v48, vcc_lo, s10, v44
	v_add_nc_u32_e32 v40, s17, v35
	v_add_co_ci_u32_e32 v49, vcc_lo, s11, v45, vcc_lo
	s_delay_alu instid0(VALU_DEP_4)
	v_lshlrev_b64 v[38:39], 1, v[38:39]
	v_add_co_u32 v45, vcc_lo, s10, v46
	v_add_co_ci_u32_e32 v46, vcc_lo, s11, v47, vcc_lo
	v_add_co_u32 v36, vcc_lo, s10, v36
	v_lshlrev_b64 v[40:41], 1, v[40:41]
	v_add_co_ci_u32_e32 v37, vcc_lo, s11, v37, vcc_lo
	v_add_co_u32 v38, vcc_lo, s10, v38
	v_add_nc_u32_e32 v52, s20, v31
	v_add_co_ci_u32_e32 v39, vcc_lo, s11, v39, vcc_lo
	v_lshlrev_b64 v[50:51], 1, v[50:51]
	v_add_co_u32 v54, vcc_lo, s10, v40
	v_add_co_ci_u32_e32 v55, vcc_lo, s11, v41, vcc_lo
	v_lshlrev_b64 v[40:41], 1, v[52:53]
	v_add_nc_u32_e32 v52, s20, v35
	v_add_co_u32 v50, vcc_lo, s10, v50
	v_add_co_ci_u32_e32 v51, vcc_lo, s11, v51, vcc_lo
	s_delay_alu instid0(VALU_DEP_3)
	v_lshlrev_b64 v[52:53], 1, v[52:53]
	v_add_co_u32 v60, vcc_lo, s10, v40
	v_add_co_ci_u32_e32 v61, vcc_lo, s11, v41, vcc_lo
	s_clause 0x7
	global_load_u16 v44, v[42:43], off
	global_load_u16 v43, v[45:46], off
	;; [unrolled: 1-line block ×8, first 2 shown]
	v_dual_mov_b32 v48, v58 :: v_dual_add_nc_u32 v47, s21, v31
	v_add_nc_u32_e32 v51, s21, v35
	v_lshlrev_b64 v[45:46], 1, v[62:63]
	v_add_co_u32 v49, vcc_lo, s10, v52
	v_dual_mov_b32 v52, v58 :: v_dual_add_nc_u32 v57, s24, v57
	v_lshlrev_b64 v[47:48], 1, v[47:48]
	v_add_co_ci_u32_e32 v50, vcc_lo, s11, v53, vcc_lo
	v_add_co_u32 v45, vcc_lo, s10, v45
	s_delay_alu instid0(VALU_DEP_4) | instskip(SKIP_4) | instid1(VALU_DEP_4)
	v_lshlrev_b64 v[53:54], 1, v[57:58]
	v_add_nc_u32_e32 v57, s24, v31
	v_lshlrev_b64 v[51:52], 1, v[51:52]
	v_add_co_ci_u32_e32 v46, vcc_lo, s11, v46, vcc_lo
	v_add_co_u32 v47, vcc_lo, s10, v47
	v_lshlrev_b64 v[31:32], 1, v[57:58]
	v_add_nc_u32_e32 v57, s24, v35
	v_add_co_ci_u32_e32 v48, vcc_lo, s11, v48, vcc_lo
	v_add_co_u32 v51, vcc_lo, s10, v51
	v_add_co_ci_u32_e32 v52, vcc_lo, s11, v52, vcc_lo
	v_add_co_u32 v53, vcc_lo, s10, v53
	v_lshlrev_b64 v[60:61], 1, v[57:58]
	v_add_co_ci_u32_e32 v54, vcc_lo, s11, v54, vcc_lo
	v_add_co_u32 v62, vcc_lo, s10, v31
	v_add_co_ci_u32_e32 v63, vcc_lo, s11, v32, vcc_lo
	s_delay_alu instid0(VALU_DEP_4)
	v_add_co_u32 v60, vcc_lo, s10, v60
	v_add_co_ci_u32_e32 v61, vcc_lo, s11, v61, vcc_lo
	s_clause 0x6
	global_load_u16 v37, v[49:50], off
	global_load_u16 v35, v[45:46], off
	global_load_u16 v32, v[47:48], off
	global_load_u16 v31, v[51:52], off
	global_load_u16 v28, v[53:54], off
	global_load_u16 v23, v[62:63], off
	global_load_u16 v18, v[60:61], off
.LBB299_18:                             ;   in Loop: Header=BB299_8 Depth=1
	s_waitcnt vmcnt(14) lgkmcnt(0)
	v_dual_add_f32 v33, v33, v34 :: v_dual_lshlrev_b32 v34, 16, v44
	s_delay_alu instid0(VALU_DEP_1) | instskip(NEXT) | instid1(VALU_DEP_1)
	v_add_f32_e32 v34, v33, v34
	v_and_b32_e32 v33, 0x7f800000, v34
	s_delay_alu instid0(VALU_DEP_1) | instskip(SKIP_1) | instid1(SALU_CYCLE_1)
	v_cmp_ne_u32_e32 vcc_lo, 0x7f800000, v33
                                        ; implicit-def: $vgpr33
	s_and_saveexec_b32 s26, vcc_lo
	s_xor_b32 s26, exec_lo, s26
; %bb.19:                               ;   in Loop: Header=BB299_8 Depth=1
	v_bfe_u32 v33, v34, 16, 1
	s_delay_alu instid0(VALU_DEP_1)
	v_add3_u32 v33, v34, v33, 0x7fff
                                        ; implicit-def: $vgpr34
; %bb.20:                               ;   in Loop: Header=BB299_8 Depth=1
	s_and_not1_saveexec_b32 s26, s26
; %bb.21:                               ;   in Loop: Header=BB299_8 Depth=1
	v_and_b32_e32 v33, 0xffff, v34
	v_or_b32_e32 v44, 0x10000, v34
	s_delay_alu instid0(VALU_DEP_2) | instskip(NEXT) | instid1(VALU_DEP_2)
	v_cmp_eq_u32_e32 vcc_lo, 0, v33
	v_cndmask_b32_e32 v33, v44, v34, vcc_lo
; %bb.22:                               ;   in Loop: Header=BB299_8 Depth=1
	s_or_b32 exec_lo, exec_lo, s26
	s_waitcnt vmcnt(13)
	v_dual_add_f32 v0, v0, v1 :: v_dual_lshlrev_b32 v1, 16, v43
	v_mov_b32_e32 v57, v58
	s_mov_b32 s26, exec_lo
	s_delay_alu instid0(VALU_DEP_2) | instskip(NEXT) | instid1(VALU_DEP_2)
	v_add_f32_e32 v34, v0, v1
	v_lshlrev_b64 v[0:1], 1, v[56:57]
	s_delay_alu instid0(VALU_DEP_2) | instskip(NEXT) | instid1(VALU_DEP_2)
	v_and_b32_e32 v43, 0x7f800000, v34
	v_add_co_u32 v0, vcc_lo, s12, v0
	s_delay_alu instid0(VALU_DEP_3)
	v_add_co_ci_u32_e32 v1, vcc_lo, s13, v1, vcc_lo
	global_store_d16_hi_b16 v[0:1], v33, off
                                        ; implicit-def: $vgpr33
	v_cmpx_ne_u32_e32 0x7f800000, v43
	s_xor_b32 s26, exec_lo, s26
; %bb.23:                               ;   in Loop: Header=BB299_8 Depth=1
	v_bfe_u32 v33, v34, 16, 1
	s_delay_alu instid0(VALU_DEP_1)
	v_add3_u32 v33, v34, v33, 0x7fff
                                        ; implicit-def: $vgpr34
; %bb.24:                               ;   in Loop: Header=BB299_8 Depth=1
	s_and_not1_saveexec_b32 s26, s26
; %bb.25:                               ;   in Loop: Header=BB299_8 Depth=1
	v_and_b32_e32 v33, 0xffff, v34
	v_or_b32_e32 v43, 0x10000, v34
	s_delay_alu instid0(VALU_DEP_2) | instskip(NEXT) | instid1(VALU_DEP_2)
	v_cmp_eq_u32_e32 vcc_lo, 0, v33
	v_cndmask_b32_e32 v33, v43, v34, vcc_lo
; %bb.26:                               ;   in Loop: Header=BB299_8 Depth=1
	s_or_b32 exec_lo, exec_lo, s26
	v_add_f32_e32 v29, v29, v30
	s_waitcnt vmcnt(12)
	v_lshlrev_b32_e32 v30, 16, v42
	s_mov_b32 s26, exec_lo
	global_store_d16_hi_b16 v[0:1], v33, off offset:2
                                        ; implicit-def: $vgpr0
	v_add_f32_e32 v29, v29, v30
	s_delay_alu instid0(VALU_DEP_1) | instskip(NEXT) | instid1(VALU_DEP_1)
	v_and_b32_e32 v30, 0x7f800000, v29
	v_cmpx_ne_u32_e32 0x7f800000, v30
	s_xor_b32 s26, exec_lo, s26
; %bb.27:                               ;   in Loop: Header=BB299_8 Depth=1
	v_bfe_u32 v0, v29, 16, 1
	s_delay_alu instid0(VALU_DEP_1)
	v_add3_u32 v0, v29, v0, 0x7fff
                                        ; implicit-def: $vgpr29
; %bb.28:                               ;   in Loop: Header=BB299_8 Depth=1
	s_and_not1_saveexec_b32 s26, s26
; %bb.29:                               ;   in Loop: Header=BB299_8 Depth=1
	v_and_b32_e32 v0, 0xffff, v29
	v_or_b32_e32 v1, 0x10000, v29
	s_delay_alu instid0(VALU_DEP_2) | instskip(NEXT) | instid1(VALU_DEP_2)
	v_cmp_eq_u32_e32 vcc_lo, 0, v0
	v_cndmask_b32_e32 v0, v1, v29, vcc_lo
; %bb.30:                               ;   in Loop: Header=BB299_8 Depth=1
	s_or_b32 exec_lo, exec_lo, s26
	v_dual_add_f32 v1, v24, v25 :: v_dual_mov_b32 v60, v58
	s_waitcnt vmcnt(11)
	v_lshlrev_b32_e32 v24, 16, v41
	s_mov_b32 s26, exec_lo
	s_delay_alu instid0(VALU_DEP_1) | instskip(SKIP_1) | instid1(VALU_DEP_2)
	v_add_f32_e32 v1, v1, v24
	v_lshlrev_b64 v[24:25], 1, v[59:60]
	v_and_b32_e32 v29, 0x7f800000, v1
	s_delay_alu instid0(VALU_DEP_2) | instskip(NEXT) | instid1(VALU_DEP_3)
	v_add_co_u32 v24, vcc_lo, s12, v24
	v_add_co_ci_u32_e32 v25, vcc_lo, s13, v25, vcc_lo
	global_store_d16_hi_b16 v[24:25], v0, off
                                        ; implicit-def: $vgpr0
	v_cmpx_ne_u32_e32 0x7f800000, v29
	s_xor_b32 s26, exec_lo, s26
; %bb.31:                               ;   in Loop: Header=BB299_8 Depth=1
	v_bfe_u32 v0, v1, 16, 1
	s_delay_alu instid0(VALU_DEP_1)
	v_add3_u32 v0, v1, v0, 0x7fff
                                        ; implicit-def: $vgpr1
; %bb.32:                               ;   in Loop: Header=BB299_8 Depth=1
	s_and_not1_saveexec_b32 s26, s26
; %bb.33:                               ;   in Loop: Header=BB299_8 Depth=1
	v_and_b32_e32 v0, 0xffff, v1
	v_or_b32_e32 v24, 0x10000, v1
	s_delay_alu instid0(VALU_DEP_2) | instskip(NEXT) | instid1(VALU_DEP_2)
	v_cmp_eq_u32_e32 vcc_lo, 0, v0
	v_cndmask_b32_e32 v0, v24, v1, vcc_lo
; %bb.34:                               ;   in Loop: Header=BB299_8 Depth=1
	s_or_b32 exec_lo, exec_lo, s26
	v_add_f32_e32 v1, v19, v20
	s_waitcnt vmcnt(10)
	v_lshlrev_b32_e32 v19, 16, v40
	v_add_nc_u32_e32 v57, s7, v56
	s_mov_b32 s26, exec_lo
	s_delay_alu instid0(VALU_DEP_2) | instskip(NEXT) | instid1(VALU_DEP_2)
	v_add_f32_e32 v1, v1, v19
	v_lshlrev_b64 v[19:20], 1, v[57:58]
	s_delay_alu instid0(VALU_DEP_2) | instskip(NEXT) | instid1(VALU_DEP_2)
	v_and_b32_e32 v24, 0x7f800000, v1
	v_add_co_u32 v19, vcc_lo, s12, v19
	s_delay_alu instid0(VALU_DEP_3)
	v_add_co_ci_u32_e32 v20, vcc_lo, s13, v20, vcc_lo
	global_store_d16_hi_b16 v[19:20], v0, off
                                        ; implicit-def: $vgpr0
	v_cmpx_ne_u32_e32 0x7f800000, v24
	s_xor_b32 s26, exec_lo, s26
; %bb.35:                               ;   in Loop: Header=BB299_8 Depth=1
	v_bfe_u32 v0, v1, 16, 1
	s_delay_alu instid0(VALU_DEP_1)
	v_add3_u32 v0, v1, v0, 0x7fff
                                        ; implicit-def: $vgpr1
; %bb.36:                               ;   in Loop: Header=BB299_8 Depth=1
	s_and_not1_saveexec_b32 s26, s26
; %bb.37:                               ;   in Loop: Header=BB299_8 Depth=1
	v_and_b32_e32 v0, 0xffff, v1
	v_or_b32_e32 v19, 0x10000, v1
	s_delay_alu instid0(VALU_DEP_2) | instskip(NEXT) | instid1(VALU_DEP_2)
	v_cmp_eq_u32_e32 vcc_lo, 0, v0
	v_cndmask_b32_e32 v0, v19, v1, vcc_lo
; %bb.38:                               ;   in Loop: Header=BB299_8 Depth=1
	s_or_b32 exec_lo, exec_lo, s26
	v_dual_mov_b32 v20, v58 :: v_dual_add_nc_u32 v19, 1, v57
	v_add_f32_e32 v1, v26, v27
	s_waitcnt vmcnt(9)
	v_lshlrev_b32_e32 v24, 16, v39
	s_mov_b32 s26, exec_lo
	v_lshlrev_b64 v[19:20], 1, v[19:20]
	s_delay_alu instid0(VALU_DEP_2) | instskip(NEXT) | instid1(VALU_DEP_2)
	v_add_f32_e32 v1, v1, v24
	v_add_co_u32 v19, vcc_lo, s12, v19
	s_delay_alu instid0(VALU_DEP_2) | instskip(NEXT) | instid1(VALU_DEP_4)
	v_and_b32_e32 v24, 0x7f800000, v1
	v_add_co_ci_u32_e32 v20, vcc_lo, s13, v20, vcc_lo
	global_store_d16_hi_b16 v[19:20], v0, off
                                        ; implicit-def: $vgpr0
	v_cmpx_ne_u32_e32 0x7f800000, v24
	s_xor_b32 s26, exec_lo, s26
; %bb.39:                               ;   in Loop: Header=BB299_8 Depth=1
	v_bfe_u32 v0, v1, 16, 1
	s_delay_alu instid0(VALU_DEP_1)
	v_add3_u32 v0, v1, v0, 0x7fff
                                        ; implicit-def: $vgpr1
; %bb.40:                               ;   in Loop: Header=BB299_8 Depth=1
	s_and_not1_saveexec_b32 s26, s26
; %bb.41:                               ;   in Loop: Header=BB299_8 Depth=1
	v_and_b32_e32 v0, 0xffff, v1
	v_or_b32_e32 v19, 0x10000, v1
	s_delay_alu instid0(VALU_DEP_2) | instskip(NEXT) | instid1(VALU_DEP_2)
	v_cmp_eq_u32_e32 vcc_lo, 0, v0
	v_cndmask_b32_e32 v0, v19, v1, vcc_lo
; %bb.42:                               ;   in Loop: Header=BB299_8 Depth=1
	s_or_b32 exec_lo, exec_lo, s26
	v_dual_add_f32 v1, v21, v22 :: v_dual_mov_b32 v20, v58
	v_add_nc_u32_e32 v19, 2, v57
	s_waitcnt vmcnt(8)
	v_lshlrev_b32_e32 v21, 16, v38
	s_mov_b32 s26, exec_lo
	s_delay_alu instid0(VALU_DEP_2) | instskip(NEXT) | instid1(VALU_DEP_2)
	v_lshlrev_b64 v[19:20], 1, v[19:20]
	v_add_f32_e32 v1, v1, v21
	s_delay_alu instid0(VALU_DEP_1) | instskip(NEXT) | instid1(VALU_DEP_3)
	v_and_b32_e32 v21, 0x7f800000, v1
	v_add_co_u32 v19, vcc_lo, s12, v19
	s_delay_alu instid0(VALU_DEP_4)
	v_add_co_ci_u32_e32 v20, vcc_lo, s13, v20, vcc_lo
	global_store_d16_hi_b16 v[19:20], v0, off
                                        ; implicit-def: $vgpr0
	v_cmpx_ne_u32_e32 0x7f800000, v21
	s_xor_b32 s26, exec_lo, s26
; %bb.43:                               ;   in Loop: Header=BB299_8 Depth=1
	v_bfe_u32 v0, v1, 16, 1
	s_delay_alu instid0(VALU_DEP_1)
	v_add3_u32 v0, v1, v0, 0x7fff
                                        ; implicit-def: $vgpr1
; %bb.44:                               ;   in Loop: Header=BB299_8 Depth=1
	s_and_not1_saveexec_b32 s26, s26
; %bb.45:                               ;   in Loop: Header=BB299_8 Depth=1
	v_and_b32_e32 v0, 0xffff, v1
	v_or_b32_e32 v19, 0x10000, v1
	s_delay_alu instid0(VALU_DEP_2) | instskip(NEXT) | instid1(VALU_DEP_2)
	v_cmp_eq_u32_e32 vcc_lo, 0, v0
	v_cndmask_b32_e32 v0, v19, v1, vcc_lo
; %bb.46:                               ;   in Loop: Header=BB299_8 Depth=1
	s_or_b32 exec_lo, exec_lo, s26
	s_waitcnt vmcnt(7)
	v_dual_add_f32 v1, v16, v17 :: v_dual_lshlrev_b32 v16, 16, v36
	v_add_nc_u32_e32 v57, s7, v57
	s_mov_b32 s26, exec_lo
	s_delay_alu instid0(VALU_DEP_2) | instskip(NEXT) | instid1(VALU_DEP_2)
	v_add_f32_e32 v1, v1, v16
	v_lshlrev_b64 v[16:17], 1, v[57:58]
	s_delay_alu instid0(VALU_DEP_2) | instskip(NEXT) | instid1(VALU_DEP_2)
	v_and_b32_e32 v19, 0x7f800000, v1
	v_add_co_u32 v16, vcc_lo, s12, v16
	s_delay_alu instid0(VALU_DEP_3)
	v_add_co_ci_u32_e32 v17, vcc_lo, s13, v17, vcc_lo
	global_store_d16_hi_b16 v[16:17], v0, off
                                        ; implicit-def: $vgpr0
	v_cmpx_ne_u32_e32 0x7f800000, v19
	s_xor_b32 s26, exec_lo, s26
; %bb.47:                               ;   in Loop: Header=BB299_8 Depth=1
	v_bfe_u32 v0, v1, 16, 1
	s_delay_alu instid0(VALU_DEP_1)
	v_add3_u32 v0, v1, v0, 0x7fff
                                        ; implicit-def: $vgpr1
; %bb.48:                               ;   in Loop: Header=BB299_8 Depth=1
	s_and_not1_saveexec_b32 s26, s26
; %bb.49:                               ;   in Loop: Header=BB299_8 Depth=1
	v_and_b32_e32 v0, 0xffff, v1
	v_or_b32_e32 v16, 0x10000, v1
	s_delay_alu instid0(VALU_DEP_2) | instskip(NEXT) | instid1(VALU_DEP_2)
	v_cmp_eq_u32_e32 vcc_lo, 0, v0
	v_cndmask_b32_e32 v0, v16, v1, vcc_lo
; %bb.50:                               ;   in Loop: Header=BB299_8 Depth=1
	s_or_b32 exec_lo, exec_lo, s26
	v_add_f32_e32 v1, v12, v13
	v_dual_mov_b32 v13, v58 :: v_dual_add_nc_u32 v12, 1, v57
	s_waitcnt vmcnt(6)
	v_lshlrev_b32_e32 v16, 16, v37
	s_mov_b32 s26, exec_lo
	s_delay_alu instid0(VALU_DEP_2) | instskip(NEXT) | instid1(VALU_DEP_2)
	v_lshlrev_b64 v[12:13], 1, v[12:13]
	v_add_f32_e32 v1, v1, v16
	s_delay_alu instid0(VALU_DEP_1) | instskip(NEXT) | instid1(VALU_DEP_3)
	v_and_b32_e32 v16, 0x7f800000, v1
	v_add_co_u32 v12, vcc_lo, s12, v12
	s_delay_alu instid0(VALU_DEP_4)
	v_add_co_ci_u32_e32 v13, vcc_lo, s13, v13, vcc_lo
	global_store_d16_hi_b16 v[12:13], v0, off
                                        ; implicit-def: $vgpr0
	v_cmpx_ne_u32_e32 0x7f800000, v16
	s_xor_b32 s26, exec_lo, s26
; %bb.51:                               ;   in Loop: Header=BB299_8 Depth=1
	v_bfe_u32 v0, v1, 16, 1
	s_delay_alu instid0(VALU_DEP_1)
	v_add3_u32 v0, v1, v0, 0x7fff
                                        ; implicit-def: $vgpr1
; %bb.52:                               ;   in Loop: Header=BB299_8 Depth=1
	s_and_not1_saveexec_b32 s26, s26
; %bb.53:                               ;   in Loop: Header=BB299_8 Depth=1
	v_and_b32_e32 v0, 0xffff, v1
	v_or_b32_e32 v12, 0x10000, v1
	s_delay_alu instid0(VALU_DEP_2) | instskip(NEXT) | instid1(VALU_DEP_2)
	v_cmp_eq_u32_e32 vcc_lo, 0, v0
	v_cndmask_b32_e32 v0, v12, v1, vcc_lo
; %bb.54:                               ;   in Loop: Header=BB299_8 Depth=1
	s_or_b32 exec_lo, exec_lo, s26
	s_waitcnt vmcnt(5)
	v_dual_add_f32 v1, v8, v9 :: v_dual_lshlrev_b32 v12, 16, v35
	v_dual_mov_b32 v9, v58 :: v_dual_add_nc_u32 v8, 2, v57
	s_mov_b32 s26, exec_lo
	s_delay_alu instid0(VALU_DEP_2) | instskip(NEXT) | instid1(VALU_DEP_2)
	v_add_f32_e32 v1, v1, v12
	v_lshlrev_b64 v[8:9], 1, v[8:9]
	s_delay_alu instid0(VALU_DEP_2) | instskip(NEXT) | instid1(VALU_DEP_2)
	v_and_b32_e32 v12, 0x7f800000, v1
	v_add_co_u32 v8, vcc_lo, s12, v8
	s_delay_alu instid0(VALU_DEP_3)
	v_add_co_ci_u32_e32 v9, vcc_lo, s13, v9, vcc_lo
	global_store_d16_hi_b16 v[8:9], v0, off
                                        ; implicit-def: $vgpr0
	v_cmpx_ne_u32_e32 0x7f800000, v12
	s_xor_b32 s26, exec_lo, s26
; %bb.55:                               ;   in Loop: Header=BB299_8 Depth=1
	v_bfe_u32 v0, v1, 16, 1
	s_delay_alu instid0(VALU_DEP_1)
	v_add3_u32 v0, v1, v0, 0x7fff
                                        ; implicit-def: $vgpr1
; %bb.56:                               ;   in Loop: Header=BB299_8 Depth=1
	s_and_not1_saveexec_b32 s26, s26
; %bb.57:                               ;   in Loop: Header=BB299_8 Depth=1
	v_and_b32_e32 v0, 0xffff, v1
	v_or_b32_e32 v8, 0x10000, v1
	s_delay_alu instid0(VALU_DEP_2) | instskip(NEXT) | instid1(VALU_DEP_2)
	v_cmp_eq_u32_e32 vcc_lo, 0, v0
	v_cndmask_b32_e32 v0, v8, v1, vcc_lo
; %bb.58:                               ;   in Loop: Header=BB299_8 Depth=1
	s_or_b32 exec_lo, exec_lo, s26
	s_waitcnt vmcnt(4)
	v_dual_add_f32 v1, v14, v15 :: v_dual_lshlrev_b32 v8, 16, v32
	v_add_nc_u32_e32 v57, s7, v57
	s_mov_b32 s26, exec_lo
	s_delay_alu instid0(VALU_DEP_2) | instskip(NEXT) | instid1(VALU_DEP_2)
	v_add_f32_e32 v1, v1, v8
	v_lshlrev_b64 v[8:9], 1, v[57:58]
	s_delay_alu instid0(VALU_DEP_2) | instskip(NEXT) | instid1(VALU_DEP_2)
	v_and_b32_e32 v12, 0x7f800000, v1
	v_add_co_u32 v8, vcc_lo, s12, v8
	s_delay_alu instid0(VALU_DEP_3)
	v_add_co_ci_u32_e32 v9, vcc_lo, s13, v9, vcc_lo
	global_store_d16_hi_b16 v[8:9], v0, off
                                        ; implicit-def: $vgpr0
	v_cmpx_ne_u32_e32 0x7f800000, v12
	s_xor_b32 s26, exec_lo, s26
; %bb.59:                               ;   in Loop: Header=BB299_8 Depth=1
	v_bfe_u32 v0, v1, 16, 1
	s_delay_alu instid0(VALU_DEP_1)
	v_add3_u32 v0, v1, v0, 0x7fff
                                        ; implicit-def: $vgpr1
; %bb.60:                               ;   in Loop: Header=BB299_8 Depth=1
	s_and_not1_saveexec_b32 s26, s26
; %bb.61:                               ;   in Loop: Header=BB299_8 Depth=1
	v_and_b32_e32 v0, 0xffff, v1
	v_or_b32_e32 v8, 0x10000, v1
	s_delay_alu instid0(VALU_DEP_2) | instskip(NEXT) | instid1(VALU_DEP_2)
	v_cmp_eq_u32_e32 vcc_lo, 0, v0
	v_cndmask_b32_e32 v0, v8, v1, vcc_lo
; %bb.62:                               ;   in Loop: Header=BB299_8 Depth=1
	s_or_b32 exec_lo, exec_lo, s26
	v_dual_add_f32 v1, v10, v11 :: v_dual_add_nc_u32 v8, 1, v57
	s_waitcnt vmcnt(3)
	v_dual_mov_b32 v9, v58 :: v_dual_lshlrev_b32 v10, 16, v31
	s_mov_b32 s26, exec_lo
	s_delay_alu instid0(VALU_DEP_1) | instskip(NEXT) | instid1(VALU_DEP_2)
	v_add_f32_e32 v1, v1, v10
	v_lshlrev_b64 v[8:9], 1, v[8:9]
	s_delay_alu instid0(VALU_DEP_2) | instskip(NEXT) | instid1(VALU_DEP_2)
	v_and_b32_e32 v10, 0x7f800000, v1
	v_add_co_u32 v8, vcc_lo, s12, v8
	s_delay_alu instid0(VALU_DEP_3)
	v_add_co_ci_u32_e32 v9, vcc_lo, s13, v9, vcc_lo
	global_store_d16_hi_b16 v[8:9], v0, off
                                        ; implicit-def: $vgpr0
	v_cmpx_ne_u32_e32 0x7f800000, v10
	s_xor_b32 s26, exec_lo, s26
; %bb.63:                               ;   in Loop: Header=BB299_8 Depth=1
	v_bfe_u32 v0, v1, 16, 1
	s_delay_alu instid0(VALU_DEP_1)
	v_add3_u32 v0, v1, v0, 0x7fff
                                        ; implicit-def: $vgpr1
; %bb.64:                               ;   in Loop: Header=BB299_8 Depth=1
	s_and_not1_saveexec_b32 s26, s26
; %bb.65:                               ;   in Loop: Header=BB299_8 Depth=1
	v_and_b32_e32 v0, 0xffff, v1
	v_or_b32_e32 v8, 0x10000, v1
	s_delay_alu instid0(VALU_DEP_2) | instskip(NEXT) | instid1(VALU_DEP_2)
	v_cmp_eq_u32_e32 vcc_lo, 0, v0
	v_cndmask_b32_e32 v0, v8, v1, vcc_lo
; %bb.66:                               ;   in Loop: Header=BB299_8 Depth=1
	s_or_b32 exec_lo, exec_lo, s26
	v_dual_add_f32 v1, v6, v7 :: v_dual_add_nc_u32 v6, 2, v57
	s_waitcnt vmcnt(2)
	v_dual_mov_b32 v7, v58 :: v_dual_lshlrev_b32 v8, 16, v28
	s_mov_b32 s26, exec_lo
	s_delay_alu instid0(VALU_DEP_1) | instskip(NEXT) | instid1(VALU_DEP_2)
	v_add_f32_e32 v1, v1, v8
	v_lshlrev_b64 v[6:7], 1, v[6:7]
	s_delay_alu instid0(VALU_DEP_2) | instskip(NEXT) | instid1(VALU_DEP_2)
	v_and_b32_e32 v8, 0x7f800000, v1
	v_add_co_u32 v6, vcc_lo, s12, v6
	s_delay_alu instid0(VALU_DEP_3)
	v_add_co_ci_u32_e32 v7, vcc_lo, s13, v7, vcc_lo
	global_store_d16_hi_b16 v[6:7], v0, off
                                        ; implicit-def: $vgpr0
	v_cmpx_ne_u32_e32 0x7f800000, v8
	s_xor_b32 s26, exec_lo, s26
; %bb.67:                               ;   in Loop: Header=BB299_8 Depth=1
	v_bfe_u32 v0, v1, 16, 1
	s_delay_alu instid0(VALU_DEP_1)
	v_add3_u32 v0, v1, v0, 0x7fff
                                        ; implicit-def: $vgpr1
; %bb.68:                               ;   in Loop: Header=BB299_8 Depth=1
	s_and_not1_saveexec_b32 s26, s26
; %bb.69:                               ;   in Loop: Header=BB299_8 Depth=1
	v_and_b32_e32 v0, 0xffff, v1
	v_or_b32_e32 v6, 0x10000, v1
	s_delay_alu instid0(VALU_DEP_2) | instskip(NEXT) | instid1(VALU_DEP_2)
	v_cmp_eq_u32_e32 vcc_lo, 0, v0
	v_cndmask_b32_e32 v0, v6, v1, vcc_lo
; %bb.70:                               ;   in Loop: Header=BB299_8 Depth=1
	s_or_b32 exec_lo, exec_lo, s26
	s_waitcnt vmcnt(1)
	v_dual_add_f32 v1, v4, v5 :: v_dual_lshlrev_b32 v4, 16, v23
	v_add_nc_u32_e32 v57, s7, v57
	s_mov_b32 s26, exec_lo
	s_delay_alu instid0(VALU_DEP_2) | instskip(NEXT) | instid1(VALU_DEP_2)
	v_add_f32_e32 v1, v1, v4
	v_lshlrev_b64 v[4:5], 1, v[57:58]
	s_delay_alu instid0(VALU_DEP_2) | instskip(NEXT) | instid1(VALU_DEP_2)
	v_and_b32_e32 v6, 0x7f800000, v1
	v_add_co_u32 v4, vcc_lo, s12, v4
	s_delay_alu instid0(VALU_DEP_3)
	v_add_co_ci_u32_e32 v5, vcc_lo, s13, v5, vcc_lo
	global_store_d16_hi_b16 v[4:5], v0, off
                                        ; implicit-def: $vgpr0
	v_cmpx_ne_u32_e32 0x7f800000, v6
	s_xor_b32 s26, exec_lo, s26
; %bb.71:                               ;   in Loop: Header=BB299_8 Depth=1
	v_bfe_u32 v0, v1, 16, 1
	s_delay_alu instid0(VALU_DEP_1)
	v_add3_u32 v0, v1, v0, 0x7fff
                                        ; implicit-def: $vgpr1
; %bb.72:                               ;   in Loop: Header=BB299_8 Depth=1
	s_and_not1_saveexec_b32 s26, s26
; %bb.73:                               ;   in Loop: Header=BB299_8 Depth=1
	v_and_b32_e32 v0, 0xffff, v1
	v_or_b32_e32 v4, 0x10000, v1
	s_delay_alu instid0(VALU_DEP_2) | instskip(NEXT) | instid1(VALU_DEP_2)
	v_cmp_eq_u32_e32 vcc_lo, 0, v0
	v_cndmask_b32_e32 v0, v4, v1, vcc_lo
; %bb.74:                               ;   in Loop: Header=BB299_8 Depth=1
	s_or_b32 exec_lo, exec_lo, s26
	v_dual_add_f32 v1, v2, v3 :: v_dual_add_nc_u32 v2, 1, v57
	s_waitcnt vmcnt(0)
	v_dual_mov_b32 v3, v58 :: v_dual_lshlrev_b32 v4, 16, v18
	s_mov_b32 s26, exec_lo
	s_delay_alu instid0(VALU_DEP_1) | instskip(NEXT) | instid1(VALU_DEP_2)
	v_add_f32_e32 v1, v1, v4
	v_lshlrev_b64 v[2:3], 1, v[2:3]
	s_delay_alu instid0(VALU_DEP_2) | instskip(NEXT) | instid1(VALU_DEP_2)
	v_and_b32_e32 v4, 0x7f800000, v1
	v_add_co_u32 v2, vcc_lo, s12, v2
	s_delay_alu instid0(VALU_DEP_3)
	v_add_co_ci_u32_e32 v3, vcc_lo, s13, v3, vcc_lo
	global_store_d16_hi_b16 v[2:3], v0, off
                                        ; implicit-def: $vgpr0
	v_cmpx_ne_u32_e32 0x7f800000, v4
	s_xor_b32 s26, exec_lo, s26
; %bb.75:                               ;   in Loop: Header=BB299_8 Depth=1
	v_bfe_u32 v0, v1, 16, 1
	s_delay_alu instid0(VALU_DEP_1)
	v_add3_u32 v0, v1, v0, 0x7fff
                                        ; implicit-def: $vgpr1
; %bb.76:                               ;   in Loop: Header=BB299_8 Depth=1
	s_and_not1_saveexec_b32 s26, s26
	s_cbranch_execz .LBB299_6
; %bb.77:                               ;   in Loop: Header=BB299_8 Depth=1
	v_and_b32_e32 v0, 0xffff, v1
	v_or_b32_e32 v2, 0x10000, v1
	s_delay_alu instid0(VALU_DEP_2) | instskip(NEXT) | instid1(VALU_DEP_2)
	v_cmp_eq_u32_e32 vcc_lo, 0, v0
	v_cndmask_b32_e32 v0, v2, v1, vcc_lo
	s_branch .LBB299_6
.LBB299_78:
	s_nop 0
	s_sendmsg sendmsg(MSG_DEALLOC_VGPRS)
	s_endpgm
	.section	.rodata,"a",@progbits
	.p2align	6, 0x0
	.amdhsa_kernel _Z16wvSplitK_hf_sml_I14__hip_bfloat16Li64ELi3ELi16ELi8ELi2ELi5EEviiiiiiPKT_S3_S3_PS1_ii
		.amdhsa_group_segment_fixed_size 65536
		.amdhsa_private_segment_fixed_size 0
		.amdhsa_kernarg_size 64
		.amdhsa_user_sgpr_count 15
		.amdhsa_user_sgpr_dispatch_ptr 0
		.amdhsa_user_sgpr_queue_ptr 0
		.amdhsa_user_sgpr_kernarg_segment_ptr 1
		.amdhsa_user_sgpr_dispatch_id 0
		.amdhsa_user_sgpr_private_segment_size 0
		.amdhsa_wavefront_size32 1
		.amdhsa_uses_dynamic_stack 0
		.amdhsa_enable_private_segment 0
		.amdhsa_system_sgpr_workgroup_id_x 1
		.amdhsa_system_sgpr_workgroup_id_y 0
		.amdhsa_system_sgpr_workgroup_id_z 0
		.amdhsa_system_sgpr_workgroup_info 0
		.amdhsa_system_vgpr_workitem_id 1
		.amdhsa_next_free_vgpr 110
		.amdhsa_next_free_sgpr 28
		.amdhsa_reserve_vcc 1
		.amdhsa_float_round_mode_32 0
		.amdhsa_float_round_mode_16_64 0
		.amdhsa_float_denorm_mode_32 3
		.amdhsa_float_denorm_mode_16_64 3
		.amdhsa_dx10_clamp 1
		.amdhsa_ieee_mode 1
		.amdhsa_fp16_overflow 0
		.amdhsa_workgroup_processor_mode 1
		.amdhsa_memory_ordered 1
		.amdhsa_forward_progress 0
		.amdhsa_shared_vgpr_count 0
		.amdhsa_exception_fp_ieee_invalid_op 0
		.amdhsa_exception_fp_denorm_src 0
		.amdhsa_exception_fp_ieee_div_zero 0
		.amdhsa_exception_fp_ieee_overflow 0
		.amdhsa_exception_fp_ieee_underflow 0
		.amdhsa_exception_fp_ieee_inexact 0
		.amdhsa_exception_int_div_zero 0
	.end_amdhsa_kernel
	.section	.text._Z16wvSplitK_hf_sml_I14__hip_bfloat16Li64ELi3ELi16ELi8ELi2ELi5EEviiiiiiPKT_S3_S3_PS1_ii,"axG",@progbits,_Z16wvSplitK_hf_sml_I14__hip_bfloat16Li64ELi3ELi16ELi8ELi2ELi5EEviiiiiiPKT_S3_S3_PS1_ii,comdat
.Lfunc_end299:
	.size	_Z16wvSplitK_hf_sml_I14__hip_bfloat16Li64ELi3ELi16ELi8ELi2ELi5EEviiiiiiPKT_S3_S3_PS1_ii, .Lfunc_end299-_Z16wvSplitK_hf_sml_I14__hip_bfloat16Li64ELi3ELi16ELi8ELi2ELi5EEviiiiiiPKT_S3_S3_PS1_ii
                                        ; -- End function
	.section	.AMDGPU.csdata,"",@progbits
; Kernel info:
; codeLenInByte = 8440
; NumSgprs: 30
; NumVgprs: 110
; ScratchSize: 0
; MemoryBound: 0
; FloatMode: 240
; IeeeMode: 1
; LDSByteSize: 65536 bytes/workgroup (compile time only)
; SGPRBlocks: 3
; VGPRBlocks: 13
; NumSGPRsForWavesPerEU: 30
; NumVGPRsForWavesPerEU: 110
; Occupancy: 12
; WaveLimiterHint : 0
; COMPUTE_PGM_RSRC2:SCRATCH_EN: 0
; COMPUTE_PGM_RSRC2:USER_SGPR: 15
; COMPUTE_PGM_RSRC2:TRAP_HANDLER: 0
; COMPUTE_PGM_RSRC2:TGID_X_EN: 1
; COMPUTE_PGM_RSRC2:TGID_Y_EN: 0
; COMPUTE_PGM_RSRC2:TGID_Z_EN: 0
; COMPUTE_PGM_RSRC2:TIDIG_COMP_CNT: 1
	.section	.text._Z12wvSplitK_hf_I14__hip_bfloat16Li64ELi3ELi16ELi8ELi2ELi5EEviiiiiiPKT_S3_S3_PS1_ii,"axG",@progbits,_Z12wvSplitK_hf_I14__hip_bfloat16Li64ELi3ELi16ELi8ELi2ELi5EEviiiiiiPKT_S3_S3_PS1_ii,comdat
	.protected	_Z12wvSplitK_hf_I14__hip_bfloat16Li64ELi3ELi16ELi8ELi2ELi5EEviiiiiiPKT_S3_S3_PS1_ii ; -- Begin function _Z12wvSplitK_hf_I14__hip_bfloat16Li64ELi3ELi16ELi8ELi2ELi5EEviiiiiiPKT_S3_S3_PS1_ii
	.globl	_Z12wvSplitK_hf_I14__hip_bfloat16Li64ELi3ELi16ELi8ELi2ELi5EEviiiiiiPKT_S3_S3_PS1_ii
	.p2align	8
	.type	_Z12wvSplitK_hf_I14__hip_bfloat16Li64ELi3ELi16ELi8ELi2ELi5EEviiiiiiPKT_S3_S3_PS1_ii,@function
_Z12wvSplitK_hf_I14__hip_bfloat16Li64ELi3ELi16ELi8ELi2ELi5EEviiiiiiPKT_S3_S3_PS1_ii: ; @_Z12wvSplitK_hf_I14__hip_bfloat16Li64ELi3ELi16ELi8ELi2ELi5EEviiiiiiPKT_S3_S3_PS1_ii
; %bb.0:
	s_clause 0x1
	s_load_b64 s[18:19], s[0:1], 0x38
	s_load_b128 s[4:7], s[0:1], 0x0
	v_bfe_u32 v1, v0, 10, 10
	s_mov_b32 s8, 1
	s_delay_alu instid0(SALU_CYCLE_1) | instskip(SKIP_1) | instid1(SALU_CYCLE_1)
	s_mov_b32 s9, s8
	s_mov_b32 s10, s8
	v_mov_b32_e32 v66, s10
	v_dual_mov_b32 v64, s8 :: v_dual_mov_b32 v65, s9
	s_waitcnt lgkmcnt(0)
	v_mad_u64_u32 v[2:3], null, s15, s18, v[1:2]
	s_clause 0x1
	s_load_b64 s[12:13], s[0:1], 0x20
	s_load_b64 s[14:15], s[0:1], 0x10
	s_delay_alu instid0(VALU_DEP_1) | instskip(NEXT) | instid1(VALU_DEP_1)
	v_lshl_add_u32 v68, v2, 1, v2
	v_add_nc_u32_e32 v2, 3, v68
	v_cmp_gt_u32_e32 vcc_lo, s7, v68
	s_delay_alu instid0(VALU_DEP_2) | instskip(NEXT) | instid1(VALU_DEP_1)
	v_cmp_le_u32_e64 s2, s7, v2
	s_and_b32 s2, vcc_lo, s2
	s_delay_alu instid0(SALU_CYCLE_1)
	s_and_saveexec_b32 s11, s2
	s_cbranch_execz .LBB300_6
; %bb.1:
	v_dual_mov_b32 v66, s10 :: v_dual_mov_b32 v65, s9
	v_mov_b32_e32 v64, s8
	s_add_i32 s16, s7, -3
	s_mov_b32 s17, exec_lo
	v_cmpx_ne_u32_e64 s16, v68
	s_cbranch_execz .LBB300_5
; %bb.2:
	v_subrev_nc_u32_e32 v2, s16, v68
	s_mov_b32 s20, 0
	s_mov_b64 s[2:3], 0
	s_mov_b32 s9, s8
	s_mov_b32 s10, s8
	v_cmp_lt_u32_e32 vcc_lo, 1, v2
	v_cndmask_b32_e32 v2, 1, v2, vcc_lo
.LBB300_3:                              ; =>This Inner Loop Header: Depth=1
	s_cmp_lg_u32 s2, 2
	s_cselect_b32 s10, s10, 0
	s_cmp_lg_u32 s2, 1
	s_cselect_b32 s9, s9, 0
	;; [unrolled: 2-line block ×3, first 2 shown]
	s_add_u32 s2, s2, 1
	v_dual_mov_b32 v66, s10 :: v_dual_mov_b32 v65, s9
	v_cmp_eq_u32_e32 vcc_lo, s2, v2
	v_mov_b32_e32 v64, s8
	s_addc_u32 s3, s3, 0
	s_or_b32 s20, vcc_lo, s20
	s_delay_alu instid0(SALU_CYCLE_1)
	s_and_not1_b32 exec_lo, exec_lo, s20
	s_cbranch_execnz .LBB300_3
; %bb.4:
	s_or_b32 exec_lo, exec_lo, s20
	v_mov_b32_e32 v68, s16
.LBB300_5:
	s_or_b32 exec_lo, exec_lo, s17
.LBB300_6:
	s_delay_alu instid0(SALU_CYCLE_1)
	s_or_b32 exec_lo, exec_lo, s11
	s_load_b64 s[8:9], s[0:1], 0x28
	v_and_b32_e32 v0, 0x3ff, v0
	s_mul_i32 s2, s6, 5
	s_mov_b32 s10, exec_lo
	s_min_u32 s3, s2, 0x8000
	s_delay_alu instid0(VALU_DEP_1) | instskip(NEXT) | instid1(VALU_DEP_1)
	v_lshlrev_b32_e32 v67, 3, v0
	v_lshl_add_u32 v4, v1, 9, v67
	s_delay_alu instid0(VALU_DEP_1)
	v_cmpx_gt_u32_e64 s3, v4
	s_cbranch_execz .LBB300_9
; %bb.7:
	v_lshlrev_b32_e32 v5, 10, v1
	v_lshlrev_b32_e32 v6, 4, v0
	s_mov_b32 s11, 0
	s_delay_alu instid0(VALU_DEP_1) | instskip(NEXT) | instid1(VALU_DEP_1)
	v_add_co_u32 v2, s2, v5, v6
	v_add_co_ci_u32_e64 v3, null, 0, 0, s2
	v_add_nc_u32_e32 v5, v5, v6
	s_waitcnt lgkmcnt(0)
	s_delay_alu instid0(VALU_DEP_3) | instskip(NEXT) | instid1(VALU_DEP_3)
	v_add_co_u32 v2, vcc_lo, s12, v2
	v_add_co_ci_u32_e32 v3, vcc_lo, s13, v3, vcc_lo
	.p2align	6
.LBB300_8:                              ; =>This Inner Loop Header: Depth=1
	global_load_b128 v[6:9], v[2:3], off
	v_add_nc_u32_e32 v4, 0x2000, v4
	v_add_co_u32 v2, vcc_lo, 0x4000, v2
	v_add_co_ci_u32_e32 v3, vcc_lo, 0, v3, vcc_lo
	s_delay_alu instid0(VALU_DEP_3) | instskip(NEXT) | instid1(VALU_DEP_1)
	v_cmp_le_u32_e64 s2, s3, v4
	s_or_b32 s11, s2, s11
	s_waitcnt vmcnt(0)
	ds_store_b128 v5, v[6:9]
	v_add_nc_u32_e32 v5, 0x4000, v5
	s_and_not1_b32 exec_lo, exec_lo, s11
	s_cbranch_execnz .LBB300_8
.LBB300_9:
	s_or_b32 exec_lo, exec_lo, s10
	v_cmp_gt_u32_e32 vcc_lo, s18, v1
	v_cmp_gt_u32_e64 s2, s7, v68
	s_waitcnt lgkmcnt(0)
	s_barrier
	buffer_gl0_inv
	s_and_b32 s2, vcc_lo, s2
	s_delay_alu instid0(SALU_CYCLE_1)
	s_and_saveexec_b32 s3, s2
	s_cbranch_execz .LBB300_158
; %bb.10:
	s_cmp_lg_u32 s4, 0
	s_clause 0x1
	s_load_b64 s[10:11], s[0:1], 0x18
	s_load_b64 s[16:17], s[0:1], 0x30
	s_cselect_b32 s20, -1, 0
	s_add_i32 s21, s4, -8
	s_add_i32 s22, s7, -1
	s_cmp_lg_u64 s[8:9], 0
	s_mul_i32 s26, s18, s19
	s_cselect_b32 s23, -1, 0
	s_abs_i32 s2, s15
	s_add_i32 s24, s7, -3
	v_cvt_f32_u32_e32 v1, s2
	s_sub_i32 s3, 0, s2
	s_lshl_b32 s25, s6, 1
	s_sub_i32 s18, 0, s14
	s_sub_i32 s19, 1, s2
	v_rcp_iflag_f32_e32 v1, v1
	v_mbcnt_lo_u32_b32 v2, -1, 0
	v_cmp_eq_u32_e64 s0, 63, v0
	v_lshlrev_b32_e32 v88, 4, v0
	v_mad_u64_u32 v[71:72], null, s6, 3, v[67:68]
	v_add_nc_u32_e32 v90, s25, v67
	v_mov_b32_e32 v70, 0
	s_mov_b32 s15, 0
	s_mul_i32 s26, s26, 3
	s_delay_alu instid0(TRANS32_DEP_1) | instskip(SKIP_2) | instid1(VALU_DEP_2)
	v_mul_f32_e32 v1, 0x4f7ffffe, v1
	s_mul_i32 s33, s6, 6
	v_add_nc_u32_e32 v89, s6, v67
	v_cvt_u32_f32_e32 v1, v1
	s_delay_alu instid0(VALU_DEP_1) | instskip(SKIP_1) | instid1(VALU_DEP_2)
	v_readfirstlane_b32 s1, v1
	v_cvt_f32_u32_e32 v1, s14
	s_mul_i32 s3, s3, s1
	s_delay_alu instid0(VALU_DEP_1) | instskip(SKIP_1) | instid1(SALU_CYCLE_1)
	v_rcp_iflag_f32_e32 v1, v1
	s_mul_hi_u32 s3, s1, s3
	s_add_i32 s1, s1, s3
	s_cmp_lt_u32 s2, 2
	s_cselect_b32 s3, s19, 1
	s_delay_alu instid0(SALU_CYCLE_1)
	s_sub_i32 s19, s3, s2
	s_cmp_ge_u32 s3, s2
	s_waitcnt_depctr 0xfff
	v_mul_f32_e32 v0, 0x4f7ffffe, v1
	s_cselect_b32 s27, s19, s3
	s_lshr_b32 s3, s1, 31
	v_xor_b32_e32 v1, 16, v2
	s_mul_i32 s3, s3, s2
	v_cvt_u32_f32_e32 v0, v0
	s_sub_i32 s3, 2, s3
	s_mul_i32 s27, s27, s14
	s_sub_i32 s19, s3, s2
	s_cmp_ge_u32 s3, s2
	v_mul_lo_u32 v3, s18, v0
	s_cselect_b32 s3, s19, s3
	s_mul_hi_u32 s19, s1, 3
	s_sub_i32 s28, s3, s2
	s_cmp_ge_u32 s3, s2
	s_mul_i32 s19, s19, s2
	s_cselect_b32 s28, s28, s3
	s_sub_i32 s3, 3, s19
	v_cmp_gt_i32_e32 vcc_lo, 32, v1
	s_sub_i32 s18, s3, s2
	s_cmp_ge_u32 s3, s2
	s_mul_i32 s28, s28, s14
	s_cselect_b32 s3, s18, s3
	v_cndmask_b32_e32 v1, v2, v1, vcc_lo
	s_sub_i32 s18, s3, s2
	s_cmp_ge_u32 s3, s2
	v_mul_hi_u32 v2, v0, v3
	s_cselect_b32 s30, s18, s3
	s_lshr_b32 s1, s1, 30
	v_lshlrev_b32_e32 v91, 2, v1
	s_mul_i32 s1, s1, s2
	s_mul_i32 s30, s30, s14
	s_sub_i32 s1, 4, s1
	s_delay_alu instid0(SALU_CYCLE_1) | instskip(SKIP_3) | instid1(SALU_CYCLE_1)
	s_sub_i32 s3, s1, s2
	s_cmp_ge_u32 s1, s2
	v_add_nc_u32_e32 v92, v0, v2
	s_cselect_b32 s1, s3, s1
	s_sub_i32 s3, s1, s2
	s_cmp_ge_u32 s1, s2
	s_cselect_b32 s31, s3, s1
	s_lshl_b32 s29, s6, 2
	s_mul_i32 s31, s31, s14
	v_add_nc_u32_e32 v93, s29, v67
	s_lshl_b32 s6, s6, 3
	s_branch .LBB300_13
.LBB300_11:                             ;   in Loop: Header=BB300_13 Depth=1
	s_or_b32 exec_lo, exec_lo, s35
	v_mov_b32_e32 v68, s24
.LBB300_12:                             ;   in Loop: Header=BB300_13 Depth=1
	s_or_b32 exec_lo, exec_lo, s34
	s_delay_alu instid0(VALU_DEP_1) | instskip(SKIP_1) | instid1(SALU_CYCLE_1)
	v_cmp_le_u32_e32 vcc_lo, s7, v68
	s_or_b32 s15, vcc_lo, s15
	s_and_not1_b32 exec_lo, exec_lo, s15
	s_cbranch_execz .LBB300_158
.LBB300_13:                             ; =>This Loop Header: Depth=1
                                        ;     Child Loop BB300_18 Depth 2
                                        ;     Child Loop BB300_156 Depth 2
	v_dual_mov_b32 v94, v70 :: v_dual_add_nc_u32 v73, 1, v68
	v_dual_mov_b32 v95, v70 :: v_dual_add_nc_u32 v72, 2, v68
	v_mov_b32_e32 v96, v70
	v_mov_b32_e32 v102, v70
	v_mov_b32_e32 v103, v70
	v_mov_b32_e32 v99, v70
	v_mov_b32_e32 v97, v70
	v_mov_b32_e32 v100, v70
	v_mov_b32_e32 v101, v70
	v_mov_b32_e32 v98, v70
	v_mov_b32_e32 v105, v70
	v_mov_b32_e32 v106, v70
	v_mov_b32_e32 v108, v70
	v_mov_b32_e32 v109, v70
	v_mov_b32_e32 v107, v70
	s_and_not1_b32 vcc_lo, exec_lo, s20
	s_cbranch_vccnz .LBB300_60
; %bb.14:                               ;   in Loop: Header=BB300_13 Depth=1
	v_min_u32_e32 v0, s22, v68
	s_waitcnt lgkmcnt(0)
	v_min_u32_e32 v1, s22, v73
	v_min_u32_e32 v2, s22, v72
	v_dual_mov_b32 v3, v70 :: v_dual_mov_b32 v108, 0
	v_mul_lo_u32 v69, v0, s5
	s_delay_alu instid0(VALU_DEP_4) | instskip(NEXT) | instid1(VALU_DEP_4)
	v_mul_lo_u32 v0, v1, s5
	v_mul_lo_u32 v2, v2, s5
	v_dual_mov_b32 v1, v70 :: v_dual_mov_b32 v104, v88
	v_dual_mov_b32 v107, 0 :: v_dual_mov_b32 v106, 0
	;; [unrolled: 1-line block ×3, first 2 shown]
	v_lshlrev_b64 v[74:75], 1, v[69:70]
	s_delay_alu instid0(VALU_DEP_4)
	v_lshlrev_b64 v[76:77], 1, v[0:1]
	v_lshlrev_b64 v[78:79], 1, v[2:3]
	v_dual_mov_b32 v105, 0 :: v_dual_mov_b32 v100, 0
	v_dual_mov_b32 v101, 0 :: v_dual_mov_b32 v102, 0
	;; [unrolled: 1-line block ×4, first 2 shown]
	v_mov_b32_e32 v103, 0
	v_mov_b32_e32 v95, 0
	s_mov_b32 s1, 0
	s_branch .LBB300_18
.LBB300_15:                             ;   in Loop: Header=BB300_18 Depth=2
	s_or_b32 exec_lo, exec_lo, s18
.LBB300_16:                             ;   in Loop: Header=BB300_18 Depth=2
	s_delay_alu instid0(SALU_CYCLE_1)
	s_or_b32 exec_lo, exec_lo, s3
.LBB300_17:                             ;   in Loop: Header=BB300_18 Depth=2
	s_delay_alu instid0(SALU_CYCLE_1)
	s_or_b32 exec_lo, exec_lo, s2
	s_waitcnt vmcnt(0) lgkmcnt(0)
	v_and_b32_e32 v111, 0xffff0000, v53
	v_lshlrev_b32_e32 v110, 16, v52
	v_and_b32_e32 v69, 0xffff0000, v49
	v_and_b32_e32 v80, 0xffff0000, v48
	v_lshlrev_b32_e32 v114, 16, v54
	v_and_b32_e32 v113, 0xffff0000, v54
	v_lshlrev_b32_e32 v81, 16, v48
	;; [unrolled: 2-line block ×3, first 2 shown]
	v_mul_f32_e32 v83, v111, v69
	v_and_b32_e32 v49, 0xffff0000, v50
	v_lshlrev_b32_e32 v48, 16, v50
	v_mul_f32_e32 v82, v87, v80
	v_lshlrev_b32_e32 v85, 16, v36
	v_and_b32_e32 v120, 0xffff0000, v62
	v_dual_mul_f32 v54, v113, v49 :: v_dual_lshlrev_b32 v121, 16, v62
	s_delay_alu instid0(VALU_DEP_4) | instskip(SKIP_2) | instid1(VALU_DEP_4)
	v_fmac_f32_e32 v82, v110, v81
	v_and_b32_e32 v62, 0xffff0000, v20
	v_add_nc_u32_e32 v104, 0x800, v104
	v_fmac_f32_e32 v54, v114, v48
	s_addk_i32 s1, 0x400
	v_dual_add_f32 v50, v107, v82 :: v_dual_and_b32 v107, 0xffff0000, v55
	v_lshlrev_b32_e32 v112, 16, v53
	v_and_b32_e32 v53, 0xffff0000, v40
	s_cmp_ge_u32 s1, s4
	s_delay_alu instid0(VALU_DEP_1) | instskip(NEXT) | instid1(VALU_DEP_1)
	v_dual_fmac_f32 v83, v112, v52 :: v_dual_mul_f32 v84, v87, v53
	v_add_f32_e32 v82, v50, v83
	v_lshlrev_b32_e32 v50, 16, v40
	v_lshlrev_b32_e32 v40, 16, v51
	s_delay_alu instid0(VALU_DEP_3) | instskip(SKIP_2) | instid1(VALU_DEP_1)
	v_add_f32_e32 v116, v82, v54
	v_and_b32_e32 v82, 0xffff0000, v41
	v_and_b32_e32 v86, 0xffff0000, v36
	v_dual_mul_f32 v118, v87, v86 :: v_dual_lshlrev_b32 v115, 16, v55
	v_and_b32_e32 v87, 0xffff0000, v37
	v_lshlrev_b32_e32 v55, 16, v41
	v_mul_f32_e32 v41, v111, v82
	v_fmac_f32_e32 v84, v110, v50
	v_and_b32_e32 v54, 0xffff0000, v51
	v_dual_fmac_f32 v118, v110, v85 :: v_dual_and_b32 v83, 0xffff0000, v42
	s_delay_alu instid0(VALU_DEP_3) | instskip(NEXT) | instid1(VALU_DEP_3)
	v_dual_mul_f32 v110, v111, v87 :: v_dual_add_f32 v51, v109, v84
	v_mul_f32_e32 v117, v107, v54
	v_dual_fmac_f32 v41, v112, v55 :: v_dual_lshlrev_b32 v84, 16, v42
	s_delay_alu instid0(VALU_DEP_4) | instskip(NEXT) | instid1(VALU_DEP_2)
	v_dual_mul_f32 v109, v113, v83 :: v_dual_and_b32 v42, 0xffff0000, v38
	v_dual_add_f32 v108, v108, v118 :: v_dual_add_f32 v119, v51, v41
	v_lshlrev_b32_e32 v51, 16, v37
	s_delay_alu instid0(VALU_DEP_3) | instskip(SKIP_3) | instid1(VALU_DEP_4)
	v_fmac_f32_e32 v109, v114, v84
	v_and_b32_e32 v41, 0xffff0000, v43
	v_lshlrev_b32_e32 v37, 16, v38
	v_mul_f32_e32 v38, v113, v42
	v_dual_fmac_f32 v110, v112, v51 :: v_dual_add_f32 v109, v119, v109
	v_dual_fmac_f32 v117, v115, v40 :: v_dual_and_b32 v118, 0xffff0000, v61
	s_delay_alu instid0(VALU_DEP_3) | instskip(NEXT) | instid1(VALU_DEP_3)
	v_fmac_f32_e32 v38, v114, v37
	v_add_f32_e32 v108, v108, v110
	s_delay_alu instid0(VALU_DEP_3) | instskip(SKIP_2) | instid1(VALU_DEP_4)
	v_add_f32_e32 v113, v116, v117
	v_and_b32_e32 v111, 0xffff0000, v33
	v_and_b32_e32 v116, 0xffff0000, v60
	v_dual_add_f32 v108, v108, v38 :: v_dual_lshlrev_b32 v117, 16, v60
	v_lshlrev_b32_e32 v119, 16, v61
	s_delay_alu instid0(VALU_DEP_4)
	v_dual_mul_f32 v33, v118, v111 :: v_dual_lshlrev_b32 v60, 16, v33
	v_and_b32_e32 v38, 0xffff0000, v39
	v_and_b32_e32 v114, 0xffff0000, v16
	v_lshlrev_b32_e32 v123, 16, v63
	v_and_b32_e32 v122, 0xffff0000, v63
	v_dual_fmac_f32 v33, v119, v60 :: v_dual_and_b32 v112, 0xffff0000, v34
	v_dual_mul_f32 v43, v107, v41 :: v_dual_lshlrev_b32 v36, 16, v43
	v_mul_f32_e32 v107, v107, v38
	v_lshlrev_b32_e32 v39, 16, v39
	s_delay_alu instid0(VALU_DEP_4) | instskip(NEXT) | instid1(VALU_DEP_4)
	v_dual_mul_f32 v34, v120, v112 :: v_dual_lshlrev_b32 v61, 16, v34
	v_fmac_f32_e32 v43, v115, v36
	s_delay_alu instid0(VALU_DEP_3) | instskip(NEXT) | instid1(VALU_DEP_3)
	v_dual_fmac_f32 v107, v115, v39 :: v_dual_and_b32 v110, 0xffff0000, v32
	v_dual_mul_f32 v63, v116, v62 :: v_dual_fmac_f32 v34, v121, v61
	s_delay_alu instid0(VALU_DEP_3) | instskip(NEXT) | instid1(VALU_DEP_3)
	v_add_f32_e32 v109, v109, v43
	v_dual_mul_f32 v32, v116, v110 :: v_dual_lshlrev_b32 v43, 16, v32
	v_mul_f32_e32 v116, v116, v114
	v_add_f32_e32 v108, v108, v107
	s_delay_alu instid0(VALU_DEP_3) | instskip(NEXT) | instid1(VALU_DEP_1)
	v_fmac_f32_e32 v32, v117, v43
	v_add_f32_e32 v32, v113, v32
	s_delay_alu instid0(VALU_DEP_1) | instskip(SKIP_1) | instid1(VALU_DEP_2)
	v_add_f32_e32 v113, v32, v33
	v_and_b32_e32 v33, 0xffff0000, v35
	v_dual_add_f32 v113, v113, v34 :: v_dual_lshlrev_b32 v20, 16, v20
	s_delay_alu instid0(VALU_DEP_2) | instskip(NEXT) | instid1(VALU_DEP_2)
	v_dual_mul_f32 v35, v122, v33 :: v_dual_lshlrev_b32 v32, 16, v35
	v_dual_fmac_f32 v63, v117, v20 :: v_dual_and_b32 v34, 0xffff0000, v21
	s_delay_alu instid0(VALU_DEP_2) | instskip(SKIP_1) | instid1(VALU_DEP_3)
	v_fmac_f32_e32 v35, v123, v32
	v_lshlrev_b32_e32 v21, 16, v21
	v_add_f32_e32 v63, v109, v63
	s_delay_alu instid0(VALU_DEP_4) | instskip(NEXT) | instid1(VALU_DEP_4)
	v_mul_f32_e32 v115, v118, v34
	v_add_f32_e32 v107, v113, v35
	v_lshlrev_b32_e32 v113, 16, v16
	s_delay_alu instid0(VALU_DEP_3) | instskip(NEXT) | instid1(VALU_DEP_2)
	v_dual_fmac_f32 v115, v119, v21 :: v_dual_lshlrev_b32 v16, 16, v23
	v_dual_fmac_f32 v116, v117, v113 :: v_dual_and_b32 v35, 0xffff0000, v22
	s_delay_alu instid0(VALU_DEP_2) | instskip(NEXT) | instid1(VALU_DEP_2)
	v_dual_add_f32 v124, v63, v115 :: v_dual_and_b32 v115, 0xffff0000, v17
	v_add_f32_e32 v108, v108, v116
	s_delay_alu instid0(VALU_DEP_3)
	v_dual_mul_f32 v109, v120, v35 :: v_dual_lshlrev_b32 v22, 16, v22
	v_and_b32_e32 v116, 0xffff0000, v19
	v_and_b32_e32 v63, 0xffff0000, v23
	v_lshlrev_b32_e32 v17, 16, v17
	v_mul_f32_e32 v117, v118, v115
	v_fmac_f32_e32 v109, v121, v22
	v_lshlrev_b32_e32 v19, 16, v19
	v_mul_f32_e32 v118, v122, v63
	v_dual_mul_f32 v122, v122, v116 :: v_dual_and_b32 v23, 0xffff0000, v18
	s_delay_alu instid0(VALU_DEP_4) | instskip(SKIP_1) | instid1(VALU_DEP_3)
	v_dual_add_f32 v109, v124, v109 :: v_dual_lshlrev_b32 v18, 16, v18
	v_fmac_f32_e32 v117, v119, v17
	v_fmac_f32_e32 v122, v123, v19
	s_delay_alu instid0(VALU_DEP_4) | instskip(SKIP_1) | instid1(VALU_DEP_4)
	v_dual_mul_f32 v119, v120, v23 :: v_dual_and_b32 v120, 0xffff0000, v28
	v_lshlrev_b32_e32 v28, 16, v28
	v_add_f32_e32 v108, v108, v117
	v_fmac_f32_e32 v118, v123, v16
	s_delay_alu instid0(VALU_DEP_4) | instskip(NEXT) | instid1(VALU_DEP_2)
	v_mul_f32_e32 v117, v120, v80
	v_dual_add_f32 v109, v109, v118 :: v_dual_mul_f32 v118, v120, v53
	s_delay_alu instid0(VALU_DEP_2) | instskip(SKIP_2) | instid1(VALU_DEP_4)
	v_fmac_f32_e32 v117, v28, v81
	v_fmac_f32_e32 v119, v121, v18
	v_mul_f32_e32 v120, v120, v86
	v_fmac_f32_e32 v118, v28, v50
	s_delay_alu instid0(VALU_DEP_4) | instskip(NEXT) | instid1(VALU_DEP_4)
	v_add_f32_e32 v106, v106, v117
	v_dual_add_f32 v108, v108, v119 :: v_dual_and_b32 v121, 0xffff0000, v29
	v_lshlrev_b32_e32 v29, 16, v29
	v_fmac_f32_e32 v120, v28, v85
	s_delay_alu instid0(VALU_DEP_3) | instskip(NEXT) | instid1(VALU_DEP_2)
	v_dual_mul_f32 v119, v121, v69 :: v_dual_add_f32 v108, v108, v122
	v_add_f32_e32 v98, v98, v120
	s_delay_alu instid0(VALU_DEP_2) | instskip(NEXT) | instid1(VALU_DEP_1)
	v_fmac_f32_e32 v119, v29, v52
	v_add_f32_e32 v106, v106, v119
	v_and_b32_e32 v119, 0xffff0000, v31
	v_lshlrev_b32_e32 v31, 16, v31
	v_mul_f32_e32 v123, v121, v82
	v_dual_mul_f32 v28, v121, v87 :: v_dual_and_b32 v121, 0xffff0000, v56
	s_delay_alu instid0(VALU_DEP_4) | instskip(SKIP_1) | instid1(VALU_DEP_4)
	v_mul_f32_e32 v124, v119, v54
	v_and_b32_e32 v117, 0xffff0000, v30
	v_dual_fmac_f32 v123, v29, v55 :: v_dual_lshlrev_b32 v30, 16, v30
	s_delay_alu instid0(VALU_DEP_3) | instskip(NEXT) | instid1(VALU_DEP_3)
	v_fmac_f32_e32 v124, v31, v40
	v_mul_f32_e32 v122, v117, v49
	v_and_b32_e32 v120, 0xffff0000, v57
	s_delay_alu instid0(VALU_DEP_2) | instskip(NEXT) | instid1(VALU_DEP_1)
	v_dual_fmac_f32 v122, v30, v48 :: v_dual_lshlrev_b32 v57, 16, v57
	v_add_f32_e32 v106, v106, v122
	v_add_f32_e32 v105, v105, v118
	v_mul_f32_e32 v118, v117, v83
	v_mul_f32_e32 v117, v117, v42
	v_fmac_f32_e32 v28, v29, v51
	s_delay_alu instid0(VALU_DEP_4) | instskip(SKIP_4) | instid1(VALU_DEP_3)
	v_dual_add_f32 v106, v106, v124 :: v_dual_add_f32 v105, v105, v123
	v_lshlrev_b32_e32 v29, 16, v56
	v_fmac_f32_e32 v118, v30, v84
	v_fmac_f32_e32 v117, v30, v37
	v_add_f32_e32 v28, v98, v28
	v_dual_mul_f32 v98, v120, v111 :: v_dual_add_f32 v105, v105, v118
	v_mul_f32_e32 v118, v119, v41
	v_mul_f32_e32 v119, v119, v38
	;; [unrolled: 1-line block ×3, first 2 shown]
	s_delay_alu instid0(VALU_DEP_2) | instskip(NEXT) | instid1(VALU_DEP_2)
	v_dual_fmac_f32 v98, v57, v60 :: v_dual_fmac_f32 v119, v31, v39
	v_fmac_f32_e32 v56, v29, v43
	s_delay_alu instid0(VALU_DEP_1) | instskip(NEXT) | instid1(VALU_DEP_1)
	v_add_f32_e32 v56, v106, v56
	v_dual_fmac_f32 v118, v31, v36 :: v_dual_add_f32 v31, v56, v98
	s_delay_alu instid0(VALU_DEP_1) | instskip(SKIP_3) | instid1(VALU_DEP_4)
	v_dual_add_f32 v98, v105, v118 :: v_dual_and_b32 v105, 0xffff0000, v59
	v_dual_mul_f32 v56, v121, v62 :: v_dual_lshlrev_b32 v59, 16, v59
	v_and_b32_e32 v30, 0xffff0000, v58
	v_add_f32_e32 v28, v28, v117
	v_dual_mul_f32 v117, v105, v33 :: v_dual_lshlrev_b32 v58, 16, v58
	s_delay_alu instid0(VALU_DEP_4) | instskip(NEXT) | instid1(VALU_DEP_4)
	v_fmac_f32_e32 v56, v29, v20
	v_mul_f32_e32 v106, v30, v112
	s_delay_alu instid0(VALU_DEP_3) | instskip(NEXT) | instid1(VALU_DEP_3)
	v_dual_mul_f32 v118, v121, v114 :: v_dual_fmac_f32 v117, v59, v32
	v_add_f32_e32 v56, v98, v56
	v_mul_f32_e32 v98, v30, v35
	s_delay_alu instid0(VALU_DEP_3) | instskip(NEXT) | instid1(VALU_DEP_2)
	v_dual_fmac_f32 v118, v29, v113 :: v_dual_mul_f32 v29, v120, v115
	v_fmac_f32_e32 v98, v58, v22
	v_fmac_f32_e32 v106, v58, v61
	s_delay_alu instid0(VALU_DEP_3) | instskip(NEXT) | instid1(VALU_DEP_2)
	v_fmac_f32_e32 v29, v57, v17
	v_add_f32_e32 v31, v31, v106
	v_mul_f32_e32 v106, v120, v34
	s_delay_alu instid0(VALU_DEP_1) | instskip(SKIP_2) | instid1(VALU_DEP_3)
	v_fmac_f32_e32 v106, v57, v21
	v_mul_f32_e32 v57, v105, v63
	v_add_f32_e32 v28, v28, v119
	v_add_f32_e32 v56, v56, v106
	;; [unrolled: 1-line block ×3, first 2 shown]
	s_delay_alu instid0(VALU_DEP_4) | instskip(NEXT) | instid1(VALU_DEP_3)
	v_fmac_f32_e32 v57, v59, v16
	v_dual_add_f32 v31, v56, v98 :: v_dual_mul_f32 v98, v105, v116
	s_delay_alu instid0(VALU_DEP_1) | instskip(SKIP_2) | instid1(VALU_DEP_4)
	v_dual_add_f32 v105, v31, v57 :: v_dual_and_b32 v56, 0xffff0000, v12
	v_and_b32_e32 v31, 0xffff0000, v14
	v_lshlrev_b32_e32 v14, 16, v14
	v_fmac_f32_e32 v98, v59, v19
	s_delay_alu instid0(VALU_DEP_3) | instskip(NEXT) | instid1(VALU_DEP_1)
	v_dual_mul_f32 v57, v31, v49 :: v_dual_lshlrev_b32 v12, 16, v12
	v_fmac_f32_e32 v57, v14, v48
	v_mul_f32_e32 v30, v30, v23
	s_delay_alu instid0(VALU_DEP_1) | instskip(SKIP_2) | instid1(VALU_DEP_2)
	v_fmac_f32_e32 v30, v58, v18
	v_and_b32_e32 v58, 0xffff0000, v13
	v_lshlrev_b32_e32 v13, 16, v13
	v_mul_f32_e32 v59, v58, v82
	s_delay_alu instid0(VALU_DEP_1) | instskip(NEXT) | instid1(VALU_DEP_1)
	v_dual_add_f32 v28, v28, v118 :: v_dual_fmac_f32 v59, v13, v55
	v_add_f32_e32 v28, v28, v29
	v_mul_f32_e32 v29, v56, v80
	s_delay_alu instid0(VALU_DEP_2) | instskip(NEXT) | instid1(VALU_DEP_2)
	v_add_f32_e32 v28, v28, v30
	v_fmac_f32_e32 v29, v12, v81
	v_mul_f32_e32 v30, v58, v69
	s_delay_alu instid0(VALU_DEP_2) | instskip(NEXT) | instid1(VALU_DEP_2)
	v_add_f32_e32 v29, v101, v29
	v_fmac_f32_e32 v30, v13, v52
	s_delay_alu instid0(VALU_DEP_1) | instskip(SKIP_1) | instid1(VALU_DEP_2)
	v_dual_add_f32 v29, v29, v30 :: v_dual_and_b32 v30, 0xffff0000, v15
	v_lshlrev_b32_e32 v15, 16, v15
	v_add_f32_e32 v29, v29, v57
	s_delay_alu instid0(VALU_DEP_3) | instskip(SKIP_2) | instid1(VALU_DEP_3)
	v_mul_f32_e32 v101, v30, v54
	v_dual_add_f32 v98, v28, v98 :: v_dual_and_b32 v57, 0xffff0000, v44
	v_mul_f32_e32 v28, v56, v53
	v_dual_mul_f32 v56, v56, v86 :: v_dual_fmac_f32 v101, v15, v40
	s_delay_alu instid0(VALU_DEP_1) | instskip(NEXT) | instid1(VALU_DEP_1)
	v_dual_fmac_f32 v28, v12, v50 :: v_dual_add_f32 v29, v29, v101
	v_add_f32_e32 v28, v100, v28
	s_delay_alu instid0(VALU_DEP_1)
	v_dual_add_f32 v28, v28, v59 :: v_dual_and_b32 v59, 0xffff0000, v45
	v_dual_mul_f32 v100, v31, v83 :: v_dual_lshlrev_b32 v45, 16, v45
	v_dual_mul_f32 v31, v31, v42 :: v_dual_fmac_f32 v56, v12, v85
	v_mul_f32_e32 v12, v58, v87
	v_mul_f32_e32 v58, v30, v41
	;; [unrolled: 1-line block ×3, first 2 shown]
	s_delay_alu instid0(VALU_DEP_4) | instskip(NEXT) | instid1(VALU_DEP_4)
	v_add_f32_e32 v56, v97, v56
	v_dual_fmac_f32 v12, v13, v51 :: v_dual_lshlrev_b32 v13, 16, v44
	v_mul_f32_e32 v44, v57, v110
	v_fmac_f32_e32 v58, v15, v36
	v_fmac_f32_e32 v30, v15, v39
	s_delay_alu instid0(VALU_DEP_4) | instskip(SKIP_2) | instid1(VALU_DEP_2)
	v_add_f32_e32 v12, v56, v12
	v_mul_f32_e32 v56, v59, v111
	v_fmac_f32_e32 v44, v13, v43
	v_fmac_f32_e32 v56, v45, v60
	s_delay_alu instid0(VALU_DEP_2) | instskip(NEXT) | instid1(VALU_DEP_1)
	v_dual_add_f32 v29, v29, v44 :: v_dual_lshlrev_b32 v44, 16, v46
	v_add_f32_e32 v15, v29, v56
	v_mul_f32_e32 v29, v57, v62
	v_mul_f32_e32 v56, v57, v114
	s_delay_alu instid0(VALU_DEP_2) | instskip(SKIP_1) | instid1(VALU_DEP_3)
	v_fmac_f32_e32 v29, v13, v20
	v_fmac_f32_e32 v31, v14, v37
	v_dual_fmac_f32 v56, v13, v113 :: v_dual_mul_f32 v13, v59, v115
	s_delay_alu instid0(VALU_DEP_2) | instskip(NEXT) | instid1(VALU_DEP_1)
	v_dual_add_f32 v12, v12, v31 :: v_dual_mul_f32 v31, v59, v34
	v_dual_fmac_f32 v13, v45, v17 :: v_dual_add_f32 v12, v12, v30
	s_delay_alu instid0(VALU_DEP_2) | instskip(SKIP_2) | instid1(VALU_DEP_2)
	v_dual_fmac_f32 v31, v45, v21 :: v_dual_fmac_f32 v100, v14, v84
	v_and_b32_e32 v14, 0xffff0000, v46
	v_and_b32_e32 v30, 0xffff0000, v47
	v_mul_f32_e32 v46, v14, v112
	s_delay_alu instid0(VALU_DEP_1) | instskip(NEXT) | instid1(VALU_DEP_1)
	v_fmac_f32_e32 v46, v44, v61
	v_dual_add_f32 v15, v15, v46 :: v_dual_lshlrev_b32 v46, 16, v47
	s_delay_alu instid0(VALU_DEP_4) | instskip(NEXT) | instid1(VALU_DEP_1)
	v_mul_f32_e32 v47, v30, v33
	v_fmac_f32_e32 v47, v46, v32
	s_delay_alu instid0(VALU_DEP_1) | instskip(NEXT) | instid1(VALU_DEP_1)
	v_dual_add_f32 v28, v28, v100 :: v_dual_add_f32 v101, v15, v47
	v_add_f32_e32 v28, v28, v58
	s_delay_alu instid0(VALU_DEP_1) | instskip(NEXT) | instid1(VALU_DEP_1)
	v_dual_add_f32 v28, v28, v29 :: v_dual_mul_f32 v29, v14, v35
	v_add_f32_e32 v28, v28, v31
	s_delay_alu instid0(VALU_DEP_2) | instskip(SKIP_2) | instid1(VALU_DEP_3)
	v_fmac_f32_e32 v29, v44, v22
	v_and_b32_e32 v31, 0xffff0000, v5
	v_lshlrev_b32_e32 v5, 16, v5
	v_add_f32_e32 v15, v28, v29
	v_dual_mul_f32 v29, v30, v63 :: v_dual_and_b32 v28, 0xffff0000, v4
	v_lshlrev_b32_e32 v4, 16, v4
	s_delay_alu instid0(VALU_DEP_2) | instskip(NEXT) | instid1(VALU_DEP_1)
	v_fmac_f32_e32 v29, v46, v16
	v_dual_add_f32 v100, v15, v29 :: v_dual_and_b32 v15, 0xffff0000, v6
	v_lshlrev_b32_e32 v6, 16, v6
	s_delay_alu instid0(VALU_DEP_2) | instskip(NEXT) | instid1(VALU_DEP_1)
	v_dual_add_f32 v12, v12, v56 :: v_dual_mul_f32 v29, v15, v49
	v_dual_mul_f32 v45, v15, v83 :: v_dual_add_f32 v12, v12, v13
	v_mul_f32_e32 v13, v28, v80
	s_delay_alu instid0(VALU_DEP_3) | instskip(NEXT) | instid1(VALU_DEP_3)
	v_fmac_f32_e32 v29, v6, v48
	v_fmac_f32_e32 v45, v6, v84
	s_delay_alu instid0(VALU_DEP_3) | instskip(NEXT) | instid1(VALU_DEP_1)
	v_fmac_f32_e32 v13, v4, v81
	v_dual_add_f32 v13, v99, v13 :: v_dual_mul_f32 v14, v14, v23
	s_delay_alu instid0(VALU_DEP_1) | instskip(NEXT) | instid1(VALU_DEP_1)
	v_fmac_f32_e32 v14, v44, v18
	v_add_f32_e32 v12, v12, v14
	v_mul_f32_e32 v14, v31, v69
	s_delay_alu instid0(VALU_DEP_1) | instskip(NEXT) | instid1(VALU_DEP_1)
	v_fmac_f32_e32 v14, v5, v52
	v_dual_add_f32 v13, v13, v14 :: v_dual_and_b32 v14, 0xffff0000, v7
	v_lshlrev_b32_e32 v7, 16, v7
	s_delay_alu instid0(VALU_DEP_2) | instskip(SKIP_2) | instid1(VALU_DEP_3)
	v_dual_add_f32 v13, v13, v29 :: v_dual_mul_f32 v44, v14, v54
	v_mul_f32_e32 v29, v14, v41
	v_mul_f32_e32 v14, v14, v38
	v_fmac_f32_e32 v44, v7, v40
	s_delay_alu instid0(VALU_DEP_3) | instskip(NEXT) | instid1(VALU_DEP_2)
	v_fmac_f32_e32 v29, v7, v36
	v_dual_fmac_f32 v14, v7, v39 :: v_dual_add_f32 v13, v13, v44
	v_mul_f32_e32 v30, v30, v116
	s_delay_alu instid0(VALU_DEP_1) | instskip(NEXT) | instid1(VALU_DEP_1)
	v_fmac_f32_e32 v30, v46, v19
	v_add_f32_e32 v97, v12, v30
	v_mul_f32_e32 v12, v28, v53
	v_mul_f32_e32 v30, v31, v82
	;; [unrolled: 1-line block ×3, first 2 shown]
	s_delay_alu instid0(VALU_DEP_3) | instskip(NEXT) | instid1(VALU_DEP_3)
	v_fmac_f32_e32 v12, v4, v50
	v_fmac_f32_e32 v30, v5, v55
	s_delay_alu instid0(VALU_DEP_2) | instskip(NEXT) | instid1(VALU_DEP_1)
	v_add_f32_e32 v12, v103, v12
	v_add_f32_e32 v12, v12, v30
	v_and_b32_e32 v30, 0xffff0000, v24
	s_delay_alu instid0(VALU_DEP_1) | instskip(SKIP_2) | instid1(VALU_DEP_3)
	v_dual_add_f32 v12, v12, v45 :: v_dual_mul_f32 v7, v30, v62
	v_fmac_f32_e32 v28, v4, v85
	v_mul_f32_e32 v4, v31, v87
	v_add_f32_e32 v12, v12, v29
	s_delay_alu instid0(VALU_DEP_3) | instskip(NEXT) | instid1(VALU_DEP_3)
	v_dual_add_f32 v28, v102, v28 :: v_dual_and_b32 v29, 0xffff0000, v25
	v_dual_fmac_f32 v4, v5, v51 :: v_dual_mul_f32 v5, v15, v42
	v_dual_mul_f32 v24, v30, v110 :: v_dual_lshlrev_b32 v15, 16, v24
	s_delay_alu instid0(VALU_DEP_2) | instskip(SKIP_1) | instid1(VALU_DEP_3)
	v_dual_add_f32 v4, v28, v4 :: v_dual_fmac_f32 v5, v6, v37
	v_lshlrev_b32_e32 v6, 16, v25
	v_fmac_f32_e32 v24, v15, v43
	v_mul_f32_e32 v25, v29, v111
	s_delay_alu instid0(VALU_DEP_4) | instskip(SKIP_1) | instid1(VALU_DEP_4)
	v_dual_fmac_f32 v7, v15, v20 :: v_dual_add_f32 v4, v4, v5
	v_mul_f32_e32 v28, v29, v34
	v_add_f32_e32 v5, v13, v24
	v_and_b32_e32 v13, 0xffff0000, v26
	v_dual_fmac_f32 v25, v6, v60 :: v_dual_lshlrev_b32 v24, 16, v26
	s_delay_alu instid0(VALU_DEP_4) | instskip(NEXT) | instid1(VALU_DEP_3)
	v_dual_add_f32 v7, v12, v7 :: v_dual_fmac_f32 v28, v6, v21
	v_mul_f32_e32 v26, v13, v112
	s_delay_alu instid0(VALU_DEP_3) | instskip(SKIP_4) | instid1(VALU_DEP_4)
	v_add_f32_e32 v5, v5, v25
	v_and_b32_e32 v25, 0xffff0000, v27
	v_lshlrev_b32_e32 v27, 16, v27
	v_mul_f32_e32 v12, v13, v35
	v_dual_fmac_f32 v26, v24, v61 :: v_dual_add_f32 v7, v7, v28
	v_dual_mul_f32 v31, v25, v33 :: v_dual_add_f32 v4, v4, v14
	s_delay_alu instid0(VALU_DEP_3) | instskip(NEXT) | instid1(VALU_DEP_3)
	v_fmac_f32_e32 v12, v24, v22
	v_add_f32_e32 v5, v5, v26
	s_delay_alu instid0(VALU_DEP_3) | instskip(NEXT) | instid1(VALU_DEP_1)
	v_dual_mul_f32 v14, v29, v115 :: v_dual_fmac_f32 v31, v27, v32
	v_dual_fmac_f32 v14, v6, v17 :: v_dual_add_f32 v99, v5, v31
	s_delay_alu instid0(VALU_DEP_4) | instskip(SKIP_2) | instid1(VALU_DEP_2)
	v_add_f32_e32 v5, v7, v12
	v_dual_mul_f32 v6, v13, v23 :: v_dual_and_b32 v7, 0xffff0000, v0
	v_dual_mul_f32 v13, v25, v63 :: v_dual_lshlrev_b32 v0, 16, v0
	v_fmac_f32_e32 v6, v24, v18
	s_delay_alu instid0(VALU_DEP_3) | instskip(NEXT) | instid1(VALU_DEP_3)
	v_dual_mul_f32 v24, v25, v116 :: v_dual_mul_f32 v25, v7, v53
	v_fmac_f32_e32 v13, v27, v16
	v_mul_f32_e32 v12, v7, v80
	v_mul_f32_e32 v7, v7, v86
	s_delay_alu instid0(VALU_DEP_4) | instskip(NEXT) | instid1(VALU_DEP_4)
	v_dual_fmac_f32 v24, v27, v19 :: v_dual_fmac_f32 v25, v0, v50
	v_add_f32_e32 v103, v5, v13
	s_delay_alu instid0(VALU_DEP_4) | instskip(NEXT) | instid1(VALU_DEP_4)
	v_fmac_f32_e32 v12, v0, v81
	v_fmac_f32_e32 v7, v0, v85
	s_delay_alu instid0(VALU_DEP_4) | instskip(NEXT) | instid1(VALU_DEP_1)
	v_dual_add_f32 v25, v95, v25 :: v_dual_mul_f32 v26, v30, v114
	v_dual_add_f32 v7, v94, v7 :: v_dual_fmac_f32 v26, v15, v113
	v_and_b32_e32 v15, 0xffff0000, v1
	s_delay_alu instid0(VALU_DEP_2) | instskip(NEXT) | instid1(VALU_DEP_2)
	v_dual_add_f32 v4, v4, v26 :: v_dual_lshlrev_b32 v1, 16, v1
	v_mul_f32_e32 v28, v15, v82
	v_mul_f32_e32 v0, v15, v87
	s_delay_alu instid0(VALU_DEP_3) | instskip(SKIP_1) | instid1(VALU_DEP_4)
	v_add_f32_e32 v4, v4, v14
	v_mul_f32_e32 v14, v15, v69
	v_dual_fmac_f32 v28, v1, v55 :: v_dual_and_b32 v15, 0xffff0000, v8
	s_delay_alu instid0(VALU_DEP_4) | instskip(NEXT) | instid1(VALU_DEP_4)
	v_fmac_f32_e32 v0, v1, v51
	v_add_f32_e32 v4, v4, v6
	v_add_f32_e32 v6, v96, v12
	v_and_b32_e32 v12, 0xffff0000, v2
	v_fmac_f32_e32 v14, v1, v52
	v_dual_add_f32 v25, v25, v28 :: v_dual_lshlrev_b32 v2, 16, v2
	s_delay_alu instid0(VALU_DEP_3) | instskip(NEXT) | instid1(VALU_DEP_3)
	v_dual_mul_f32 v26, v12, v49 :: v_dual_lshlrev_b32 v1, 16, v8
	v_add_f32_e32 v6, v6, v14
	v_and_b32_e32 v14, 0xffff0000, v3
	v_dual_mul_f32 v8, v15, v110 :: v_dual_lshlrev_b32 v3, 16, v3
	s_delay_alu instid0(VALU_DEP_4) | instskip(NEXT) | instid1(VALU_DEP_3)
	v_fmac_f32_e32 v26, v2, v48
	v_dual_mul_f32 v29, v14, v54 :: v_dual_and_b32 v28, 0xffff0000, v9
	v_mul_f32_e32 v30, v12, v83
	v_mul_f32_e32 v12, v12, v42
	s_delay_alu instid0(VALU_DEP_4) | instskip(SKIP_4) | instid1(VALU_DEP_3)
	v_add_f32_e32 v6, v6, v26
	v_add_f32_e32 v0, v7, v0
	v_dual_fmac_f32 v29, v3, v40 :: v_dual_fmac_f32 v8, v1, v43
	v_lshlrev_b32_e32 v7, 16, v9
	v_dual_mul_f32 v9, v28, v111 :: v_dual_fmac_f32 v30, v2, v84
	v_add_f32_e32 v6, v6, v29
	v_mul_f32_e32 v26, v14, v41
	v_fmac_f32_e32 v12, v2, v37
	v_and_b32_e32 v2, 0xffff0000, v10
	v_mul_f32_e32 v14, v14, v38
	v_add_f32_e32 v6, v6, v8
	v_fmac_f32_e32 v9, v7, v60
	v_add_f32_e32 v25, v25, v30
	v_lshlrev_b32_e32 v8, 16, v10
	v_mul_f32_e32 v10, v2, v112
	v_fmac_f32_e32 v26, v3, v36
	v_add_f32_e32 v0, v0, v12
	v_dual_fmac_f32 v14, v3, v39 :: v_dual_add_f32 v3, v6, v9
	v_mul_f32_e32 v9, v15, v62
	v_mul_f32_e32 v12, v15, v114
	v_fmac_f32_e32 v10, v8, v61
	v_add_f32_e32 v6, v25, v26
	s_delay_alu instid0(VALU_DEP_4) | instskip(SKIP_3) | instid1(VALU_DEP_4)
	v_dual_add_f32 v0, v0, v14 :: v_dual_fmac_f32 v9, v1, v20
	v_mul_f32_e32 v14, v28, v34
	v_dual_fmac_f32 v12, v1, v113 :: v_dual_mul_f32 v1, v28, v115
	v_dual_add_f32 v3, v3, v10 :: v_dual_and_b32 v10, 0xffff0000, v11
	v_add_f32_e32 v6, v6, v9
	s_delay_alu instid0(VALU_DEP_4) | instskip(NEXT) | instid1(VALU_DEP_4)
	v_dual_fmac_f32 v14, v7, v21 :: v_dual_mul_f32 v9, v2, v35
	v_dual_add_f32 v0, v0, v12 :: v_dual_fmac_f32 v1, v7, v17
	v_mul_f32_e32 v2, v2, v23
	v_lshlrev_b32_e32 v11, 16, v11
	v_mul_f32_e32 v15, v10, v33
	v_add_f32_e32 v6, v6, v14
	v_fmac_f32_e32 v9, v8, v22
	v_dual_mul_f32 v7, v10, v63 :: v_dual_add_f32 v0, v0, v1
	v_dual_fmac_f32 v2, v8, v18 :: v_dual_mul_f32 v1, v10, v116
	s_delay_alu instid0(VALU_DEP_3) | instskip(NEXT) | instid1(VALU_DEP_2)
	v_dual_fmac_f32 v15, v11, v32 :: v_dual_add_f32 v6, v6, v9
	v_dual_fmac_f32 v7, v11, v16 :: v_dual_add_f32 v0, v0, v2
	s_delay_alu instid0(VALU_DEP_3) | instskip(NEXT) | instid1(VALU_DEP_3)
	v_dual_fmac_f32 v1, v11, v19 :: v_dual_add_f32 v102, v4, v24
	v_add_f32_e32 v96, v3, v15
	s_delay_alu instid0(VALU_DEP_2)
	v_dual_add_f32 v95, v6, v7 :: v_dual_add_f32 v94, v0, v1
	s_cbranch_scc1 .LBB300_60
.LBB300_18:                             ;   Parent Loop BB300_13 Depth=1
                                        ; =>  This Inner Loop Header: Depth=2
	v_add_nc_u32_e32 v81, s1, v67
	s_waitcnt vmcnt(3)
	v_dual_mov_b32 v27, 0 :: v_dual_mov_b32 v26, 0
	v_dual_mov_b32 v25, 0 :: v_dual_mov_b32 v24, 0
	s_delay_alu instid0(VALU_DEP_3) | instskip(SKIP_3) | instid1(VALU_DEP_4)
	v_min_u32_e32 v69, s21, v81
	v_dual_mov_b32 v47, 0 :: v_dual_add_nc_u32 v80, 0x200, v81
	v_dual_mov_b32 v46, 0 :: v_dual_mov_b32 v45, 0
	v_mov_b32_e32 v44, 0
	v_lshlrev_b64 v[0:1], 1, v[69:70]
	s_delay_alu instid0(VALU_DEP_4) | instskip(SKIP_3) | instid1(VALU_DEP_4)
	v_min_u32_e32 v69, s21, v80
	v_dual_mov_b32 v59, 0 :: v_dual_mov_b32 v58, 0
	v_dual_mov_b32 v57, 0 :: v_dual_mov_b32 v56, 0
	s_waitcnt lgkmcnt(0)
	v_add_co_u32 v6, vcc_lo, s10, v0
	v_add_co_ci_u32_e32 v7, vcc_lo, s11, v1, vcc_lo
	v_lshlrev_b64 v[0:1], 1, v[69:70]
	s_delay_alu instid0(VALU_DEP_3) | instskip(NEXT) | instid1(VALU_DEP_3)
	v_add_co_u32 v2, vcc_lo, v6, v74
	v_add_co_ci_u32_e32 v3, vcc_lo, v7, v75, vcc_lo
	v_add_co_u32 v4, vcc_lo, v6, v76
	v_add_co_ci_u32_e32 v5, vcc_lo, v7, v77, vcc_lo
	;; [unrolled: 2-line block ×4, first 2 shown]
	s_delay_alu instid0(VALU_DEP_4) | instskip(NEXT) | instid1(VALU_DEP_4)
	v_add_co_u32 v6, vcc_lo, v10, v74
	v_add_co_ci_u32_e32 v7, vcc_lo, v11, v75, vcc_lo
	v_add_co_u32 v8, vcc_lo, v10, v76
	v_add_co_ci_u32_e32 v9, vcc_lo, v11, v77, vcc_lo
	;; [unrolled: 2-line block ×3, first 2 shown]
	s_clause 0x5
	global_load_b128 v[48:51], v[2:3], off slc dlc
	global_load_b128 v[40:43], v[4:5], off slc dlc
	;; [unrolled: 1-line block ×6, first 2 shown]
	v_dual_mov_b32 v11, 0 :: v_dual_mov_b32 v10, 0
	v_cmp_gt_u32_e32 vcc_lo, s4, v81
	v_dual_mov_b32 v9, 0 :: v_dual_mov_b32 v8, 0
	v_dual_mov_b32 v63, 0 :: v_dual_mov_b32 v62, 0
	;; [unrolled: 1-line block ×7, first 2 shown]
	s_waitcnt vmcnt(6)
	v_dual_mov_b32 v15, 0 :: v_dual_mov_b32 v14, 0
	v_dual_mov_b32 v13, 0 :: v_dual_mov_b32 v12, 0
	v_dual_mov_b32 v31, 0 :: v_dual_mov_b32 v30, 0
	v_dual_mov_b32 v29, 0 :: v_dual_mov_b32 v28, 0
	v_dual_mov_b32 v55, 0 :: v_dual_mov_b32 v54, 0
	v_dual_mov_b32 v53, 0 :: v_dual_mov_b32 v52, 0
	s_and_saveexec_b32 s2, vcc_lo
	s_cbranch_execz .LBB300_17
; %bb.19:                               ;   in Loop: Header=BB300_18 Depth=2
	s_mov_b32 s3, exec_lo
                                        ; implicit-def: $vgpr55
	v_cmpx_lt_u32_e32 0x7fff, v81
	s_xor_b32 s3, exec_lo, s3
	s_cbranch_execz .LBB300_21
; %bb.20:                               ;   in Loop: Header=BB300_18 Depth=2
	v_mov_b32_e32 v82, v70
	s_delay_alu instid0(VALU_DEP_1) | instskip(NEXT) | instid1(VALU_DEP_1)
	v_lshlrev_b64 v[0:1], 1, v[81:82]
	v_add_co_u32 v0, vcc_lo, s12, v0
	s_delay_alu instid0(VALU_DEP_2)
	v_add_co_ci_u32_e32 v1, vcc_lo, s13, v1, vcc_lo
	global_load_b128 v[52:55], v[0:1], off
.LBB300_21:                             ;   in Loop: Header=BB300_18 Depth=2
	s_and_not1_saveexec_b32 s3, s3
	s_cbranch_execz .LBB300_23
; %bb.22:                               ;   in Loop: Header=BB300_18 Depth=2
	s_waitcnt vmcnt(0)
	ds_load_b128 v[52:55], v104
.LBB300_23:                             ;   in Loop: Header=BB300_18 Depth=2
	s_or_b32 exec_lo, exec_lo, s3
	v_add_nc_u32_e32 v69, s1, v89
	s_mov_b32 s3, exec_lo
                                        ; implicit-def: $vgpr31
	s_delay_alu instid0(VALU_DEP_1)
	v_cmpx_lt_u32_e32 0x7fff, v69
	s_xor_b32 s3, exec_lo, s3
	s_cbranch_execz .LBB300_25
; %bb.24:                               ;   in Loop: Header=BB300_18 Depth=2
	v_lshlrev_b64 v[0:1], 1, v[69:70]
	s_delay_alu instid0(VALU_DEP_1) | instskip(NEXT) | instid1(VALU_DEP_2)
	v_add_co_u32 v0, vcc_lo, s12, v0
	v_add_co_ci_u32_e32 v1, vcc_lo, s13, v1, vcc_lo
	global_load_b128 v[28:31], v[0:1], off
.LBB300_25:                             ;   in Loop: Header=BB300_18 Depth=2
	s_and_not1_saveexec_b32 s3, s3
	s_cbranch_execz .LBB300_27
; %bb.26:                               ;   in Loop: Header=BB300_18 Depth=2
	v_add_nc_u32_e32 v0, s25, v104
	s_waitcnt vmcnt(0)
	ds_load_b128 v[28:31], v0
.LBB300_27:                             ;   in Loop: Header=BB300_18 Depth=2
	s_or_b32 exec_lo, exec_lo, s3
	v_add_nc_u32_e32 v86, s1, v90
	s_mov_b32 s3, exec_lo
                                        ; implicit-def: $vgpr15
	s_delay_alu instid0(VALU_DEP_1)
	v_cmpx_lt_u32_e32 0x7fff, v86
	s_xor_b32 s3, exec_lo, s3
	s_cbranch_execz .LBB300_29
; %bb.28:                               ;   in Loop: Header=BB300_18 Depth=2
	v_mov_b32_e32 v87, v70
	s_delay_alu instid0(VALU_DEP_1) | instskip(NEXT) | instid1(VALU_DEP_1)
	v_lshlrev_b64 v[0:1], 1, v[86:87]
	v_add_co_u32 v0, vcc_lo, s12, v0
	s_delay_alu instid0(VALU_DEP_2)
	v_add_co_ci_u32_e32 v1, vcc_lo, s13, v1, vcc_lo
	global_load_b128 v[12:15], v[0:1], off
.LBB300_29:                             ;   in Loop: Header=BB300_18 Depth=2
	s_and_not1_saveexec_b32 s3, s3
	s_cbranch_execz .LBB300_31
; %bb.30:                               ;   in Loop: Header=BB300_18 Depth=2
	v_add_nc_u32_e32 v0, s29, v104
	s_waitcnt vmcnt(0)
	ds_load_2addr_b32 v[12:13], v0 offset1:1
	ds_load_2addr_b32 v[14:15], v0 offset0:2 offset1:3
.LBB300_31:                             ;   in Loop: Header=BB300_18 Depth=2
	s_or_b32 exec_lo, exec_lo, s3
	v_add_nc_u32_e32 v84, s1, v71
	s_mov_b32 s3, exec_lo
                                        ; implicit-def: $vgpr7
	s_delay_alu instid0(VALU_DEP_1)
	v_cmpx_lt_u32_e32 0x7fff, v84
	s_xor_b32 s3, exec_lo, s3
	s_cbranch_execz .LBB300_33
; %bb.32:                               ;   in Loop: Header=BB300_18 Depth=2
	v_mov_b32_e32 v85, v70
	s_delay_alu instid0(VALU_DEP_1) | instskip(NEXT) | instid1(VALU_DEP_1)
	v_lshlrev_b64 v[0:1], 1, v[84:85]
	v_add_co_u32 v0, vcc_lo, s12, v0
	s_delay_alu instid0(VALU_DEP_2)
	v_add_co_ci_u32_e32 v1, vcc_lo, s13, v1, vcc_lo
	global_load_b128 v[4:7], v[0:1], off
.LBB300_33:                             ;   in Loop: Header=BB300_18 Depth=2
	s_and_not1_saveexec_b32 s3, s3
	s_cbranch_execz .LBB300_35
; %bb.34:                               ;   in Loop: Header=BB300_18 Depth=2
	v_add_nc_u32_e32 v0, s33, v104
	s_waitcnt vmcnt(0)
	ds_load_b128 v[4:7], v0
.LBB300_35:                             ;   in Loop: Header=BB300_18 Depth=2
	s_or_b32 exec_lo, exec_lo, s3
	v_add_nc_u32_e32 v82, s1, v93
	s_mov_b32 s3, exec_lo
                                        ; implicit-def: $vgpr3
	s_delay_alu instid0(VALU_DEP_1)
	v_cmpx_lt_u32_e32 0x7fff, v82
	s_xor_b32 s3, exec_lo, s3
	s_cbranch_execz .LBB300_37
; %bb.36:                               ;   in Loop: Header=BB300_18 Depth=2
	v_mov_b32_e32 v83, v70
	s_delay_alu instid0(VALU_DEP_1) | instskip(NEXT) | instid1(VALU_DEP_1)
	v_lshlrev_b64 v[0:1], 1, v[82:83]
	v_add_co_u32 v0, vcc_lo, s12, v0
	s_delay_alu instid0(VALU_DEP_2)
	v_add_co_ci_u32_e32 v1, vcc_lo, s13, v1, vcc_lo
	global_load_b128 v[0:3], v[0:1], off
.LBB300_37:                             ;   in Loop: Header=BB300_18 Depth=2
	s_and_not1_saveexec_b32 s3, s3
	s_cbranch_execz .LBB300_39
; %bb.38:                               ;   in Loop: Header=BB300_18 Depth=2
	s_waitcnt vmcnt(0)
	v_add_nc_u32_e32 v0, s6, v104
	ds_load_2addr_b64 v[0:3], v0 offset1:1
.LBB300_39:                             ;   in Loop: Header=BB300_18 Depth=2
	s_or_b32 exec_lo, exec_lo, s3
	v_cmp_gt_u32_e32 vcc_lo, s4, v80
	v_dual_mov_b32 v11, 0 :: v_dual_mov_b32 v10, 0
	v_dual_mov_b32 v9, 0 :: v_dual_mov_b32 v8, 0
	;; [unrolled: 1-line block ×10, first 2 shown]
	s_and_saveexec_b32 s3, vcc_lo
	s_cbranch_execz .LBB300_16
; %bb.40:                               ;   in Loop: Header=BB300_18 Depth=2
	s_mov_b32 s18, exec_lo
                                        ; implicit-def: $vgpr63
	v_cmpx_lt_u32_e32 0x7fff, v80
	s_xor_b32 s18, exec_lo, s18
	s_cbranch_execz .LBB300_42
; %bb.41:                               ;   in Loop: Header=BB300_18 Depth=2
	v_mov_b32_e32 v81, v70
	s_delay_alu instid0(VALU_DEP_1) | instskip(NEXT) | instid1(VALU_DEP_1)
	v_lshlrev_b64 v[8:9], 1, v[80:81]
	v_add_co_u32 v8, vcc_lo, s12, v8
	s_delay_alu instid0(VALU_DEP_2)
	v_add_co_ci_u32_e32 v9, vcc_lo, s13, v9, vcc_lo
	global_load_b128 v[60:63], v[8:9], off
.LBB300_42:                             ;   in Loop: Header=BB300_18 Depth=2
	s_and_not1_saveexec_b32 s18, s18
	s_cbranch_execz .LBB300_44
; %bb.43:                               ;   in Loop: Header=BB300_18 Depth=2
	s_waitcnt vmcnt(0)
	ds_load_b128 v[60:63], v104 offset:1024
.LBB300_44:                             ;   in Loop: Header=BB300_18 Depth=2
	s_or_b32 exec_lo, exec_lo, s18
	v_add_nc_u32_e32 v69, 0x200, v69
	s_mov_b32 s18, exec_lo
                                        ; implicit-def: $vgpr59
	s_delay_alu instid0(VALU_DEP_1)
	v_cmpx_lt_u32_e32 0x7fff, v69
	s_xor_b32 s18, exec_lo, s18
	s_cbranch_execz .LBB300_46
; %bb.45:                               ;   in Loop: Header=BB300_18 Depth=2
	v_lshlrev_b64 v[8:9], 1, v[69:70]
	s_delay_alu instid0(VALU_DEP_1) | instskip(NEXT) | instid1(VALU_DEP_2)
	v_add_co_u32 v8, vcc_lo, s12, v8
	v_add_co_ci_u32_e32 v9, vcc_lo, s13, v9, vcc_lo
	global_load_b128 v[56:59], v[8:9], off
.LBB300_46:                             ;   in Loop: Header=BB300_18 Depth=2
	s_and_not1_saveexec_b32 s18, s18
	s_cbranch_execz .LBB300_48
; %bb.47:                               ;   in Loop: Header=BB300_18 Depth=2
	v_add_nc_u32_e32 v8, s25, v104
	s_waitcnt vmcnt(0)
	ds_load_b128 v[56:59], v8 offset:1024
.LBB300_48:                             ;   in Loop: Header=BB300_18 Depth=2
	s_or_b32 exec_lo, exec_lo, s18
	v_add_nc_u32_e32 v69, 0x200, v86
	s_mov_b32 s18, exec_lo
                                        ; implicit-def: $vgpr47
	s_delay_alu instid0(VALU_DEP_1)
	v_cmpx_lt_u32_e32 0x7fff, v69
	s_xor_b32 s18, exec_lo, s18
	s_cbranch_execz .LBB300_50
; %bb.49:                               ;   in Loop: Header=BB300_18 Depth=2
	v_lshlrev_b64 v[8:9], 1, v[69:70]
	s_delay_alu instid0(VALU_DEP_1) | instskip(NEXT) | instid1(VALU_DEP_2)
	v_add_co_u32 v8, vcc_lo, s12, v8
	v_add_co_ci_u32_e32 v9, vcc_lo, s13, v9, vcc_lo
	global_load_b128 v[44:47], v[8:9], off
.LBB300_50:                             ;   in Loop: Header=BB300_18 Depth=2
	s_and_not1_saveexec_b32 s18, s18
	s_cbranch_execz .LBB300_52
; %bb.51:                               ;   in Loop: Header=BB300_18 Depth=2
	v_add_nc_u32_e32 v8, s29, v104
	s_delay_alu instid0(VALU_DEP_1)
	v_add_nc_u32_e32 v9, 0x400, v8
	v_add_nc_u32_e32 v8, 0x408, v8
	s_waitcnt vmcnt(0)
	ds_load_2addr_b32 v[44:45], v9 offset1:1
	ds_load_2addr_b32 v[46:47], v8 offset1:1
.LBB300_52:                             ;   in Loop: Header=BB300_18 Depth=2
	s_or_b32 exec_lo, exec_lo, s18
	v_add_nc_u32_e32 v69, 0x200, v84
	s_mov_b32 s18, exec_lo
                                        ; implicit-def: $vgpr27
	s_delay_alu instid0(VALU_DEP_1)
	v_cmpx_lt_u32_e32 0x7fff, v69
	s_xor_b32 s18, exec_lo, s18
	s_cbranch_execz .LBB300_54
; %bb.53:                               ;   in Loop: Header=BB300_18 Depth=2
	v_lshlrev_b64 v[8:9], 1, v[69:70]
	s_delay_alu instid0(VALU_DEP_1) | instskip(NEXT) | instid1(VALU_DEP_2)
	v_add_co_u32 v8, vcc_lo, s12, v8
	v_add_co_ci_u32_e32 v9, vcc_lo, s13, v9, vcc_lo
	global_load_b128 v[24:27], v[8:9], off
.LBB300_54:                             ;   in Loop: Header=BB300_18 Depth=2
	s_and_not1_saveexec_b32 s18, s18
	s_cbranch_execz .LBB300_56
; %bb.55:                               ;   in Loop: Header=BB300_18 Depth=2
	v_add_nc_u32_e32 v8, s33, v104
	s_waitcnt vmcnt(0)
	ds_load_b128 v[24:27], v8 offset:1024
.LBB300_56:                             ;   in Loop: Header=BB300_18 Depth=2
	s_or_b32 exec_lo, exec_lo, s18
	v_add_nc_u32_e32 v69, 0x200, v82
	s_mov_b32 s18, exec_lo
                                        ; implicit-def: $vgpr11
	s_delay_alu instid0(VALU_DEP_1)
	v_cmpx_lt_u32_e32 0x7fff, v69
	s_xor_b32 s18, exec_lo, s18
	s_cbranch_execz .LBB300_58
; %bb.57:                               ;   in Loop: Header=BB300_18 Depth=2
	v_lshlrev_b64 v[8:9], 1, v[69:70]
	s_delay_alu instid0(VALU_DEP_1) | instskip(NEXT) | instid1(VALU_DEP_2)
	v_add_co_u32 v8, vcc_lo, s12, v8
	v_add_co_ci_u32_e32 v9, vcc_lo, s13, v9, vcc_lo
	global_load_b128 v[8:11], v[8:9], off
.LBB300_58:                             ;   in Loop: Header=BB300_18 Depth=2
	s_and_not1_saveexec_b32 s18, s18
	s_cbranch_execz .LBB300_15
; %bb.59:                               ;   in Loop: Header=BB300_18 Depth=2
	s_waitcnt vmcnt(0)
	v_add_nc_u32_e32 v8, s6, v104
	ds_load_2addr_b64 v[8:11], v8 offset0:128 offset1:129
	s_branch .LBB300_15
.LBB300_60:                             ;   in Loop: Header=BB300_13 Depth=1
	s_delay_alu instid0(VALU_DEP_1)
	v_cvt_i32_f32_e32 v0, v107
	s_waitcnt lgkmcnt(0)
	v_cvt_i32_f32_e32 v1, v109
	v_cvt_i32_f32_e32 v2, v108
	;; [unrolled: 1-line block ×4, first 2 shown]
	v_cvt_f32_i32_dpp v0, v0 row_shr:8 row_mask:0xf bank_mask:0xf bound_ctrl:1
	v_cvt_f32_i32_dpp v1, v1 row_shr:8 row_mask:0xf bank_mask:0xf bound_ctrl:1
	;; [unrolled: 1-line block ×5, first 2 shown]
	s_delay_alu instid0(VALU_DEP_4) | instskip(NEXT) | instid1(VALU_DEP_3)
	v_dual_add_f32 v0, v107, v0 :: v_dual_add_f32 v1, v109, v1
	v_dual_add_f32 v2, v108, v2 :: v_dual_add_f32 v3, v106, v3
	s_delay_alu instid0(VALU_DEP_2) | instskip(NEXT) | instid1(VALU_DEP_3)
	v_cvt_i32_f32_e32 v5, v0
	v_cvt_i32_f32_e32 v6, v1
	s_delay_alu instid0(VALU_DEP_3) | instskip(NEXT) | instid1(VALU_DEP_4)
	v_cvt_i32_f32_e32 v7, v2
	v_cvt_i32_f32_e32 v8, v3
	s_delay_alu instid0(VALU_DEP_4) | instskip(NEXT) | instid1(VALU_DEP_4)
	v_cvt_f32_i32_dpp v5, v5 row_shr:4 row_mask:0xf bank_mask:0xf bound_ctrl:1
	v_cvt_f32_i32_dpp v6, v6 row_shr:4 row_mask:0xf bank_mask:0xf bound_ctrl:1
	s_delay_alu instid0(VALU_DEP_4) | instskip(NEXT) | instid1(VALU_DEP_4)
	v_cvt_f32_i32_dpp v7, v7 row_shr:4 row_mask:0xf bank_mask:0xf bound_ctrl:1
	v_cvt_f32_i32_dpp v8, v8 row_shr:4 row_mask:0xf bank_mask:0xf bound_ctrl:1
	s_delay_alu instid0(VALU_DEP_3) | instskip(NEXT) | instid1(VALU_DEP_2)
	v_dual_add_f32 v0, v0, v5 :: v_dual_add_f32 v1, v1, v6
	v_dual_add_f32 v2, v2, v7 :: v_dual_add_f32 v3, v3, v8
	s_delay_alu instid0(VALU_DEP_2) | instskip(NEXT) | instid1(VALU_DEP_3)
	v_cvt_i32_f32_e32 v5, v0
	v_cvt_i32_f32_e32 v6, v1
	s_delay_alu instid0(VALU_DEP_3) | instskip(NEXT) | instid1(VALU_DEP_4)
	v_cvt_i32_f32_e32 v7, v2
	v_cvt_i32_f32_e32 v8, v3
	s_delay_alu instid0(VALU_DEP_4) | instskip(NEXT) | instid1(VALU_DEP_4)
	v_cvt_f32_i32_dpp v5, v5 row_shr:2 row_mask:0xf bank_mask:0xf bound_ctrl:1
	v_cvt_f32_i32_dpp v6, v6 row_shr:2 row_mask:0xf bank_mask:0xf bound_ctrl:1
	s_delay_alu instid0(VALU_DEP_4) | instskip(NEXT) | instid1(VALU_DEP_4)
	v_cvt_f32_i32_dpp v7, v7 row_shr:2 row_mask:0xf bank_mask:0xf bound_ctrl:1
	v_cvt_f32_i32_dpp v8, v8 row_shr:2 row_mask:0xf bank_mask:0xf bound_ctrl:1
	s_delay_alu instid0(VALU_DEP_3) | instskip(NEXT) | instid1(VALU_DEP_2)
	v_dual_add_f32 v0, v0, v5 :: v_dual_add_f32 v1, v1, v6
	v_add_f32_e32 v3, v3, v8
	s_delay_alu instid0(VALU_DEP_2) | instskip(NEXT) | instid1(VALU_DEP_3)
	v_cvt_i32_f32_e32 v5, v0
	v_cvt_i32_f32_e32 v6, v1
	s_delay_alu instid0(VALU_DEP_3) | instskip(NEXT) | instid1(VALU_DEP_3)
	v_cvt_i32_f32_e32 v8, v3
	v_cvt_f32_i32_dpp v5, v5 row_shr:1 row_mask:0xf bank_mask:0xf bound_ctrl:1
	s_delay_alu instid0(VALU_DEP_3) | instskip(SKIP_1) | instid1(VALU_DEP_4)
	v_cvt_f32_i32_dpp v6, v6 row_shr:1 row_mask:0xf bank_mask:0xf bound_ctrl:1
	v_add_f32_e32 v2, v2, v7
	v_cvt_f32_i32_dpp v8, v8 row_shr:1 row_mask:0xf bank_mask:0xf bound_ctrl:1
	s_delay_alu instid0(VALU_DEP_4)
	v_add_f32_e32 v34, v0, v5
	v_cvt_i32_f32_e32 v0, v98
	v_add_f32_e32 v31, v1, v6
	v_cvt_i32_f32_e32 v7, v2
	v_cvt_i32_f32_e32 v1, v101
	v_add_f32_e32 v25, v3, v8
	v_cvt_f32_i32_dpp v0, v0 row_shr:8 row_mask:0xf bank_mask:0xf bound_ctrl:1
	v_cvt_i32_f32_e32 v3, v97
	v_cvt_f32_i32_dpp v7, v7 row_shr:1 row_mask:0xf bank_mask:0xf bound_ctrl:1
	v_cvt_f32_i32_dpp v1, v1 row_shr:8 row_mask:0xf bank_mask:0xf bound_ctrl:1
	ds_bpermute_b32 v32, v91, v31
	v_add_f32_e32 v0, v98, v0
	v_cvt_f32_i32_dpp v3, v3 row_shr:8 row_mask:0xf bank_mask:0xf bound_ctrl:1
	ds_bpermute_b32 v26, v91, v25
	v_dual_add_f32 v28, v2, v7 :: v_dual_add_f32 v1, v101, v1
	v_cvt_i32_f32_e32 v5, v0
	v_cvt_i32_f32_e32 v2, v100
	v_add_f32_e32 v3, v97, v3
	ds_bpermute_b32 v35, v91, v34
	v_cvt_i32_f32_e32 v6, v1
	v_cvt_f32_i32_dpp v5, v5 row_shr:4 row_mask:0xf bank_mask:0xf bound_ctrl:1
	v_cvt_f32_i32_dpp v2, v2 row_shr:8 row_mask:0xf bank_mask:0xf bound_ctrl:1
	v_cvt_i32_f32_e32 v8, v3
	ds_bpermute_b32 v29, v91, v28
	v_cvt_f32_i32_dpp v6, v6 row_shr:4 row_mask:0xf bank_mask:0xf bound_ctrl:1
	v_add_f32_e32 v0, v0, v5
	v_cvt_f32_i32_dpp v8, v8 row_shr:4 row_mask:0xf bank_mask:0xf bound_ctrl:1
	v_add_f32_e32 v2, v100, v2
	s_delay_alu instid0(VALU_DEP_4) | instskip(NEXT) | instid1(VALU_DEP_4)
	v_add_f32_e32 v1, v1, v6
	v_cvt_i32_f32_e32 v5, v0
	s_delay_alu instid0(VALU_DEP_4) | instskip(NEXT) | instid1(VALU_DEP_4)
	v_add_f32_e32 v3, v3, v8
	v_cvt_i32_f32_e32 v7, v2
	s_delay_alu instid0(VALU_DEP_4) | instskip(NEXT) | instid1(VALU_DEP_4)
	v_cvt_i32_f32_e32 v6, v1
	v_cvt_f32_i32_dpp v5, v5 row_shr:2 row_mask:0xf bank_mask:0xf bound_ctrl:1
	s_delay_alu instid0(VALU_DEP_4) | instskip(NEXT) | instid1(VALU_DEP_4)
	v_cvt_i32_f32_e32 v8, v3
	v_cvt_f32_i32_dpp v7, v7 row_shr:4 row_mask:0xf bank_mask:0xf bound_ctrl:1
	s_delay_alu instid0(VALU_DEP_4) | instskip(NEXT) | instid1(VALU_DEP_4)
	v_cvt_f32_i32_dpp v6, v6 row_shr:2 row_mask:0xf bank_mask:0xf bound_ctrl:1
	v_add_f32_e32 v0, v0, v5
	s_delay_alu instid0(VALU_DEP_4) | instskip(NEXT) | instid1(VALU_DEP_3)
	v_cvt_f32_i32_dpp v8, v8 row_shr:2 row_mask:0xf bank_mask:0xf bound_ctrl:1
	v_add_f32_e32 v1, v1, v6
	s_delay_alu instid0(VALU_DEP_3) | instskip(NEXT) | instid1(VALU_DEP_3)
	v_cvt_i32_f32_e32 v5, v0
	v_add_f32_e32 v3, v3, v8
	s_delay_alu instid0(VALU_DEP_3) | instskip(NEXT) | instid1(VALU_DEP_3)
	v_cvt_i32_f32_e32 v6, v1
	v_cvt_f32_i32_dpp v5, v5 row_shr:1 row_mask:0xf bank_mask:0xf bound_ctrl:1
	v_add_f32_e32 v4, v105, v4
	s_delay_alu instid0(VALU_DEP_4) | instskip(NEXT) | instid1(VALU_DEP_4)
	v_cvt_i32_f32_e32 v8, v3
	v_cvt_f32_i32_dpp v6, v6 row_shr:1 row_mask:0xf bank_mask:0xf bound_ctrl:1
	s_delay_alu instid0(VALU_DEP_4) | instskip(NEXT) | instid1(VALU_DEP_4)
	v_add_f32_e32 v23, v0, v5
	v_cvt_i32_f32_e32 v9, v4
	s_delay_alu instid0(VALU_DEP_4)
	v_cvt_f32_i32_dpp v8, v8 row_shr:1 row_mask:0xf bank_mask:0xf bound_ctrl:1
	v_cvt_i32_f32_e32 v0, v103
	v_add_f32_e32 v18, v1, v6
	v_cvt_i32_f32_e32 v1, v102
	v_cvt_f32_i32_dpp v9, v9 row_shr:4 row_mask:0xf bank_mask:0xf bound_ctrl:1
	v_add_f32_e32 v12, v3, v8
	v_cvt_i32_f32_e32 v3, v95
	v_cvt_f32_i32_dpp v0, v0 row_shr:8 row_mask:0xf bank_mask:0xf bound_ctrl:1
	ds_bpermute_b32 v24, v91, v23
	v_add_f32_e32 v4, v4, v9
	v_cvt_f32_i32_dpp v1, v1 row_shr:8 row_mask:0xf bank_mask:0xf bound_ctrl:1
	v_cvt_f32_i32_dpp v3, v3 row_shr:8 row_mask:0xf bank_mask:0xf bound_ctrl:1
	v_add_f32_e32 v0, v103, v0
	s_delay_alu instid0(VALU_DEP_4) | instskip(NEXT) | instid1(VALU_DEP_4)
	v_cvt_i32_f32_e32 v9, v4
	v_add_f32_e32 v1, v102, v1
	ds_bpermute_b32 v19, v91, v18
	v_cvt_i32_f32_e32 v5, v0
	v_add_f32_e32 v3, v95, v3
	v_cvt_f32_i32_dpp v9, v9 row_shr:2 row_mask:0xf bank_mask:0xf bound_ctrl:1
	v_cvt_i32_f32_e32 v6, v1
	s_delay_alu instid0(VALU_DEP_4) | instskip(NEXT) | instid1(VALU_DEP_4)
	v_cvt_f32_i32_dpp v5, v5 row_shr:4 row_mask:0xf bank_mask:0xf bound_ctrl:1
	v_cvt_i32_f32_e32 v10, v3
	s_delay_alu instid0(VALU_DEP_4) | instskip(NEXT) | instid1(VALU_DEP_4)
	v_add_f32_e32 v4, v4, v9
	v_cvt_f32_i32_dpp v6, v6 row_shr:4 row_mask:0xf bank_mask:0xf bound_ctrl:1
	v_add_f32_e32 v2, v2, v7
	v_add_f32_e32 v0, v0, v5
	v_cvt_f32_i32_dpp v10, v10 row_shr:4 row_mask:0xf bank_mask:0xf bound_ctrl:1
	v_cvt_i32_f32_e32 v9, v4
	v_add_f32_e32 v1, v1, v6
	v_cvt_i32_f32_e32 v7, v2
	v_cvt_i32_f32_e32 v5, v0
	v_add_f32_e32 v3, v3, v10
	v_cvt_f32_i32_dpp v9, v9 row_shr:1 row_mask:0xf bank_mask:0xf bound_ctrl:1
	v_cvt_i32_f32_e32 v6, v1
	v_cvt_f32_i32_dpp v7, v7 row_shr:2 row_mask:0xf bank_mask:0xf bound_ctrl:1
	v_cvt_f32_i32_dpp v5, v5 row_shr:2 row_mask:0xf bank_mask:0xf bound_ctrl:1
	v_cvt_i32_f32_e32 v10, v3
	v_add_f32_e32 v20, v4, v9
	v_cvt_i32_f32_e32 v4, v99
	v_cvt_f32_i32_dpp v6, v6 row_shr:2 row_mask:0xf bank_mask:0xf bound_ctrl:1
	v_add_f32_e32 v2, v2, v7
	v_add_f32_e32 v0, v0, v5
	ds_bpermute_b32 v21, v91, v20
	v_cvt_f32_i32_dpp v4, v4 row_shr:8 row_mask:0xf bank_mask:0xf bound_ctrl:1
	v_add_f32_e32 v1, v1, v6
	v_cvt_i32_f32_e32 v7, v2
	v_cvt_f32_i32_dpp v10, v10 row_shr:2 row_mask:0xf bank_mask:0xf bound_ctrl:1
	s_delay_alu instid0(VALU_DEP_3) | instskip(NEXT) | instid1(VALU_DEP_3)
	v_cvt_i32_f32_e32 v6, v1
	v_cvt_f32_i32_dpp v7, v7 row_shr:1 row_mask:0xf bank_mask:0xf bound_ctrl:1
	v_add_f32_e32 v4, v99, v4
	s_delay_alu instid0(VALU_DEP_4) | instskip(NEXT) | instid1(VALU_DEP_4)
	v_add_f32_e32 v3, v3, v10
	v_cvt_f32_i32_dpp v6, v6 row_shr:1 row_mask:0xf bank_mask:0xf bound_ctrl:1
	s_delay_alu instid0(VALU_DEP_4) | instskip(NEXT) | instid1(VALU_DEP_4)
	v_add_f32_e32 v15, v2, v7
	v_cvt_i32_f32_e32 v9, v4
	v_cvt_i32_f32_e32 v2, v96
	;; [unrolled: 1-line block ×3, first 2 shown]
	v_add_f32_e32 v6, v1, v6
	ds_bpermute_b32 v16, v91, v15
	v_cvt_f32_i32_dpp v9, v9 row_shr:4 row_mask:0xf bank_mask:0xf bound_ctrl:1
	v_cvt_f32_i32_dpp v2, v2 row_shr:8 row_mask:0xf bank_mask:0xf bound_ctrl:1
	s_waitcnt vmcnt(0)
	v_cvt_f32_i32_dpp v14, v10 row_shr:1 row_mask:0xf bank_mask:0xf bound_ctrl:1
	s_delay_alu instid0(VALU_DEP_3) | instskip(NEXT) | instid1(VALU_DEP_3)
	v_add_f32_e32 v4, v4, v9
	v_add_f32_e32 v2, v96, v2
	s_delay_alu instid0(VALU_DEP_2) | instskip(NEXT) | instid1(VALU_DEP_2)
	v_cvt_i32_f32_e32 v9, v4
	v_cvt_i32_f32_e32 v7, v2
	s_delay_alu instid0(VALU_DEP_2) | instskip(NEXT) | instid1(VALU_DEP_2)
	v_cvt_f32_i32_dpp v9, v9 row_shr:2 row_mask:0xf bank_mask:0xf bound_ctrl:1
	v_cvt_f32_i32_dpp v7, v7 row_shr:4 row_mask:0xf bank_mask:0xf bound_ctrl:1
	s_delay_alu instid0(VALU_DEP_2) | instskip(NEXT) | instid1(VALU_DEP_2)
	v_add_f32_e32 v4, v4, v9
	v_add_f32_e32 v2, v2, v7
	s_delay_alu instid0(VALU_DEP_2) | instskip(NEXT) | instid1(VALU_DEP_2)
	v_cvt_i32_f32_e32 v9, v4
	v_cvt_i32_f32_e32 v7, v2
	s_delay_alu instid0(VALU_DEP_2) | instskip(NEXT) | instid1(VALU_DEP_2)
	v_cvt_f32_i32_dpp v9, v9 row_shr:1 row_mask:0xf bank_mask:0xf bound_ctrl:1
	v_cvt_f32_i32_dpp v7, v7 row_shr:2 row_mask:0xf bank_mask:0xf bound_ctrl:1
	s_delay_alu instid0(VALU_DEP_2) | instskip(SKIP_1) | instid1(VALU_DEP_3)
	v_add_f32_e32 v8, v4, v9
	v_cvt_i32_f32_e32 v4, v94
	v_add_f32_e32 v2, v2, v7
	ds_bpermute_b32 v9, v91, v8
	v_cvt_f32_i32_dpp v4, v4 row_shr:8 row_mask:0xf bank_mask:0xf bound_ctrl:1
	v_cvt_i32_f32_e32 v7, v2
	s_delay_alu instid0(VALU_DEP_2) | instskip(NEXT) | instid1(VALU_DEP_2)
	v_add_f32_e32 v4, v94, v4
	v_cvt_f32_i32_dpp v7, v7 row_shr:1 row_mask:0xf bank_mask:0xf bound_ctrl:1
	s_delay_alu instid0(VALU_DEP_2) | instskip(NEXT) | instid1(VALU_DEP_1)
	v_cvt_i32_f32_e32 v11, v4
	v_cvt_f32_i32_dpp v11, v11 row_shr:4 row_mask:0xf bank_mask:0xf bound_ctrl:1
	s_delay_alu instid0(VALU_DEP_1) | instskip(NEXT) | instid1(VALU_DEP_1)
	v_add_f32_e32 v4, v4, v11
	v_cvt_i32_f32_e32 v11, v4
	s_delay_alu instid0(VALU_DEP_1) | instskip(NEXT) | instid1(VALU_DEP_1)
	v_cvt_f32_i32_dpp v11, v11 row_shr:2 row_mask:0xf bank_mask:0xf bound_ctrl:1
	v_add_f32_e32 v5, v4, v11
	v_cvt_i32_f32_e32 v4, v0
	ds_bpermute_b32 v13, v91, v12
	v_cvt_i32_f32_e32 v11, v5
	v_cvt_f32_i32_dpp v4, v4 row_shr:1 row_mask:0xf bank_mask:0xf bound_ctrl:1
	s_delay_alu instid0(VALU_DEP_2) | instskip(NEXT) | instid1(VALU_DEP_2)
	v_cvt_f32_i32_dpp v11, v11 row_shr:1 row_mask:0xf bank_mask:0xf bound_ctrl:1
	v_add_f32_e32 v10, v0, v4
	v_add_f32_e32 v4, v2, v7
	;; [unrolled: 1-line block ×3, first 2 shown]
	ds_bpermute_b32 v7, v91, v6
	v_add_f32_e32 v0, v5, v11
	ds_bpermute_b32 v11, v91, v10
	ds_bpermute_b32 v5, v91, v4
	;; [unrolled: 1-line block ×4, first 2 shown]
	s_and_saveexec_b32 s18, s0
	s_cbranch_execz .LBB300_153
; %bb.61:                               ;   in Loop: Header=BB300_13 Depth=1
	v_dual_mov_b32 v44, 0 :: v_dual_mov_b32 v43, 0
	v_dual_mov_b32 v42, 0 :: v_dual_mov_b32 v41, 0
	;; [unrolled: 1-line block ×7, first 2 shown]
	v_mov_b32_e32 v14, 0
	s_and_not1_b32 vcc_lo, exec_lo, s23
	s_cbranch_vccnz .LBB300_63
; %bb.62:                               ;   in Loop: Header=BB300_13 Depth=1
	v_mul_hi_u32 v14, v68, v92
	v_mul_hi_u32 v17, v73, v92
	;; [unrolled: 1-line block ×3, first 2 shown]
	v_mov_b32_e32 v61, v70
	s_delay_alu instid0(VALU_DEP_4) | instskip(NEXT) | instid1(VALU_DEP_4)
	v_mul_lo_u32 v14, v14, s14
	v_mul_lo_u32 v17, v17, s14
	s_delay_alu instid0(VALU_DEP_4) | instskip(NEXT) | instid1(VALU_DEP_3)
	v_mul_lo_u32 v22, v22, s14
	v_sub_nc_u32_e32 v14, v68, v14
	s_delay_alu instid0(VALU_DEP_3) | instskip(NEXT) | instid1(VALU_DEP_3)
	v_sub_nc_u32_e32 v17, v73, v17
	v_sub_nc_u32_e32 v22, v72, v22
	s_delay_alu instid0(VALU_DEP_3) | instskip(SKIP_1) | instid1(VALU_DEP_4)
	v_subrev_nc_u32_e32 v27, s14, v14
	v_cmp_le_u32_e32 vcc_lo, s14, v14
	v_subrev_nc_u32_e32 v30, s14, v17
	s_delay_alu instid0(VALU_DEP_4) | instskip(NEXT) | instid1(VALU_DEP_4)
	v_subrev_nc_u32_e32 v33, s14, v22
	v_cndmask_b32_e32 v14, v14, v27, vcc_lo
	v_cmp_le_u32_e32 vcc_lo, s14, v17
	v_mov_b32_e32 v38, v70
	s_delay_alu instid0(VALU_DEP_3) | instskip(SKIP_2) | instid1(VALU_DEP_2)
	v_subrev_nc_u32_e32 v27, s14, v14
	v_cndmask_b32_e32 v17, v17, v30, vcc_lo
	v_cmp_le_u32_e32 vcc_lo, s14, v22
	v_subrev_nc_u32_e32 v30, s14, v17
	v_cndmask_b32_e32 v22, v22, v33, vcc_lo
	v_cmp_le_u32_e32 vcc_lo, s14, v14
	s_delay_alu instid0(VALU_DEP_2) | instskip(SKIP_2) | instid1(VALU_DEP_2)
	v_subrev_nc_u32_e32 v33, s14, v22
	v_cndmask_b32_e32 v69, v14, v27, vcc_lo
	v_cmp_le_u32_e32 vcc_lo, s14, v17
	v_dual_mov_b32 v46, v70 :: v_dual_add_nc_u32 v39, s27, v69
	v_cndmask_b32_e32 v37, v17, v30, vcc_lo
	v_cmp_le_u32_e32 vcc_lo, s14, v22
	v_lshlrev_b64 v[43:44], 1, v[69:70]
	v_mov_b32_e32 v40, v70
	v_mov_b32_e32 v53, v70
	v_lshlrev_b64 v[47:48], 1, v[37:38]
	v_cndmask_b32_e32 v45, v22, v33, vcc_lo
	v_add_nc_u32_e32 v41, s27, v37
	v_add_co_u32 v43, vcc_lo, s8, v43
	v_add_co_ci_u32_e32 v44, vcc_lo, s9, v44, vcc_lo
	s_delay_alu instid0(VALU_DEP_4) | instskip(SKIP_3) | instid1(VALU_DEP_4)
	v_lshlrev_b64 v[49:50], 1, v[45:46]
	v_add_co_u32 v46, vcc_lo, s8, v47
	v_add_co_ci_u32_e32 v47, vcc_lo, s9, v48, vcc_lo
	v_lshlrev_b64 v[38:39], 1, v[39:40]
	v_add_co_u32 v48, vcc_lo, s8, v49
	v_add_co_ci_u32_e32 v49, vcc_lo, s9, v50, vcc_lo
	v_add_nc_u32_e32 v50, s27, v45
	v_mov_b32_e32 v42, v70
	v_dual_mov_b32 v51, v70 :: v_dual_add_nc_u32 v52, s28, v69
	v_add_nc_u32_e32 v60, s30, v69
	v_add_nc_u32_e32 v69, s31, v69
	s_delay_alu instid0(VALU_DEP_4) | instskip(SKIP_3) | instid1(VALU_DEP_4)
	v_lshlrev_b64 v[40:41], 1, v[41:42]
	v_add_co_u32 v38, vcc_lo, s8, v38
	v_add_co_ci_u32_e32 v39, vcc_lo, s9, v39, vcc_lo
	v_lshlrev_b64 v[50:51], 1, v[50:51]
	v_add_co_u32 v54, vcc_lo, s8, v40
	v_add_co_ci_u32_e32 v55, vcc_lo, s9, v41, vcc_lo
	v_lshlrev_b64 v[40:41], 1, v[52:53]
	v_add_nc_u32_e32 v52, s28, v37
	v_add_co_u32 v50, vcc_lo, s8, v50
	v_add_co_ci_u32_e32 v51, vcc_lo, s9, v51, vcc_lo
	s_delay_alu instid0(VALU_DEP_3) | instskip(SKIP_3) | instid1(VALU_DEP_4)
	v_lshlrev_b64 v[52:53], 1, v[52:53]
	v_add_co_u32 v56, vcc_lo, s8, v40
	v_add_co_ci_u32_e32 v57, vcc_lo, s9, v41, vcc_lo
	v_dual_mov_b32 v41, v70 :: v_dual_add_nc_u32 v40, s28, v45
	v_add_co_u32 v52, vcc_lo, s8, v52
	v_add_co_ci_u32_e32 v53, vcc_lo, s9, v53, vcc_lo
	s_delay_alu instid0(VALU_DEP_3)
	v_lshlrev_b64 v[58:59], 1, v[40:41]
	s_clause 0x7
	global_load_u16 v44, v[43:44], off
	global_load_u16 v43, v[46:47], off
	;; [unrolled: 1-line block ×8, first 2 shown]
	v_dual_mov_b32 v49, v70 :: v_dual_add_nc_u32 v48, s30, v37
	v_lshlrev_b64 v[46:47], 1, v[60:61]
	v_dual_mov_b32 v53, v70 :: v_dual_add_nc_u32 v52, s30, v45
	v_add_co_u32 v50, vcc_lo, s8, v58
	s_delay_alu instid0(VALU_DEP_4)
	v_lshlrev_b64 v[48:49], 1, v[48:49]
	v_add_co_ci_u32_e32 v51, vcc_lo, s9, v59, vcc_lo
	v_lshlrev_b64 v[54:55], 1, v[69:70]
	v_add_nc_u32_e32 v69, s31, v37
	v_add_co_u32 v46, vcc_lo, s8, v46
	v_lshlrev_b64 v[52:53], 1, v[52:53]
	v_add_co_ci_u32_e32 v47, vcc_lo, s9, v47, vcc_lo
	v_add_co_u32 v48, vcc_lo, s8, v48
	v_lshlrev_b64 v[56:57], 1, v[69:70]
	v_add_nc_u32_e32 v69, s31, v45
	v_add_co_ci_u32_e32 v49, vcc_lo, s9, v49, vcc_lo
	v_add_co_u32 v52, vcc_lo, s8, v52
	v_add_co_ci_u32_e32 v53, vcc_lo, s9, v53, vcc_lo
	v_add_co_u32 v54, vcc_lo, s8, v54
	v_lshlrev_b64 v[58:59], 1, v[69:70]
	v_add_co_ci_u32_e32 v55, vcc_lo, s9, v55, vcc_lo
	v_add_co_u32 v56, vcc_lo, s8, v56
	v_add_co_ci_u32_e32 v57, vcc_lo, s9, v57, vcc_lo
	s_delay_alu instid0(VALU_DEP_4)
	v_add_co_u32 v58, vcc_lo, s8, v58
	v_add_co_ci_u32_e32 v59, vcc_lo, s9, v59, vcc_lo
	s_clause 0x6
	global_load_u16 v37, v[50:51], off
	global_load_u16 v33, v[46:47], off
	;; [unrolled: 1-line block ×7, first 2 shown]
.LBB300_63:                             ;   in Loop: Header=BB300_13 Depth=1
	v_cmp_ne_u32_e32 vcc_lo, 0, v64
	s_and_saveexec_b32 s2, vcc_lo
	s_cbranch_execnz .LBB300_78
; %bb.64:                               ;   in Loop: Header=BB300_13 Depth=1
	s_or_b32 exec_lo, exec_lo, s2
	v_cmp_ne_u32_e64 s1, 0, v65
	s_delay_alu instid0(VALU_DEP_1)
	s_and_saveexec_b32 s3, s1
	s_cbranch_execnz .LBB300_83
.LBB300_65:                             ;   in Loop: Header=BB300_13 Depth=1
	s_or_b32 exec_lo, exec_lo, s3
	v_cmp_ne_u32_e64 s2, 0, v66
	s_delay_alu instid0(VALU_DEP_1)
	s_and_saveexec_b32 s19, s2
	s_cbranch_execnz .LBB300_88
.LBB300_66:                             ;   in Loop: Header=BB300_13 Depth=1
	s_or_b32 exec_lo, exec_lo, s19
	v_add_nc_u32_e32 v69, s7, v68
	s_and_saveexec_b32 s19, vcc_lo
	s_cbranch_execnz .LBB300_93
.LBB300_67:                             ;   in Loop: Header=BB300_13 Depth=1
	s_or_b32 exec_lo, exec_lo, s19
	s_and_saveexec_b32 s19, s1
	s_cbranch_execnz .LBB300_98
.LBB300_68:                             ;   in Loop: Header=BB300_13 Depth=1
	s_or_b32 exec_lo, exec_lo, s19
	s_and_saveexec_b32 s19, s2
	s_cbranch_execnz .LBB300_103
.LBB300_69:                             ;   in Loop: Header=BB300_13 Depth=1
	s_or_b32 exec_lo, exec_lo, s19
	v_add_nc_u32_e32 v69, s7, v69
	s_and_saveexec_b32 s19, vcc_lo
	s_cbranch_execnz .LBB300_108
.LBB300_70:                             ;   in Loop: Header=BB300_13 Depth=1
	s_or_b32 exec_lo, exec_lo, s19
	s_and_saveexec_b32 s19, s1
	s_cbranch_execnz .LBB300_113
.LBB300_71:                             ;   in Loop: Header=BB300_13 Depth=1
	s_or_b32 exec_lo, exec_lo, s19
	s_and_saveexec_b32 s19, s2
	s_cbranch_execnz .LBB300_118
.LBB300_72:                             ;   in Loop: Header=BB300_13 Depth=1
	s_or_b32 exec_lo, exec_lo, s19
	v_add_nc_u32_e32 v69, s7, v69
	s_and_saveexec_b32 s19, vcc_lo
	s_cbranch_execnz .LBB300_123
.LBB300_73:                             ;   in Loop: Header=BB300_13 Depth=1
	s_or_b32 exec_lo, exec_lo, s19
	s_and_saveexec_b32 s19, s1
	s_cbranch_execnz .LBB300_128
.LBB300_74:                             ;   in Loop: Header=BB300_13 Depth=1
	s_or_b32 exec_lo, exec_lo, s19
	s_and_saveexec_b32 s19, s2
	s_cbranch_execnz .LBB300_133
.LBB300_75:                             ;   in Loop: Header=BB300_13 Depth=1
	s_or_b32 exec_lo, exec_lo, s19
	v_add_nc_u32_e32 v69, s7, v69
	s_and_saveexec_b32 s3, vcc_lo
	s_cbranch_execnz .LBB300_138
.LBB300_76:                             ;   in Loop: Header=BB300_13 Depth=1
	s_or_b32 exec_lo, exec_lo, s3
	s_and_saveexec_b32 s3, s1
	s_cbranch_execnz .LBB300_143
.LBB300_77:                             ;   in Loop: Header=BB300_13 Depth=1
	s_or_b32 exec_lo, exec_lo, s3
	s_delay_alu instid0(SALU_CYCLE_1)
	s_and_b32 exec_lo, exec_lo, s2
	s_cbranch_execnz .LBB300_148
	s_branch .LBB300_153
.LBB300_78:                             ;   in Loop: Header=BB300_13 Depth=1
	s_waitcnt vmcnt(14) lgkmcnt(0)
	v_dual_add_f32 v34, v34, v35 :: v_dual_lshlrev_b32 v35, 16, v44
	s_delay_alu instid0(VALU_DEP_1) | instskip(NEXT) | instid1(VALU_DEP_1)
	v_add_f32_e32 v35, v34, v35
	v_and_b32_e32 v34, 0x7f800000, v35
	s_delay_alu instid0(VALU_DEP_1) | instskip(NEXT) | instid1(VALU_DEP_1)
	v_cmp_ne_u32_e64 s1, 0x7f800000, v34
                                        ; implicit-def: $vgpr34
	s_and_saveexec_b32 s3, s1
	s_delay_alu instid0(SALU_CYCLE_1)
	s_xor_b32 s1, exec_lo, s3
; %bb.79:                               ;   in Loop: Header=BB300_13 Depth=1
	v_bfe_u32 v34, v35, 16, 1
	s_delay_alu instid0(VALU_DEP_1)
	v_add3_u32 v34, v35, v34, 0x7fff
                                        ; implicit-def: $vgpr35
; %bb.80:                               ;   in Loop: Header=BB300_13 Depth=1
	s_and_not1_saveexec_b32 s3, s1
; %bb.81:                               ;   in Loop: Header=BB300_13 Depth=1
	v_and_b32_e32 v34, 0xffff, v35
	v_or_b32_e32 v44, 0x10000, v35
	s_delay_alu instid0(VALU_DEP_2) | instskip(NEXT) | instid1(VALU_DEP_1)
	v_cmp_eq_u32_e64 s1, 0, v34
	v_cndmask_b32_e64 v34, v44, v35, s1
; %bb.82:                               ;   in Loop: Header=BB300_13 Depth=1
	s_or_b32 exec_lo, exec_lo, s3
	v_mov_b32_e32 v69, v70
	s_delay_alu instid0(VALU_DEP_1) | instskip(NEXT) | instid1(VALU_DEP_1)
	v_lshlrev_b64 v[44:45], 1, v[68:69]
	v_add_co_u32 v44, s1, s16, v44
	s_delay_alu instid0(VALU_DEP_1) | instskip(SKIP_3) | instid1(VALU_DEP_1)
	v_add_co_ci_u32_e64 v45, s1, s17, v45, s1
	global_store_d16_hi_b16 v[44:45], v34, off
	s_or_b32 exec_lo, exec_lo, s2
	v_cmp_ne_u32_e64 s1, 0, v65
	s_and_saveexec_b32 s3, s1
	s_cbranch_execz .LBB300_65
.LBB300_83:                             ;   in Loop: Header=BB300_13 Depth=1
	s_waitcnt vmcnt(13) lgkmcnt(0)
	v_dual_add_f32 v31, v31, v32 :: v_dual_lshlrev_b32 v32, 16, v43
	s_delay_alu instid0(VALU_DEP_1) | instskip(NEXT) | instid1(VALU_DEP_1)
	v_add_f32_e32 v32, v31, v32
	v_and_b32_e32 v31, 0x7f800000, v32
	s_delay_alu instid0(VALU_DEP_1) | instskip(NEXT) | instid1(VALU_DEP_1)
	v_cmp_ne_u32_e64 s2, 0x7f800000, v31
                                        ; implicit-def: $vgpr31
	s_and_saveexec_b32 s19, s2
	s_delay_alu instid0(SALU_CYCLE_1)
	s_xor_b32 s2, exec_lo, s19
; %bb.84:                               ;   in Loop: Header=BB300_13 Depth=1
	v_bfe_u32 v31, v32, 16, 1
	s_delay_alu instid0(VALU_DEP_1)
	v_add3_u32 v31, v32, v31, 0x7fff
                                        ; implicit-def: $vgpr32
; %bb.85:                               ;   in Loop: Header=BB300_13 Depth=1
	s_and_not1_saveexec_b32 s19, s2
; %bb.86:                               ;   in Loop: Header=BB300_13 Depth=1
	v_and_b32_e32 v31, 0xffff, v32
	v_or_b32_e32 v34, 0x10000, v32
	s_delay_alu instid0(VALU_DEP_2) | instskip(NEXT) | instid1(VALU_DEP_1)
	v_cmp_eq_u32_e64 s2, 0, v31
	v_cndmask_b32_e64 v31, v34, v32, s2
; %bb.87:                               ;   in Loop: Header=BB300_13 Depth=1
	s_or_b32 exec_lo, exec_lo, s19
	v_mov_b32_e32 v74, v70
	s_delay_alu instid0(VALU_DEP_1) | instskip(NEXT) | instid1(VALU_DEP_1)
	v_lshlrev_b64 v[34:35], 1, v[73:74]
	v_add_co_u32 v34, s2, s16, v34
	s_delay_alu instid0(VALU_DEP_1) | instskip(SKIP_3) | instid1(VALU_DEP_1)
	v_add_co_ci_u32_e64 v35, s2, s17, v35, s2
	global_store_d16_hi_b16 v[34:35], v31, off
	s_or_b32 exec_lo, exec_lo, s3
	v_cmp_ne_u32_e64 s2, 0, v66
	s_and_saveexec_b32 s19, s2
	s_cbranch_execz .LBB300_66
.LBB300_88:                             ;   in Loop: Header=BB300_13 Depth=1
	s_waitcnt vmcnt(12) lgkmcnt(0)
	v_dual_add_f32 v28, v28, v29 :: v_dual_lshlrev_b32 v29, 16, v42
	s_delay_alu instid0(VALU_DEP_1) | instskip(NEXT) | instid1(VALU_DEP_1)
	v_add_f32_e32 v29, v28, v29
	v_and_b32_e32 v28, 0x7f800000, v29
	s_delay_alu instid0(VALU_DEP_1) | instskip(NEXT) | instid1(VALU_DEP_1)
	v_cmp_ne_u32_e64 s3, 0x7f800000, v28
                                        ; implicit-def: $vgpr28
	s_and_saveexec_b32 s34, s3
	s_delay_alu instid0(SALU_CYCLE_1)
	s_xor_b32 s3, exec_lo, s34
; %bb.89:                               ;   in Loop: Header=BB300_13 Depth=1
	v_bfe_u32 v28, v29, 16, 1
	s_delay_alu instid0(VALU_DEP_1)
	v_add3_u32 v28, v29, v28, 0x7fff
                                        ; implicit-def: $vgpr29
; %bb.90:                               ;   in Loop: Header=BB300_13 Depth=1
	s_and_not1_saveexec_b32 s34, s3
; %bb.91:                               ;   in Loop: Header=BB300_13 Depth=1
	v_and_b32_e32 v28, 0xffff, v29
	v_or_b32_e32 v31, 0x10000, v29
	s_delay_alu instid0(VALU_DEP_2) | instskip(NEXT) | instid1(VALU_DEP_1)
	v_cmp_eq_u32_e64 s3, 0, v28
	v_cndmask_b32_e64 v28, v31, v29, s3
; %bb.92:                               ;   in Loop: Header=BB300_13 Depth=1
	s_or_b32 exec_lo, exec_lo, s34
	v_mov_b32_e32 v73, v70
	s_delay_alu instid0(VALU_DEP_1) | instskip(NEXT) | instid1(VALU_DEP_1)
	v_lshlrev_b64 v[31:32], 1, v[72:73]
	v_add_co_u32 v31, s3, s16, v31
	s_delay_alu instid0(VALU_DEP_1)
	v_add_co_ci_u32_e64 v32, s3, s17, v32, s3
	global_store_d16_hi_b16 v[31:32], v28, off
	s_or_b32 exec_lo, exec_lo, s19
	v_add_nc_u32_e32 v69, s7, v68
	s_and_saveexec_b32 s19, vcc_lo
	s_cbranch_execz .LBB300_67
.LBB300_93:                             ;   in Loop: Header=BB300_13 Depth=1
	s_waitcnt vmcnt(11) lgkmcnt(0)
	v_dual_add_f32 v25, v25, v26 :: v_dual_lshlrev_b32 v26, 16, v41
	s_delay_alu instid0(VALU_DEP_1) | instskip(NEXT) | instid1(VALU_DEP_1)
	v_add_f32_e32 v26, v25, v26
	v_and_b32_e32 v25, 0x7f800000, v26
	s_delay_alu instid0(VALU_DEP_1) | instskip(NEXT) | instid1(VALU_DEP_1)
	v_cmp_ne_u32_e64 s3, 0x7f800000, v25
                                        ; implicit-def: $vgpr25
	s_and_saveexec_b32 s34, s3
	s_delay_alu instid0(SALU_CYCLE_1)
	s_xor_b32 s3, exec_lo, s34
; %bb.94:                               ;   in Loop: Header=BB300_13 Depth=1
	v_bfe_u32 v25, v26, 16, 1
	s_delay_alu instid0(VALU_DEP_1)
	v_add3_u32 v25, v26, v25, 0x7fff
                                        ; implicit-def: $vgpr26
; %bb.95:                               ;   in Loop: Header=BB300_13 Depth=1
	s_and_not1_saveexec_b32 s34, s3
; %bb.96:                               ;   in Loop: Header=BB300_13 Depth=1
	v_and_b32_e32 v25, 0xffff, v26
	v_or_b32_e32 v28, 0x10000, v26
	s_delay_alu instid0(VALU_DEP_2) | instskip(NEXT) | instid1(VALU_DEP_1)
	v_cmp_eq_u32_e64 s3, 0, v25
	v_cndmask_b32_e64 v25, v28, v26, s3
; %bb.97:                               ;   in Loop: Header=BB300_13 Depth=1
	s_or_b32 exec_lo, exec_lo, s34
	v_lshlrev_b64 v[28:29], 1, v[69:70]
	s_delay_alu instid0(VALU_DEP_1) | instskip(NEXT) | instid1(VALU_DEP_1)
	v_add_co_u32 v28, s3, s16, v28
	v_add_co_ci_u32_e64 v29, s3, s17, v29, s3
	global_store_d16_hi_b16 v[28:29], v25, off
	s_or_b32 exec_lo, exec_lo, s19
	s_and_saveexec_b32 s19, s1
	s_cbranch_execz .LBB300_68
.LBB300_98:                             ;   in Loop: Header=BB300_13 Depth=1
	s_waitcnt vmcnt(10) lgkmcnt(0)
	v_dual_add_f32 v20, v20, v21 :: v_dual_lshlrev_b32 v21, 16, v40
	s_delay_alu instid0(VALU_DEP_1) | instskip(NEXT) | instid1(VALU_DEP_1)
	v_add_f32_e32 v21, v20, v21
	v_and_b32_e32 v20, 0x7f800000, v21
	s_delay_alu instid0(VALU_DEP_1) | instskip(NEXT) | instid1(VALU_DEP_1)
	v_cmp_ne_u32_e64 s3, 0x7f800000, v20
                                        ; implicit-def: $vgpr20
	s_and_saveexec_b32 s34, s3
	s_delay_alu instid0(SALU_CYCLE_1)
	s_xor_b32 s3, exec_lo, s34
; %bb.99:                               ;   in Loop: Header=BB300_13 Depth=1
	v_bfe_u32 v20, v21, 16, 1
	s_delay_alu instid0(VALU_DEP_1)
	v_add3_u32 v20, v21, v20, 0x7fff
                                        ; implicit-def: $vgpr21
; %bb.100:                              ;   in Loop: Header=BB300_13 Depth=1
	s_and_not1_saveexec_b32 s34, s3
; %bb.101:                              ;   in Loop: Header=BB300_13 Depth=1
	v_and_b32_e32 v20, 0xffff, v21
	v_or_b32_e32 v25, 0x10000, v21
	s_delay_alu instid0(VALU_DEP_2) | instskip(NEXT) | instid1(VALU_DEP_1)
	v_cmp_eq_u32_e64 s3, 0, v20
	v_cndmask_b32_e64 v20, v25, v21, s3
; %bb.102:                              ;   in Loop: Header=BB300_13 Depth=1
	s_or_b32 exec_lo, exec_lo, s34
	v_dual_mov_b32 v26, v70 :: v_dual_add_nc_u32 v25, 1, v69
	s_delay_alu instid0(VALU_DEP_1) | instskip(NEXT) | instid1(VALU_DEP_1)
	v_lshlrev_b64 v[25:26], 1, v[25:26]
	v_add_co_u32 v25, s3, s16, v25
	s_delay_alu instid0(VALU_DEP_1)
	v_add_co_ci_u32_e64 v26, s3, s17, v26, s3
	global_store_d16_hi_b16 v[25:26], v20, off
	s_or_b32 exec_lo, exec_lo, s19
	s_and_saveexec_b32 s19, s2
	s_cbranch_execz .LBB300_69
.LBB300_103:                            ;   in Loop: Header=BB300_13 Depth=1
	s_waitcnt vmcnt(9) lgkmcnt(0)
	v_dual_add_f32 v20, v23, v24 :: v_dual_lshlrev_b32 v21, 16, v39
	s_delay_alu instid0(VALU_DEP_1) | instskip(NEXT) | instid1(VALU_DEP_1)
	v_add_f32_e32 v21, v20, v21
	v_and_b32_e32 v20, 0x7f800000, v21
	s_delay_alu instid0(VALU_DEP_1) | instskip(NEXT) | instid1(VALU_DEP_1)
	v_cmp_ne_u32_e64 s3, 0x7f800000, v20
                                        ; implicit-def: $vgpr20
	s_and_saveexec_b32 s34, s3
	s_delay_alu instid0(SALU_CYCLE_1)
	s_xor_b32 s3, exec_lo, s34
; %bb.104:                              ;   in Loop: Header=BB300_13 Depth=1
	v_bfe_u32 v20, v21, 16, 1
	s_delay_alu instid0(VALU_DEP_1)
	v_add3_u32 v20, v21, v20, 0x7fff
                                        ; implicit-def: $vgpr21
; %bb.105:                              ;   in Loop: Header=BB300_13 Depth=1
	s_and_not1_saveexec_b32 s34, s3
; %bb.106:                              ;   in Loop: Header=BB300_13 Depth=1
	v_and_b32_e32 v20, 0xffff, v21
	v_or_b32_e32 v23, 0x10000, v21
	s_delay_alu instid0(VALU_DEP_2) | instskip(NEXT) | instid1(VALU_DEP_1)
	v_cmp_eq_u32_e64 s3, 0, v20
	v_cndmask_b32_e64 v20, v23, v21, s3
; %bb.107:                              ;   in Loop: Header=BB300_13 Depth=1
	s_or_b32 exec_lo, exec_lo, s34
	v_dual_mov_b32 v24, v70 :: v_dual_add_nc_u32 v23, 2, v69
	s_delay_alu instid0(VALU_DEP_1) | instskip(NEXT) | instid1(VALU_DEP_1)
	v_lshlrev_b64 v[23:24], 1, v[23:24]
	v_add_co_u32 v23, s3, s16, v23
	s_delay_alu instid0(VALU_DEP_1)
	v_add_co_ci_u32_e64 v24, s3, s17, v24, s3
	global_store_d16_hi_b16 v[23:24], v20, off
	s_or_b32 exec_lo, exec_lo, s19
	v_add_nc_u32_e32 v69, s7, v69
	s_and_saveexec_b32 s19, vcc_lo
	s_cbranch_execz .LBB300_70
.LBB300_108:                            ;   in Loop: Header=BB300_13 Depth=1
	s_waitcnt vmcnt(8) lgkmcnt(0)
	v_dual_add_f32 v18, v18, v19 :: v_dual_lshlrev_b32 v19, 16, v38
	s_delay_alu instid0(VALU_DEP_1) | instskip(NEXT) | instid1(VALU_DEP_1)
	v_add_f32_e32 v19, v18, v19
	v_and_b32_e32 v18, 0x7f800000, v19
	s_delay_alu instid0(VALU_DEP_1) | instskip(NEXT) | instid1(VALU_DEP_1)
	v_cmp_ne_u32_e64 s3, 0x7f800000, v18
                                        ; implicit-def: $vgpr18
	s_and_saveexec_b32 s34, s3
	s_delay_alu instid0(SALU_CYCLE_1)
	s_xor_b32 s3, exec_lo, s34
; %bb.109:                              ;   in Loop: Header=BB300_13 Depth=1
	v_bfe_u32 v18, v19, 16, 1
	s_delay_alu instid0(VALU_DEP_1)
	v_add3_u32 v18, v19, v18, 0x7fff
                                        ; implicit-def: $vgpr19
; %bb.110:                              ;   in Loop: Header=BB300_13 Depth=1
	s_and_not1_saveexec_b32 s34, s3
; %bb.111:                              ;   in Loop: Header=BB300_13 Depth=1
	v_and_b32_e32 v18, 0xffff, v19
	v_or_b32_e32 v20, 0x10000, v19
	s_delay_alu instid0(VALU_DEP_2) | instskip(NEXT) | instid1(VALU_DEP_1)
	v_cmp_eq_u32_e64 s3, 0, v18
	v_cndmask_b32_e64 v18, v20, v19, s3
; %bb.112:                              ;   in Loop: Header=BB300_13 Depth=1
	s_or_b32 exec_lo, exec_lo, s34
	v_lshlrev_b64 v[19:20], 1, v[69:70]
	s_delay_alu instid0(VALU_DEP_1) | instskip(NEXT) | instid1(VALU_DEP_1)
	v_add_co_u32 v19, s3, s16, v19
	v_add_co_ci_u32_e64 v20, s3, s17, v20, s3
	global_store_d16_hi_b16 v[19:20], v18, off
	s_or_b32 exec_lo, exec_lo, s19
	s_and_saveexec_b32 s19, s1
	s_cbranch_execz .LBB300_71
.LBB300_113:                            ;   in Loop: Header=BB300_13 Depth=1
	s_waitcnt lgkmcnt(0)
	v_add_f32_e32 v15, v15, v16
	s_waitcnt vmcnt(7)
	v_lshlrev_b32_e32 v16, 16, v36
	s_delay_alu instid0(VALU_DEP_1) | instskip(NEXT) | instid1(VALU_DEP_1)
	v_add_f32_e32 v16, v15, v16
	v_and_b32_e32 v15, 0x7f800000, v16
	s_delay_alu instid0(VALU_DEP_1) | instskip(NEXT) | instid1(VALU_DEP_1)
	v_cmp_ne_u32_e64 s3, 0x7f800000, v15
                                        ; implicit-def: $vgpr15
	s_and_saveexec_b32 s34, s3
	s_delay_alu instid0(SALU_CYCLE_1)
	s_xor_b32 s3, exec_lo, s34
; %bb.114:                              ;   in Loop: Header=BB300_13 Depth=1
	v_bfe_u32 v15, v16, 16, 1
	s_delay_alu instid0(VALU_DEP_1)
	v_add3_u32 v15, v16, v15, 0x7fff
                                        ; implicit-def: $vgpr16
; %bb.115:                              ;   in Loop: Header=BB300_13 Depth=1
	s_and_not1_saveexec_b32 s34, s3
; %bb.116:                              ;   in Loop: Header=BB300_13 Depth=1
	v_and_b32_e32 v15, 0xffff, v16
	v_or_b32_e32 v18, 0x10000, v16
	s_delay_alu instid0(VALU_DEP_2) | instskip(NEXT) | instid1(VALU_DEP_1)
	v_cmp_eq_u32_e64 s3, 0, v15
	v_cndmask_b32_e64 v15, v18, v16, s3
; %bb.117:                              ;   in Loop: Header=BB300_13 Depth=1
	s_or_b32 exec_lo, exec_lo, s34
	v_dual_mov_b32 v19, v70 :: v_dual_add_nc_u32 v18, 1, v69
	s_delay_alu instid0(VALU_DEP_1) | instskip(NEXT) | instid1(VALU_DEP_1)
	v_lshlrev_b64 v[18:19], 1, v[18:19]
	v_add_co_u32 v18, s3, s16, v18
	s_delay_alu instid0(VALU_DEP_1)
	v_add_co_ci_u32_e64 v19, s3, s17, v19, s3
	global_store_d16_hi_b16 v[18:19], v15, off
	s_or_b32 exec_lo, exec_lo, s19
	s_and_saveexec_b32 s19, s2
	s_cbranch_execz .LBB300_72
.LBB300_118:                            ;   in Loop: Header=BB300_13 Depth=1
	s_waitcnt lgkmcnt(0)
	v_add_f32_e32 v12, v12, v13
	s_waitcnt vmcnt(6)
	v_lshlrev_b32_e32 v13, 16, v37
	s_delay_alu instid0(VALU_DEP_1) | instskip(NEXT) | instid1(VALU_DEP_1)
	v_add_f32_e32 v13, v12, v13
	v_and_b32_e32 v12, 0x7f800000, v13
	s_delay_alu instid0(VALU_DEP_1) | instskip(NEXT) | instid1(VALU_DEP_1)
	v_cmp_ne_u32_e64 s3, 0x7f800000, v12
                                        ; implicit-def: $vgpr12
	s_and_saveexec_b32 s34, s3
	s_delay_alu instid0(SALU_CYCLE_1)
	s_xor_b32 s3, exec_lo, s34
; %bb.119:                              ;   in Loop: Header=BB300_13 Depth=1
	v_bfe_u32 v12, v13, 16, 1
	s_delay_alu instid0(VALU_DEP_1)
	v_add3_u32 v12, v13, v12, 0x7fff
                                        ; implicit-def: $vgpr13
; %bb.120:                              ;   in Loop: Header=BB300_13 Depth=1
	s_and_not1_saveexec_b32 s34, s3
; %bb.121:                              ;   in Loop: Header=BB300_13 Depth=1
	v_and_b32_e32 v12, 0xffff, v13
	v_or_b32_e32 v15, 0x10000, v13
	s_delay_alu instid0(VALU_DEP_2) | instskip(NEXT) | instid1(VALU_DEP_1)
	v_cmp_eq_u32_e64 s3, 0, v12
	v_cndmask_b32_e64 v12, v15, v13, s3
; %bb.122:                              ;   in Loop: Header=BB300_13 Depth=1
	s_or_b32 exec_lo, exec_lo, s34
	v_dual_mov_b32 v16, v70 :: v_dual_add_nc_u32 v15, 2, v69
	s_delay_alu instid0(VALU_DEP_1) | instskip(NEXT) | instid1(VALU_DEP_1)
	v_lshlrev_b64 v[15:16], 1, v[15:16]
	v_add_co_u32 v15, s3, s16, v15
	s_delay_alu instid0(VALU_DEP_1)
	v_add_co_ci_u32_e64 v16, s3, s17, v16, s3
	global_store_d16_hi_b16 v[15:16], v12, off
	s_or_b32 exec_lo, exec_lo, s19
	v_add_nc_u32_e32 v69, s7, v69
	s_and_saveexec_b32 s19, vcc_lo
	s_cbranch_execz .LBB300_73
.LBB300_123:                            ;   in Loop: Header=BB300_13 Depth=1
	s_waitcnt lgkmcnt(0)
	v_add_f32_e32 v8, v8, v9
	s_waitcnt vmcnt(5)
	v_lshlrev_b32_e32 v9, 16, v33
	s_delay_alu instid0(VALU_DEP_1) | instskip(NEXT) | instid1(VALU_DEP_1)
	v_add_f32_e32 v9, v8, v9
	v_and_b32_e32 v8, 0x7f800000, v9
	s_delay_alu instid0(VALU_DEP_1) | instskip(NEXT) | instid1(VALU_DEP_1)
	v_cmp_ne_u32_e64 s3, 0x7f800000, v8
                                        ; implicit-def: $vgpr8
	s_and_saveexec_b32 s34, s3
	s_delay_alu instid0(SALU_CYCLE_1)
	s_xor_b32 s3, exec_lo, s34
; %bb.124:                              ;   in Loop: Header=BB300_13 Depth=1
	v_bfe_u32 v8, v9, 16, 1
	s_delay_alu instid0(VALU_DEP_1)
	v_add3_u32 v8, v9, v8, 0x7fff
                                        ; implicit-def: $vgpr9
; %bb.125:                              ;   in Loop: Header=BB300_13 Depth=1
	s_and_not1_saveexec_b32 s34, s3
; %bb.126:                              ;   in Loop: Header=BB300_13 Depth=1
	v_and_b32_e32 v8, 0xffff, v9
	v_or_b32_e32 v12, 0x10000, v9
	s_delay_alu instid0(VALU_DEP_2) | instskip(NEXT) | instid1(VALU_DEP_1)
	v_cmp_eq_u32_e64 s3, 0, v8
	v_cndmask_b32_e64 v8, v12, v9, s3
; %bb.127:                              ;   in Loop: Header=BB300_13 Depth=1
	s_or_b32 exec_lo, exec_lo, s34
	v_lshlrev_b64 v[12:13], 1, v[69:70]
	s_delay_alu instid0(VALU_DEP_1) | instskip(NEXT) | instid1(VALU_DEP_1)
	v_add_co_u32 v12, s3, s16, v12
	v_add_co_ci_u32_e64 v13, s3, s17, v13, s3
	global_store_d16_hi_b16 v[12:13], v8, off
	s_or_b32 exec_lo, exec_lo, s19
	s_and_saveexec_b32 s19, s1
	s_cbranch_execz .LBB300_74
.LBB300_128:                            ;   in Loop: Header=BB300_13 Depth=1
	s_waitcnt vmcnt(4) lgkmcnt(0)
	v_dual_add_f32 v8, v10, v11 :: v_dual_lshlrev_b32 v9, 16, v30
	s_delay_alu instid0(VALU_DEP_1) | instskip(NEXT) | instid1(VALU_DEP_1)
	v_add_f32_e32 v9, v8, v9
	v_and_b32_e32 v8, 0x7f800000, v9
	s_delay_alu instid0(VALU_DEP_1) | instskip(NEXT) | instid1(VALU_DEP_1)
	v_cmp_ne_u32_e64 s3, 0x7f800000, v8
                                        ; implicit-def: $vgpr8
	s_and_saveexec_b32 s34, s3
	s_delay_alu instid0(SALU_CYCLE_1)
	s_xor_b32 s3, exec_lo, s34
; %bb.129:                              ;   in Loop: Header=BB300_13 Depth=1
	v_bfe_u32 v8, v9, 16, 1
	s_delay_alu instid0(VALU_DEP_1)
	v_add3_u32 v8, v9, v8, 0x7fff
                                        ; implicit-def: $vgpr9
; %bb.130:                              ;   in Loop: Header=BB300_13 Depth=1
	s_and_not1_saveexec_b32 s34, s3
; %bb.131:                              ;   in Loop: Header=BB300_13 Depth=1
	v_and_b32_e32 v8, 0xffff, v9
	v_or_b32_e32 v10, 0x10000, v9
	s_delay_alu instid0(VALU_DEP_2) | instskip(NEXT) | instid1(VALU_DEP_1)
	v_cmp_eq_u32_e64 s3, 0, v8
	v_cndmask_b32_e64 v8, v10, v9, s3
; %bb.132:                              ;   in Loop: Header=BB300_13 Depth=1
	s_or_b32 exec_lo, exec_lo, s34
	v_dual_mov_b32 v10, v70 :: v_dual_add_nc_u32 v9, 1, v69
	s_delay_alu instid0(VALU_DEP_1) | instskip(NEXT) | instid1(VALU_DEP_1)
	v_lshlrev_b64 v[9:10], 1, v[9:10]
	v_add_co_u32 v9, s3, s16, v9
	s_delay_alu instid0(VALU_DEP_1)
	v_add_co_ci_u32_e64 v10, s3, s17, v10, s3
	global_store_d16_hi_b16 v[9:10], v8, off
	s_or_b32 exec_lo, exec_lo, s19
	s_and_saveexec_b32 s19, s2
	s_cbranch_execz .LBB300_75
.LBB300_133:                            ;   in Loop: Header=BB300_13 Depth=1
	s_waitcnt lgkmcnt(0)
	v_add_f32_e32 v6, v6, v7
	s_waitcnt vmcnt(3)
	v_lshlrev_b32_e32 v7, 16, v27
	s_delay_alu instid0(VALU_DEP_1) | instskip(NEXT) | instid1(VALU_DEP_1)
	v_add_f32_e32 v7, v6, v7
	v_and_b32_e32 v6, 0x7f800000, v7
	s_delay_alu instid0(VALU_DEP_1) | instskip(NEXT) | instid1(VALU_DEP_1)
	v_cmp_ne_u32_e64 s3, 0x7f800000, v6
                                        ; implicit-def: $vgpr6
	s_and_saveexec_b32 s34, s3
	s_delay_alu instid0(SALU_CYCLE_1)
	s_xor_b32 s3, exec_lo, s34
; %bb.134:                              ;   in Loop: Header=BB300_13 Depth=1
	v_bfe_u32 v6, v7, 16, 1
	s_delay_alu instid0(VALU_DEP_1)
	v_add3_u32 v6, v7, v6, 0x7fff
                                        ; implicit-def: $vgpr7
; %bb.135:                              ;   in Loop: Header=BB300_13 Depth=1
	s_and_not1_saveexec_b32 s34, s3
; %bb.136:                              ;   in Loop: Header=BB300_13 Depth=1
	v_and_b32_e32 v6, 0xffff, v7
	v_or_b32_e32 v8, 0x10000, v7
	s_delay_alu instid0(VALU_DEP_2) | instskip(NEXT) | instid1(VALU_DEP_1)
	v_cmp_eq_u32_e64 s3, 0, v6
	v_cndmask_b32_e64 v6, v8, v7, s3
; %bb.137:                              ;   in Loop: Header=BB300_13 Depth=1
	s_or_b32 exec_lo, exec_lo, s34
	v_dual_mov_b32 v8, v70 :: v_dual_add_nc_u32 v7, 2, v69
	s_delay_alu instid0(VALU_DEP_1) | instskip(NEXT) | instid1(VALU_DEP_1)
	v_lshlrev_b64 v[7:8], 1, v[7:8]
	v_add_co_u32 v7, s3, s16, v7
	s_delay_alu instid0(VALU_DEP_1)
	v_add_co_ci_u32_e64 v8, s3, s17, v8, s3
	global_store_d16_hi_b16 v[7:8], v6, off
	s_or_b32 exec_lo, exec_lo, s19
	v_add_nc_u32_e32 v69, s7, v69
	s_and_saveexec_b32 s3, vcc_lo
	s_cbranch_execz .LBB300_76
.LBB300_138:                            ;   in Loop: Header=BB300_13 Depth=1
	s_waitcnt vmcnt(2) lgkmcnt(0)
	v_dual_add_f32 v4, v4, v5 :: v_dual_lshlrev_b32 v5, 16, v22
	s_delay_alu instid0(VALU_DEP_1) | instskip(NEXT) | instid1(VALU_DEP_1)
	v_add_f32_e32 v5, v4, v5
	v_and_b32_e32 v4, 0x7f800000, v5
	s_delay_alu instid0(VALU_DEP_1) | instskip(SKIP_1) | instid1(SALU_CYCLE_1)
	v_cmp_ne_u32_e32 vcc_lo, 0x7f800000, v4
                                        ; implicit-def: $vgpr4
	s_and_saveexec_b32 s19, vcc_lo
	s_xor_b32 s19, exec_lo, s19
; %bb.139:                              ;   in Loop: Header=BB300_13 Depth=1
	v_bfe_u32 v4, v5, 16, 1
	s_delay_alu instid0(VALU_DEP_1)
	v_add3_u32 v4, v5, v4, 0x7fff
                                        ; implicit-def: $vgpr5
; %bb.140:                              ;   in Loop: Header=BB300_13 Depth=1
	s_and_not1_saveexec_b32 s19, s19
; %bb.141:                              ;   in Loop: Header=BB300_13 Depth=1
	v_and_b32_e32 v4, 0xffff, v5
	v_or_b32_e32 v6, 0x10000, v5
	s_delay_alu instid0(VALU_DEP_2) | instskip(NEXT) | instid1(VALU_DEP_2)
	v_cmp_eq_u32_e32 vcc_lo, 0, v4
	v_cndmask_b32_e32 v4, v6, v5, vcc_lo
; %bb.142:                              ;   in Loop: Header=BB300_13 Depth=1
	s_or_b32 exec_lo, exec_lo, s19
	v_lshlrev_b64 v[5:6], 1, v[69:70]
	s_delay_alu instid0(VALU_DEP_1) | instskip(NEXT) | instid1(VALU_DEP_2)
	v_add_co_u32 v5, vcc_lo, s16, v5
	v_add_co_ci_u32_e32 v6, vcc_lo, s17, v6, vcc_lo
	global_store_d16_hi_b16 v[5:6], v4, off
	s_or_b32 exec_lo, exec_lo, s3
	s_and_saveexec_b32 s3, s1
	s_cbranch_execz .LBB300_77
.LBB300_143:                            ;   in Loop: Header=BB300_13 Depth=1
	s_waitcnt vmcnt(1) lgkmcnt(0)
	v_dual_add_f32 v2, v2, v3 :: v_dual_lshlrev_b32 v3, 16, v17
	s_delay_alu instid0(VALU_DEP_1) | instskip(NEXT) | instid1(VALU_DEP_1)
	v_add_f32_e32 v3, v2, v3
	v_and_b32_e32 v2, 0x7f800000, v3
	s_delay_alu instid0(VALU_DEP_1) | instskip(SKIP_1) | instid1(SALU_CYCLE_1)
	v_cmp_ne_u32_e32 vcc_lo, 0x7f800000, v2
                                        ; implicit-def: $vgpr2
	s_and_saveexec_b32 s1, vcc_lo
	s_xor_b32 s1, exec_lo, s1
; %bb.144:                              ;   in Loop: Header=BB300_13 Depth=1
	v_bfe_u32 v2, v3, 16, 1
	s_delay_alu instid0(VALU_DEP_1)
	v_add3_u32 v2, v3, v2, 0x7fff
                                        ; implicit-def: $vgpr3
; %bb.145:                              ;   in Loop: Header=BB300_13 Depth=1
	s_and_not1_saveexec_b32 s1, s1
; %bb.146:                              ;   in Loop: Header=BB300_13 Depth=1
	v_and_b32_e32 v2, 0xffff, v3
	v_or_b32_e32 v4, 0x10000, v3
	s_delay_alu instid0(VALU_DEP_2) | instskip(NEXT) | instid1(VALU_DEP_2)
	v_cmp_eq_u32_e32 vcc_lo, 0, v2
	v_cndmask_b32_e32 v2, v4, v3, vcc_lo
; %bb.147:                              ;   in Loop: Header=BB300_13 Depth=1
	s_or_b32 exec_lo, exec_lo, s1
	v_dual_mov_b32 v4, v70 :: v_dual_add_nc_u32 v3, 1, v69
	s_delay_alu instid0(VALU_DEP_1) | instskip(NEXT) | instid1(VALU_DEP_1)
	v_lshlrev_b64 v[3:4], 1, v[3:4]
	v_add_co_u32 v3, vcc_lo, s16, v3
	s_delay_alu instid0(VALU_DEP_2) | instskip(SKIP_2) | instid1(SALU_CYCLE_1)
	v_add_co_ci_u32_e32 v4, vcc_lo, s17, v4, vcc_lo
	global_store_d16_hi_b16 v[3:4], v2, off
	s_or_b32 exec_lo, exec_lo, s3
	s_and_b32 exec_lo, exec_lo, s2
	s_cbranch_execz .LBB300_153
.LBB300_148:                            ;   in Loop: Header=BB300_13 Depth=1
	s_waitcnt vmcnt(0) lgkmcnt(0)
	v_dual_add_f32 v0, v0, v1 :: v_dual_lshlrev_b32 v1, 16, v14
	s_delay_alu instid0(VALU_DEP_1) | instskip(NEXT) | instid1(VALU_DEP_1)
	v_add_f32_e32 v1, v0, v1
	v_and_b32_e32 v0, 0x7f800000, v1
	s_delay_alu instid0(VALU_DEP_1) | instskip(SKIP_1) | instid1(SALU_CYCLE_1)
	v_cmp_ne_u32_e32 vcc_lo, 0x7f800000, v0
                                        ; implicit-def: $vgpr0
	s_and_saveexec_b32 s1, vcc_lo
	s_xor_b32 s1, exec_lo, s1
; %bb.149:                              ;   in Loop: Header=BB300_13 Depth=1
	v_bfe_u32 v0, v1, 16, 1
	s_delay_alu instid0(VALU_DEP_1)
	v_add3_u32 v0, v1, v0, 0x7fff
                                        ; implicit-def: $vgpr1
; %bb.150:                              ;   in Loop: Header=BB300_13 Depth=1
	s_and_not1_saveexec_b32 s1, s1
; %bb.151:                              ;   in Loop: Header=BB300_13 Depth=1
	v_and_b32_e32 v0, 0xffff, v1
	v_or_b32_e32 v2, 0x10000, v1
	s_delay_alu instid0(VALU_DEP_2) | instskip(NEXT) | instid1(VALU_DEP_2)
	v_cmp_eq_u32_e32 vcc_lo, 0, v0
	v_cndmask_b32_e32 v0, v2, v1, vcc_lo
; %bb.152:                              ;   in Loop: Header=BB300_13 Depth=1
	s_or_b32 exec_lo, exec_lo, s1
	v_add_nc_u32_e32 v69, 2, v69
	s_delay_alu instid0(VALU_DEP_1) | instskip(NEXT) | instid1(VALU_DEP_1)
	v_lshlrev_b64 v[1:2], 1, v[69:70]
	v_add_co_u32 v1, vcc_lo, s16, v1
	s_delay_alu instid0(VALU_DEP_2)
	v_add_co_ci_u32_e32 v2, vcc_lo, s17, v2, vcc_lo
	global_store_d16_hi_b16 v[1:2], v0, off
.LBB300_153:                            ;   in Loop: Header=BB300_13 Depth=1
	s_or_b32 exec_lo, exec_lo, s18
	v_add_nc_u32_e32 v68, s26, v68
	s_delay_alu instid0(VALU_DEP_1) | instskip(SKIP_1) | instid1(VALU_DEP_2)
	v_add_nc_u32_e32 v0, 3, v68
	v_cmp_gt_u32_e32 vcc_lo, s7, v68
	v_cmp_le_u32_e64 s1, s7, v0
	s_delay_alu instid0(VALU_DEP_1) | instskip(NEXT) | instid1(SALU_CYCLE_1)
	s_and_b32 s1, vcc_lo, s1
	s_and_saveexec_b32 s34, s1
	s_cbranch_execz .LBB300_12
; %bb.154:                              ;   in Loop: Header=BB300_13 Depth=1
	s_mov_b32 s35, exec_lo
	v_cmpx_ne_u32_e64 s24, v68
	s_cbranch_execz .LBB300_11
; %bb.155:                              ;   in Loop: Header=BB300_13 Depth=1
	v_subrev_nc_u32_e32 v0, s24, v68
	s_mov_b32 s36, 0
	s_mov_b64 s[18:19], 0
	s_delay_alu instid0(VALU_DEP_1)
	v_cmp_lt_u32_e32 vcc_lo, 1, v0
	v_cndmask_b32_e32 v0, 1, v0, vcc_lo
	.p2align	6
.LBB300_156:                            ;   Parent Loop BB300_13 Depth=1
                                        ; =>  This Inner Loop Header: Depth=2
	s_cmp_lg_u32 s18, 2
	s_cselect_b32 vcc_lo, -1, 0
	s_cmp_lg_u32 s18, 1
	v_cndmask_b32_e32 v66, 0, v66, vcc_lo
	s_cselect_b32 s1, -1, 0
	s_cmp_lg_u32 s18, 0
	v_cndmask_b32_e64 v65, 0, v65, s1
	s_cselect_b32 s2, -1, 0
	s_add_u32 s18, s18, 1
	v_cndmask_b32_e64 v64, 0, v64, s2
	v_cmp_eq_u32_e64 s3, s18, v0
	s_addc_u32 s19, s19, 0
	s_delay_alu instid0(VALU_DEP_1) | instskip(NEXT) | instid1(SALU_CYCLE_1)
	s_or_b32 s36, s3, s36
	s_and_not1_b32 exec_lo, exec_lo, s36
	s_cbranch_execnz .LBB300_156
; %bb.157:                              ;   in Loop: Header=BB300_13 Depth=1
	s_or_b32 exec_lo, exec_lo, s36
	s_branch .LBB300_11
.LBB300_158:
	s_nop 0
	s_sendmsg sendmsg(MSG_DEALLOC_VGPRS)
	s_endpgm
	.section	.rodata,"a",@progbits
	.p2align	6, 0x0
	.amdhsa_kernel _Z12wvSplitK_hf_I14__hip_bfloat16Li64ELi3ELi16ELi8ELi2ELi5EEviiiiiiPKT_S3_S3_PS1_ii
		.amdhsa_group_segment_fixed_size 65536
		.amdhsa_private_segment_fixed_size 0
		.amdhsa_kernarg_size 64
		.amdhsa_user_sgpr_count 15
		.amdhsa_user_sgpr_dispatch_ptr 0
		.amdhsa_user_sgpr_queue_ptr 0
		.amdhsa_user_sgpr_kernarg_segment_ptr 1
		.amdhsa_user_sgpr_dispatch_id 0
		.amdhsa_user_sgpr_private_segment_size 0
		.amdhsa_wavefront_size32 1
		.amdhsa_uses_dynamic_stack 0
		.amdhsa_enable_private_segment 0
		.amdhsa_system_sgpr_workgroup_id_x 1
		.amdhsa_system_sgpr_workgroup_id_y 0
		.amdhsa_system_sgpr_workgroup_id_z 0
		.amdhsa_system_sgpr_workgroup_info 0
		.amdhsa_system_vgpr_workitem_id 1
		.amdhsa_next_free_vgpr 125
		.amdhsa_next_free_sgpr 37
		.amdhsa_reserve_vcc 1
		.amdhsa_float_round_mode_32 0
		.amdhsa_float_round_mode_16_64 0
		.amdhsa_float_denorm_mode_32 3
		.amdhsa_float_denorm_mode_16_64 3
		.amdhsa_dx10_clamp 1
		.amdhsa_ieee_mode 1
		.amdhsa_fp16_overflow 0
		.amdhsa_workgroup_processor_mode 1
		.amdhsa_memory_ordered 1
		.amdhsa_forward_progress 0
		.amdhsa_shared_vgpr_count 0
		.amdhsa_exception_fp_ieee_invalid_op 0
		.amdhsa_exception_fp_denorm_src 0
		.amdhsa_exception_fp_ieee_div_zero 0
		.amdhsa_exception_fp_ieee_overflow 0
		.amdhsa_exception_fp_ieee_underflow 0
		.amdhsa_exception_fp_ieee_inexact 0
		.amdhsa_exception_int_div_zero 0
	.end_amdhsa_kernel
	.section	.text._Z12wvSplitK_hf_I14__hip_bfloat16Li64ELi3ELi16ELi8ELi2ELi5EEviiiiiiPKT_S3_S3_PS1_ii,"axG",@progbits,_Z12wvSplitK_hf_I14__hip_bfloat16Li64ELi3ELi16ELi8ELi2ELi5EEviiiiiiPKT_S3_S3_PS1_ii,comdat
.Lfunc_end300:
	.size	_Z12wvSplitK_hf_I14__hip_bfloat16Li64ELi3ELi16ELi8ELi2ELi5EEviiiiiiPKT_S3_S3_PS1_ii, .Lfunc_end300-_Z12wvSplitK_hf_I14__hip_bfloat16Li64ELi3ELi16ELi8ELi2ELi5EEviiiiiiPKT_S3_S3_PS1_ii
                                        ; -- End function
	.section	.AMDGPU.csdata,"",@progbits
; Kernel info:
; codeLenInByte = 10368
; NumSgprs: 39
; NumVgprs: 125
; ScratchSize: 0
; MemoryBound: 0
; FloatMode: 240
; IeeeMode: 1
; LDSByteSize: 65536 bytes/workgroup (compile time only)
; SGPRBlocks: 4
; VGPRBlocks: 15
; NumSGPRsForWavesPerEU: 39
; NumVGPRsForWavesPerEU: 125
; Occupancy: 10
; WaveLimiterHint : 0
; COMPUTE_PGM_RSRC2:SCRATCH_EN: 0
; COMPUTE_PGM_RSRC2:USER_SGPR: 15
; COMPUTE_PGM_RSRC2:TRAP_HANDLER: 0
; COMPUTE_PGM_RSRC2:TGID_X_EN: 1
; COMPUTE_PGM_RSRC2:TGID_Y_EN: 0
; COMPUTE_PGM_RSRC2:TGID_Z_EN: 0
; COMPUTE_PGM_RSRC2:TIDIG_COMP_CNT: 1
	.section	.text._Z16wvSplitK_hf_big_I14__hip_bfloat16Li64ELi3ELi16ELi8ELi2ELi5EEviiiiiiPKT_S3_S3_PS1_ii,"axG",@progbits,_Z16wvSplitK_hf_big_I14__hip_bfloat16Li64ELi3ELi16ELi8ELi2ELi5EEviiiiiiPKT_S3_S3_PS1_ii,comdat
	.protected	_Z16wvSplitK_hf_big_I14__hip_bfloat16Li64ELi3ELi16ELi8ELi2ELi5EEviiiiiiPKT_S3_S3_PS1_ii ; -- Begin function _Z16wvSplitK_hf_big_I14__hip_bfloat16Li64ELi3ELi16ELi8ELi2ELi5EEviiiiiiPKT_S3_S3_PS1_ii
	.globl	_Z16wvSplitK_hf_big_I14__hip_bfloat16Li64ELi3ELi16ELi8ELi2ELi5EEviiiiiiPKT_S3_S3_PS1_ii
	.p2align	8
	.type	_Z16wvSplitK_hf_big_I14__hip_bfloat16Li64ELi3ELi16ELi8ELi2ELi5EEviiiiiiPKT_S3_S3_PS1_ii,@function
_Z16wvSplitK_hf_big_I14__hip_bfloat16Li64ELi3ELi16ELi8ELi2ELi5EEviiiiiiPKT_S3_S3_PS1_ii: ; @_Z16wvSplitK_hf_big_I14__hip_bfloat16Li64ELi3ELi16ELi8ELi2ELi5EEviiiiiiPKT_S3_S3_PS1_ii
; %bb.0:
	s_load_b64 s[20:21], s[0:1], 0x38
	v_bfe_u32 v1, v0, 10, 10
	s_mov_b32 s2, exec_lo
	s_waitcnt lgkmcnt(0)
	s_delay_alu instid0(VALU_DEP_1)
	v_cmpx_gt_u32_e64 s20, v1
	s_cbranch_execz .LBB301_130
; %bb.1:
	s_load_b128 s[16:19], s[0:1], 0x0
	v_mad_u64_u32 v[2:3], null, s15, s20, v[1:2]
	s_mov_b32 s4, 1
	s_delay_alu instid0(SALU_CYCLE_1) | instskip(SKIP_1) | instid1(SALU_CYCLE_1)
	s_mov_b32 s5, s4
	s_mov_b32 s6, s4
	v_mov_b32_e32 v62, s6
	s_delay_alu instid0(VALU_DEP_2) | instskip(SKIP_1) | instid1(VALU_DEP_2)
	v_lshl_add_u32 v66, v2, 1, v2
	v_dual_mov_b32 v60, s4 :: v_dual_mov_b32 v61, s5
	v_add_nc_u32_e32 v2, 3, v66
	s_waitcnt lgkmcnt(0)
	v_cmp_gt_u32_e32 vcc_lo, s19, v66
	s_delay_alu instid0(VALU_DEP_2) | instskip(NEXT) | instid1(VALU_DEP_1)
	v_cmp_le_u32_e64 s2, s19, v2
	s_and_b32 s2, vcc_lo, s2
	s_delay_alu instid0(SALU_CYCLE_1)
	s_and_saveexec_b32 s7, s2
	s_cbranch_execz .LBB301_7
; %bb.2:
	v_dual_mov_b32 v62, s6 :: v_dual_mov_b32 v61, s5
	v_mov_b32_e32 v60, s4
	s_add_i32 s8, s19, -3
	s_mov_b32 s9, exec_lo
	v_cmpx_ne_u32_e64 s8, v66
	s_cbranch_execz .LBB301_6
; %bb.3:
	v_subrev_nc_u32_e32 v2, s8, v66
	s_mov_b32 s10, 0
	s_mov_b64 s[2:3], 0
	s_mov_b32 s5, s4
	s_mov_b32 s6, s4
	v_cmp_lt_u32_e32 vcc_lo, 1, v2
	v_cndmask_b32_e32 v2, 1, v2, vcc_lo
.LBB301_4:                              ; =>This Inner Loop Header: Depth=1
	s_cmp_lg_u32 s2, 2
	s_cselect_b32 s6, s6, 0
	s_cmp_lg_u32 s2, 1
	s_cselect_b32 s5, s5, 0
	;; [unrolled: 2-line block ×3, first 2 shown]
	s_add_u32 s2, s2, 1
	v_dual_mov_b32 v62, s6 :: v_dual_mov_b32 v61, s5
	v_cmp_eq_u32_e32 vcc_lo, s2, v2
	v_mov_b32_e32 v60, s4
	s_addc_u32 s3, s3, 0
	s_or_b32 s10, vcc_lo, s10
	s_delay_alu instid0(SALU_CYCLE_1)
	s_and_not1_b32 exec_lo, exec_lo, s10
	s_cbranch_execnz .LBB301_4
; %bb.5:
	s_or_b32 exec_lo, exec_lo, s10
	v_mov_b32_e32 v66, s8
.LBB301_6:
	s_or_b32 exec_lo, exec_lo, s9
.LBB301_7:
	s_delay_alu instid0(SALU_CYCLE_1)
	s_or_b32 exec_lo, exec_lo, s7
	s_mul_i32 s2, s20, 3
	s_abs_i32 s6, s19
	s_abs_i32 s3, s2
	s_mov_b32 s23, 0
	v_cvt_f32_u32_e32 v2, s3
	s_sub_i32 s5, 0, s3
	s_delay_alu instid0(VALU_DEP_1) | instskip(SKIP_2) | instid1(VALU_DEP_1)
	v_rcp_iflag_f32_e32 v2, v2
	s_waitcnt_depctr 0xfff
	v_mul_f32_e32 v2, 0x4f7ffffe, v2
	v_cvt_u32_f32_e32 v2, v2
	s_delay_alu instid0(VALU_DEP_1) | instskip(NEXT) | instid1(VALU_DEP_1)
	v_readfirstlane_b32 s4, v2
	s_mul_i32 s5, s5, s4
	s_delay_alu instid0(SALU_CYCLE_1) | instskip(NEXT) | instid1(SALU_CYCLE_1)
	s_mul_hi_u32 s5, s4, s5
	s_add_i32 s4, s4, s5
	s_ashr_i32 s5, s19, 31
	s_mul_hi_u32 s4, s6, s4
	s_delay_alu instid0(SALU_CYCLE_1) | instskip(NEXT) | instid1(SALU_CYCLE_1)
	s_mul_i32 s4, s4, s3
	s_sub_i32 s4, s6, s4
	s_delay_alu instid0(SALU_CYCLE_1) | instskip(SKIP_2) | instid1(SALU_CYCLE_1)
	s_sub_i32 s6, s4, s3
	s_cmp_ge_u32 s4, s3
	s_cselect_b32 s4, s6, s4
	s_sub_i32 s6, s4, s3
	s_cmp_ge_u32 s4, s3
	s_cselect_b32 s3, s6, s4
	s_add_i32 s4, s2, s19
	s_xor_b32 s3, s3, s5
	s_delay_alu instid0(SALU_CYCLE_1) | instskip(NEXT) | instid1(SALU_CYCLE_1)
	s_sub_i32 s3, s3, s5
	s_sub_i32 s4, s4, s3
	s_cmp_eq_u32 s3, 0
	s_cselect_b32 s22, s19, s4
	s_delay_alu instid0(SALU_CYCLE_1)
	v_cmp_gt_u32_e32 vcc_lo, s22, v66
	s_and_b32 exec_lo, exec_lo, vcc_lo
	s_cbranch_execz .LBB301_130
; %bb.8:
	s_load_b256 s[4:11], s[0:1], 0x10
	s_min_u32 s24, s18, 0x1800
	s_cmp_lg_u32 s16, 0
	s_load_b64 s[12:13], s[0:1], 0x30
	s_cselect_b32 s25, -1, 0
	s_cmp_lg_u32 s18, 0
	v_and_b32_e32 v0, 0x3ff, v0
	s_cselect_b32 s26, -1, 0
	s_lshl_b32 s27, s20, 9
	s_add_i32 s28, s16, -8
	s_add_i32 s29, s19, -1
	v_mbcnt_lo_u32_b32 v78, -1, 0
	v_mov_b32_e32 v69, 0
	s_waitcnt lgkmcnt(0)
	s_cmp_lg_u64 s[10:11], 0
	s_cselect_b32 s30, -1, 0
	s_abs_i32 s3, s5
	s_mul_i32 s5, s2, s21
	v_cvt_f32_u32_e32 v2, s3
	s_sub_i32 s1, 0, s3
	s_add_i32 s31, s19, -3
	s_sub_i32 s2, 0, s4
	s_sub_i32 s14, 1, s3
	v_rcp_iflag_f32_e32 v2, v2
	s_mul_i32 s21, s24, 6
	s_waitcnt_depctr 0xfff
	v_mul_f32_e32 v2, 0x4f7ffffe, v2
	s_delay_alu instid0(VALU_DEP_1) | instskip(NEXT) | instid1(VALU_DEP_1)
	v_cvt_u32_f32_e32 v2, v2
	v_readfirstlane_b32 s0, v2
	v_cvt_f32_u32_e32 v2, s4
	s_delay_alu instid0(VALU_DEP_2) | instskip(NEXT) | instid1(VALU_DEP_1)
	s_mul_i32 s1, s1, s0
	v_rcp_iflag_f32_e32 v2, v2
	s_mul_hi_u32 s1, s0, s1
	v_lshlrev_b32_e32 v79, 3, v0
	s_add_i32 s1, s0, s1
	s_cmp_lt_u32 s3, 2
	v_cmp_eq_u32_e64 s0, 63, v0
	s_cselect_b32 s14, s14, 1
	v_lshlrev_b32_e32 v0, 4, v0
	s_sub_i32 s15, s14, s3
	s_cmp_ge_u32 s14, s3
	s_waitcnt_depctr 0xfff
	v_mul_f32_e32 v2, 0x4f7ffffe, v2
	s_cselect_b32 s33, s15, s14
	s_lshr_b32 s14, s1, 31
	v_lshl_add_u32 v70, v1, 9, v79
	s_mul_i32 s14, s14, s3
	v_cvt_u32_f32_e32 v2, v2
	s_sub_i32 s14, 2, s14
	v_lshl_add_u32 v80, v1, 10, v0
	s_sub_i32 s15, s14, s3
	s_cmp_ge_u32 s14, s3
	v_mul_lo_u32 v3, s2, v2
	s_cselect_b32 s2, s15, s14
	s_mul_hi_u32 s14, s1, 3
	s_sub_i32 s15, s2, s3
	s_cmp_ge_u32 s2, s3
	s_mul_i32 s14, s14, s3
	s_cselect_b32 s34, s15, s2
	s_sub_i32 s2, 3, s14
	v_mul_hi_u32 v0, v2, v3
	s_sub_i32 s14, s2, s3
	s_cmp_ge_u32 s2, s3
	v_mad_u64_u32 v[71:72], null, s18, 3, v[70:71]
	s_cselect_b32 s2, s14, s2
	v_lshl_add_u32 v81, s18, 1, v70
	s_sub_i32 s14, s2, s3
	s_cmp_ge_u32 s2, s3
	v_lshl_add_u32 v82, s18, 2, v70
	s_cselect_b32 s35, s14, s2
	s_lshr_b32 s1, s1, 30
	v_add_nc_u32_e32 v83, s18, v70
	s_mul_i32 s1, s1, s3
	v_add_nc_u32_e32 v84, v2, v0
	s_sub_i32 s1, 4, s1
	s_mul_i32 s33, s33, s4
	s_sub_i32 s2, s1, s3
	s_cmp_ge_u32 s1, s3
	s_mul_i32 s34, s34, s4
	s_cselect_b32 s1, s2, s1
	s_mul_i32 s35, s35, s4
	s_sub_i32 s2, s1, s3
	s_cmp_ge_u32 s1, s3
	s_cselect_b32 s40, s2, s1
	s_add_u32 s36, s12, 2
	s_addc_u32 s37, s13, 0
	s_lshl_b32 s38, s24, 3
	s_lshl_b32 s20, s20, 10
	;; [unrolled: 1-line block ×3, first 2 shown]
	s_mul_i32 s40, s40, s4
	s_lshl_b32 s41, s24, 1
	s_branch .LBB301_12
.LBB301_9:                              ;   in Loop: Header=BB301_12 Depth=1
	s_or_b32 exec_lo, exec_lo, s44
	v_mov_b32_e32 v66, s31
.LBB301_10:                             ;   in Loop: Header=BB301_12 Depth=1
	s_or_b32 exec_lo, exec_lo, s43
.LBB301_11:                             ;   in Loop: Header=BB301_12 Depth=1
	s_delay_alu instid0(SALU_CYCLE_1) | instskip(NEXT) | instid1(VALU_DEP_1)
	s_or_b32 exec_lo, exec_lo, s42
	v_cmp_le_u32_e32 vcc_lo, s22, v66
	s_or_b32 s23, vcc_lo, s23
	s_delay_alu instid0(SALU_CYCLE_1)
	s_and_not1_b32 exec_lo, exec_lo, s23
	s_cbranch_execz .LBB301_130
.LBB301_12:                             ; =>This Loop Header: Depth=1
                                        ;     Child Loop BB301_17 Depth 2
                                        ;       Child Loop BB301_22 Depth 3
                                        ;     Child Loop BB301_128 Depth 2
	v_mov_b32_e32 v67, v69
	v_mov_b32_e32 v85, v69
	;; [unrolled: 1-line block ×15, first 2 shown]
	s_and_not1_b32 vcc_lo, exec_lo, s25
	s_mov_b32 s3, 0
	s_cbranch_vccnz .LBB301_29
; %bb.13:                               ;   in Loop: Header=BB301_12 Depth=1
	v_add_nc_u32_e32 v0, 1, v66
	s_waitcnt lgkmcnt(0)
	v_dual_mov_b32 v98, 0 :: v_dual_add_nc_u32 v1, 2, v66
	v_min_u32_e32 v2, s29, v66
	v_dual_mov_b32 v3, v69 :: v_dual_mov_b32 v96, 0
	s_delay_alu instid0(VALU_DEP_3)
	v_min_u32_e32 v4, s29, v1
	v_mov_b32_e32 v1, v69
	v_min_u32_e32 v0, s29, v0
	v_mul_lo_u32 v68, v2, s17
	v_cmp_gt_u32_e64 s1, s19, v66
	v_mul_lo_u32 v2, v4, s17
	v_dual_mov_b32 v95, 0 :: v_dual_mov_b32 v94, 0
	v_mul_lo_u32 v0, v0, s17
	v_dual_mov_b32 v97, 0 :: v_dual_mov_b32 v90, 0
	v_lshlrev_b64 v[72:73], 1, v[68:69]
	v_dual_mov_b32 v93, 0 :: v_dual_mov_b32 v92, 0
	v_lshlrev_b64 v[76:77], 1, v[2:3]
	;; [unrolled: 2-line block ×3, first 2 shown]
	v_dual_mov_b32 v91, 0 :: v_dual_mov_b32 v86, 0
	v_mov_b32_e32 v87, 0
	v_mov_b32_e32 v85, 0
	;; [unrolled: 1-line block ×3, first 2 shown]
	s_mov_b32 s14, 0
	s_branch .LBB301_17
.LBB301_14:                             ;   in Loop: Header=BB301_17 Depth=2
	s_or_b32 exec_lo, exec_lo, s42
.LBB301_15:                             ;   in Loop: Header=BB301_17 Depth=2
	s_delay_alu instid0(SALU_CYCLE_1)
	s_or_b32 exec_lo, exec_lo, s15
	s_waitcnt lgkmcnt(4)
	v_and_b32_e32 v108, 0xffff0000, v59
	s_waitcnt vmcnt(5)
	v_and_b32_e32 v110, 0xffff0000, v55
	s_waitcnt vmcnt(4)
	v_and_b32_e32 v109, 0xffff0000, v49
	v_lshlrev_b32_e32 v49, 16, v49
	v_and_b32_e32 v104, 0xffff0000, v58
	v_and_b32_e32 v112, 0xffff0000, v50
	v_lshlrev_b32_e32 v59, 16, v59
	v_mul_f32_e32 v113, v108, v110
	v_lshlrev_b32_e32 v50, 16, v50
	v_lshlrev_b32_e32 v55, 16, v55
	v_and_b32_e32 v100, 0xffff0000, v52
	v_and_b32_e32 v101, 0xffff0000, v57
	;; [unrolled: 1-line block ×3, first 2 shown]
	s_delay_alu instid0(VALU_DEP_4)
	v_dual_fmac_f32 v113, v59, v55 :: v_dual_lshlrev_b32 v58, 16, v58
	v_lshlrev_b32_e32 v54, 16, v54
	v_and_b32_e32 v103, 0xffff0000, v53
	v_and_b32_e32 v99, 0xffff0000, v56
	;; [unrolled: 1-line block ×3, first 2 shown]
	s_waitcnt lgkmcnt(3)
	s_delay_alu instid0(VALU_DEP_3) | instskip(NEXT) | instid1(VALU_DEP_3)
	v_dual_mul_f32 v106, v101, v103 :: v_dual_and_b32 v115, 0xffff0000, v46
	v_mul_f32_e32 v102, v99, v100
	v_dual_mul_f32 v111, v101, v109 :: v_dual_lshlrev_b32 v52, 16, v52
	v_lshlrev_b32_e32 v57, 16, v57
	v_lshlrev_b32_e32 v53, 16, v53
	s_delay_alu instid0(VALU_DEP_1) | instskip(SKIP_1) | instid1(VALU_DEP_1)
	v_fmac_f32_e32 v106, v57, v53
	v_lshlrev_b32_e32 v56, 16, v56
	v_dual_fmac_f32 v102, v56, v52 :: v_dual_fmac_f32 v111, v57, v49
	s_delay_alu instid0(VALU_DEP_1) | instskip(NEXT) | instid1(VALU_DEP_1)
	v_dual_add_f32 v95, v95, v102 :: v_dual_mul_f32 v102, v104, v105
	v_add_f32_e32 v95, v95, v106
	s_delay_alu instid0(VALU_DEP_2) | instskip(SKIP_2) | instid1(VALU_DEP_3)
	v_fmac_f32_e32 v102, v58, v54
	v_lshlrev_b32_e32 v106, 16, v48
	v_mul_f32_e32 v48, v99, v107
	v_add_f32_e32 v95, v95, v102
	s_delay_alu instid0(VALU_DEP_2) | instskip(NEXT) | instid1(VALU_DEP_1)
	v_fmac_f32_e32 v48, v56, v106
	v_add_f32_e32 v48, v98, v48
	v_mul_f32_e32 v98, v104, v112
	s_waitcnt vmcnt(3)
	s_delay_alu instid0(VALU_DEP_2) | instskip(NEXT) | instid1(VALU_DEP_2)
	v_dual_add_f32 v102, v48, v111 :: v_dual_and_b32 v111, 0xffff0000, v40
	v_fmac_f32_e32 v98, v58, v50
	v_dual_add_f32 v48, v95, v113 :: v_dual_lshlrev_b32 v95, 16, v40
	s_delay_alu instid0(VALU_DEP_3) | instskip(NEXT) | instid1(VALU_DEP_3)
	v_dual_mul_f32 v40, v99, v111 :: v_dual_and_b32 v113, 0xffff0000, v42
	v_dual_add_f32 v98, v102, v98 :: v_dual_and_b32 v99, 0xffff0000, v41
	s_delay_alu instid0(VALU_DEP_2) | instskip(NEXT) | instid1(VALU_DEP_1)
	v_fmac_f32_e32 v40, v56, v95
	v_add_f32_e32 v40, v96, v40
	v_and_b32_e32 v96, 0xffff0000, v44
	s_delay_alu instid0(VALU_DEP_4) | instskip(NEXT) | instid1(VALU_DEP_1)
	v_dual_mul_f32 v41, v101, v99 :: v_dual_lshlrev_b32 v56, 16, v41
	v_fmac_f32_e32 v41, v57, v56
	v_dual_mul_f32 v42, v104, v113 :: v_dual_lshlrev_b32 v57, 16, v42
	s_delay_alu instid0(VALU_DEP_4) | instskip(NEXT) | instid1(VALU_DEP_3)
	v_mul_f32_e32 v104, v96, v100
	v_add_f32_e32 v40, v40, v41
	v_and_b32_e32 v41, 0xffff0000, v45
	v_lshlrev_b32_e32 v44, 16, v44
	v_lshlrev_b32_e32 v45, 16, v45
	v_fmac_f32_e32 v42, v58, v57
	v_and_b32_e32 v58, 0xffff0000, v43
	s_delay_alu instid0(VALU_DEP_4) | instskip(SKIP_1) | instid1(VALU_DEP_2)
	v_dual_fmac_f32 v104, v44, v52 :: v_dual_lshlrev_b32 v43, 16, v43
	v_lshlrev_b32_e32 v46, 16, v46
	v_dual_add_f32 v40, v40, v42 :: v_dual_add_f32 v97, v97, v104
	v_mul_f32_e32 v114, v41, v103
	s_delay_alu instid0(VALU_DEP_1) | instskip(SKIP_2) | instid1(VALU_DEP_2)
	v_fmac_f32_e32 v114, v45, v53
	v_and_b32_e32 v102, 0xffff0000, v51
	v_lshlrev_b32_e32 v51, 16, v51
	v_mul_f32_e32 v101, v108, v102
	s_delay_alu instid0(VALU_DEP_1) | instskip(SKIP_1) | instid1(VALU_DEP_2)
	v_dual_mul_f32 v108, v108, v58 :: v_dual_fmac_f32 v101, v59, v51
	v_mul_f32_e32 v104, v115, v105
	v_add_f32_e32 v98, v98, v101
	s_delay_alu instid0(VALU_DEP_2) | instskip(NEXT) | instid1(VALU_DEP_4)
	v_dual_fmac_f32 v104, v46, v54 :: v_dual_and_b32 v101, 0xffff0000, v47
	v_fmac_f32_e32 v108, v59, v43
	v_lshlrev_b32_e32 v47, 16, v47
	v_add_f32_e32 v59, v97, v114
	v_mul_f32_e32 v97, v96, v107
	s_delay_alu instid0(VALU_DEP_4) | instskip(NEXT) | instid1(VALU_DEP_3)
	v_add_f32_e32 v42, v40, v108
	v_dual_add_f32 v40, v59, v104 :: v_dual_mul_f32 v59, v41, v109
	v_mul_f32_e32 v41, v41, v99
	s_delay_alu instid0(VALU_DEP_4) | instskip(SKIP_1) | instid1(VALU_DEP_4)
	v_fmac_f32_e32 v97, v44, v106
	v_mul_f32_e32 v104, v101, v110
	v_fmac_f32_e32 v59, v45, v49
	s_delay_alu instid0(VALU_DEP_4) | instskip(SKIP_2) | instid1(VALU_DEP_2)
	v_fmac_f32_e32 v41, v45, v56
	v_mul_f32_e32 v45, v115, v113
	v_dual_add_f32 v94, v94, v97 :: v_dual_mul_f32 v97, v115, v112
	v_dual_fmac_f32 v45, v46, v57 :: v_dual_mul_f32 v96, v96, v111
	s_delay_alu instid0(VALU_DEP_1) | instskip(NEXT) | instid1(VALU_DEP_3)
	v_dual_fmac_f32 v97, v46, v50 :: v_dual_fmac_f32 v96, v44, v95
	v_add_f32_e32 v44, v94, v59
	v_mul_f32_e32 v94, v101, v102
	s_delay_alu instid0(VALU_DEP_3) | instskip(SKIP_1) | instid1(VALU_DEP_2)
	v_add_f32_e32 v59, v93, v96
	s_waitcnt lgkmcnt(2)
	v_dual_fmac_f32 v94, v47, v51 :: v_dual_and_b32 v93, 0xffff0000, v36
	v_lshlrev_b32_e32 v46, 16, v36
	v_add_f32_e32 v44, v44, v97
	v_add_f32_e32 v41, v59, v41
	v_dual_fmac_f32 v104, v47, v55 :: v_dual_and_b32 v59, 0xffff0000, v37
	v_dual_mul_f32 v96, v101, v58 :: v_dual_lshlrev_b32 v97, 16, v37
	s_delay_alu instid0(VALU_DEP_3) | instskip(NEXT) | instid1(VALU_DEP_3)
	v_add_f32_e32 v45, v41, v45
	v_mul_f32_e32 v37, v59, v103
	v_dual_add_f32 v41, v44, v94 :: v_dual_mul_f32 v94, v59, v109
	s_delay_alu instid0(VALU_DEP_2) | instskip(SKIP_1) | instid1(VALU_DEP_3)
	v_dual_add_f32 v40, v40, v104 :: v_dual_fmac_f32 v37, v97, v53
	v_mul_f32_e32 v36, v93, v100
	v_fmac_f32_e32 v94, v97, v49
	s_delay_alu instid0(VALU_DEP_2) | instskip(NEXT) | instid1(VALU_DEP_1)
	v_fmac_f32_e32 v36, v46, v52
	v_add_f32_e32 v44, v89, v36
	s_delay_alu instid0(VALU_DEP_1) | instskip(SKIP_3) | instid1(VALU_DEP_2)
	v_dual_add_f32 v37, v44, v37 :: v_dual_and_b32 v44, 0xffff0000, v39
	v_lshlrev_b32_e32 v39, 16, v39
	v_dual_fmac_f32 v96, v47, v43 :: v_dual_and_b32 v47, 0xffff0000, v38
	v_lshlrev_b32_e32 v38, 16, v38
	v_add_f32_e32 v36, v45, v96
	v_mul_f32_e32 v45, v93, v107
	s_delay_alu instid0(VALU_DEP_4) | instskip(SKIP_1) | instid1(VALU_DEP_3)
	v_mul_f32_e32 v89, v47, v105
	v_mul_f32_e32 v93, v93, v111
	v_fmac_f32_e32 v45, v46, v106
	s_delay_alu instid0(VALU_DEP_3) | instskip(NEXT) | instid1(VALU_DEP_3)
	v_fmac_f32_e32 v89, v38, v54
	v_fmac_f32_e32 v93, v46, v95
	s_waitcnt lgkmcnt(1)
	v_dual_mul_f32 v46, v59, v99 :: v_dual_and_b32 v59, 0xffff0000, v32
	v_dual_add_f32 v45, v90, v45 :: v_dual_mul_f32 v90, v47, v112
	v_add_f32_e32 v37, v37, v89
	v_add_f32_e32 v89, v92, v93
	v_and_b32_e32 v93, 0xffff0000, v33
	s_delay_alu instid0(VALU_DEP_4) | instskip(SKIP_3) | instid1(VALU_DEP_2)
	v_add_f32_e32 v45, v45, v94
	v_mul_f32_e32 v96, v44, v110
	v_dual_fmac_f32 v90, v38, v50 :: v_dual_mul_f32 v47, v47, v113
	v_fmac_f32_e32 v46, v97, v56
	v_dual_fmac_f32 v96, v39, v55 :: v_dual_add_f32 v45, v45, v90
	s_delay_alu instid0(VALU_DEP_3) | instskip(NEXT) | instid1(VALU_DEP_3)
	v_dual_fmac_f32 v47, v38, v57 :: v_dual_lshlrev_b32 v90, 16, v32
	v_dual_add_f32 v46, v89, v46 :: v_dual_lshlrev_b32 v89, 16, v33
	v_dual_mul_f32 v33, v93, v103 :: v_dual_mul_f32 v32, v59, v100
	v_and_b32_e32 v38, 0xffff0000, v34
	v_mul_f32_e32 v92, v44, v102
	s_delay_alu instid0(VALU_DEP_3) | instskip(NEXT) | instid1(VALU_DEP_4)
	v_dual_fmac_f32 v33, v89, v53 :: v_dual_lshlrev_b32 v34, 16, v34
	v_fmac_f32_e32 v32, v90, v52
	v_add_f32_e32 v37, v37, v96
	s_delay_alu instid0(VALU_DEP_2) | instskip(NEXT) | instid1(VALU_DEP_1)
	v_dual_add_f32 v32, v91, v32 :: v_dual_mul_f32 v91, v38, v105
	v_add_f32_e32 v33, v32, v33
	s_delay_alu instid0(VALU_DEP_2) | instskip(SKIP_2) | instid1(VALU_DEP_3)
	v_fmac_f32_e32 v91, v34, v54
	v_mul_f32_e32 v44, v44, v58
	v_add_f32_e32 v46, v46, v47
	v_add_f32_e32 v33, v33, v91
	s_delay_alu instid0(VALU_DEP_3) | instskip(NEXT) | instid1(VALU_DEP_1)
	v_fmac_f32_e32 v44, v39, v43
	v_add_f32_e32 v32, v46, v44
	v_mul_f32_e32 v46, v93, v109
	s_delay_alu instid0(VALU_DEP_1)
	v_fmac_f32_e32 v46, v89, v49
	v_and_b32_e32 v44, 0xffff0000, v35
	v_fmac_f32_e32 v92, v39, v51
	v_mul_f32_e32 v39, v59, v107
	v_lshlrev_b32_e32 v35, 16, v35
	v_mul_f32_e32 v59, v59, v111
	s_delay_alu instid0(VALU_DEP_3) | instskip(NEXT) | instid1(VALU_DEP_2)
	v_fmac_f32_e32 v39, v90, v106
	v_fmac_f32_e32 v59, v90, v95
	s_delay_alu instid0(VALU_DEP_2) | instskip(NEXT) | instid1(VALU_DEP_1)
	v_add_f32_e32 v39, v88, v39
	v_add_f32_e32 v39, v39, v46
	v_mul_f32_e32 v47, v44, v110
	v_add_f32_e32 v45, v45, v92
	v_mul_f32_e32 v90, v93, v99
	s_delay_alu instid0(VALU_DEP_3) | instskip(NEXT) | instid1(VALU_DEP_2)
	v_dual_fmac_f32 v47, v35, v55 :: v_dual_mul_f32 v88, v38, v112
	v_fmac_f32_e32 v90, v89, v56
	v_dual_add_f32 v46, v87, v59 :: v_dual_mul_f32 v59, v44, v102
	s_delay_alu instid0(VALU_DEP_3) | instskip(SKIP_4) | instid1(VALU_DEP_3)
	v_add_f32_e32 v33, v33, v47
	s_waitcnt lgkmcnt(0)
	v_dual_fmac_f32 v88, v34, v50 :: v_dual_and_b32 v47, 0xffff0000, v28
	v_dual_mul_f32 v38, v38, v113 :: v_dual_lshlrev_b32 v87, 16, v28
	v_fmac_f32_e32 v59, v35, v51
	v_mul_f32_e32 v28, v47, v100
	s_delay_alu instid0(VALU_DEP_4) | instskip(NEXT) | instid1(VALU_DEP_4)
	v_dual_add_f32 v39, v39, v88 :: v_dual_mul_f32 v44, v44, v58
	v_fmac_f32_e32 v38, v34, v57
	v_and_b32_e32 v88, 0xffff0000, v29
	s_delay_alu instid0(VALU_DEP_4) | instskip(NEXT) | instid1(VALU_DEP_4)
	v_fmac_f32_e32 v28, v87, v52
	v_dual_add_f32 v34, v39, v59 :: v_dual_and_b32 v39, 0xffff0000, v30
	v_lshlrev_b32_e32 v30, 16, v30
	s_delay_alu instid0(VALU_DEP_3) | instskip(SKIP_1) | instid1(VALU_DEP_1)
	v_dual_fmac_f32 v44, v35, v43 :: v_dual_add_f32 v35, v86, v28
	v_add_f32_e32 v46, v46, v90
	v_add_f32_e32 v38, v46, v38
	v_dual_mul_f32 v29, v88, v103 :: v_dual_lshlrev_b32 v46, 16, v29
	s_delay_alu instid0(VALU_DEP_1) | instskip(NEXT) | instid1(VALU_DEP_1)
	v_fmac_f32_e32 v29, v46, v53
	v_add_f32_e32 v29, v35, v29
	v_and_b32_e32 v35, 0xffff0000, v31
	v_lshlrev_b32_e32 v31, 16, v31
	s_delay_alu instid0(VALU_DEP_2) | instskip(NEXT) | instid1(VALU_DEP_1)
	v_dual_mul_f32 v53, v35, v110 :: v_dual_mul_f32 v52, v88, v109
	v_dual_fmac_f32 v53, v31, v55 :: v_dual_fmac_f32 v52, v46, v49
	v_mul_f32_e32 v49, v39, v112
	s_delay_alu instid0(VALU_DEP_1)
	v_fmac_f32_e32 v49, v30, v50
	v_add_f32_e32 v28, v38, v44
	v_mul_f32_e32 v44, v39, v105
	v_mul_f32_e32 v50, v35, v102
	;; [unrolled: 1-line block ×4, first 2 shown]
	s_delay_alu instid0(VALU_DEP_4) | instskip(NEXT) | instid1(VALU_DEP_3)
	v_fmac_f32_e32 v44, v30, v54
	v_dual_fmac_f32 v50, v31, v51 :: v_dual_fmac_f32 v39, v30, v57
	v_and_b32_e32 v51, 0xffff0000, v26
	s_waitcnt vmcnt(2)
	v_lshlrev_b32_e32 v30, 16, v20
	v_dual_add_f32 v29, v29, v44 :: v_dual_mul_f32 v38, v47, v107
	v_mul_f32_e32 v47, v47, v111
	v_mul_f32_e32 v44, v88, v99
	v_fmac_f32_e32 v35, v31, v43
	s_delay_alu instid0(VALU_DEP_4) | instskip(NEXT) | instid1(VALU_DEP_3)
	v_dual_add_f32 v29, v29, v53 :: v_dual_fmac_f32 v38, v87, v106
	v_dual_fmac_f32 v47, v87, v95 :: v_dual_fmac_f32 v44, v46, v56
	v_and_b32_e32 v46, 0xffff0000, v24
	v_lshlrev_b32_e32 v24, 16, v24
	s_delay_alu instid0(VALU_DEP_3)
	v_dual_add_f32 v38, v85, v38 :: v_dual_add_f32 v47, v67, v47
	v_and_b32_e32 v43, 0xffff0000, v27
	v_lshlrev_b32_e32 v27, 16, v27
	v_lshlrev_b32_e32 v26, 16, v26
	s_waitcnt vmcnt(1)
	v_and_b32_e32 v56, 0xffff0000, v19
	v_add_f32_e32 v44, v47, v44
	s_delay_alu instid0(VALU_DEP_1) | instskip(SKIP_1) | instid1(VALU_DEP_2)
	v_dual_add_f32 v39, v44, v39 :: v_dual_add_f32 v38, v38, v52
	v_and_b32_e32 v52, 0xffff0000, v22
	v_dual_add_f32 v35, v39, v35 :: v_dual_lshlrev_b32 v44, 16, v21
	s_delay_alu instid0(VALU_DEP_3) | instskip(NEXT) | instid1(VALU_DEP_1)
	v_dual_add_f32 v38, v38, v49 :: v_dual_and_b32 v49, 0xffff0000, v20
	v_dual_mul_f32 v53, v51, v52 :: v_dual_add_f32 v20, v38, v50
	v_and_b32_e32 v38, 0xffff0000, v25
	v_and_b32_e32 v50, 0xffff0000, v21
	v_lshlrev_b32_e32 v25, 16, v25
	s_delay_alu instid0(VALU_DEP_2) | instskip(SKIP_1) | instid1(VALU_DEP_2)
	v_mul_f32_e32 v21, v38, v50
	v_mul_f32_e32 v47, v46, v49
	v_fmac_f32_e32 v21, v25, v44
	s_delay_alu instid0(VALU_DEP_2) | instskip(NEXT) | instid1(VALU_DEP_1)
	v_fmac_f32_e32 v47, v24, v30
	v_dual_add_f32 v47, v48, v47 :: v_dual_lshlrev_b32 v48, 16, v22
	s_delay_alu instid0(VALU_DEP_1) | instskip(SKIP_3) | instid1(VALU_DEP_3)
	v_add_f32_e32 v31, v47, v21
	v_and_b32_e32 v47, 0xffff0000, v16
	v_lshlrev_b32_e32 v16, 16, v16
	v_lshlrev_b32_e32 v21, 16, v23
	v_mul_f32_e32 v54, v46, v47
	s_delay_alu instid0(VALU_DEP_1) | instskip(SKIP_1) | instid1(VALU_DEP_1)
	v_fmac_f32_e32 v54, v24, v16
	v_dual_mul_f32 v57, v43, v56 :: v_dual_and_b32 v22, 0xffff0000, v23
	v_mul_f32_e32 v23, v43, v22
	s_delay_alu instid0(VALU_DEP_1) | instskip(SKIP_1) | instid1(VALU_DEP_1)
	v_fmac_f32_e32 v23, v27, v21
	v_fmac_f32_e32 v53, v26, v48
	v_add_f32_e32 v31, v31, v53
	v_and_b32_e32 v53, 0xffff0000, v17
	v_lshlrev_b32_e32 v17, 16, v17
	s_delay_alu instid0(VALU_DEP_3) | instskip(NEXT) | instid1(VALU_DEP_3)
	v_add_f32_e32 v95, v31, v23
	v_mul_f32_e32 v39, v38, v53
	s_waitcnt vmcnt(0)
	v_dual_add_f32 v31, v98, v54 :: v_dual_and_b32 v54, 0xffff0000, v8
	s_delay_alu instid0(VALU_DEP_2) | instskip(NEXT) | instid1(VALU_DEP_1)
	v_dual_fmac_f32 v39, v25, v17 :: v_dual_lshlrev_b32 v8, 16, v8
	v_dual_mul_f32 v46, v46, v54 :: v_dual_add_f32 v31, v31, v39
	s_delay_alu instid0(VALU_DEP_1) | instskip(NEXT) | instid1(VALU_DEP_1)
	v_fmac_f32_e32 v46, v24, v8
	v_dual_add_f32 v42, v42, v46 :: v_dual_and_b32 v39, 0xffff0000, v9
	v_and_b32_e32 v46, 0xffff0000, v12
	v_lshlrev_b32_e32 v12, 16, v12
	s_delay_alu instid0(VALU_DEP_3) | instskip(SKIP_2) | instid1(VALU_DEP_3)
	v_dual_mul_f32 v24, v38, v39 :: v_dual_lshlrev_b32 v9, 16, v9
	v_and_b32_e32 v23, 0xffff0000, v18
	v_and_b32_e32 v38, 0xffff0000, v10
	v_fmac_f32_e32 v24, v25, v9
	s_delay_alu instid0(VALU_DEP_3) | instskip(NEXT) | instid1(VALU_DEP_2)
	v_dual_mul_f32 v55, v51, v23 :: v_dual_lshlrev_b32 v18, 16, v18
	v_dual_mul_f32 v25, v51, v38 :: v_dual_add_f32 v24, v42, v24
	s_delay_alu instid0(VALU_DEP_2) | instskip(NEXT) | instid1(VALU_DEP_1)
	v_fmac_f32_e32 v55, v26, v18
	v_dual_add_f32 v31, v31, v55 :: v_dual_lshlrev_b32 v10, 16, v10
	s_delay_alu instid0(VALU_DEP_1) | instskip(SKIP_2) | instid1(VALU_DEP_2)
	v_fmac_f32_e32 v25, v26, v10
	v_dual_mul_f32 v42, v46, v49 :: v_dual_lshlrev_b32 v19, 16, v19
	v_and_b32_e32 v26, 0xffff0000, v11
	v_dual_add_f32 v24, v24, v25 :: v_dual_fmac_f32 v57, v27, v19
	v_lshlrev_b32_e32 v11, 16, v11
	s_delay_alu instid0(VALU_DEP_3) | instskip(SKIP_1) | instid1(VALU_DEP_4)
	v_mul_f32_e32 v43, v43, v26
	v_fmac_f32_e32 v42, v12, v30
	v_dual_add_f32 v98, v31, v57 :: v_dual_and_b32 v31, 0xffff0000, v14
	s_delay_alu instid0(VALU_DEP_3) | instskip(SKIP_3) | instid1(VALU_DEP_4)
	v_dual_fmac_f32 v43, v27, v11 :: v_dual_lshlrev_b32 v14, 16, v14
	v_and_b32_e32 v51, 0xffff0000, v13
	v_lshlrev_b32_e32 v13, 16, v13
	v_add_f32_e32 v27, v40, v42
	v_add_f32_e32 v96, v24, v43
	s_delay_alu instid0(VALU_DEP_4) | instskip(SKIP_2) | instid1(VALU_DEP_3)
	v_dual_mul_f32 v24, v46, v47 :: v_dual_mul_f32 v25, v51, v50
	v_mul_f32_e32 v42, v51, v53
	v_mul_f32_e32 v40, v31, v52
	v_fmac_f32_e32 v24, v12, v16
	s_delay_alu instid0(VALU_DEP_4) | instskip(NEXT) | instid1(VALU_DEP_4)
	v_fmac_f32_e32 v25, v13, v44
	v_fmac_f32_e32 v42, v13, v17
	s_delay_alu instid0(VALU_DEP_4) | instskip(NEXT) | instid1(VALU_DEP_3)
	v_fmac_f32_e32 v40, v14, v48
	v_dual_add_f32 v24, v41, v24 :: v_dual_add_f32 v25, v27, v25
	v_and_b32_e32 v27, 0xffff0000, v15
	v_lshlrev_b32_e32 v15, 16, v15
	s_delay_alu instid0(VALU_DEP_3) | instskip(NEXT) | instid1(VALU_DEP_4)
	v_dual_mul_f32 v41, v31, v23 :: v_dual_add_f32 v24, v24, v42
	v_dual_add_f32 v25, v25, v40 :: v_dual_mul_f32 v40, v46, v54
	s_delay_alu instid0(VALU_DEP_4) | instskip(NEXT) | instid1(VALU_DEP_3)
	v_mul_f32_e32 v43, v27, v22
	v_dual_fmac_f32 v41, v14, v18 :: v_dual_mul_f32 v42, v27, v56
	s_delay_alu instid0(VALU_DEP_3) | instskip(NEXT) | instid1(VALU_DEP_3)
	v_dual_mul_f32 v27, v27, v26 :: v_dual_fmac_f32 v40, v12, v8
	v_fmac_f32_e32 v43, v15, v21
	v_mul_f32_e32 v12, v51, v39
	s_delay_alu instid0(VALU_DEP_4) | instskip(SKIP_1) | instid1(VALU_DEP_4)
	v_add_f32_e32 v24, v24, v41
	v_fmac_f32_e32 v42, v15, v19
	v_dual_add_f32 v36, v36, v40 :: v_dual_add_f32 v97, v25, v43
	s_delay_alu instid0(VALU_DEP_4) | instskip(SKIP_1) | instid1(VALU_DEP_2)
	v_dual_fmac_f32 v12, v13, v9 :: v_dual_and_b32 v25, 0xffff0000, v4
	v_dual_mul_f32 v13, v31, v38 :: v_dual_lshlrev_b32 v4, 16, v4
	v_dual_add_f32 v94, v24, v42 :: v_dual_mul_f32 v31, v25, v49
	s_delay_alu instid0(VALU_DEP_2) | instskip(NEXT) | instid1(VALU_DEP_4)
	v_dual_fmac_f32 v13, v14, v10 :: v_dual_and_b32 v24, 0xffff0000, v5
	v_dual_add_f32 v12, v36, v12 :: v_dual_lshlrev_b32 v5, 16, v5
	s_delay_alu instid0(VALU_DEP_2) | instskip(NEXT) | instid1(VALU_DEP_4)
	v_dual_fmac_f32 v27, v15, v11 :: v_dual_mul_f32 v14, v24, v50
	v_fmac_f32_e32 v31, v4, v30
	s_delay_alu instid0(VALU_DEP_3) | instskip(NEXT) | instid1(VALU_DEP_3)
	v_add_f32_e32 v12, v12, v13
	v_fmac_f32_e32 v14, v5, v44
	s_delay_alu instid0(VALU_DEP_3) | instskip(SKIP_3) | instid1(VALU_DEP_4)
	v_add_f32_e32 v13, v37, v31
	v_and_b32_e32 v31, 0xffff0000, v6
	v_dual_mul_f32 v15, v25, v47 :: v_dual_lshlrev_b32 v6, 16, v6
	v_mul_f32_e32 v25, v25, v54
	v_dual_add_f32 v13, v13, v14 :: v_dual_and_b32 v14, 0xffff0000, v7
	s_delay_alu instid0(VALU_DEP_4) | instskip(NEXT) | instid1(VALU_DEP_4)
	v_dual_mul_f32 v36, v31, v52 :: v_dual_mul_f32 v37, v24, v53
	v_fmac_f32_e32 v15, v4, v16
	s_delay_alu instid0(VALU_DEP_4) | instskip(NEXT) | instid1(VALU_DEP_3)
	v_fmac_f32_e32 v25, v4, v8
	v_dual_mul_f32 v41, v31, v23 :: v_dual_fmac_f32 v36, v6, v48
	s_delay_alu instid0(VALU_DEP_4) | instskip(NEXT) | instid1(VALU_DEP_4)
	v_dual_fmac_f32 v37, v5, v17 :: v_dual_mul_f32 v4, v24, v39
	v_dual_mul_f32 v40, v14, v22 :: v_dual_add_f32 v15, v45, v15
	s_delay_alu instid0(VALU_DEP_3) | instskip(NEXT) | instid1(VALU_DEP_3)
	v_dual_add_f32 v24, v32, v25 :: v_dual_fmac_f32 v41, v6, v18
	v_dual_fmac_f32 v4, v5, v9 :: v_dual_add_f32 v93, v12, v27
	s_delay_alu instid0(VALU_DEP_1) | instskip(NEXT) | instid1(VALU_DEP_1)
	v_dual_add_f32 v15, v15, v37 :: v_dual_add_f32 v4, v24, v4
	v_dual_add_f32 v12, v15, v41 :: v_dual_lshlrev_b32 v7, 16, v7
	v_and_b32_e32 v15, 0xffff0000, v0
	v_lshlrev_b32_e32 v0, 16, v0
	v_and_b32_e32 v27, 0xffff0000, v1
	s_delay_alu instid0(VALU_DEP_4) | instskip(SKIP_2) | instid1(VALU_DEP_1)
	v_dual_add_f32 v13, v13, v36 :: v_dual_fmac_f32 v40, v7, v21
	v_lshlrev_b32_e32 v1, 16, v1
	v_mul_f32_e32 v5, v31, v38
	v_fmac_f32_e32 v5, v6, v10
	s_delay_alu instid0(VALU_DEP_4) | instskip(NEXT) | instid1(VALU_DEP_2)
	v_dual_mul_f32 v6, v27, v50 :: v_dual_add_f32 v89, v13, v40
	v_dual_mul_f32 v13, v14, v56 :: v_dual_add_f32 v4, v4, v5
	s_delay_alu instid0(VALU_DEP_1) | instskip(NEXT) | instid1(VALU_DEP_1)
	v_fmac_f32_e32 v13, v7, v19
	v_dual_add_f32 v90, v12, v13 :: v_dual_mul_f32 v13, v14, v26
	v_mul_f32_e32 v14, v15, v47
	v_and_b32_e32 v12, 0xffff0000, v2
	s_delay_alu instid0(VALU_DEP_3) | instskip(NEXT) | instid1(VALU_DEP_3)
	v_dual_fmac_f32 v13, v7, v11 :: v_dual_lshlrev_b32 v2, 16, v2
	v_fmac_f32_e32 v14, v0, v16
	s_delay_alu instid0(VALU_DEP_3)
	v_mul_f32_e32 v24, v12, v52
	v_mul_f32_e32 v32, v12, v23
	v_fmac_f32_e32 v6, v1, v44
	v_add_f32_e32 v92, v4, v13
	v_dual_add_f32 v14, v34, v14 :: v_dual_mul_f32 v25, v15, v49
	v_fmac_f32_e32 v24, v2, v48
	v_fmac_f32_e32 v32, v2, v18
	v_mul_f32_e32 v12, v12, v38
	s_delay_alu instid0(VALU_DEP_4) | instskip(NEXT) | instid1(VALU_DEP_1)
	v_dual_fmac_f32 v25, v0, v30 :: v_dual_and_b32 v4, 0xffff0000, v68
	v_dual_fmac_f32 v12, v2, v10 :: v_dual_add_f32 v5, v33, v25
	v_mul_f32_e32 v25, v27, v53
	s_delay_alu instid0(VALU_DEP_2) | instskip(NEXT) | instid1(VALU_DEP_2)
	v_dual_add_f32 v5, v5, v6 :: v_dual_and_b32 v6, 0xffff0000, v3
	v_fmac_f32_e32 v25, v1, v17
	v_lshlrev_b32_e32 v3, 16, v3
	s_delay_alu instid0(VALU_DEP_3) | instskip(NEXT) | instid1(VALU_DEP_4)
	v_dual_add_f32 v5, v5, v24 :: v_dual_mul_f32 v24, v27, v39
	v_mul_f32_e32 v31, v6, v22
	v_mul_f32_e32 v13, v6, v56
	;; [unrolled: 1-line block ×3, first 2 shown]
	v_dual_add_f32 v7, v14, v25 :: v_dual_mul_f32 v14, v15, v54
	v_dual_fmac_f32 v24, v1, v9 :: v_dual_and_b32 v1, 0xffff0000, v64
	v_and_b32_e32 v15, 0xffff0000, v63
	s_delay_alu instid0(VALU_DEP_4) | instskip(NEXT) | instid1(VALU_DEP_4)
	v_fmac_f32_e32 v2, v3, v11
	v_fmac_f32_e32 v14, v0, v8
	v_dual_fmac_f32 v31, v3, v21 :: v_dual_lshlrev_b32 v0, 16, v68
	v_fmac_f32_e32 v13, v3, v19
	v_mul_f32_e32 v3, v4, v47
	s_delay_alu instid0(VALU_DEP_4) | instskip(NEXT) | instid1(VALU_DEP_4)
	v_add_f32_e32 v14, v28, v14
	v_dual_add_f32 v91, v5, v31 :: v_dual_lshlrev_b32 v28, 16, v64
	v_add_f32_e32 v5, v7, v32
	v_mul_f32_e32 v7, v4, v49
	v_dual_mul_f32 v4, v4, v54 :: v_dual_lshlrev_b32 v25, 16, v63
	v_dual_mul_f32 v27, v15, v50 :: v_dual_add_f32 v14, v14, v24
	s_delay_alu instid0(VALU_DEP_3) | instskip(NEXT) | instid1(VALU_DEP_3)
	v_fmac_f32_e32 v7, v0, v30
	v_fmac_f32_e32 v4, v0, v8
	v_mul_f32_e32 v8, v1, v23
	s_delay_alu instid0(VALU_DEP_2) | instskip(SKIP_1) | instid1(VALU_DEP_3)
	v_dual_add_f32 v7, v29, v7 :: v_dual_add_f32 v4, v35, v4
	v_dual_fmac_f32 v3, v0, v16 :: v_dual_mul_f32 v16, v15, v53
	v_dual_fmac_f32 v27, v25, v44 :: v_dual_fmac_f32 v8, v28, v18
	v_dual_mul_f32 v0, v15, v39 :: v_dual_mul_f32 v29, v1, v52
	s_delay_alu instid0(VALU_DEP_3) | instskip(NEXT) | instid1(VALU_DEP_3)
	v_add_f32_e32 v3, v20, v3
	v_dual_add_f32 v6, v7, v27 :: v_dual_add_f32 v7, v14, v12
	v_fmac_f32_e32 v16, v25, v17
	v_and_b32_e32 v12, 0xffff0000, v65
	v_fmac_f32_e32 v0, v25, v9
	v_mul_f32_e32 v1, v1, v38
	v_dual_fmac_f32 v29, v28, v48 :: v_dual_lshlrev_b32 v14, 16, v65
	s_delay_alu instid0(VALU_DEP_4) | instskip(NEXT) | instid1(VALU_DEP_4)
	v_mul_f32_e32 v22, v12, v22
	v_add_f32_e32 v0, v4, v0
	v_dual_add_f32 v3, v3, v16 :: v_dual_mul_f32 v4, v12, v26
	s_delay_alu instid0(VALU_DEP_3) | instskip(SKIP_1) | instid1(VALU_DEP_3)
	v_dual_mul_f32 v9, v12, v56 :: v_dual_fmac_f32 v22, v14, v21
	v_dual_fmac_f32 v1, v28, v10 :: v_dual_add_f32 v6, v6, v29
	v_dual_fmac_f32 v4, v14, v11 :: v_dual_add_f32 v3, v3, v8
	s_delay_alu instid0(VALU_DEP_3) | instskip(NEXT) | instid1(VALU_DEP_3)
	v_dual_fmac_f32 v9, v14, v19 :: v_dual_add_f32 v88, v5, v13
	v_dual_add_f32 v0, v0, v1 :: v_dual_add_f32 v87, v7, v2
	s_delay_alu instid0(VALU_DEP_2) | instskip(NEXT) | instid1(VALU_DEP_2)
	v_dual_add_f32 v86, v6, v22 :: v_dual_add_f32 v85, v3, v9
	v_add_f32_e32 v67, v0, v4
.LBB301_16:                             ;   in Loop: Header=BB301_17 Depth=2
	s_or_b32 exec_lo, exec_lo, s2
	s_addk_i32 s14, 0x400
	s_delay_alu instid0(SALU_CYCLE_1)
	s_cmp_ge_u32 s14, s16
	s_cbranch_scc1 .LBB301_29
.LBB301_17:                             ;   Parent Loop BB301_12 Depth=1
                                        ; =>  This Loop Header: Depth=2
                                        ;       Child Loop BB301_22 Depth 3
	s_cmp_eq_u32 s14, 0
	s_cselect_b32 s15, -1, 0
	s_add_i32 s2, s3, s24
	s_delay_alu instid0(SALU_CYCLE_1) | instskip(SKIP_1) | instid1(SALU_CYCLE_1)
	s_cmp_eq_u32 s14, s2
	s_cselect_b32 s42, -1, 0
	s_or_b32 s42, s15, s42
	s_delay_alu instid0(SALU_CYCLE_1)
	s_and_not1_b32 vcc_lo, exec_lo, s42
	s_cbranch_vccz .LBB301_19
; %bb.18:                               ;   in Loop: Header=BB301_17 Depth=2
	s_and_saveexec_b32 s2, s1
	s_cbranch_execz .LBB301_16
	s_branch .LBB301_26
.LBB301_19:                             ;   in Loop: Header=BB301_17 Depth=2
	s_and_b32 s15, s15, exec_lo
	s_cselect_b32 s3, s3, s2
	s_and_not1_b32 vcc_lo, exec_lo, s26
	s_waitcnt vmcnt(0)
	s_waitcnt_vscnt null, 0x0
	s_barrier
	buffer_gl0_inv
	s_cbranch_vccnz .LBB301_25
; %bb.20:                               ;   in Loop: Header=BB301_17 Depth=2
	v_dual_mov_b32 v5, v80 :: v_dual_add_nc_u32 v0, s3, v81
	v_add_nc_u32_e32 v1, s3, v71
	v_add_nc_u32_e32 v2, s3, v82
	;; [unrolled: 1-line block ×4, first 2 shown]
	s_mov_b32 s15, 0
	s_mov_b32 s42, 0
                                        ; implicit-def: $sgpr43
	s_branch .LBB301_22
.LBB301_21:                             ;   in Loop: Header=BB301_22 Depth=3
	s_or_b32 exec_lo, exec_lo, s2
	s_delay_alu instid0(SALU_CYCLE_1) | instskip(NEXT) | instid1(SALU_CYCLE_1)
	s_and_b32 s2, exec_lo, s43
	s_or_b32 s15, s2, s15
	s_delay_alu instid0(SALU_CYCLE_1)
	s_and_not1_b32 exec_lo, exec_lo, s15
	s_cbranch_execz .LBB301_24
.LBB301_22:                             ;   Parent Loop BB301_12 Depth=1
                                        ;     Parent Loop BB301_17 Depth=2
                                        ; =>    This Inner Loop Header: Depth=3
	s_delay_alu instid0(VALU_DEP_1) | instskip(SKIP_2) | instid1(VALU_DEP_2)
	v_add_nc_u32_e32 v68, s42, v4
	v_add_nc_u32_e32 v6, s42, v70
	s_or_b32 s43, s43, exec_lo
	v_cmp_gt_u32_e32 vcc_lo, s18, v68
	s_delay_alu instid0(VALU_DEP_2) | instskip(NEXT) | instid1(VALU_DEP_1)
	v_cmp_gt_u32_e64 s2, s24, v6
	s_and_b32 s44, s2, vcc_lo
	s_delay_alu instid0(SALU_CYCLE_1)
	s_and_saveexec_b32 s2, s44
	s_cbranch_execz .LBB301_21
; %bb.23:                               ;   in Loop: Header=BB301_22 Depth=3
	v_lshlrev_b64 v[6:7], 1, v[68:69]
	v_add_nc_u32_e32 v68, s42, v3
	v_add_nc_u32_e32 v26, s41, v5
	;; [unrolled: 1-line block ×3, first 2 shown]
	s_delay_alu instid0(VALU_DEP_3) | instskip(SKIP_3) | instid1(VALU_DEP_3)
	v_lshlrev_b64 v[8:9], 1, v[68:69]
	v_add_nc_u32_e32 v68, s42, v0
	v_add_co_u32 v6, vcc_lo, s8, v6
	v_add_co_ci_u32_e32 v7, vcc_lo, s9, v7, vcc_lo
	v_lshlrev_b64 v[10:11], 1, v[68:69]
	v_add_nc_u32_e32 v68, s42, v1
	v_add_co_u32 v12, vcc_lo, s8, v8
	v_add_co_ci_u32_e32 v13, vcc_lo, s9, v9, vcc_lo
	s_delay_alu instid0(VALU_DEP_3) | instskip(SKIP_3) | instid1(VALU_DEP_3)
	v_lshlrev_b64 v[18:19], 1, v[68:69]
	v_add_nc_u32_e32 v68, s42, v2
	v_add_co_u32 v14, vcc_lo, s8, v10
	v_add_co_ci_u32_e32 v15, vcc_lo, s9, v11, vcc_lo
	v_lshlrev_b64 v[20:21], 1, v[68:69]
	v_add_co_u32 v18, vcc_lo, s8, v18
	v_add_co_ci_u32_e32 v19, vcc_lo, s9, v19, vcc_lo
	s_clause 0x2
	global_load_b128 v[6:9], v[6:7], off
	global_load_b128 v[10:13], v[12:13], off
	;; [unrolled: 1-line block ×3, first 2 shown]
	v_add_co_u32 v22, vcc_lo, s8, v20
	v_add_co_ci_u32_e32 v23, vcc_lo, s9, v21, vcc_lo
	s_clause 0x1
	global_load_b128 v[18:21], v[18:19], off
	global_load_b128 v[22:25], v[22:23], off
	s_add_i32 s42, s42, s27
	s_waitcnt vmcnt(4)
	ds_store_b128 v5, v[6:9]
	s_waitcnt vmcnt(3)
	ds_store_2addr_b64 v26, v[10:11], v[12:13] offset1:1
	s_waitcnt vmcnt(2)
	ds_store_2addr_b32 v27, v14, v15 offset1:1
	ds_store_2addr_b32 v27, v16, v17 offset0:2 offset1:3
	s_cmp_ge_u32 s42, s24
	v_add_nc_u32_e32 v6, s21, v5
	s_cselect_b32 s44, -1, 0
	v_add_nc_u32_e32 v7, s38, v5
	v_add_nc_u32_e32 v5, s20, v5
	s_and_not1_b32 s43, s43, exec_lo
	s_and_b32 s44, s44, exec_lo
	s_waitcnt vmcnt(1)
	ds_store_2addr_b64 v6, v[18:19], v[20:21] offset1:1
	s_or_b32 s43, s43, s44
	s_waitcnt vmcnt(0)
	ds_store_2addr_b64 v7, v[22:23], v[24:25] offset1:1
	s_branch .LBB301_21
.LBB301_24:                             ;   in Loop: Header=BB301_17 Depth=2
	s_or_b32 exec_lo, exec_lo, s15
.LBB301_25:                             ;   in Loop: Header=BB301_17 Depth=2
	s_waitcnt lgkmcnt(0)
	s_barrier
	buffer_gl0_inv
	s_and_saveexec_b32 s2, s1
	s_cbranch_execz .LBB301_16
.LBB301_26:                             ;   in Loop: Header=BB301_17 Depth=2
	v_dual_mov_b32 v64, 0 :: v_dual_add_nc_u32 v99, s14, v79
	v_mov_b32_e32 v63, 0
	s_waitcnt vmcnt(0)
	v_dual_mov_b32 v15, 0 :: v_dual_mov_b32 v14, 0
	s_delay_alu instid0(VALU_DEP_3) | instskip(SKIP_2) | instid1(VALU_DEP_3)
	v_min_u32_e32 v68, s28, v99
	v_dual_mov_b32 v65, 0 :: v_dual_add_nc_u32 v100, 0x200, v99
	v_dual_mov_b32 v13, 0 :: v_dual_mov_b32 v12, 0
	v_lshlrev_b64 v[0:1], 1, v[68:69]
	s_delay_alu instid0(VALU_DEP_3) | instskip(SKIP_2) | instid1(VALU_DEP_4)
	v_min_u32_e32 v68, s28, v100
	v_dual_mov_b32 v27, 0 :: v_dual_mov_b32 v26, 0
	v_dual_mov_b32 v25, 0 :: v_dual_mov_b32 v24, 0
	v_add_co_u32 v6, vcc_lo, s6, v0
	v_add_co_ci_u32_e32 v7, vcc_lo, s7, v1, vcc_lo
	v_lshlrev_b64 v[0:1], 1, v[68:69]
	s_delay_alu instid0(VALU_DEP_3) | instskip(NEXT) | instid1(VALU_DEP_3)
	v_add_co_u32 v2, vcc_lo, v6, v72
	v_add_co_ci_u32_e32 v3, vcc_lo, v7, v73, vcc_lo
	v_add_co_u32 v4, vcc_lo, v6, v74
	v_add_co_ci_u32_e32 v5, vcc_lo, v7, v75, vcc_lo
	;; [unrolled: 2-line block ×4, first 2 shown]
	s_delay_alu instid0(VALU_DEP_4) | instskip(NEXT) | instid1(VALU_DEP_4)
	v_add_co_u32 v6, vcc_lo, v10, v72
	v_add_co_ci_u32_e32 v7, vcc_lo, v11, v73, vcc_lo
	v_add_co_u32 v8, vcc_lo, v10, v74
	v_add_co_ci_u32_e32 v9, vcc_lo, v11, v75, vcc_lo
	;; [unrolled: 2-line block ×3, first 2 shown]
	s_clause 0x5
	global_load_b128 v[52:55], v[2:3], off slc dlc
	global_load_b128 v[48:51], v[4:5], off slc dlc
	;; [unrolled: 1-line block ×6, first 2 shown]
	v_cmp_gt_u32_e32 vcc_lo, s16, v99
	v_dual_mov_b32 v68, 0 :: v_dual_mov_b32 v3, 0
	v_dual_mov_b32 v2, 0 :: v_dual_mov_b32 v1, 0
	;; [unrolled: 1-line block ×14, first 2 shown]
	v_mov_b32_e32 v56, 0
	s_and_saveexec_b32 s15, vcc_lo
	s_cbranch_execz .LBB301_15
; %bb.27:                               ;   in Loop: Header=BB301_17 Depth=2
	v_subrev_nc_u32_e32 v0, s3, v99
	v_cmp_gt_u32_e32 vcc_lo, s16, v100
	v_dual_mov_b32 v13, 0 :: v_dual_mov_b32 v14, 0
	v_dual_mov_b32 v15, 0 :: v_dual_mov_b32 v4, 0
	s_delay_alu instid0(VALU_DEP_4) | instskip(SKIP_1) | instid1(VALU_DEP_2)
	v_dual_mov_b32 v24, 0 :: v_dual_lshlrev_b32 v103, 1, v0
	v_dual_mov_b32 v5, 0 :: v_dual_mov_b32 v6, 0
	v_dual_mov_b32 v25, 0 :: v_dual_add_nc_u32 v102, s41, v103
	v_dual_mov_b32 v7, 0 :: v_dual_mov_b32 v0, 0
	v_dual_mov_b32 v1, 0 :: v_dual_mov_b32 v2, 0
	s_delay_alu instid0(VALU_DEP_3) | instskip(SKIP_1) | instid1(VALU_DEP_2)
	v_dual_mov_b32 v26, 0 :: v_dual_add_nc_u32 v99, s41, v102
	v_dual_mov_b32 v3, 0 :: v_dual_mov_b32 v68, 0
	v_dual_mov_b32 v27, 0 :: v_dual_add_nc_u32 v100, s41, v99
	v_dual_mov_b32 v63, 0 :: v_dual_mov_b32 v64, 0
	v_dual_mov_b32 v65, 0 :: v_dual_mov_b32 v12, 0
	s_delay_alu instid0(VALU_DEP_3)
	v_add_nc_u32_e32 v101, s41, v100
	ds_load_b128 v[56:59], v103
	ds_load_b128 v[44:47], v102
	;; [unrolled: 1-line block ×5, first 2 shown]
	s_and_saveexec_b32 s42, vcc_lo
	s_cbranch_execz .LBB301_14
; %bb.28:                               ;   in Loop: Header=BB301_17 Depth=2
	ds_load_b128 v[24:27], v103 offset:1024
	ds_load_b128 v[12:15], v102 offset:1024
	;; [unrolled: 1-line block ×4, first 2 shown]
	ds_load_b32 v68, v101 offset:1024
	ds_load_b96 v[63:65], v101 offset:1028
	s_branch .LBB301_14
.LBB301_29:                             ;   in Loop: Header=BB301_12 Depth=1
	s_mov_b32 s1, exec_lo
	v_cmpx_le_u32_e64 s19, v66
	s_xor_b32 s1, exec_lo, s1
; %bb.30:                               ;   in Loop: Header=BB301_12 Depth=1
	v_add_nc_u32_e32 v66, s5, v66
                                        ; implicit-def: $vgpr67
                                        ; implicit-def: $vgpr85
                                        ; implicit-def: $vgpr86
                                        ; implicit-def: $vgpr87
                                        ; implicit-def: $vgpr88
                                        ; implicit-def: $vgpr91
                                        ; implicit-def: $vgpr92
                                        ; implicit-def: $vgpr90
                                        ; implicit-def: $vgpr89
                                        ; implicit-def: $vgpr93
                                        ; implicit-def: $vgpr94
                                        ; implicit-def: $vgpr97
                                        ; implicit-def: $vgpr96
                                        ; implicit-def: $vgpr98
                                        ; implicit-def: $vgpr95
; %bb.31:                               ;   in Loop: Header=BB301_12 Depth=1
	s_and_not1_saveexec_b32 s42, s1
	s_cbranch_execz .LBB301_11
; %bb.32:                               ;   in Loop: Header=BB301_12 Depth=1
	v_xor_b32_e32 v0, 16, v78
	s_waitcnt lgkmcnt(0)
	v_cvt_i32_f32_e32 v1, v95
	v_cvt_i32_f32_e32 v2, v98
	;; [unrolled: 1-line block ×4, first 2 shown]
	v_cmp_gt_i32_e32 vcc_lo, 32, v0
	v_cvt_f32_i32_dpp v1, v1 row_shr:8 row_mask:0xf bank_mask:0xf bound_ctrl:1
	v_cvt_i32_f32_e32 v5, v94
	v_cvt_f32_i32_dpp v2, v2 row_shr:8 row_mask:0xf bank_mask:0xf bound_ctrl:1
	s_delay_alu instid0(VALU_DEP_3) | instskip(SKIP_1) | instid1(VALU_DEP_1)
	v_dual_cndmask_b32 v0, v78, v0 :: v_dual_add_f32 v1, v95, v1
	s_waitcnt vmcnt(0)
	v_lshlrev_b32_e32 v14, 2, v0
	v_cvt_f32_i32_dpp v0, v3 row_shr:8 row_mask:0xf bank_mask:0xf bound_ctrl:1
	v_cvt_f32_i32_dpp v3, v4 row_shr:8 row_mask:0xf bank_mask:0xf bound_ctrl:1
	;; [unrolled: 1-line block ×3, first 2 shown]
	v_cvt_i32_f32_e32 v5, v1
	s_delay_alu instid0(VALU_DEP_3) | instskip(NEXT) | instid1(VALU_DEP_2)
	v_add_f32_e32 v3, v97, v3
	v_cvt_f32_i32_dpp v5, v5 row_shr:4 row_mask:0xf bank_mask:0xf bound_ctrl:1
	v_add_f32_e32 v2, v98, v2
	s_delay_alu instid0(VALU_DEP_3) | instskip(NEXT) | instid1(VALU_DEP_3)
	v_cvt_i32_f32_e32 v8, v3
	v_add_f32_e32 v1, v1, v5
	s_delay_alu instid0(VALU_DEP_3) | instskip(NEXT) | instid1(VALU_DEP_3)
	v_cvt_i32_f32_e32 v6, v2
	v_cvt_f32_i32_dpp v8, v8 row_shr:4 row_mask:0xf bank_mask:0xf bound_ctrl:1
	s_delay_alu instid0(VALU_DEP_3) | instskip(NEXT) | instid1(VALU_DEP_3)
	v_cvt_i32_f32_e32 v5, v1
	v_cvt_f32_i32_dpp v6, v6 row_shr:4 row_mask:0xf bank_mask:0xf bound_ctrl:1
	s_delay_alu instid0(VALU_DEP_3) | instskip(NEXT) | instid1(VALU_DEP_3)
	v_add_f32_e32 v3, v3, v8
	v_cvt_f32_i32_dpp v5, v5 row_shr:2 row_mask:0xf bank_mask:0xf bound_ctrl:1
	v_add_f32_e32 v0, v96, v0
	s_delay_alu instid0(VALU_DEP_4) | instskip(NEXT) | instid1(VALU_DEP_4)
	v_add_f32_e32 v2, v2, v6
	v_cvt_i32_f32_e32 v8, v3
	s_delay_alu instid0(VALU_DEP_4) | instskip(NEXT) | instid1(VALU_DEP_4)
	v_add_f32_e32 v1, v1, v5
	v_cvt_i32_f32_e32 v7, v0
	s_delay_alu instid0(VALU_DEP_4) | instskip(NEXT) | instid1(VALU_DEP_4)
	v_cvt_i32_f32_e32 v6, v2
	v_cvt_f32_i32_dpp v8, v8 row_shr:2 row_mask:0xf bank_mask:0xf bound_ctrl:1
	s_delay_alu instid0(VALU_DEP_4) | instskip(NEXT) | instid1(VALU_DEP_4)
	v_cvt_i32_f32_e32 v5, v1
	v_cvt_f32_i32_dpp v7, v7 row_shr:4 row_mask:0xf bank_mask:0xf bound_ctrl:1
	s_delay_alu instid0(VALU_DEP_4) | instskip(NEXT) | instid1(VALU_DEP_4)
	v_cvt_f32_i32_dpp v6, v6 row_shr:2 row_mask:0xf bank_mask:0xf bound_ctrl:1
	v_add_f32_e32 v3, v3, v8
	s_delay_alu instid0(VALU_DEP_4) | instskip(NEXT) | instid1(VALU_DEP_4)
	v_cvt_f32_i32_dpp v5, v5 row_shr:1 row_mask:0xf bank_mask:0xf bound_ctrl:1
	v_add_f32_e32 v0, v0, v7
	s_delay_alu instid0(VALU_DEP_3) | instskip(NEXT) | instid1(VALU_DEP_2)
	v_cvt_i32_f32_e32 v8, v3
	v_cvt_i32_f32_e32 v7, v0
	s_delay_alu instid0(VALU_DEP_2) | instskip(SKIP_1) | instid1(VALU_DEP_3)
	v_cvt_f32_i32_dpp v8, v8 row_shr:1 row_mask:0xf bank_mask:0xf bound_ctrl:1
	v_add_f32_e32 v2, v2, v6
	v_cvt_f32_i32_dpp v7, v7 row_shr:2 row_mask:0xf bank_mask:0xf bound_ctrl:1
	s_delay_alu instid0(VALU_DEP_3) | instskip(SKIP_1) | instid1(VALU_DEP_4)
	v_add_f32_e32 v25, v3, v8
	v_cvt_i32_f32_e32 v3, v92
	v_cvt_i32_f32_e32 v6, v2
	ds_bpermute_b32 v26, v14, v25
	v_cvt_f32_i32_dpp v3, v3 row_shr:8 row_mask:0xf bank_mask:0xf bound_ctrl:1
	v_add_f32_e32 v34, v1, v5
	v_cvt_i32_f32_e32 v1, v89
	v_cvt_f32_i32_dpp v6, v6 row_shr:1 row_mask:0xf bank_mask:0xf bound_ctrl:1
	s_delay_alu instid0(VALU_DEP_4)
	v_add_f32_e32 v3, v92, v3
	ds_bpermute_b32 v35, v14, v34
	v_cvt_f32_i32_dpp v1, v1 row_shr:8 row_mask:0xf bank_mask:0xf bound_ctrl:1
	v_add_f32_e32 v4, v94, v4
	v_add_f32_e32 v31, v2, v6
	v_cvt_i32_f32_e32 v8, v3
	v_cvt_i32_f32_e32 v2, v90
	v_add_f32_e32 v1, v89, v1
	v_cvt_i32_f32_e32 v9, v4
	ds_bpermute_b32 v32, v14, v31
	v_cvt_f32_i32_dpp v8, v8 row_shr:4 row_mask:0xf bank_mask:0xf bound_ctrl:1
	v_cvt_f32_i32_dpp v2, v2 row_shr:8 row_mask:0xf bank_mask:0xf bound_ctrl:1
	v_cvt_i32_f32_e32 v6, v1
	v_cvt_f32_i32_dpp v9, v9 row_shr:4 row_mask:0xf bank_mask:0xf bound_ctrl:1
	s_delay_alu instid0(VALU_DEP_3) | instskip(NEXT) | instid1(VALU_DEP_3)
	v_dual_add_f32 v3, v3, v8 :: v_dual_add_f32 v2, v90, v2
	v_cvt_f32_i32_dpp v6, v6 row_shr:4 row_mask:0xf bank_mask:0xf bound_ctrl:1
	s_delay_alu instid0(VALU_DEP_3) | instskip(SKIP_1) | instid1(VALU_DEP_4)
	v_add_f32_e32 v4, v4, v9
	v_add_f32_e32 v0, v0, v7
	v_cvt_i32_f32_e32 v8, v3
	s_delay_alu instid0(VALU_DEP_4) | instskip(NEXT) | instid1(VALU_DEP_4)
	v_add_f32_e32 v1, v1, v6
	v_cvt_i32_f32_e32 v9, v4
	s_delay_alu instid0(VALU_DEP_4) | instskip(NEXT) | instid1(VALU_DEP_4)
	v_cvt_i32_f32_e32 v7, v0
	v_cvt_f32_i32_dpp v8, v8 row_shr:2 row_mask:0xf bank_mask:0xf bound_ctrl:1
	s_delay_alu instid0(VALU_DEP_4) | instskip(NEXT) | instid1(VALU_DEP_4)
	v_cvt_i32_f32_e32 v6, v1
	v_cvt_f32_i32_dpp v9, v9 row_shr:2 row_mask:0xf bank_mask:0xf bound_ctrl:1
	s_delay_alu instid0(VALU_DEP_4) | instskip(NEXT) | instid1(VALU_DEP_4)
	v_cvt_f32_i32_dpp v7, v7 row_shr:1 row_mask:0xf bank_mask:0xf bound_ctrl:1
	v_add_f32_e32 v3, v3, v8
	s_delay_alu instid0(VALU_DEP_4) | instskip(NEXT) | instid1(VALU_DEP_4)
	v_cvt_f32_i32_dpp v6, v6 row_shr:2 row_mask:0xf bank_mask:0xf bound_ctrl:1
	v_add_f32_e32 v4, v4, v9
	s_delay_alu instid0(VALU_DEP_4)
	v_add_f32_e32 v28, v0, v7
	v_cvt_i32_f32_e32 v7, v2
	v_cvt_i32_f32_e32 v0, v93
	v_add_f32_e32 v1, v1, v6
	v_cvt_i32_f32_e32 v9, v4
	ds_bpermute_b32 v29, v14, v28
	v_cvt_f32_i32_dpp v7, v7 row_shr:4 row_mask:0xf bank_mask:0xf bound_ctrl:1
	v_cvt_f32_i32_dpp v0, v0 row_shr:8 row_mask:0xf bank_mask:0xf bound_ctrl:1
	v_cvt_i32_f32_e32 v6, v1
	v_cvt_f32_i32_dpp v9, v9 row_shr:1 row_mask:0xf bank_mask:0xf bound_ctrl:1
	v_cvt_i32_f32_e32 v8, v3
	s_delay_alu instid0(VALU_DEP_3) | instskip(NEXT) | instid1(VALU_DEP_3)
	v_cvt_f32_i32_dpp v6, v6 row_shr:1 row_mask:0xf bank_mask:0xf bound_ctrl:1
	v_add_f32_e32 v20, v4, v9
	v_cvt_i32_f32_e32 v4, v91
	s_delay_alu instid0(VALU_DEP_4)
	v_cvt_f32_i32_dpp v8, v8 row_shr:1 row_mask:0xf bank_mask:0xf bound_ctrl:1
	ds_bpermute_b32 v21, v14, v20
	v_cvt_f32_i32_dpp v4, v4 row_shr:8 row_mask:0xf bank_mask:0xf bound_ctrl:1
	v_add_f32_e32 v12, v3, v8
	v_cvt_i32_f32_e32 v3, v85
	ds_bpermute_b32 v13, v14, v12
	v_cvt_f32_i32_dpp v3, v3 row_shr:8 row_mask:0xf bank_mask:0xf bound_ctrl:1
	s_delay_alu instid0(VALU_DEP_1) | instskip(NEXT) | instid1(VALU_DEP_1)
	v_dual_add_f32 v4, v91, v4 :: v_dual_add_f32 v3, v85, v3
	v_cvt_i32_f32_e32 v9, v4
	s_delay_alu instid0(VALU_DEP_2) | instskip(NEXT) | instid1(VALU_DEP_2)
	v_cvt_i32_f32_e32 v10, v3
	v_cvt_f32_i32_dpp v9, v9 row_shr:4 row_mask:0xf bank_mask:0xf bound_ctrl:1
	s_delay_alu instid0(VALU_DEP_2) | instskip(NEXT) | instid1(VALU_DEP_1)
	v_cvt_f32_i32_dpp v10, v10 row_shr:4 row_mask:0xf bank_mask:0xf bound_ctrl:1
	v_dual_add_f32 v4, v4, v9 :: v_dual_add_f32 v3, v3, v10
	s_delay_alu instid0(VALU_DEP_1) | instskip(NEXT) | instid1(VALU_DEP_2)
	v_cvt_i32_f32_e32 v9, v4
	v_cvt_i32_f32_e32 v10, v3
	s_delay_alu instid0(VALU_DEP_2) | instskip(NEXT) | instid1(VALU_DEP_2)
	v_cvt_f32_i32_dpp v9, v9 row_shr:2 row_mask:0xf bank_mask:0xf bound_ctrl:1
	v_cvt_f32_i32_dpp v10, v10 row_shr:2 row_mask:0xf bank_mask:0xf bound_ctrl:1
	s_delay_alu instid0(VALU_DEP_1) | instskip(NEXT) | instid1(VALU_DEP_1)
	v_dual_add_f32 v4, v4, v9 :: v_dual_add_f32 v3, v3, v10
	v_cvt_i32_f32_e32 v9, v4
	s_delay_alu instid0(VALU_DEP_2) | instskip(NEXT) | instid1(VALU_DEP_2)
	v_cvt_i32_f32_e32 v10, v3
	v_cvt_f32_i32_dpp v9, v9 row_shr:1 row_mask:0xf bank_mask:0xf bound_ctrl:1
	s_delay_alu instid0(VALU_DEP_2) | instskip(NEXT) | instid1(VALU_DEP_2)
	v_cvt_f32_i32_dpp v17, v10 row_shr:1 row_mask:0xf bank_mask:0xf bound_ctrl:1
	v_add_f32_e32 v8, v4, v9
	v_cvt_i32_f32_e32 v4, v67
	ds_bpermute_b32 v9, v14, v8
	v_cvt_f32_i32_dpp v4, v4 row_shr:8 row_mask:0xf bank_mask:0xf bound_ctrl:1
	s_delay_alu instid0(VALU_DEP_1) | instskip(NEXT) | instid1(VALU_DEP_1)
	v_add_f32_e32 v4, v67, v4
	v_cvt_i32_f32_e32 v11, v4
	s_delay_alu instid0(VALU_DEP_1) | instskip(NEXT) | instid1(VALU_DEP_1)
	v_cvt_f32_i32_dpp v11, v11 row_shr:4 row_mask:0xf bank_mask:0xf bound_ctrl:1
	v_add_f32_e32 v4, v4, v11
	s_delay_alu instid0(VALU_DEP_1) | instskip(NEXT) | instid1(VALU_DEP_1)
	v_cvt_i32_f32_e32 v11, v4
	v_cvt_f32_i32_dpp v11, v11 row_shr:2 row_mask:0xf bank_mask:0xf bound_ctrl:1
	v_add_f32_e32 v18, v1, v6
	v_cvt_i32_f32_e32 v1, v87
	s_delay_alu instid0(VALU_DEP_1) | instskip(NEXT) | instid1(VALU_DEP_1)
	v_cvt_f32_i32_dpp v1, v1 row_shr:8 row_mask:0xf bank_mask:0xf bound_ctrl:1
	v_dual_add_f32 v2, v2, v7 :: v_dual_add_f32 v1, v87, v1
	s_delay_alu instid0(VALU_DEP_1) | instskip(NEXT) | instid1(VALU_DEP_2)
	v_cvt_i32_f32_e32 v7, v2
	v_cvt_i32_f32_e32 v6, v1
	s_delay_alu instid0(VALU_DEP_2) | instskip(NEXT) | instid1(VALU_DEP_2)
	v_cvt_f32_i32_dpp v7, v7 row_shr:2 row_mask:0xf bank_mask:0xf bound_ctrl:1
	v_cvt_f32_i32_dpp v6, v6 row_shr:4 row_mask:0xf bank_mask:0xf bound_ctrl:1
	s_delay_alu instid0(VALU_DEP_1) | instskip(NEXT) | instid1(VALU_DEP_1)
	v_dual_add_f32 v2, v2, v7 :: v_dual_add_f32 v1, v1, v6
	v_cvt_i32_f32_e32 v7, v2
	s_delay_alu instid0(VALU_DEP_2) | instskip(NEXT) | instid1(VALU_DEP_2)
	v_cvt_i32_f32_e32 v6, v1
	v_cvt_f32_i32_dpp v7, v7 row_shr:1 row_mask:0xf bank_mask:0xf bound_ctrl:1
	v_add_f32_e32 v0, v93, v0
	s_delay_alu instid0(VALU_DEP_3) | instskip(NEXT) | instid1(VALU_DEP_3)
	v_cvt_f32_i32_dpp v6, v6 row_shr:2 row_mask:0xf bank_mask:0xf bound_ctrl:1
	v_add_f32_e32 v15, v2, v7
	s_delay_alu instid0(VALU_DEP_3) | instskip(SKIP_1) | instid1(VALU_DEP_4)
	v_cvt_i32_f32_e32 v5, v0
	v_cvt_i32_f32_e32 v2, v86
	v_add_f32_e32 v1, v1, v6
	ds_bpermute_b32 v16, v14, v15
	v_cvt_f32_i32_dpp v5, v5 row_shr:4 row_mask:0xf bank_mask:0xf bound_ctrl:1
	v_cvt_f32_i32_dpp v2, v2 row_shr:8 row_mask:0xf bank_mask:0xf bound_ctrl:1
	v_cvt_i32_f32_e32 v6, v1
	s_delay_alu instid0(VALU_DEP_3) | instskip(NEXT) | instid1(VALU_DEP_3)
	v_add_f32_e32 v0, v0, v5
	v_add_f32_e32 v2, v86, v2
	s_delay_alu instid0(VALU_DEP_3) | instskip(NEXT) | instid1(VALU_DEP_3)
	v_cvt_f32_i32_dpp v6, v6 row_shr:1 row_mask:0xf bank_mask:0xf bound_ctrl:1
	v_cvt_i32_f32_e32 v5, v0
	s_delay_alu instid0(VALU_DEP_3) | instskip(NEXT) | instid1(VALU_DEP_3)
	v_cvt_i32_f32_e32 v7, v2
	v_add_f32_e32 v6, v1, v6
	s_delay_alu instid0(VALU_DEP_3) | instskip(NEXT) | instid1(VALU_DEP_3)
	v_cvt_f32_i32_dpp v5, v5 row_shr:2 row_mask:0xf bank_mask:0xf bound_ctrl:1
	v_cvt_f32_i32_dpp v7, v7 row_shr:4 row_mask:0xf bank_mask:0xf bound_ctrl:1
	s_delay_alu instid0(VALU_DEP_2) | instskip(NEXT) | instid1(VALU_DEP_2)
	v_add_f32_e32 v0, v0, v5
	v_add_f32_e32 v2, v2, v7
	s_delay_alu instid0(VALU_DEP_2) | instskip(NEXT) | instid1(VALU_DEP_2)
	v_cvt_i32_f32_e32 v5, v0
	v_cvt_i32_f32_e32 v7, v2
	s_delay_alu instid0(VALU_DEP_2) | instskip(NEXT) | instid1(VALU_DEP_2)
	v_cvt_f32_i32_dpp v5, v5 row_shr:1 row_mask:0xf bank_mask:0xf bound_ctrl:1
	v_cvt_f32_i32_dpp v7, v7 row_shr:2 row_mask:0xf bank_mask:0xf bound_ctrl:1
	s_delay_alu instid0(VALU_DEP_2) | instskip(SKIP_1) | instid1(VALU_DEP_3)
	v_add_f32_e32 v23, v0, v5
	v_cvt_i32_f32_e32 v0, v88
	v_add_f32_e32 v2, v2, v7
	ds_bpermute_b32 v24, v14, v23
	v_cvt_f32_i32_dpp v0, v0 row_shr:8 row_mask:0xf bank_mask:0xf bound_ctrl:1
	v_cvt_i32_f32_e32 v7, v2
	s_delay_alu instid0(VALU_DEP_2) | instskip(NEXT) | instid1(VALU_DEP_2)
	v_add_f32_e32 v0, v88, v0
	v_cvt_f32_i32_dpp v7, v7 row_shr:1 row_mask:0xf bank_mask:0xf bound_ctrl:1
	s_delay_alu instid0(VALU_DEP_2) | instskip(NEXT) | instid1(VALU_DEP_1)
	v_cvt_i32_f32_e32 v5, v0
	v_cvt_f32_i32_dpp v5, v5 row_shr:4 row_mask:0xf bank_mask:0xf bound_ctrl:1
	s_delay_alu instid0(VALU_DEP_1) | instskip(NEXT) | instid1(VALU_DEP_1)
	v_add_f32_e32 v0, v0, v5
	v_cvt_i32_f32_e32 v5, v0
	s_delay_alu instid0(VALU_DEP_1) | instskip(NEXT) | instid1(VALU_DEP_1)
	v_cvt_f32_i32_dpp v5, v5 row_shr:2 row_mask:0xf bank_mask:0xf bound_ctrl:1
	v_add_f32_e32 v0, v0, v5
	v_add_f32_e32 v5, v4, v11
	ds_bpermute_b32 v19, v14, v18
	v_cvt_i32_f32_e32 v4, v0
	v_cvt_i32_f32_e32 v11, v5
	s_delay_alu instid0(VALU_DEP_2) | instskip(NEXT) | instid1(VALU_DEP_2)
	v_cvt_f32_i32_dpp v4, v4 row_shr:1 row_mask:0xf bank_mask:0xf bound_ctrl:1
	v_cvt_f32_i32_dpp v11, v11 row_shr:1 row_mask:0xf bank_mask:0xf bound_ctrl:1
	s_delay_alu instid0(VALU_DEP_2) | instskip(SKIP_2) | instid1(VALU_DEP_4)
	v_add_f32_e32 v10, v0, v4
	v_add_f32_e32 v4, v2, v7
	;; [unrolled: 1-line block ×4, first 2 shown]
	ds_bpermute_b32 v7, v14, v6
	ds_bpermute_b32 v11, v14, v10
	;; [unrolled: 1-line block ×5, first 2 shown]
	s_and_saveexec_b32 s14, s0
	s_cbranch_execz .LBB301_125
; %bb.33:                               ;   in Loop: Header=BB301_12 Depth=1
	v_dual_mov_b32 v44, 0 :: v_dual_mov_b32 v43, 0
	v_dual_mov_b32 v41, 0 :: v_dual_add_nc_u32 v68, 2, v66
	v_dual_mov_b32 v42, 0 :: v_dual_mov_b32 v39, 0
	v_dual_mov_b32 v40, 0 :: v_dual_mov_b32 v37, 0
	;; [unrolled: 1-line block ×5, first 2 shown]
	v_mov_b32_e32 v22, 0
	v_mov_b32_e32 v14, 0
	s_and_not1_b32 vcc_lo, exec_lo, s30
	s_cbranch_vccnz .LBB301_35
; %bb.34:                               ;   in Loop: Header=BB301_12 Depth=1
	v_mul_hi_u32 v17, v66, v84
	v_mul_hi_u32 v22, v68, v84
	v_mov_b32_e32 v41, v69
	v_mov_b32_e32 v55, v69
	;; [unrolled: 1-line block ×3, first 2 shown]
	v_mul_lo_u32 v17, v17, s4
	v_mul_lo_u32 v22, v22, s4
	s_delay_alu instid0(VALU_DEP_2) | instskip(NEXT) | instid1(VALU_DEP_2)
	v_sub_nc_u32_e32 v17, v66, v17
	v_sub_nc_u32_e32 v22, v68, v22
	s_delay_alu instid0(VALU_DEP_2) | instskip(SKIP_1) | instid1(VALU_DEP_3)
	v_cmp_le_u32_e32 vcc_lo, s4, v17
	v_add_nc_u32_e32 v14, 1, v66
	v_subrev_nc_u32_e32 v30, s4, v22
	s_delay_alu instid0(VALU_DEP_2) | instskip(NEXT) | instid1(VALU_DEP_1)
	v_mul_hi_u32 v27, v14, v84
	v_mul_lo_u32 v27, v27, s4
	s_delay_alu instid0(VALU_DEP_1) | instskip(SKIP_1) | instid1(VALU_DEP_2)
	v_sub_nc_u32_e32 v14, v14, v27
	v_subrev_nc_u32_e32 v27, s4, v17
	v_subrev_nc_u32_e32 v33, s4, v14
	s_delay_alu instid0(VALU_DEP_2) | instskip(SKIP_1) | instid1(VALU_DEP_2)
	v_cndmask_b32_e32 v17, v17, v27, vcc_lo
	v_cmp_le_u32_e32 vcc_lo, s4, v22
	v_subrev_nc_u32_e32 v27, s4, v17
	v_cndmask_b32_e32 v22, v22, v30, vcc_lo
	v_cmp_le_u32_e32 vcc_lo, s4, v14
	s_delay_alu instid0(VALU_DEP_2)
	v_subrev_nc_u32_e32 v30, s4, v22
	v_cndmask_b32_e32 v14, v14, v33, vcc_lo
	v_cmp_le_u32_e32 vcc_lo, s4, v17
	v_cndmask_b32_e32 v37, v17, v27, vcc_lo
	v_cmp_le_u32_e32 vcc_lo, s4, v22
	v_mov_b32_e32 v38, v69
	v_subrev_nc_u32_e32 v33, s4, v14
	s_delay_alu instid0(VALU_DEP_4)
	v_dual_mov_b32 v48, v69 :: v_dual_add_nc_u32 v39, s33, v37
	v_cndmask_b32_e32 v47, v22, v30, vcc_lo
	v_cmp_le_u32_e32 vcc_lo, s4, v14
	v_lshlrev_b64 v[42:43], 1, v[37:38]
	v_mov_b32_e32 v46, v69
	v_add_nc_u32_e32 v54, s34, v37
	v_lshlrev_b64 v[48:49], 1, v[47:48]
	v_dual_cndmask_b32 v45, v14, v33 :: v_dual_mov_b32 v40, v69
	v_add_co_u32 v42, vcc_lo, s10, v42
	v_add_co_ci_u32_e32 v43, vcc_lo, s11, v43, vcc_lo
	s_delay_alu instid0(VALU_DEP_3) | instskip(NEXT) | instid1(VALU_DEP_4)
	v_lshlrev_b64 v[50:51], 1, v[45:46]
	v_lshlrev_b64 v[52:53], 1, v[39:40]
	v_add_nc_u32_e32 v40, s33, v45
	v_add_co_u32 v48, vcc_lo, s10, v48
	v_add_co_ci_u32_e32 v49, vcc_lo, s11, v49, vcc_lo
	v_dual_mov_b32 v39, v69 :: v_dual_add_nc_u32 v38, s33, v47
	s_delay_alu instid0(VALU_DEP_4)
	v_lshlrev_b64 v[40:41], 1, v[40:41]
	v_add_co_u32 v50, vcc_lo, s10, v50
	v_add_co_ci_u32_e32 v51, vcc_lo, s11, v51, vcc_lo
	v_add_co_u32 v52, vcc_lo, s10, v52
	v_add_co_ci_u32_e32 v53, vcc_lo, s11, v53, vcc_lo
	v_lshlrev_b64 v[38:39], 1, v[38:39]
	v_add_co_u32 v56, vcc_lo, s10, v40
	v_add_co_ci_u32_e32 v57, vcc_lo, s11, v41, vcc_lo
	v_lshlrev_b64 v[40:41], 1, v[54:55]
	v_add_nc_u32_e32 v54, s34, v45
	v_add_co_u32 v38, vcc_lo, s10, v38
	v_add_co_ci_u32_e32 v39, vcc_lo, s11, v39, vcc_lo
	s_delay_alu instid0(VALU_DEP_3)
	v_lshlrev_b64 v[54:55], 1, v[54:55]
	v_add_co_u32 v58, vcc_lo, s10, v40
	v_add_co_ci_u32_e32 v59, vcc_lo, s11, v41, vcc_lo
	v_dual_mov_b32 v41, v69 :: v_dual_add_nc_u32 v40, s34, v47
	v_add_nc_u32_e32 v72, s35, v37
	v_add_co_u32 v54, vcc_lo, s10, v54
	v_add_co_ci_u32_e32 v55, vcc_lo, s11, v55, vcc_lo
	s_delay_alu instid0(VALU_DEP_4)
	v_lshlrev_b64 v[63:64], 1, v[40:41]
	s_clause 0x7
	global_load_u16 v44, v[42:43], off
	global_load_u16 v43, v[50:51], off
	;; [unrolled: 1-line block ×8, first 2 shown]
	v_dual_mov_b32 v55, v69 :: v_dual_add_nc_u32 v50, s35, v45
	v_mov_b32_e32 v57, v69
	v_mov_b32_e32 v51, v69
	v_lshlrev_b64 v[48:49], 1, v[72:73]
	v_dual_mov_b32 v59, v69 :: v_dual_add_nc_u32 v54, s35, v47
	v_add_co_u32 v52, vcc_lo, s10, v63
	s_delay_alu instid0(VALU_DEP_4)
	v_lshlrev_b64 v[50:51], 1, v[50:51]
	v_add_nc_u32_e32 v56, s40, v37
	v_add_co_ci_u32_e32 v53, vcc_lo, s11, v64, vcc_lo
	v_add_co_u32 v48, vcc_lo, s10, v48
	v_lshlrev_b64 v[54:55], 1, v[54:55]
	v_add_nc_u32_e32 v45, s40, v45
	v_add_co_ci_u32_e32 v49, vcc_lo, s11, v49, vcc_lo
	v_add_co_u32 v50, vcc_lo, s10, v50
	;; [unrolled: 4-line block ×3, first 2 shown]
	v_lshlrev_b64 v[45:46], 1, v[45:46]
	v_add_co_ci_u32_e32 v55, vcc_lo, s11, v55, vcc_lo
	v_add_co_u32 v56, vcc_lo, s10, v56
	v_lshlrev_b64 v[58:59], 1, v[58:59]
	v_add_co_ci_u32_e32 v57, vcc_lo, s11, v57, vcc_lo
	v_add_co_u32 v45, vcc_lo, s10, v45
	v_add_co_ci_u32_e32 v46, vcc_lo, s11, v46, vcc_lo
	s_delay_alu instid0(VALU_DEP_4)
	v_add_co_u32 v58, vcc_lo, s10, v58
	v_add_co_ci_u32_e32 v59, vcc_lo, s11, v59, vcc_lo
	s_clause 0x6
	global_load_u16 v37, v[52:53], off
	global_load_u16 v33, v[48:49], off
	;; [unrolled: 1-line block ×7, first 2 shown]
.LBB301_35:                             ;   in Loop: Header=BB301_12 Depth=1
	v_cmp_ne_u32_e32 vcc_lo, 0, v60
	s_and_saveexec_b32 s2, vcc_lo
	s_cbranch_execnz .LBB301_50
; %bb.36:                               ;   in Loop: Header=BB301_12 Depth=1
	s_or_b32 exec_lo, exec_lo, s2
	v_cmp_ne_u32_e64 s1, 0, v61
	s_delay_alu instid0(VALU_DEP_1)
	s_and_saveexec_b32 s3, s1
	s_cbranch_execnz .LBB301_55
.LBB301_37:                             ;   in Loop: Header=BB301_12 Depth=1
	s_or_b32 exec_lo, exec_lo, s3
	v_cmp_ne_u32_e64 s2, 0, v62
	s_delay_alu instid0(VALU_DEP_1)
	s_and_saveexec_b32 s15, s2
	s_cbranch_execnz .LBB301_60
.LBB301_38:                             ;   in Loop: Header=BB301_12 Depth=1
	s_or_b32 exec_lo, exec_lo, s15
	v_add_nc_u32_e32 v68, s19, v66
	s_and_saveexec_b32 s15, vcc_lo
	s_cbranch_execnz .LBB301_65
.LBB301_39:                             ;   in Loop: Header=BB301_12 Depth=1
	s_or_b32 exec_lo, exec_lo, s15
	s_and_saveexec_b32 s15, s1
	s_cbranch_execnz .LBB301_70
.LBB301_40:                             ;   in Loop: Header=BB301_12 Depth=1
	s_or_b32 exec_lo, exec_lo, s15
	s_and_saveexec_b32 s15, s2
	s_cbranch_execnz .LBB301_75
.LBB301_41:                             ;   in Loop: Header=BB301_12 Depth=1
	s_or_b32 exec_lo, exec_lo, s15
	v_add_nc_u32_e32 v68, s19, v68
	s_and_saveexec_b32 s15, vcc_lo
	s_cbranch_execnz .LBB301_80
.LBB301_42:                             ;   in Loop: Header=BB301_12 Depth=1
	s_or_b32 exec_lo, exec_lo, s15
	s_and_saveexec_b32 s15, s1
	s_cbranch_execnz .LBB301_85
.LBB301_43:                             ;   in Loop: Header=BB301_12 Depth=1
	s_or_b32 exec_lo, exec_lo, s15
	s_and_saveexec_b32 s15, s2
	s_cbranch_execnz .LBB301_90
.LBB301_44:                             ;   in Loop: Header=BB301_12 Depth=1
	s_or_b32 exec_lo, exec_lo, s15
	v_add_nc_u32_e32 v68, s19, v68
	s_and_saveexec_b32 s15, vcc_lo
	s_cbranch_execnz .LBB301_95
.LBB301_45:                             ;   in Loop: Header=BB301_12 Depth=1
	s_or_b32 exec_lo, exec_lo, s15
	s_and_saveexec_b32 s15, s1
	s_cbranch_execnz .LBB301_100
.LBB301_46:                             ;   in Loop: Header=BB301_12 Depth=1
	s_or_b32 exec_lo, exec_lo, s15
	s_and_saveexec_b32 s15, s2
	s_cbranch_execnz .LBB301_105
.LBB301_47:                             ;   in Loop: Header=BB301_12 Depth=1
	s_or_b32 exec_lo, exec_lo, s15
	v_add_nc_u32_e32 v68, s19, v68
	s_and_saveexec_b32 s3, vcc_lo
	s_cbranch_execnz .LBB301_110
.LBB301_48:                             ;   in Loop: Header=BB301_12 Depth=1
	s_or_b32 exec_lo, exec_lo, s3
	s_and_saveexec_b32 s3, s1
	s_cbranch_execnz .LBB301_115
.LBB301_49:                             ;   in Loop: Header=BB301_12 Depth=1
	s_or_b32 exec_lo, exec_lo, s3
	s_delay_alu instid0(SALU_CYCLE_1)
	s_and_b32 exec_lo, exec_lo, s2
	s_cbranch_execnz .LBB301_120
	s_branch .LBB301_125
.LBB301_50:                             ;   in Loop: Header=BB301_12 Depth=1
	s_waitcnt vmcnt(14) lgkmcnt(13)
	v_dual_add_f32 v34, v34, v35 :: v_dual_lshlrev_b32 v35, 16, v44
	s_delay_alu instid0(VALU_DEP_1) | instskip(NEXT) | instid1(VALU_DEP_1)
	v_add_f32_e32 v35, v34, v35
	v_and_b32_e32 v34, 0x7f800000, v35
	s_delay_alu instid0(VALU_DEP_1) | instskip(NEXT) | instid1(VALU_DEP_1)
	v_cmp_ne_u32_e64 s1, 0x7f800000, v34
                                        ; implicit-def: $vgpr34
	s_and_saveexec_b32 s3, s1
	s_delay_alu instid0(SALU_CYCLE_1)
	s_xor_b32 s1, exec_lo, s3
; %bb.51:                               ;   in Loop: Header=BB301_12 Depth=1
	v_bfe_u32 v34, v35, 16, 1
	s_delay_alu instid0(VALU_DEP_1)
	v_add3_u32 v34, v35, v34, 0x7fff
                                        ; implicit-def: $vgpr35
; %bb.52:                               ;   in Loop: Header=BB301_12 Depth=1
	s_and_not1_saveexec_b32 s3, s1
; %bb.53:                               ;   in Loop: Header=BB301_12 Depth=1
	v_and_b32_e32 v34, 0xffff, v35
	v_or_b32_e32 v44, 0x10000, v35
	s_delay_alu instid0(VALU_DEP_2) | instskip(NEXT) | instid1(VALU_DEP_1)
	v_cmp_eq_u32_e64 s1, 0, v34
	v_cndmask_b32_e64 v34, v44, v35, s1
; %bb.54:                               ;   in Loop: Header=BB301_12 Depth=1
	s_or_b32 exec_lo, exec_lo, s3
	v_mov_b32_e32 v67, v69
	s_delay_alu instid0(VALU_DEP_1) | instskip(NEXT) | instid1(VALU_DEP_1)
	v_lshlrev_b64 v[44:45], 1, v[66:67]
	v_add_co_u32 v44, s1, s12, v44
	s_delay_alu instid0(VALU_DEP_1) | instskip(SKIP_3) | instid1(VALU_DEP_1)
	v_add_co_ci_u32_e64 v45, s1, s13, v45, s1
	global_store_d16_hi_b16 v[44:45], v34, off
	s_or_b32 exec_lo, exec_lo, s2
	v_cmp_ne_u32_e64 s1, 0, v61
	s_and_saveexec_b32 s3, s1
	s_cbranch_execz .LBB301_37
.LBB301_55:                             ;   in Loop: Header=BB301_12 Depth=1
	s_waitcnt vmcnt(13) lgkmcnt(12)
	v_dual_add_f32 v31, v31, v32 :: v_dual_lshlrev_b32 v32, 16, v43
	s_delay_alu instid0(VALU_DEP_1) | instskip(NEXT) | instid1(VALU_DEP_1)
	v_add_f32_e32 v32, v31, v32
	v_and_b32_e32 v31, 0x7f800000, v32
	s_delay_alu instid0(VALU_DEP_1) | instskip(NEXT) | instid1(VALU_DEP_1)
	v_cmp_ne_u32_e64 s2, 0x7f800000, v31
                                        ; implicit-def: $vgpr31
	s_and_saveexec_b32 s15, s2
	s_delay_alu instid0(SALU_CYCLE_1)
	s_xor_b32 s2, exec_lo, s15
; %bb.56:                               ;   in Loop: Header=BB301_12 Depth=1
	v_bfe_u32 v31, v32, 16, 1
	s_delay_alu instid0(VALU_DEP_1)
	v_add3_u32 v31, v32, v31, 0x7fff
                                        ; implicit-def: $vgpr32
; %bb.57:                               ;   in Loop: Header=BB301_12 Depth=1
	s_and_not1_saveexec_b32 s15, s2
; %bb.58:                               ;   in Loop: Header=BB301_12 Depth=1
	v_and_b32_e32 v31, 0xffff, v32
	v_or_b32_e32 v34, 0x10000, v32
	s_delay_alu instid0(VALU_DEP_2) | instskip(NEXT) | instid1(VALU_DEP_1)
	v_cmp_eq_u32_e64 s2, 0, v31
	v_cndmask_b32_e64 v31, v34, v32, s2
; %bb.59:                               ;   in Loop: Header=BB301_12 Depth=1
	s_or_b32 exec_lo, exec_lo, s15
	v_mov_b32_e32 v67, v69
	s_delay_alu instid0(VALU_DEP_1) | instskip(NEXT) | instid1(VALU_DEP_1)
	v_lshlrev_b64 v[34:35], 1, v[66:67]
	v_add_co_u32 v34, s2, s36, v34
	s_delay_alu instid0(VALU_DEP_1) | instskip(SKIP_3) | instid1(VALU_DEP_1)
	v_add_co_ci_u32_e64 v35, s2, s37, v35, s2
	global_store_d16_hi_b16 v[34:35], v31, off
	s_or_b32 exec_lo, exec_lo, s3
	v_cmp_ne_u32_e64 s2, 0, v62
	s_and_saveexec_b32 s15, s2
	s_cbranch_execz .LBB301_38
.LBB301_60:                             ;   in Loop: Header=BB301_12 Depth=1
	s_waitcnt vmcnt(12) lgkmcnt(11)
	v_dual_add_f32 v28, v28, v29 :: v_dual_lshlrev_b32 v29, 16, v42
	s_delay_alu instid0(VALU_DEP_1) | instskip(NEXT) | instid1(VALU_DEP_1)
	v_add_f32_e32 v29, v28, v29
	v_and_b32_e32 v28, 0x7f800000, v29
	s_delay_alu instid0(VALU_DEP_1) | instskip(NEXT) | instid1(VALU_DEP_1)
	v_cmp_ne_u32_e64 s3, 0x7f800000, v28
                                        ; implicit-def: $vgpr28
	s_and_saveexec_b32 s43, s3
	s_delay_alu instid0(SALU_CYCLE_1)
	s_xor_b32 s3, exec_lo, s43
; %bb.61:                               ;   in Loop: Header=BB301_12 Depth=1
	v_bfe_u32 v28, v29, 16, 1
	s_delay_alu instid0(VALU_DEP_1)
	v_add3_u32 v28, v29, v28, 0x7fff
                                        ; implicit-def: $vgpr29
; %bb.62:                               ;   in Loop: Header=BB301_12 Depth=1
	s_and_not1_saveexec_b32 s43, s3
; %bb.63:                               ;   in Loop: Header=BB301_12 Depth=1
	v_and_b32_e32 v28, 0xffff, v29
	v_or_b32_e32 v31, 0x10000, v29
	s_delay_alu instid0(VALU_DEP_2) | instskip(NEXT) | instid1(VALU_DEP_1)
	v_cmp_eq_u32_e64 s3, 0, v28
	v_cndmask_b32_e64 v28, v31, v29, s3
; %bb.64:                               ;   in Loop: Header=BB301_12 Depth=1
	s_or_b32 exec_lo, exec_lo, s43
	v_lshlrev_b64 v[31:32], 1, v[68:69]
	s_delay_alu instid0(VALU_DEP_1) | instskip(NEXT) | instid1(VALU_DEP_1)
	v_add_co_u32 v31, s3, s12, v31
	v_add_co_ci_u32_e64 v32, s3, s13, v32, s3
	global_store_d16_hi_b16 v[31:32], v28, off
	s_or_b32 exec_lo, exec_lo, s15
	v_add_nc_u32_e32 v68, s19, v66
	s_and_saveexec_b32 s15, vcc_lo
	s_cbranch_execz .LBB301_39
.LBB301_65:                             ;   in Loop: Header=BB301_12 Depth=1
	s_waitcnt vmcnt(11) lgkmcnt(14)
	v_dual_add_f32 v25, v25, v26 :: v_dual_lshlrev_b32 v26, 16, v41
	s_delay_alu instid0(VALU_DEP_1) | instskip(NEXT) | instid1(VALU_DEP_1)
	v_add_f32_e32 v26, v25, v26
	v_and_b32_e32 v25, 0x7f800000, v26
	s_delay_alu instid0(VALU_DEP_1) | instskip(NEXT) | instid1(VALU_DEP_1)
	v_cmp_ne_u32_e64 s3, 0x7f800000, v25
                                        ; implicit-def: $vgpr25
	s_and_saveexec_b32 s43, s3
	s_delay_alu instid0(SALU_CYCLE_1)
	s_xor_b32 s3, exec_lo, s43
; %bb.66:                               ;   in Loop: Header=BB301_12 Depth=1
	v_bfe_u32 v25, v26, 16, 1
	s_delay_alu instid0(VALU_DEP_1)
	v_add3_u32 v25, v26, v25, 0x7fff
                                        ; implicit-def: $vgpr26
; %bb.67:                               ;   in Loop: Header=BB301_12 Depth=1
	s_and_not1_saveexec_b32 s43, s3
; %bb.68:                               ;   in Loop: Header=BB301_12 Depth=1
	v_and_b32_e32 v25, 0xffff, v26
	v_or_b32_e32 v28, 0x10000, v26
	s_delay_alu instid0(VALU_DEP_2) | instskip(NEXT) | instid1(VALU_DEP_1)
	v_cmp_eq_u32_e64 s3, 0, v25
	v_cndmask_b32_e64 v25, v28, v26, s3
; %bb.69:                               ;   in Loop: Header=BB301_12 Depth=1
	s_or_b32 exec_lo, exec_lo, s43
	s_waitcnt lgkmcnt(11)
	v_lshlrev_b64 v[28:29], 1, v[68:69]
	s_delay_alu instid0(VALU_DEP_1) | instskip(NEXT) | instid1(VALU_DEP_1)
	v_add_co_u32 v28, s3, s12, v28
	v_add_co_ci_u32_e64 v29, s3, s13, v29, s3
	global_store_d16_hi_b16 v[28:29], v25, off
	s_or_b32 exec_lo, exec_lo, s15
	s_and_saveexec_b32 s15, s1
	s_cbranch_execz .LBB301_40
.LBB301_70:                             ;   in Loop: Header=BB301_12 Depth=1
	s_waitcnt vmcnt(10) lgkmcnt(10)
	v_dual_add_f32 v20, v20, v21 :: v_dual_lshlrev_b32 v21, 16, v40
	s_delay_alu instid0(VALU_DEP_1) | instskip(NEXT) | instid1(VALU_DEP_1)
	v_add_f32_e32 v21, v20, v21
	v_and_b32_e32 v20, 0x7f800000, v21
	s_delay_alu instid0(VALU_DEP_1) | instskip(NEXT) | instid1(VALU_DEP_1)
	v_cmp_ne_u32_e64 s3, 0x7f800000, v20
                                        ; implicit-def: $vgpr20
	s_and_saveexec_b32 s43, s3
	s_delay_alu instid0(SALU_CYCLE_1)
	s_xor_b32 s3, exec_lo, s43
; %bb.71:                               ;   in Loop: Header=BB301_12 Depth=1
	v_bfe_u32 v20, v21, 16, 1
	s_delay_alu instid0(VALU_DEP_1)
	v_add3_u32 v20, v21, v20, 0x7fff
                                        ; implicit-def: $vgpr21
; %bb.72:                               ;   in Loop: Header=BB301_12 Depth=1
	s_and_not1_saveexec_b32 s43, s3
; %bb.73:                               ;   in Loop: Header=BB301_12 Depth=1
	v_and_b32_e32 v20, 0xffff, v21
	v_or_b32_e32 v25, 0x10000, v21
	s_delay_alu instid0(VALU_DEP_2) | instskip(NEXT) | instid1(VALU_DEP_1)
	v_cmp_eq_u32_e64 s3, 0, v20
	v_cndmask_b32_e64 v20, v25, v21, s3
; %bb.74:                               ;   in Loop: Header=BB301_12 Depth=1
	s_or_b32 exec_lo, exec_lo, s43
	v_dual_mov_b32 v26, v69 :: v_dual_add_nc_u32 v25, 1, v68
	s_delay_alu instid0(VALU_DEP_1) | instskip(NEXT) | instid1(VALU_DEP_1)
	v_lshlrev_b64 v[25:26], 1, v[25:26]
	v_add_co_u32 v25, s3, s12, v25
	s_delay_alu instid0(VALU_DEP_1)
	v_add_co_ci_u32_e64 v26, s3, s13, v26, s3
	global_store_d16_hi_b16 v[25:26], v20, off
	s_or_b32 exec_lo, exec_lo, s15
	s_and_saveexec_b32 s15, s2
	s_cbranch_execz .LBB301_41
.LBB301_75:                             ;   in Loop: Header=BB301_12 Depth=1
	s_waitcnt vmcnt(9) lgkmcnt(6)
	v_dual_add_f32 v20, v23, v24 :: v_dual_lshlrev_b32 v21, 16, v39
	s_delay_alu instid0(VALU_DEP_1) | instskip(NEXT) | instid1(VALU_DEP_1)
	v_add_f32_e32 v21, v20, v21
	v_and_b32_e32 v20, 0x7f800000, v21
	s_delay_alu instid0(VALU_DEP_1) | instskip(NEXT) | instid1(VALU_DEP_1)
	v_cmp_ne_u32_e64 s3, 0x7f800000, v20
                                        ; implicit-def: $vgpr20
	s_and_saveexec_b32 s43, s3
	s_delay_alu instid0(SALU_CYCLE_1)
	s_xor_b32 s3, exec_lo, s43
; %bb.76:                               ;   in Loop: Header=BB301_12 Depth=1
	v_bfe_u32 v20, v21, 16, 1
	s_delay_alu instid0(VALU_DEP_1)
	v_add3_u32 v20, v21, v20, 0x7fff
                                        ; implicit-def: $vgpr21
; %bb.77:                               ;   in Loop: Header=BB301_12 Depth=1
	s_and_not1_saveexec_b32 s43, s3
; %bb.78:                               ;   in Loop: Header=BB301_12 Depth=1
	v_and_b32_e32 v20, 0xffff, v21
	v_or_b32_e32 v23, 0x10000, v21
	s_delay_alu instid0(VALU_DEP_2) | instskip(NEXT) | instid1(VALU_DEP_1)
	v_cmp_eq_u32_e64 s3, 0, v20
	v_cndmask_b32_e64 v20, v23, v21, s3
; %bb.79:                               ;   in Loop: Header=BB301_12 Depth=1
	s_or_b32 exec_lo, exec_lo, s43
	v_dual_mov_b32 v24, v69 :: v_dual_add_nc_u32 v23, 2, v68
	s_delay_alu instid0(VALU_DEP_1) | instskip(NEXT) | instid1(VALU_DEP_1)
	v_lshlrev_b64 v[23:24], 1, v[23:24]
	v_add_co_u32 v23, s3, s12, v23
	s_delay_alu instid0(VALU_DEP_1)
	v_add_co_ci_u32_e64 v24, s3, s13, v24, s3
	global_store_d16_hi_b16 v[23:24], v20, off
	s_or_b32 exec_lo, exec_lo, s15
	v_add_nc_u32_e32 v68, s19, v68
	s_and_saveexec_b32 s15, vcc_lo
	s_cbranch_execz .LBB301_42
.LBB301_80:                             ;   in Loop: Header=BB301_12 Depth=1
	s_waitcnt vmcnt(8) lgkmcnt(5)
	v_dual_add_f32 v18, v18, v19 :: v_dual_lshlrev_b32 v19, 16, v38
	s_delay_alu instid0(VALU_DEP_1) | instskip(NEXT) | instid1(VALU_DEP_1)
	v_add_f32_e32 v19, v18, v19
	v_and_b32_e32 v18, 0x7f800000, v19
	s_delay_alu instid0(VALU_DEP_1) | instskip(NEXT) | instid1(VALU_DEP_1)
	v_cmp_ne_u32_e64 s3, 0x7f800000, v18
                                        ; implicit-def: $vgpr18
	s_and_saveexec_b32 s43, s3
	s_delay_alu instid0(SALU_CYCLE_1)
	s_xor_b32 s3, exec_lo, s43
; %bb.81:                               ;   in Loop: Header=BB301_12 Depth=1
	v_bfe_u32 v18, v19, 16, 1
	s_delay_alu instid0(VALU_DEP_1)
	v_add3_u32 v18, v19, v18, 0x7fff
                                        ; implicit-def: $vgpr19
; %bb.82:                               ;   in Loop: Header=BB301_12 Depth=1
	s_and_not1_saveexec_b32 s43, s3
; %bb.83:                               ;   in Loop: Header=BB301_12 Depth=1
	v_and_b32_e32 v18, 0xffff, v19
	v_or_b32_e32 v20, 0x10000, v19
	s_delay_alu instid0(VALU_DEP_2) | instskip(NEXT) | instid1(VALU_DEP_1)
	v_cmp_eq_u32_e64 s3, 0, v18
	v_cndmask_b32_e64 v18, v20, v19, s3
; %bb.84:                               ;   in Loop: Header=BB301_12 Depth=1
	s_or_b32 exec_lo, exec_lo, s43
	v_lshlrev_b64 v[19:20], 1, v[68:69]
	s_delay_alu instid0(VALU_DEP_1) | instskip(NEXT) | instid1(VALU_DEP_1)
	v_add_co_u32 v19, s3, s12, v19
	v_add_co_ci_u32_e64 v20, s3, s13, v20, s3
	global_store_d16_hi_b16 v[19:20], v18, off
	s_or_b32 exec_lo, exec_lo, s15
	s_and_saveexec_b32 s15, s1
	s_cbranch_execz .LBB301_43
.LBB301_85:                             ;   in Loop: Header=BB301_12 Depth=1
	s_waitcnt lgkmcnt(7)
	v_add_f32_e32 v15, v15, v16
	s_waitcnt vmcnt(7)
	v_lshlrev_b32_e32 v16, 16, v36
	s_delay_alu instid0(VALU_DEP_1) | instskip(NEXT) | instid1(VALU_DEP_1)
	v_add_f32_e32 v16, v15, v16
	v_and_b32_e32 v15, 0x7f800000, v16
	s_delay_alu instid0(VALU_DEP_1) | instskip(NEXT) | instid1(VALU_DEP_1)
	v_cmp_ne_u32_e64 s3, 0x7f800000, v15
                                        ; implicit-def: $vgpr15
	s_and_saveexec_b32 s43, s3
	s_delay_alu instid0(SALU_CYCLE_1)
	s_xor_b32 s3, exec_lo, s43
; %bb.86:                               ;   in Loop: Header=BB301_12 Depth=1
	v_bfe_u32 v15, v16, 16, 1
	s_delay_alu instid0(VALU_DEP_1)
	v_add3_u32 v15, v16, v15, 0x7fff
                                        ; implicit-def: $vgpr16
; %bb.87:                               ;   in Loop: Header=BB301_12 Depth=1
	s_and_not1_saveexec_b32 s43, s3
; %bb.88:                               ;   in Loop: Header=BB301_12 Depth=1
	v_and_b32_e32 v15, 0xffff, v16
	v_or_b32_e32 v18, 0x10000, v16
	s_delay_alu instid0(VALU_DEP_2) | instskip(NEXT) | instid1(VALU_DEP_1)
	v_cmp_eq_u32_e64 s3, 0, v15
	v_cndmask_b32_e64 v15, v18, v16, s3
; %bb.89:                               ;   in Loop: Header=BB301_12 Depth=1
	s_or_b32 exec_lo, exec_lo, s43
	s_waitcnt lgkmcnt(5)
	v_dual_mov_b32 v19, v69 :: v_dual_add_nc_u32 v18, 1, v68
	s_delay_alu instid0(VALU_DEP_1) | instskip(NEXT) | instid1(VALU_DEP_1)
	v_lshlrev_b64 v[18:19], 1, v[18:19]
	v_add_co_u32 v18, s3, s12, v18
	s_delay_alu instid0(VALU_DEP_1)
	v_add_co_ci_u32_e64 v19, s3, s13, v19, s3
	global_store_d16_hi_b16 v[18:19], v15, off
	s_or_b32 exec_lo, exec_lo, s15
	s_and_saveexec_b32 s15, s2
	s_cbranch_execz .LBB301_44
.LBB301_90:                             ;   in Loop: Header=BB301_12 Depth=1
	s_waitcnt lgkmcnt(9)
	v_add_f32_e32 v12, v12, v13
	s_waitcnt vmcnt(6)
	v_lshlrev_b32_e32 v13, 16, v37
	s_delay_alu instid0(VALU_DEP_1) | instskip(NEXT) | instid1(VALU_DEP_1)
	v_add_f32_e32 v13, v12, v13
	v_and_b32_e32 v12, 0x7f800000, v13
	s_delay_alu instid0(VALU_DEP_1) | instskip(NEXT) | instid1(VALU_DEP_1)
	v_cmp_ne_u32_e64 s3, 0x7f800000, v12
                                        ; implicit-def: $vgpr12
	s_and_saveexec_b32 s43, s3
	s_delay_alu instid0(SALU_CYCLE_1)
	s_xor_b32 s3, exec_lo, s43
; %bb.91:                               ;   in Loop: Header=BB301_12 Depth=1
	v_bfe_u32 v12, v13, 16, 1
	s_delay_alu instid0(VALU_DEP_1)
	v_add3_u32 v12, v13, v12, 0x7fff
                                        ; implicit-def: $vgpr13
; %bb.92:                               ;   in Loop: Header=BB301_12 Depth=1
	s_and_not1_saveexec_b32 s43, s3
; %bb.93:                               ;   in Loop: Header=BB301_12 Depth=1
	v_and_b32_e32 v12, 0xffff, v13
	v_or_b32_e32 v15, 0x10000, v13
	s_delay_alu instid0(VALU_DEP_2) | instskip(NEXT) | instid1(VALU_DEP_1)
	v_cmp_eq_u32_e64 s3, 0, v12
	v_cndmask_b32_e64 v12, v15, v13, s3
; %bb.94:                               ;   in Loop: Header=BB301_12 Depth=1
	s_or_b32 exec_lo, exec_lo, s43
	s_waitcnt lgkmcnt(7)
	v_dual_mov_b32 v16, v69 :: v_dual_add_nc_u32 v15, 2, v68
	s_delay_alu instid0(VALU_DEP_1) | instskip(NEXT) | instid1(VALU_DEP_1)
	v_lshlrev_b64 v[15:16], 1, v[15:16]
	v_add_co_u32 v15, s3, s12, v15
	s_delay_alu instid0(VALU_DEP_1)
	v_add_co_ci_u32_e64 v16, s3, s13, v16, s3
	global_store_d16_hi_b16 v[15:16], v12, off
	s_or_b32 exec_lo, exec_lo, s15
	v_add_nc_u32_e32 v68, s19, v68
	s_and_saveexec_b32 s15, vcc_lo
	s_cbranch_execz .LBB301_45
.LBB301_95:                             ;   in Loop: Header=BB301_12 Depth=1
	s_waitcnt lgkmcnt(8)
	v_add_f32_e32 v8, v8, v9
	s_waitcnt vmcnt(5)
	v_lshlrev_b32_e32 v9, 16, v33
	s_delay_alu instid0(VALU_DEP_1) | instskip(NEXT) | instid1(VALU_DEP_1)
	v_add_f32_e32 v9, v8, v9
	v_and_b32_e32 v8, 0x7f800000, v9
	s_delay_alu instid0(VALU_DEP_1) | instskip(NEXT) | instid1(VALU_DEP_1)
	v_cmp_ne_u32_e64 s3, 0x7f800000, v8
                                        ; implicit-def: $vgpr8
	s_and_saveexec_b32 s43, s3
	s_delay_alu instid0(SALU_CYCLE_1)
	s_xor_b32 s3, exec_lo, s43
; %bb.96:                               ;   in Loop: Header=BB301_12 Depth=1
	v_bfe_u32 v8, v9, 16, 1
	s_delay_alu instid0(VALU_DEP_1)
	v_add3_u32 v8, v9, v8, 0x7fff
                                        ; implicit-def: $vgpr9
; %bb.97:                               ;   in Loop: Header=BB301_12 Depth=1
	s_and_not1_saveexec_b32 s43, s3
; %bb.98:                               ;   in Loop: Header=BB301_12 Depth=1
	v_and_b32_e32 v8, 0xffff, v9
	v_or_b32_e32 v12, 0x10000, v9
	s_delay_alu instid0(VALU_DEP_2) | instskip(NEXT) | instid1(VALU_DEP_1)
	v_cmp_eq_u32_e64 s3, 0, v8
	v_cndmask_b32_e64 v8, v12, v9, s3
; %bb.99:                               ;   in Loop: Header=BB301_12 Depth=1
	s_or_b32 exec_lo, exec_lo, s43
	v_lshlrev_b64 v[12:13], 1, v[68:69]
	s_delay_alu instid0(VALU_DEP_1) | instskip(NEXT) | instid1(VALU_DEP_1)
	v_add_co_u32 v12, s3, s12, v12
	v_add_co_ci_u32_e64 v13, s3, s13, v13, s3
	global_store_d16_hi_b16 v[12:13], v8, off
	s_or_b32 exec_lo, exec_lo, s15
	s_and_saveexec_b32 s15, s1
	s_cbranch_execz .LBB301_46
.LBB301_100:                            ;   in Loop: Header=BB301_12 Depth=1
	s_waitcnt vmcnt(4) lgkmcnt(3)
	v_dual_add_f32 v8, v10, v11 :: v_dual_lshlrev_b32 v9, 16, v30
	s_delay_alu instid0(VALU_DEP_1) | instskip(NEXT) | instid1(VALU_DEP_1)
	v_add_f32_e32 v9, v8, v9
	v_and_b32_e32 v8, 0x7f800000, v9
	s_delay_alu instid0(VALU_DEP_1) | instskip(NEXT) | instid1(VALU_DEP_1)
	v_cmp_ne_u32_e64 s3, 0x7f800000, v8
                                        ; implicit-def: $vgpr8
	s_and_saveexec_b32 s43, s3
	s_delay_alu instid0(SALU_CYCLE_1)
	s_xor_b32 s3, exec_lo, s43
; %bb.101:                              ;   in Loop: Header=BB301_12 Depth=1
	v_bfe_u32 v8, v9, 16, 1
	s_delay_alu instid0(VALU_DEP_1)
	v_add3_u32 v8, v9, v8, 0x7fff
                                        ; implicit-def: $vgpr9
; %bb.102:                              ;   in Loop: Header=BB301_12 Depth=1
	s_and_not1_saveexec_b32 s43, s3
; %bb.103:                              ;   in Loop: Header=BB301_12 Depth=1
	v_and_b32_e32 v8, 0xffff, v9
	v_or_b32_e32 v10, 0x10000, v9
	s_delay_alu instid0(VALU_DEP_2) | instskip(NEXT) | instid1(VALU_DEP_1)
	v_cmp_eq_u32_e64 s3, 0, v8
	v_cndmask_b32_e64 v8, v10, v9, s3
; %bb.104:                              ;   in Loop: Header=BB301_12 Depth=1
	s_or_b32 exec_lo, exec_lo, s43
	v_dual_mov_b32 v10, v69 :: v_dual_add_nc_u32 v9, 1, v68
	s_delay_alu instid0(VALU_DEP_1) | instskip(NEXT) | instid1(VALU_DEP_1)
	v_lshlrev_b64 v[9:10], 1, v[9:10]
	v_add_co_u32 v9, s3, s12, v9
	s_delay_alu instid0(VALU_DEP_1)
	v_add_co_ci_u32_e64 v10, s3, s13, v10, s3
	global_store_d16_hi_b16 v[9:10], v8, off
	s_or_b32 exec_lo, exec_lo, s15
	s_and_saveexec_b32 s15, s2
	s_cbranch_execz .LBB301_47
.LBB301_105:                            ;   in Loop: Header=BB301_12 Depth=1
	s_waitcnt lgkmcnt(4)
	v_add_f32_e32 v6, v6, v7
	s_waitcnt vmcnt(3)
	v_lshlrev_b32_e32 v7, 16, v27
	s_delay_alu instid0(VALU_DEP_1) | instskip(NEXT) | instid1(VALU_DEP_1)
	v_add_f32_e32 v7, v6, v7
	v_and_b32_e32 v6, 0x7f800000, v7
	s_delay_alu instid0(VALU_DEP_1) | instskip(NEXT) | instid1(VALU_DEP_1)
	v_cmp_ne_u32_e64 s3, 0x7f800000, v6
                                        ; implicit-def: $vgpr6
	s_and_saveexec_b32 s43, s3
	s_delay_alu instid0(SALU_CYCLE_1)
	s_xor_b32 s3, exec_lo, s43
; %bb.106:                              ;   in Loop: Header=BB301_12 Depth=1
	v_bfe_u32 v6, v7, 16, 1
	s_delay_alu instid0(VALU_DEP_1)
	v_add3_u32 v6, v7, v6, 0x7fff
                                        ; implicit-def: $vgpr7
; %bb.107:                              ;   in Loop: Header=BB301_12 Depth=1
	s_and_not1_saveexec_b32 s43, s3
; %bb.108:                              ;   in Loop: Header=BB301_12 Depth=1
	v_and_b32_e32 v6, 0xffff, v7
	v_or_b32_e32 v8, 0x10000, v7
	s_delay_alu instid0(VALU_DEP_2) | instskip(NEXT) | instid1(VALU_DEP_1)
	v_cmp_eq_u32_e64 s3, 0, v6
	v_cndmask_b32_e64 v6, v8, v7, s3
; %bb.109:                              ;   in Loop: Header=BB301_12 Depth=1
	s_or_b32 exec_lo, exec_lo, s43
	v_dual_mov_b32 v8, v69 :: v_dual_add_nc_u32 v7, 2, v68
	s_delay_alu instid0(VALU_DEP_1) | instskip(NEXT) | instid1(VALU_DEP_1)
	v_lshlrev_b64 v[7:8], 1, v[7:8]
	v_add_co_u32 v7, s3, s12, v7
	s_delay_alu instid0(VALU_DEP_1)
	v_add_co_ci_u32_e64 v8, s3, s13, v8, s3
	global_store_d16_hi_b16 v[7:8], v6, off
	s_or_b32 exec_lo, exec_lo, s15
	v_add_nc_u32_e32 v68, s19, v68
	s_and_saveexec_b32 s3, vcc_lo
	s_cbranch_execz .LBB301_48
.LBB301_110:                            ;   in Loop: Header=BB301_12 Depth=1
	s_waitcnt vmcnt(2) lgkmcnt(2)
	v_dual_add_f32 v4, v4, v5 :: v_dual_lshlrev_b32 v5, 16, v22
	s_delay_alu instid0(VALU_DEP_1) | instskip(NEXT) | instid1(VALU_DEP_1)
	v_add_f32_e32 v5, v4, v5
	v_and_b32_e32 v4, 0x7f800000, v5
	s_delay_alu instid0(VALU_DEP_1) | instskip(SKIP_1) | instid1(SALU_CYCLE_1)
	v_cmp_ne_u32_e32 vcc_lo, 0x7f800000, v4
                                        ; implicit-def: $vgpr4
	s_and_saveexec_b32 s15, vcc_lo
	s_xor_b32 s15, exec_lo, s15
; %bb.111:                              ;   in Loop: Header=BB301_12 Depth=1
	v_bfe_u32 v4, v5, 16, 1
	s_delay_alu instid0(VALU_DEP_1)
	v_add3_u32 v4, v5, v4, 0x7fff
                                        ; implicit-def: $vgpr5
; %bb.112:                              ;   in Loop: Header=BB301_12 Depth=1
	s_and_not1_saveexec_b32 s15, s15
; %bb.113:                              ;   in Loop: Header=BB301_12 Depth=1
	v_and_b32_e32 v4, 0xffff, v5
	v_or_b32_e32 v6, 0x10000, v5
	s_delay_alu instid0(VALU_DEP_2) | instskip(NEXT) | instid1(VALU_DEP_2)
	v_cmp_eq_u32_e32 vcc_lo, 0, v4
	v_cndmask_b32_e32 v4, v6, v5, vcc_lo
; %bb.114:                              ;   in Loop: Header=BB301_12 Depth=1
	s_or_b32 exec_lo, exec_lo, s15
	v_lshlrev_b64 v[5:6], 1, v[68:69]
	s_delay_alu instid0(VALU_DEP_1) | instskip(NEXT) | instid1(VALU_DEP_2)
	v_add_co_u32 v5, vcc_lo, s12, v5
	v_add_co_ci_u32_e32 v6, vcc_lo, s13, v6, vcc_lo
	global_store_d16_hi_b16 v[5:6], v4, off
	s_or_b32 exec_lo, exec_lo, s3
	s_and_saveexec_b32 s3, s1
	s_cbranch_execz .LBB301_49
.LBB301_115:                            ;   in Loop: Header=BB301_12 Depth=1
	s_waitcnt vmcnt(1) lgkmcnt(1)
	v_dual_add_f32 v2, v2, v3 :: v_dual_lshlrev_b32 v3, 16, v17
	s_delay_alu instid0(VALU_DEP_1) | instskip(NEXT) | instid1(VALU_DEP_1)
	v_add_f32_e32 v3, v2, v3
	v_and_b32_e32 v2, 0x7f800000, v3
	s_delay_alu instid0(VALU_DEP_1) | instskip(SKIP_1) | instid1(SALU_CYCLE_1)
	v_cmp_ne_u32_e32 vcc_lo, 0x7f800000, v2
                                        ; implicit-def: $vgpr2
	s_and_saveexec_b32 s1, vcc_lo
	s_xor_b32 s1, exec_lo, s1
; %bb.116:                              ;   in Loop: Header=BB301_12 Depth=1
	v_bfe_u32 v2, v3, 16, 1
	s_delay_alu instid0(VALU_DEP_1)
	v_add3_u32 v2, v3, v2, 0x7fff
                                        ; implicit-def: $vgpr3
; %bb.117:                              ;   in Loop: Header=BB301_12 Depth=1
	s_and_not1_saveexec_b32 s1, s1
; %bb.118:                              ;   in Loop: Header=BB301_12 Depth=1
	v_and_b32_e32 v2, 0xffff, v3
	v_or_b32_e32 v4, 0x10000, v3
	s_delay_alu instid0(VALU_DEP_2) | instskip(NEXT) | instid1(VALU_DEP_2)
	v_cmp_eq_u32_e32 vcc_lo, 0, v2
	v_cndmask_b32_e32 v2, v4, v3, vcc_lo
; %bb.119:                              ;   in Loop: Header=BB301_12 Depth=1
	s_or_b32 exec_lo, exec_lo, s1
	v_dual_mov_b32 v4, v69 :: v_dual_add_nc_u32 v3, 1, v68
	s_delay_alu instid0(VALU_DEP_1) | instskip(NEXT) | instid1(VALU_DEP_1)
	v_lshlrev_b64 v[3:4], 1, v[3:4]
	v_add_co_u32 v3, vcc_lo, s12, v3
	s_delay_alu instid0(VALU_DEP_2) | instskip(SKIP_2) | instid1(SALU_CYCLE_1)
	v_add_co_ci_u32_e32 v4, vcc_lo, s13, v4, vcc_lo
	global_store_d16_hi_b16 v[3:4], v2, off
	s_or_b32 exec_lo, exec_lo, s3
	s_and_b32 exec_lo, exec_lo, s2
	s_cbranch_execz .LBB301_125
.LBB301_120:                            ;   in Loop: Header=BB301_12 Depth=1
	s_waitcnt vmcnt(0) lgkmcnt(0)
	v_dual_add_f32 v0, v0, v1 :: v_dual_lshlrev_b32 v1, 16, v14
	s_delay_alu instid0(VALU_DEP_1) | instskip(NEXT) | instid1(VALU_DEP_1)
	v_add_f32_e32 v1, v0, v1
	v_and_b32_e32 v0, 0x7f800000, v1
	s_delay_alu instid0(VALU_DEP_1) | instskip(SKIP_1) | instid1(SALU_CYCLE_1)
	v_cmp_ne_u32_e32 vcc_lo, 0x7f800000, v0
                                        ; implicit-def: $vgpr0
	s_and_saveexec_b32 s1, vcc_lo
	s_xor_b32 s1, exec_lo, s1
; %bb.121:                              ;   in Loop: Header=BB301_12 Depth=1
	v_bfe_u32 v0, v1, 16, 1
	s_delay_alu instid0(VALU_DEP_1)
	v_add3_u32 v0, v1, v0, 0x7fff
                                        ; implicit-def: $vgpr1
; %bb.122:                              ;   in Loop: Header=BB301_12 Depth=1
	s_and_not1_saveexec_b32 s1, s1
; %bb.123:                              ;   in Loop: Header=BB301_12 Depth=1
	v_and_b32_e32 v0, 0xffff, v1
	v_or_b32_e32 v2, 0x10000, v1
	s_delay_alu instid0(VALU_DEP_2) | instskip(NEXT) | instid1(VALU_DEP_2)
	v_cmp_eq_u32_e32 vcc_lo, 0, v0
	v_cndmask_b32_e32 v0, v2, v1, vcc_lo
; %bb.124:                              ;   in Loop: Header=BB301_12 Depth=1
	s_or_b32 exec_lo, exec_lo, s1
	v_add_nc_u32_e32 v68, 2, v68
	s_delay_alu instid0(VALU_DEP_1) | instskip(NEXT) | instid1(VALU_DEP_1)
	v_lshlrev_b64 v[1:2], 1, v[68:69]
	v_add_co_u32 v1, vcc_lo, s12, v1
	s_delay_alu instid0(VALU_DEP_2)
	v_add_co_ci_u32_e32 v2, vcc_lo, s13, v2, vcc_lo
	global_store_d16_hi_b16 v[1:2], v0, off
.LBB301_125:                            ;   in Loop: Header=BB301_12 Depth=1
	s_or_b32 exec_lo, exec_lo, s14
	v_add_nc_u32_e32 v66, s5, v66
	s_delay_alu instid0(VALU_DEP_1) | instskip(SKIP_1) | instid1(VALU_DEP_2)
	v_add_nc_u32_e32 v0, 3, v66
	v_cmp_gt_u32_e32 vcc_lo, s19, v66
	v_cmp_le_u32_e64 s1, s19, v0
	s_delay_alu instid0(VALU_DEP_1) | instskip(NEXT) | instid1(SALU_CYCLE_1)
	s_and_b32 s1, vcc_lo, s1
	s_and_saveexec_b32 s43, s1
	s_cbranch_execz .LBB301_10
; %bb.126:                              ;   in Loop: Header=BB301_12 Depth=1
	s_mov_b32 s44, exec_lo
	v_cmpx_ne_u32_e64 s31, v66
	s_cbranch_execz .LBB301_9
; %bb.127:                              ;   in Loop: Header=BB301_12 Depth=1
	v_subrev_nc_u32_e32 v0, s31, v66
	s_mov_b32 s45, 0
	s_mov_b64 s[14:15], 0
	s_delay_alu instid0(VALU_DEP_1)
	v_cmp_lt_u32_e32 vcc_lo, 1, v0
	v_cndmask_b32_e32 v0, 1, v0, vcc_lo
	.p2align	6
.LBB301_128:                            ;   Parent Loop BB301_12 Depth=1
                                        ; =>  This Inner Loop Header: Depth=2
	s_cmp_lg_u32 s14, 2
	s_cselect_b32 vcc_lo, -1, 0
	s_cmp_lg_u32 s14, 1
	v_cndmask_b32_e32 v62, 0, v62, vcc_lo
	s_cselect_b32 s1, -1, 0
	s_cmp_lg_u32 s14, 0
	v_cndmask_b32_e64 v61, 0, v61, s1
	s_cselect_b32 s2, -1, 0
	s_add_u32 s14, s14, 1
	v_cndmask_b32_e64 v60, 0, v60, s2
	v_cmp_eq_u32_e64 s3, s14, v0
	s_addc_u32 s15, s15, 0
	s_delay_alu instid0(VALU_DEP_1) | instskip(NEXT) | instid1(SALU_CYCLE_1)
	s_or_b32 s45, s3, s45
	s_and_not1_b32 exec_lo, exec_lo, s45
	s_cbranch_execnz .LBB301_128
; %bb.129:                              ;   in Loop: Header=BB301_12 Depth=1
	s_or_b32 exec_lo, exec_lo, s45
	s_branch .LBB301_9
.LBB301_130:
	s_nop 0
	s_sendmsg sendmsg(MSG_DEALLOC_VGPRS)
	s_endpgm
	.section	.rodata,"a",@progbits
	.p2align	6, 0x0
	.amdhsa_kernel _Z16wvSplitK_hf_big_I14__hip_bfloat16Li64ELi3ELi16ELi8ELi2ELi5EEviiiiiiPKT_S3_S3_PS1_ii
		.amdhsa_group_segment_fixed_size 65536
		.amdhsa_private_segment_fixed_size 0
		.amdhsa_kernarg_size 64
		.amdhsa_user_sgpr_count 15
		.amdhsa_user_sgpr_dispatch_ptr 0
		.amdhsa_user_sgpr_queue_ptr 0
		.amdhsa_user_sgpr_kernarg_segment_ptr 1
		.amdhsa_user_sgpr_dispatch_id 0
		.amdhsa_user_sgpr_private_segment_size 0
		.amdhsa_wavefront_size32 1
		.amdhsa_uses_dynamic_stack 0
		.amdhsa_enable_private_segment 0
		.amdhsa_system_sgpr_workgroup_id_x 1
		.amdhsa_system_sgpr_workgroup_id_y 0
		.amdhsa_system_sgpr_workgroup_id_z 0
		.amdhsa_system_sgpr_workgroup_info 0
		.amdhsa_system_vgpr_workitem_id 1
		.amdhsa_next_free_vgpr 116
		.amdhsa_next_free_sgpr 46
		.amdhsa_reserve_vcc 1
		.amdhsa_float_round_mode_32 0
		.amdhsa_float_round_mode_16_64 0
		.amdhsa_float_denorm_mode_32 3
		.amdhsa_float_denorm_mode_16_64 3
		.amdhsa_dx10_clamp 1
		.amdhsa_ieee_mode 1
		.amdhsa_fp16_overflow 0
		.amdhsa_workgroup_processor_mode 1
		.amdhsa_memory_ordered 1
		.amdhsa_forward_progress 0
		.amdhsa_shared_vgpr_count 0
		.amdhsa_exception_fp_ieee_invalid_op 0
		.amdhsa_exception_fp_denorm_src 0
		.amdhsa_exception_fp_ieee_div_zero 0
		.amdhsa_exception_fp_ieee_overflow 0
		.amdhsa_exception_fp_ieee_underflow 0
		.amdhsa_exception_fp_ieee_inexact 0
		.amdhsa_exception_int_div_zero 0
	.end_amdhsa_kernel
	.section	.text._Z16wvSplitK_hf_big_I14__hip_bfloat16Li64ELi3ELi16ELi8ELi2ELi5EEviiiiiiPKT_S3_S3_PS1_ii,"axG",@progbits,_Z16wvSplitK_hf_big_I14__hip_bfloat16Li64ELi3ELi16ELi8ELi2ELi5EEviiiiiiPKT_S3_S3_PS1_ii,comdat
.Lfunc_end301:
	.size	_Z16wvSplitK_hf_big_I14__hip_bfloat16Li64ELi3ELi16ELi8ELi2ELi5EEviiiiiiPKT_S3_S3_PS1_ii, .Lfunc_end301-_Z16wvSplitK_hf_big_I14__hip_bfloat16Li64ELi3ELi16ELi8ELi2ELi5EEviiiiiiPKT_S3_S3_PS1_ii
                                        ; -- End function
	.section	.AMDGPU.csdata,"",@progbits
; Kernel info:
; codeLenInByte = 10176
; NumSgprs: 48
; NumVgprs: 116
; ScratchSize: 0
; MemoryBound: 0
; FloatMode: 240
; IeeeMode: 1
; LDSByteSize: 65536 bytes/workgroup (compile time only)
; SGPRBlocks: 5
; VGPRBlocks: 14
; NumSGPRsForWavesPerEU: 48
; NumVGPRsForWavesPerEU: 116
; Occupancy: 12
; WaveLimiterHint : 0
; COMPUTE_PGM_RSRC2:SCRATCH_EN: 0
; COMPUTE_PGM_RSRC2:USER_SGPR: 15
; COMPUTE_PGM_RSRC2:TRAP_HANDLER: 0
; COMPUTE_PGM_RSRC2:TGID_X_EN: 1
; COMPUTE_PGM_RSRC2:TGID_Y_EN: 0
; COMPUTE_PGM_RSRC2:TGID_Z_EN: 0
; COMPUTE_PGM_RSRC2:TIDIG_COMP_CNT: 1
	.section	.text._Z16wvSplitK_hf_sml_I14__hip_bfloat16Li64ELi4ELi16ELi8ELi1ELi5EEviiiiiiPKT_S3_S3_PS1_ii,"axG",@progbits,_Z16wvSplitK_hf_sml_I14__hip_bfloat16Li64ELi4ELi16ELi8ELi1ELi5EEviiiiiiPKT_S3_S3_PS1_ii,comdat
	.protected	_Z16wvSplitK_hf_sml_I14__hip_bfloat16Li64ELi4ELi16ELi8ELi1ELi5EEviiiiiiPKT_S3_S3_PS1_ii ; -- Begin function _Z16wvSplitK_hf_sml_I14__hip_bfloat16Li64ELi4ELi16ELi8ELi1ELi5EEviiiiiiPKT_S3_S3_PS1_ii
	.globl	_Z16wvSplitK_hf_sml_I14__hip_bfloat16Li64ELi4ELi16ELi8ELi1ELi5EEviiiiiiPKT_S3_S3_PS1_ii
	.p2align	8
	.type	_Z16wvSplitK_hf_sml_I14__hip_bfloat16Li64ELi4ELi16ELi8ELi1ELi5EEviiiiiiPKT_S3_S3_PS1_ii,@function
_Z16wvSplitK_hf_sml_I14__hip_bfloat16Li64ELi4ELi16ELi8ELi1ELi5EEviiiiiiPKT_S3_S3_PS1_ii: ; @_Z16wvSplitK_hf_sml_I14__hip_bfloat16Li64ELi4ELi16ELi8ELi1ELi5EEviiiiiiPKT_S3_S3_PS1_ii
; %bb.0:
	s_clause 0x2
	s_load_b128 s[4:7], s[0:1], 0x0
	s_load_b64 s[8:9], s[0:1], 0x10
	s_load_b64 s[10:11], s[0:1], 0x28
	v_and_b32_e32 v2, 0x3ff, v0
	v_bfe_u32 v3, v0, 10, 10
	s_mov_b32 s12, exec_lo
	s_delay_alu instid0(VALU_DEP_2) | instskip(NEXT) | instid1(VALU_DEP_1)
	v_lshlrev_b32_e32 v47, 3, v2
	v_lshl_add_u32 v4, v3, 9, v47
	s_waitcnt lgkmcnt(0)
	s_mul_i32 s2, s6, 5
	s_delay_alu instid0(SALU_CYCLE_1)
	s_min_u32 s3, s2, 0x8000
	s_delay_alu instid0(VALU_DEP_1) | instid1(SALU_CYCLE_1)
	v_cmpx_gt_u32_e64 s3, v4
	s_cbranch_execz .LBB302_3
; %bb.1:
	s_load_b64 s[16:17], s[0:1], 0x20
	v_lshlrev_b32_e32 v5, 10, v3
	v_lshlrev_b32_e32 v6, 4, v2
	s_mov_b32 s13, 0
	s_delay_alu instid0(VALU_DEP_1) | instskip(NEXT) | instid1(VALU_DEP_1)
	v_add_co_u32 v0, s2, v5, v6
	v_add_co_ci_u32_e64 v1, null, 0, 0, s2
	v_add_nc_u32_e32 v5, v5, v6
	s_waitcnt lgkmcnt(0)
	s_delay_alu instid0(VALU_DEP_3) | instskip(NEXT) | instid1(VALU_DEP_3)
	v_add_co_u32 v0, vcc_lo, s16, v0
	v_add_co_ci_u32_e32 v1, vcc_lo, s17, v1, vcc_lo
	.p2align	6
.LBB302_2:                              ; =>This Inner Loop Header: Depth=1
	global_load_b128 v[6:9], v[0:1], off
	v_add_nc_u32_e32 v4, 0x2000, v4
	v_add_co_u32 v0, vcc_lo, 0x4000, v0
	v_add_co_ci_u32_e32 v1, vcc_lo, 0, v1, vcc_lo
	s_delay_alu instid0(VALU_DEP_3) | instskip(NEXT) | instid1(VALU_DEP_1)
	v_cmp_le_u32_e64 s2, s3, v4
	s_or_b32 s13, s2, s13
	s_waitcnt vmcnt(0)
	ds_store_b128 v5, v[6:9]
	v_add_nc_u32_e32 v5, 0x4000, v5
	s_and_not1_b32 exec_lo, exec_lo, s13
	s_cbranch_execnz .LBB302_2
.LBB302_3:
	s_or_b32 exec_lo, exec_lo, s12
	s_load_b64 s[16:17], s[0:1], 0x38
	s_waitcnt lgkmcnt(0)
	s_barrier
	buffer_gl0_inv
	s_mov_b32 s2, exec_lo
	v_cmpx_gt_u32_e64 s16, v3
	s_cbranch_execz .LBB302_96
; %bb.4:
	s_mul_i32 s15, s15, s16
	s_delay_alu instid0(SALU_CYCLE_1) | instskip(NEXT) | instid1(VALU_DEP_1)
	v_add_lshl_u32 v32, s15, v3, 2
	v_cmp_gt_u32_e32 vcc_lo, s7, v32
	s_and_b32 exec_lo, exec_lo, vcc_lo
	s_cbranch_execz .LBB302_96
; %bb.5:
	s_cmp_lg_u32 s4, 0
	v_cvt_f32_u32_e32 v1, s8
	s_cselect_b32 s14, -1, 0
	s_add_i32 s15, s4, -8
	s_add_i32 s18, s7, -1
	s_cmp_lg_u64 s[10:11], 0
	s_clause 0x1
	s_load_b64 s[2:3], s[0:1], 0x18
	s_load_b64 s[12:13], s[0:1], 0x30
	s_cselect_b32 s19, -1, 0
	s_abs_i32 s21, s9
	s_mul_i32 s0, s16, s17
	v_cvt_f32_u32_e32 v0, s21
	s_lshl_b32 s9, s0, 2
	s_sub_i32 s0, 0, s21
	s_sub_i32 s17, 0, s8
	;; [unrolled: 1-line block ×3, first 2 shown]
	v_rcp_iflag_f32_e32 v0, v0
	v_lshlrev_b32_e32 v48, 4, v2
	v_mov_b32_e32 v34, 0
	s_mov_b32 s1, 0
	s_waitcnt_depctr 0xfff
	v_mul_f32_e32 v0, 0x4f7ffffe, v0
	s_delay_alu instid0(VALU_DEP_1) | instskip(NEXT) | instid1(VALU_DEP_1)
	v_cvt_u32_f32_e32 v0, v0
	v_readfirstlane_b32 s16, v0
	v_rcp_iflag_f32_e32 v0, v1
	v_mbcnt_lo_u32_b32 v1, -1, 0
	s_delay_alu instid0(VALU_DEP_2) | instskip(NEXT) | instid1(SALU_CYCLE_1)
	s_mul_i32 s0, s0, s16
	s_mul_hi_u32 s0, s16, s0
	s_delay_alu instid0(VALU_DEP_1)
	v_xor_b32_e32 v3, 16, v1
	s_add_i32 s22, s16, s0
	s_cmp_lt_u32 s21, 2
	v_cmp_eq_u32_e64 s0, 63, v2
	s_cselect_b32 s16, s20, 1
	v_cmp_gt_i32_e32 vcc_lo, 32, v3
	s_sub_i32 s20, s16, s21
	s_cmp_ge_u32 s16, s21
	s_cselect_b32 s20, s20, s16
	s_waitcnt_depctr 0xfff
	v_dual_cndmask_b32 v1, v1, v3 :: v_dual_mul_f32 v0, 0x4f7ffffe, v0
	s_lshr_b32 s16, s22, 31
	s_delay_alu instid0(SALU_CYCLE_1) | instskip(NEXT) | instid1(VALU_DEP_1)
	s_mul_i32 s16, s16, s21
	v_lshlrev_b32_e32 v49, 2, v1
	s_sub_i32 s16, 2, s16
	v_cvt_u32_f32_e32 v0, v0
	s_sub_i32 s23, s16, s21
	s_cmp_ge_u32 s16, s21
	s_cselect_b32 s16, s23, s16
	s_delay_alu instid0(VALU_DEP_1)
	v_mul_lo_u32 v2, s17, v0
	s_mul_hi_u32 s17, s22, 3
	s_sub_i32 s23, s16, s21
	s_cmp_ge_u32 s16, s21
	s_mul_i32 s17, s17, s21
	s_cselect_b32 s23, s23, s16
	s_sub_i32 s17, 3, s17
	s_mul_i32 s16, s6, 6
	s_sub_i32 s24, s17, s21
	s_cmp_ge_u32 s17, s21
	v_mul_hi_u32 v2, v0, v2
	s_cselect_b32 s17, s24, s17
	s_delay_alu instid0(SALU_CYCLE_1) | instskip(SKIP_3) | instid1(VALU_DEP_1)
	s_sub_i32 s24, s17, s21
	s_cmp_ge_u32 s17, s21
	s_cselect_b32 s24, s24, s17
	s_lshr_b32 s17, s22, 30
	v_add_nc_u32_e32 v50, v0, v2
	s_mul_i32 s17, s17, s21
	s_delay_alu instid0(SALU_CYCLE_1)
	s_sub_i32 s22, 4, s17
	s_mul_i32 s17, s20, s8
	s_sub_i32 s25, s22, s21
	s_cmp_ge_u32 s22, s21
	s_mul_i32 s20, s23, s8
	s_cselect_b32 s22, s25, s22
	s_delay_alu instid0(SALU_CYCLE_1)
	s_sub_i32 s23, s22, s21
	s_cmp_ge_u32 s22, s21
	s_mul_i32 s21, s24, s8
	s_cselect_b32 s24, s23, s22
	s_lshl_b32 s22, s6, 3
	s_lshl_b32 s23, s6, 2
	s_mul_i32 s24, s24, s8
	s_lshl_b32 s6, s6, 1
	s_branch .LBB302_8
.LBB302_6:                              ;   in Loop: Header=BB302_8 Depth=1
	s_or_b32 exec_lo, exec_lo, s26
	global_store_d16_hi_b16 v[0:1], v3, off offset:6
.LBB302_7:                              ;   in Loop: Header=BB302_8 Depth=1
	s_or_b32 exec_lo, exec_lo, s25
	v_add_nc_u32_e32 v32, s9, v32
	s_delay_alu instid0(VALU_DEP_1) | instskip(SKIP_1) | instid1(SALU_CYCLE_1)
	v_cmp_le_u32_e32 vcc_lo, s7, v32
	s_or_b32 s1, vcc_lo, s1
	s_and_not1_b32 exec_lo, exec_lo, s1
	s_cbranch_execz .LBB302_96
.LBB302_8:                              ; =>This Loop Header: Depth=1
                                        ;     Child Loop BB302_11 Depth 2
	v_mov_b32_e32 v51, v34
	v_mov_b32_e32 v52, v34
	;; [unrolled: 1-line block ×19, first 2 shown]
	s_waitcnt lgkmcnt(0)
	v_mov_b32_e32 v66, v34
	s_and_not1_b32 vcc_lo, exec_lo, s14
	s_cbranch_vccnz .LBB302_13
; %bb.9:                                ;   in Loop: Header=BB302_8 Depth=1
	v_or_b32_e32 v0, 1, v32
	v_or_b32_e32 v1, 2, v32
	v_or_b32_e32 v2, 3, v32
	v_min_u32_e32 v3, s18, v32
	v_dual_mov_b32 v5, v34 :: v_dual_mov_b32 v68, 0
	v_min_u32_e32 v0, s18, v0
	v_min_u32_e32 v1, s18, v1
	v_min_u32_e32 v4, s18, v2
	v_mul_lo_u32 v33, v3, s5
	v_dual_mov_b32 v3, v34 :: v_dual_mov_b32 v70, 0
	v_mul_lo_u32 v0, v0, s5
	v_mul_lo_u32 v2, v1, s5
	;; [unrolled: 1-line block ×3, first 2 shown]
	v_dual_mov_b32 v1, v34 :: v_dual_mov_b32 v66, 0
	v_lshlrev_b64 v[35:36], 1, v[33:34]
	v_dual_mov_b32 v71, v48 :: v_dual_mov_b32 v64, 0
	s_delay_alu instid0(VALU_DEP_3)
	v_lshlrev_b64 v[37:38], 1, v[0:1]
	v_lshlrev_b64 v[39:40], 1, v[2:3]
	;; [unrolled: 1-line block ×3, first 2 shown]
	v_dual_mov_b32 v67, 0 :: v_dual_mov_b32 v62, 0
	v_dual_mov_b32 v69, 0 :: v_dual_mov_b32 v60, 0
	;; [unrolled: 1-line block ×6, first 2 shown]
	v_mov_b32_e32 v57, 0
	v_mov_b32_e32 v55, 0
	;; [unrolled: 1-line block ×4, first 2 shown]
	s_mov_b32 s25, 0
	s_branch .LBB302_11
.LBB302_10:                             ;   in Loop: Header=BB302_11 Depth=2
	s_or_b32 exec_lo, exec_lo, s26
	s_waitcnt lgkmcnt(1)
	v_and_b32_e32 v83, 0xffff0000, v29
	v_and_b32_e32 v87, 0xffff0000, v31
	s_waitcnt vmcnt(3)
	v_and_b32_e32 v72, 0xffff0000, v25
	v_lshlrev_b32_e32 v88, 16, v31
	s_waitcnt vmcnt(2)
	v_and_b32_e32 v31, 0xffff0000, v21
	v_lshlrev_b32_e32 v84, 16, v29
	v_dual_mul_f32 v74, v83, v72 :: v_dual_lshlrev_b32 v29, 16, v25
	v_and_b32_e32 v73, 0xffff0000, v24
	v_lshlrev_b32_e32 v82, 16, v28
	v_lshlrev_b32_e32 v86, 16, v30
	s_delay_alu instid0(VALU_DEP_4)
	v_dual_fmac_f32 v74, v84, v29 :: v_dual_and_b32 v85, 0xffff0000, v30
	v_lshlrev_b32_e32 v33, 16, v24
	v_and_b32_e32 v81, 0xffff0000, v28
	v_and_b32_e32 v28, 0xffff0000, v27
	v_lshlrev_b32_e32 v78, 16, v22
	v_and_b32_e32 v25, 0xffff0000, v26
	s_waitcnt vmcnt(1)
	v_and_b32_e32 v76, 0xffff0000, v16
	v_dual_mul_f32 v24, v81, v73 :: v_dual_add_nc_u32 v71, 0x400, v71
	s_addk_i32 s25, 0x200
	s_delay_alu instid0(SALU_CYCLE_1) | instskip(NEXT) | instid1(VALU_DEP_1)
	s_cmp_ge_u32 s25, s4
	v_dual_fmac_f32 v24, v82, v33 :: v_dual_mul_f32 v79, v81, v76
	s_delay_alu instid0(VALU_DEP_1) | instskip(SKIP_2) | instid1(VALU_DEP_3)
	v_add_f32_e32 v30, v66, v24
	v_lshlrev_b32_e32 v24, 16, v26
	v_lshlrev_b32_e32 v26, 16, v27
	v_add_f32_e32 v30, v30, v74
	v_and_b32_e32 v74, 0xffff0000, v20
	v_mul_f32_e32 v75, v87, v28
	s_delay_alu instid0(VALU_DEP_2) | instskip(NEXT) | instid1(VALU_DEP_1)
	v_dual_mul_f32 v20, v81, v74 :: v_dual_lshlrev_b32 v27, 16, v20
	v_dual_fmac_f32 v75, v88, v26 :: v_dual_fmac_f32 v20, v82, v27
	v_mul_f32_e32 v66, v85, v25
	s_delay_alu instid0(VALU_DEP_2) | instskip(NEXT) | instid1(VALU_DEP_2)
	v_add_f32_e32 v70, v70, v20
	v_fmac_f32_e32 v66, v86, v24
	v_lshlrev_b32_e32 v20, 16, v16
	s_delay_alu instid0(VALU_DEP_2) | instskip(NEXT) | instid1(VALU_DEP_2)
	v_add_f32_e32 v66, v30, v66
	v_dual_fmac_f32 v79, v82, v20 :: v_dual_lshlrev_b32 v30, 16, v21
	v_mul_f32_e32 v21, v83, v31
	s_delay_alu instid0(VALU_DEP_2) | instskip(SKIP_2) | instid1(VALU_DEP_3)
	v_add_f32_e32 v67, v67, v79
	s_waitcnt vmcnt(0)
	v_lshlrev_b32_e32 v79, 16, v8
	v_fmac_f32_e32 v21, v84, v30
	s_delay_alu instid0(VALU_DEP_1) | instskip(SKIP_3) | instid1(VALU_DEP_3)
	v_add_f32_e32 v70, v70, v21
	v_and_b32_e32 v21, 0xffff0000, v17
	v_dual_add_f32 v66, v66, v75 :: v_dual_lshlrev_b32 v17, 16, v17
	v_and_b32_e32 v75, 0xffff0000, v22
	v_mul_f32_e32 v89, v83, v21
	s_delay_alu instid0(VALU_DEP_2) | instskip(NEXT) | instid1(VALU_DEP_2)
	v_mul_f32_e32 v77, v85, v75
	v_dual_fmac_f32 v89, v84, v17 :: v_dual_and_b32 v22, 0xffff0000, v23
	s_delay_alu instid0(VALU_DEP_1) | instskip(SKIP_2) | instid1(VALU_DEP_1)
	v_dual_add_f32 v67, v67, v89 :: v_dual_and_b32 v80, 0xffff0000, v8
	v_lshlrev_b32_e32 v16, 16, v23
	v_and_b32_e32 v23, 0xffff0000, v18
	v_dual_mul_f32 v91, v85, v23 :: v_dual_lshlrev_b32 v18, 16, v18
	v_fmac_f32_e32 v77, v86, v78
	s_delay_alu instid0(VALU_DEP_2) | instskip(SKIP_1) | instid1(VALU_DEP_3)
	v_fmac_f32_e32 v91, v86, v18
	v_mul_f32_e32 v90, v87, v22
	v_dual_add_f32 v70, v70, v77 :: v_dual_and_b32 v77, 0xffff0000, v19
	s_delay_alu instid0(VALU_DEP_3) | instskip(SKIP_1) | instid1(VALU_DEP_3)
	v_add_f32_e32 v67, v67, v91
	v_mul_f32_e32 v81, v81, v80
	v_dual_fmac_f32 v90, v88, v16 :: v_dual_mul_f32 v89, v87, v77
	s_delay_alu instid0(VALU_DEP_2) | instskip(SKIP_2) | instid1(VALU_DEP_4)
	v_fmac_f32_e32 v81, v82, v79
	v_lshlrev_b32_e32 v8, 16, v19
	v_and_b32_e32 v19, 0xffff0000, v9
	v_dual_add_f32 v70, v70, v90 :: v_dual_lshlrev_b32 v9, 16, v9
	s_delay_alu instid0(VALU_DEP_2) | instskip(NEXT) | instid1(VALU_DEP_1)
	v_mul_f32_e32 v82, v83, v19
	v_fmac_f32_e32 v82, v84, v9
	v_add_f32_e32 v69, v69, v81
	v_fmac_f32_e32 v89, v88, v8
	v_and_b32_e32 v81, 0xffff0000, v10
	v_lshlrev_b32_e32 v10, 16, v10
	v_and_b32_e32 v83, 0xffff0000, v12
	v_dual_add_f32 v69, v69, v82 :: v_dual_and_b32 v82, 0xffff0000, v11
	v_add_f32_e32 v67, v67, v89
	v_mul_f32_e32 v84, v85, v81
	s_delay_alu instid0(VALU_DEP_4) | instskip(SKIP_2) | instid1(VALU_DEP_4)
	v_dual_mul_f32 v85, v83, v73 :: v_dual_lshlrev_b32 v12, 16, v12
	v_lshlrev_b32_e32 v11, 16, v11
	v_mul_f32_e32 v87, v87, v82
	v_fmac_f32_e32 v84, v86, v10
	v_and_b32_e32 v86, 0xffff0000, v13
	v_fmac_f32_e32 v85, v12, v33
	v_lshlrev_b32_e32 v13, 16, v13
	v_dual_fmac_f32 v87, v88, v11 :: v_dual_mul_f32 v90, v83, v76
	s_delay_alu instid0(VALU_DEP_4) | instskip(SKIP_3) | instid1(VALU_DEP_4)
	v_mul_f32_e32 v89, v86, v72
	v_dual_add_f32 v69, v69, v84 :: v_dual_and_b32 v84, 0xffff0000, v14
	v_add_f32_e32 v68, v68, v85
	v_lshlrev_b32_e32 v14, 16, v14
	v_dual_mul_f32 v88, v83, v74 :: v_dual_fmac_f32 v89, v13, v29
	v_fmac_f32_e32 v90, v12, v20
	s_delay_alu instid0(VALU_DEP_2) | instskip(NEXT) | instid1(VALU_DEP_3)
	v_dual_mul_f32 v83, v83, v80 :: v_dual_fmac_f32 v88, v12, v27
	v_dual_add_f32 v68, v68, v89 :: v_dual_add_f32 v69, v69, v87
	v_and_b32_e32 v87, 0xffff0000, v15
	v_mul_f32_e32 v85, v84, v25
	v_lshlrev_b32_e32 v15, 16, v15
	v_dual_add_f32 v61, v61, v88 :: v_dual_mul_f32 v88, v86, v21
	s_delay_alu instid0(VALU_DEP_4) | instskip(SKIP_1) | instid1(VALU_DEP_2)
	v_dual_mul_f32 v89, v87, v28 :: v_dual_add_f32 v64, v64, v90
	v_dual_mul_f32 v90, v87, v22 :: v_dual_fmac_f32 v83, v12, v79
	v_dual_fmac_f32 v88, v13, v17 :: v_dual_fmac_f32 v89, v15, v26
	v_fmac_f32_e32 v85, v14, v24
	s_delay_alu instid0(VALU_DEP_3) | instskip(NEXT) | instid1(VALU_DEP_4)
	v_fmac_f32_e32 v90, v15, v16
	v_add_f32_e32 v62, v62, v83
	s_delay_alu instid0(VALU_DEP_4) | instskip(SKIP_2) | instid1(VALU_DEP_2)
	v_add_f32_e32 v64, v64, v88
	v_mul_f32_e32 v88, v87, v77
	v_dual_add_f32 v68, v68, v85 :: v_dual_mul_f32 v85, v86, v31
	v_fmac_f32_e32 v88, v15, v8
	s_delay_alu instid0(VALU_DEP_2) | instskip(SKIP_1) | instid1(VALU_DEP_2)
	v_dual_add_f32 v68, v68, v89 :: v_dual_fmac_f32 v85, v13, v30
	v_mul_f32_e32 v89, v84, v75
	v_add_f32_e32 v61, v61, v85
	v_mul_f32_e32 v85, v84, v23
	s_delay_alu instid0(VALU_DEP_1) | instskip(NEXT) | instid1(VALU_DEP_1)
	v_fmac_f32_e32 v85, v14, v18
	v_dual_fmac_f32 v89, v14, v78 :: v_dual_add_f32 v12, v64, v85
	v_mul_f32_e32 v85, v86, v19
	v_and_b32_e32 v86, 0xffff0000, v43
	s_delay_alu instid0(VALU_DEP_3) | instskip(SKIP_3) | instid1(VALU_DEP_3)
	v_add_f32_e32 v64, v12, v88
	v_mul_f32_e32 v12, v84, v81
	v_dual_add_f32 v61, v61, v89 :: v_dual_and_b32 v84, 0xffff0000, v46
	v_lshlrev_b32_e32 v46, 16, v46
	v_fmac_f32_e32 v12, v14, v10
	v_dual_mul_f32 v14, v87, v82 :: v_dual_fmac_f32 v85, v13, v9
	v_and_b32_e32 v83, 0xffff0000, v45
	s_delay_alu instid0(VALU_DEP_2) | instskip(NEXT) | instid1(VALU_DEP_3)
	v_dual_mul_f32 v87, v84, v21 :: v_dual_fmac_f32 v14, v15, v11
	v_dual_add_f32 v62, v62, v85 :: v_dual_add_f32 v61, v61, v90
	v_mul_f32_e32 v85, v84, v72
	s_delay_alu instid0(VALU_DEP_2) | instskip(NEXT) | instid1(VALU_DEP_1)
	v_dual_add_f32 v12, v62, v12 :: v_dual_lshlrev_b32 v13, 16, v45
	v_dual_mul_f32 v45, v83, v73 :: v_dual_add_f32 v62, v12, v14
	s_delay_alu instid0(VALU_DEP_1) | instskip(NEXT) | instid1(VALU_DEP_4)
	v_dual_fmac_f32 v45, v13, v33 :: v_dual_and_b32 v12, 0xffff0000, v44
	v_dual_mul_f32 v14, v83, v74 :: v_dual_fmac_f32 v85, v46, v29
	s_delay_alu instid0(VALU_DEP_2) | instskip(NEXT) | instid1(VALU_DEP_2)
	v_dual_add_f32 v15, v63, v45 :: v_dual_lshlrev_b32 v44, 16, v44
	v_dual_mul_f32 v45, v86, v25 :: v_dual_fmac_f32 v14, v13, v27
	v_lshlrev_b32_e32 v43, 16, v43
	s_delay_alu instid0(VALU_DEP_3) | instskip(NEXT) | instid1(VALU_DEP_3)
	v_add_f32_e32 v15, v15, v85
	v_dual_mul_f32 v85, v84, v31 :: v_dual_add_f32 v14, v65, v14
	v_mul_f32_e32 v65, v86, v75
	s_delay_alu instid0(VALU_DEP_2) | instskip(SKIP_1) | instid1(VALU_DEP_2)
	v_fmac_f32_e32 v85, v46, v30
	v_fmac_f32_e32 v45, v43, v24
	v_dual_fmac_f32 v65, v43, v78 :: v_dual_add_f32 v14, v14, v85
	v_mul_f32_e32 v63, v12, v28
	s_delay_alu instid0(VALU_DEP_3) | instskip(NEXT) | instid1(VALU_DEP_3)
	v_add_f32_e32 v15, v15, v45
	v_dual_mul_f32 v45, v83, v76 :: v_dual_add_f32 v14, v14, v65
	s_delay_alu instid0(VALU_DEP_3) | instskip(NEXT) | instid1(VALU_DEP_2)
	v_fmac_f32_e32 v63, v44, v26
	v_fmac_f32_e32 v45, v13, v20
	s_delay_alu instid0(VALU_DEP_2) | instskip(NEXT) | instid1(VALU_DEP_2)
	v_add_f32_e32 v63, v15, v63
	v_add_f32_e32 v15, v59, v45
	v_mul_f32_e32 v59, v83, v80
	v_and_b32_e32 v83, 0xffff0000, v4
	v_dual_fmac_f32 v87, v46, v17 :: v_dual_lshlrev_b32 v4, 16, v4
	s_delay_alu instid0(VALU_DEP_3) | instskip(SKIP_2) | instid1(VALU_DEP_4)
	v_fmac_f32_e32 v59, v13, v79
	v_dual_mul_f32 v13, v84, v19 :: v_dual_and_b32 v84, 0xffff0000, v5
	v_mul_f32_e32 v45, v86, v23
	v_add_f32_e32 v15, v15, v87
	v_lshlrev_b32_e32 v5, 16, v5
	s_delay_alu instid0(VALU_DEP_4) | instskip(NEXT) | instid1(VALU_DEP_4)
	v_fmac_f32_e32 v13, v46, v9
	v_fmac_f32_e32 v45, v43, v18
	s_delay_alu instid0(VALU_DEP_1) | instskip(SKIP_3) | instid1(VALU_DEP_3)
	v_add_f32_e32 v15, v15, v45
	v_add_f32_e32 v45, v57, v59
	v_mul_f32_e32 v59, v86, v81
	v_mul_f32_e32 v57, v12, v77
	v_add_f32_e32 v13, v45, v13
	s_delay_alu instid0(VALU_DEP_3)
	v_fmac_f32_e32 v59, v43, v10
	v_and_b32_e32 v43, 0xffff0000, v6
	v_mul_f32_e32 v65, v12, v22
	v_mul_f32_e32 v12, v12, v82
	v_fmac_f32_e32 v57, v44, v8
	v_dual_add_f32 v13, v13, v59 :: v_dual_lshlrev_b32 v6, 16, v6
	s_delay_alu instid0(VALU_DEP_2) | instskip(NEXT) | instid1(VALU_DEP_1)
	v_dual_fmac_f32 v12, v44, v11 :: v_dual_add_f32 v59, v15, v57
	v_dual_add_f32 v57, v13, v12 :: v_dual_mul_f32 v12, v83, v74
	s_delay_alu instid0(VALU_DEP_1) | instskip(NEXT) | instid1(VALU_DEP_1)
	v_fmac_f32_e32 v12, v4, v27
	v_add_f32_e32 v12, v56, v12
	v_mul_f32_e32 v56, v43, v75
	s_delay_alu instid0(VALU_DEP_1) | instskip(SKIP_2) | instid1(VALU_DEP_2)
	v_fmac_f32_e32 v56, v6, v78
	v_mul_f32_e32 v46, v83, v73
	v_mul_f32_e32 v15, v83, v76
	v_dual_mul_f32 v83, v83, v80 :: v_dual_fmac_f32 v46, v4, v33
	s_delay_alu instid0(VALU_DEP_2) | instskip(NEXT) | instid1(VALU_DEP_2)
	v_fmac_f32_e32 v15, v4, v20
	v_fmac_f32_e32 v83, v4, v79
	v_mul_f32_e32 v4, v84, v19
	v_fmac_f32_e32 v65, v44, v16
	s_delay_alu instid0(VALU_DEP_4) | instskip(SKIP_2) | instid1(VALU_DEP_4)
	v_dual_add_f32 v46, v60, v46 :: v_dual_add_f32 v15, v58, v15
	v_mul_f32_e32 v58, v43, v23
	v_mul_f32_e32 v60, v43, v25
	v_dual_add_f32 v65, v14, v65 :: v_dual_and_b32 v14, 0xffff0000, v7
	v_mul_f32_e32 v45, v84, v72
	s_delay_alu instid0(VALU_DEP_4) | instskip(NEXT) | instid1(VALU_DEP_2)
	v_dual_fmac_f32 v58, v6, v18 :: v_dual_lshlrev_b32 v7, 16, v7
	v_dual_fmac_f32 v60, v6, v24 :: v_dual_fmac_f32 v45, v5, v29
	s_delay_alu instid0(VALU_DEP_1) | instskip(SKIP_1) | instid1(VALU_DEP_1)
	v_add_f32_e32 v44, v46, v45
	v_mul_f32_e32 v46, v84, v21
	v_fmac_f32_e32 v46, v5, v17
	s_delay_alu instid0(VALU_DEP_1) | instskip(NEXT) | instid1(VALU_DEP_1)
	v_dual_add_f32 v15, v15, v46 :: v_dual_mul_f32 v46, v14, v77
	v_add_f32_e32 v15, v15, v58
	s_delay_alu instid0(VALU_DEP_2) | instskip(NEXT) | instid1(VALU_DEP_1)
	v_fmac_f32_e32 v46, v7, v8
	v_dual_add_f32 v58, v15, v46 :: v_dual_add_f32 v13, v44, v60
	v_fmac_f32_e32 v4, v5, v9
	v_mul_f32_e32 v44, v84, v31
	s_delay_alu instid0(VALU_DEP_1) | instskip(NEXT) | instid1(VALU_DEP_1)
	v_fmac_f32_e32 v44, v5, v30
	v_add_f32_e32 v12, v12, v44
	v_mul_f32_e32 v44, v14, v22
	s_delay_alu instid0(VALU_DEP_2) | instskip(NEXT) | instid1(VALU_DEP_2)
	v_add_f32_e32 v12, v12, v56
	v_fmac_f32_e32 v44, v7, v16
	s_delay_alu instid0(VALU_DEP_1)
	v_add_f32_e32 v56, v12, v44
	s_waitcnt lgkmcnt(0)
	v_and_b32_e32 v12, 0xffff0000, v0
	v_dual_mul_f32 v5, v43, v81 :: v_dual_lshlrev_b32 v0, 16, v0
	v_and_b32_e32 v44, 0xffff0000, v1
	v_lshlrev_b32_e32 v1, 16, v1
	s_delay_alu instid0(VALU_DEP_3) | instskip(SKIP_2) | instid1(VALU_DEP_1)
	v_fmac_f32_e32 v5, v6, v10
	v_mul_f32_e32 v6, v14, v82
	v_dual_mul_f32 v45, v14, v28 :: v_dual_mul_f32 v14, v12, v74
	v_fmac_f32_e32 v14, v0, v27
	s_delay_alu instid0(VALU_DEP_1) | instskip(NEXT) | instid1(VALU_DEP_4)
	v_add_f32_e32 v14, v53, v14
	v_fmac_f32_e32 v6, v7, v11
	s_delay_alu instid0(VALU_DEP_4) | instskip(NEXT) | instid1(VALU_DEP_1)
	v_fmac_f32_e32 v45, v7, v26
	v_add_f32_e32 v60, v13, v45
	v_mul_f32_e32 v13, v12, v73
	s_delay_alu instid0(VALU_DEP_1) | instskip(SKIP_1) | instid1(VALU_DEP_2)
	v_fmac_f32_e32 v13, v0, v33
	v_mul_f32_e32 v33, v44, v72
	v_add_f32_e32 v13, v54, v13
	s_delay_alu instid0(VALU_DEP_2) | instskip(NEXT) | instid1(VALU_DEP_1)
	v_fmac_f32_e32 v33, v1, v29
	v_add_f32_e32 v7, v13, v33
	v_mul_f32_e32 v13, v44, v31
	s_delay_alu instid0(VALU_DEP_1) | instskip(NEXT) | instid1(VALU_DEP_1)
	v_fmac_f32_e32 v13, v1, v30
	v_dual_add_f32 v13, v14, v13 :: v_dual_mul_f32 v14, v12, v76
	v_dual_mul_f32 v12, v12, v80 :: v_dual_add_f32 v15, v55, v83
	s_delay_alu instid0(VALU_DEP_2) | instskip(NEXT) | instid1(VALU_DEP_2)
	v_fmac_f32_e32 v14, v0, v20
	v_fmac_f32_e32 v12, v0, v79
	v_mul_f32_e32 v0, v44, v19
	s_delay_alu instid0(VALU_DEP_4) | instskip(NEXT) | instid1(VALU_DEP_4)
	v_add_f32_e32 v4, v15, v4
	v_add_f32_e32 v14, v52, v14
	s_delay_alu instid0(VALU_DEP_4) | instskip(NEXT) | instid1(VALU_DEP_4)
	v_add_f32_e32 v12, v51, v12
	v_fmac_f32_e32 v0, v1, v9
	s_delay_alu instid0(VALU_DEP_1) | instskip(SKIP_2) | instid1(VALU_DEP_2)
	v_add_f32_e32 v0, v12, v0
	v_dual_add_f32 v4, v4, v5 :: v_dual_and_b32 v5, 0xffff0000, v2
	v_lshlrev_b32_e32 v2, 16, v2
	v_add_f32_e32 v55, v4, v6
	s_delay_alu instid0(VALU_DEP_3) | instskip(NEXT) | instid1(VALU_DEP_1)
	v_mul_f32_e32 v15, v5, v25
	v_fmac_f32_e32 v15, v2, v24
	s_delay_alu instid0(VALU_DEP_1) | instskip(SKIP_1) | instid1(VALU_DEP_1)
	v_add_f32_e32 v7, v7, v15
	v_mul_f32_e32 v15, v44, v21
	v_fmac_f32_e32 v15, v1, v17
	v_mul_f32_e32 v1, v5, v81
	s_delay_alu instid0(VALU_DEP_1) | instskip(NEXT) | instid1(VALU_DEP_1)
	v_fmac_f32_e32 v1, v2, v10
	v_dual_add_f32 v0, v0, v1 :: v_dual_mul_f32 v17, v5, v23
	v_mul_f32_e32 v27, v5, v75
	v_add_f32_e32 v5, v14, v15
	s_delay_alu instid0(VALU_DEP_3) | instskip(NEXT) | instid1(VALU_DEP_3)
	v_fmac_f32_e32 v17, v2, v18
	v_fmac_f32_e32 v27, v2, v78
	s_delay_alu instid0(VALU_DEP_2) | instskip(SKIP_2) | instid1(VALU_DEP_4)
	v_add_f32_e32 v5, v5, v17
	v_and_b32_e32 v25, 0xffff0000, v3
	v_lshlrev_b32_e32 v3, 16, v3
	v_add_f32_e32 v13, v13, v27
	s_delay_alu instid0(VALU_DEP_3) | instskip(NEXT) | instid1(VALU_DEP_1)
	v_mul_f32_e32 v9, v25, v77
	v_fmac_f32_e32 v9, v3, v8
	s_delay_alu instid0(VALU_DEP_1) | instskip(SKIP_3) | instid1(VALU_DEP_3)
	v_add_f32_e32 v52, v5, v9
	v_mul_f32_e32 v24, v25, v28
	v_mul_f32_e32 v20, v25, v22
	;; [unrolled: 1-line block ×3, first 2 shown]
	v_fmac_f32_e32 v24, v3, v26
	s_delay_alu instid0(VALU_DEP_3) | instskip(NEXT) | instid1(VALU_DEP_3)
	v_fmac_f32_e32 v20, v3, v16
	v_fmac_f32_e32 v2, v3, v11
	s_delay_alu instid0(VALU_DEP_3) | instskip(NEXT) | instid1(VALU_DEP_3)
	v_add_f32_e32 v54, v7, v24
	v_add_f32_e32 v53, v13, v20
	s_delay_alu instid0(VALU_DEP_3)
	v_add_f32_e32 v51, v0, v2
	s_cbranch_scc1 .LBB302_13
.LBB302_11:                             ;   Parent Loop BB302_8 Depth=1
                                        ; =>  This Inner Loop Header: Depth=2
	v_add_nc_u32_e32 v12, s25, v47
	v_dual_mov_b32 v44, 0 :: v_dual_mov_b32 v45, 0
	v_dual_mov_b32 v46, 0 :: v_dual_mov_b32 v15, 0
	s_delay_alu instid0(VALU_DEP_3) | instskip(SKIP_2) | instid1(VALU_DEP_3)
	v_min_u32_e32 v33, s15, v12
	v_dual_mov_b32 v14, 0 :: v_dual_mov_b32 v13, 0
	v_dual_mov_b32 v30, 0 :: v_dual_mov_b32 v29, 0
	v_lshlrev_b64 v[0:1], 1, v[33:34]
	v_dual_mov_b32 v28, 0 :: v_dual_mov_b32 v43, 0
	v_mov_b32_e32 v31, 0
	s_waitcnt lgkmcnt(0)
	s_delay_alu instid0(VALU_DEP_3) | instskip(NEXT) | instid1(VALU_DEP_4)
	v_add_co_u32 v6, vcc_lo, s2, v0
	v_add_co_ci_u32_e32 v7, vcc_lo, s3, v1, vcc_lo
	s_delay_alu instid0(VALU_DEP_2) | instskip(NEXT) | instid1(VALU_DEP_2)
	v_add_co_u32 v0, vcc_lo, v6, v35
	v_add_co_ci_u32_e32 v1, vcc_lo, v7, v36, vcc_lo
	v_add_co_u32 v2, vcc_lo, v6, v37
	v_add_co_ci_u32_e32 v3, vcc_lo, v7, v38, vcc_lo
	;; [unrolled: 2-line block ×4, first 2 shown]
	s_clause 0x3
	global_load_b128 v[24:27], v[0:1], off slc dlc
	global_load_b128 v[20:23], v[2:3], off slc dlc
	;; [unrolled: 1-line block ×4, first 2 shown]
	v_mov_b32_e32 v3, 0
	v_cmp_gt_u32_e32 vcc_lo, s4, v12
	v_dual_mov_b32 v2, 0 :: v_dual_mov_b32 v1, 0
	v_dual_mov_b32 v0, 0 :: v_dual_mov_b32 v7, 0
	;; [unrolled: 1-line block ×3, first 2 shown]
	v_mov_b32_e32 v4, 0
	v_mov_b32_e32 v12, 0
	s_and_saveexec_b32 s26, vcc_lo
	s_cbranch_execz .LBB302_10
; %bb.12:                               ;   in Loop: Header=BB302_11 Depth=2
	v_add_nc_u32_e32 v0, s6, v71
	v_add_nc_u32_e32 v1, s23, v71
	;; [unrolled: 1-line block ×4, first 2 shown]
	ds_load_b128 v[12:15], v0
	ds_load_2addr_b32 v[45:46], v1 offset1:1
	ds_load_2addr_b32 v[43:44], v1 offset0:2 offset1:3
	ds_load_b128 v[4:7], v2
	ds_load_b128 v[28:31], v71
	ds_load_2addr_b64 v[0:3], v3 offset1:1
	s_branch .LBB302_10
.LBB302_13:                             ;   in Loop: Header=BB302_8 Depth=1
	; sched_barrier mask(0x00000000)
	s_delay_alu instid0(VALU_DEP_1)
	v_cvt_i32_f32_e32 v0, v66
	v_cvt_i32_f32_e32 v3, v69
	;; [unrolled: 1-line block ×5, first 2 shown]
	v_cvt_f32_i32_dpp v0, v0 row_shr:8 row_mask:0xf bank_mask:0xf bound_ctrl:1
	v_cvt_f32_i32_dpp v3, v3 row_shr:8 row_mask:0xf bank_mask:0xf bound_ctrl:1
	;; [unrolled: 1-line block ×5, first 2 shown]
	s_delay_alu instid0(VALU_DEP_4) | instskip(NEXT) | instid1(VALU_DEP_3)
	v_dual_add_f32 v0, v66, v0 :: v_dual_add_f32 v3, v69, v3
	v_dual_add_f32 v1, v70, v1 :: v_dual_add_f32 v2, v67, v2
	s_delay_alu instid0(VALU_DEP_2) | instskip(NEXT) | instid1(VALU_DEP_3)
	v_cvt_i32_f32_e32 v5, v0
	v_cvt_i32_f32_e32 v8, v3
	s_delay_alu instid0(VALU_DEP_3) | instskip(NEXT) | instid1(VALU_DEP_4)
	v_cvt_i32_f32_e32 v6, v1
	v_cvt_i32_f32_e32 v7, v2
	s_delay_alu instid0(VALU_DEP_4) | instskip(NEXT) | instid1(VALU_DEP_4)
	v_cvt_f32_i32_dpp v5, v5 row_shr:4 row_mask:0xf bank_mask:0xf bound_ctrl:1
	v_cvt_f32_i32_dpp v8, v8 row_shr:4 row_mask:0xf bank_mask:0xf bound_ctrl:1
	s_delay_alu instid0(VALU_DEP_4) | instskip(SKIP_2) | instid1(VALU_DEP_4)
	v_cvt_f32_i32_dpp v6, v6 row_shr:4 row_mask:0xf bank_mask:0xf bound_ctrl:1
	v_add_f32_e32 v4, v68, v4
	v_cvt_f32_i32_dpp v7, v7 row_shr:4 row_mask:0xf bank_mask:0xf bound_ctrl:1
	v_dual_add_f32 v0, v0, v5 :: v_dual_add_f32 v3, v3, v8
	s_delay_alu instid0(VALU_DEP_4) | instskip(NEXT) | instid1(VALU_DEP_4)
	v_add_f32_e32 v1, v1, v6
	v_cvt_i32_f32_e32 v9, v4
	s_delay_alu instid0(VALU_DEP_3) | instskip(NEXT) | instid1(VALU_DEP_4)
	v_cvt_i32_f32_e32 v5, v0
	v_cvt_i32_f32_e32 v8, v3
	s_delay_alu instid0(VALU_DEP_4) | instskip(NEXT) | instid1(VALU_DEP_4)
	v_cvt_i32_f32_e32 v6, v1
	v_cvt_f32_i32_dpp v9, v9 row_shr:4 row_mask:0xf bank_mask:0xf bound_ctrl:1
	s_delay_alu instid0(VALU_DEP_4) | instskip(NEXT) | instid1(VALU_DEP_4)
	v_cvt_f32_i32_dpp v5, v5 row_shr:2 row_mask:0xf bank_mask:0xf bound_ctrl:1
	v_cvt_f32_i32_dpp v8, v8 row_shr:2 row_mask:0xf bank_mask:0xf bound_ctrl:1
	s_delay_alu instid0(VALU_DEP_4) | instskip(NEXT) | instid1(VALU_DEP_4)
	v_cvt_f32_i32_dpp v6, v6 row_shr:2 row_mask:0xf bank_mask:0xf bound_ctrl:1
	v_add_f32_e32 v4, v4, v9
	s_delay_alu instid0(VALU_DEP_3) | instskip(NEXT) | instid1(VALU_DEP_3)
	v_dual_add_f32 v2, v2, v7 :: v_dual_add_f32 v3, v3, v8
	v_add_f32_e32 v1, v1, v6
	s_delay_alu instid0(VALU_DEP_3) | instskip(NEXT) | instid1(VALU_DEP_3)
	v_cvt_i32_f32_e32 v9, v4
	v_cvt_i32_f32_e32 v7, v2
	s_delay_alu instid0(VALU_DEP_4) | instskip(NEXT) | instid1(VALU_DEP_4)
	v_cvt_i32_f32_e32 v8, v3
	v_cvt_i32_f32_e32 v6, v1
	s_delay_alu instid0(VALU_DEP_4) | instskip(NEXT) | instid1(VALU_DEP_4)
	v_cvt_f32_i32_dpp v9, v9 row_shr:2 row_mask:0xf bank_mask:0xf bound_ctrl:1
	v_cvt_f32_i32_dpp v7, v7 row_shr:2 row_mask:0xf bank_mask:0xf bound_ctrl:1
	s_delay_alu instid0(VALU_DEP_4) | instskip(NEXT) | instid1(VALU_DEP_4)
	v_cvt_f32_i32_dpp v8, v8 row_shr:1 row_mask:0xf bank_mask:0xf bound_ctrl:1
	v_cvt_f32_i32_dpp v6, v6 row_shr:1 row_mask:0xf bank_mask:0xf bound_ctrl:1
	s_delay_alu instid0(VALU_DEP_2) | instskip(SKIP_1) | instid1(VALU_DEP_1)
	v_add_f32_e32 v38, v3, v8
	v_cvt_i32_f32_e32 v3, v64
	v_cvt_f32_i32_dpp v3, v3 row_shr:8 row_mask:0xf bank_mask:0xf bound_ctrl:1
	s_delay_alu instid0(VALU_DEP_1) | instskip(SKIP_2) | instid1(VALU_DEP_1)
	v_add_f32_e32 v3, v64, v3
	ds_bpermute_b32 v39, v49, v38
	v_cvt_i32_f32_e32 v8, v3
	v_cvt_f32_i32_dpp v8, v8 row_shr:4 row_mask:0xf bank_mask:0xf bound_ctrl:1
	s_delay_alu instid0(VALU_DEP_1) | instskip(NEXT) | instid1(VALU_DEP_1)
	v_dual_add_f32 v0, v0, v5 :: v_dual_add_f32 v3, v3, v8
	v_cvt_i32_f32_e32 v5, v0
	s_delay_alu instid0(VALU_DEP_2) | instskip(NEXT) | instid1(VALU_DEP_2)
	v_cvt_i32_f32_e32 v8, v3
	v_cvt_f32_i32_dpp v5, v5 row_shr:1 row_mask:0xf bank_mask:0xf bound_ctrl:1
	s_delay_alu instid0(VALU_DEP_2) | instskip(NEXT) | instid1(VALU_DEP_2)
	v_cvt_f32_i32_dpp v8, v8 row_shr:2 row_mask:0xf bank_mask:0xf bound_ctrl:1
	v_add_f32_e32 v46, v0, v5
	v_cvt_i32_f32_e32 v5, v63
	s_delay_alu instid0(VALU_DEP_3) | instskip(SKIP_4) | instid1(VALU_DEP_3)
	v_add_f32_e32 v3, v3, v8
	ds_bpermute_b32 v66, v49, v46
	v_cvt_f32_i32_dpp v5, v5 row_shr:8 row_mask:0xf bank_mask:0xf bound_ctrl:1
	v_add_f32_e32 v2, v2, v7
	v_cvt_i32_f32_e32 v8, v3
	v_add_f32_e32 v5, v63, v5
	s_delay_alu instid0(VALU_DEP_3) | instskip(NEXT) | instid1(VALU_DEP_3)
	v_cvt_i32_f32_e32 v7, v2
	v_cvt_f32_i32_dpp v8, v8 row_shr:1 row_mask:0xf bank_mask:0xf bound_ctrl:1
	v_add_f32_e32 v0, v1, v6
	s_delay_alu instid0(VALU_DEP_4) | instskip(NEXT) | instid1(VALU_DEP_4)
	v_cvt_i32_f32_e32 v10, v5
	v_cvt_f32_i32_dpp v7, v7 row_shr:1 row_mask:0xf bank_mask:0xf bound_ctrl:1
	v_cvt_i32_f32_e32 v6, v65
	v_add_f32_e32 v35, v3, v8
	v_cvt_i32_f32_e32 v3, v57
	v_cvt_f32_i32_dpp v10, v10 row_shr:4 row_mask:0xf bank_mask:0xf bound_ctrl:1
	v_add_f32_e32 v4, v4, v9
	v_cvt_f32_i32_dpp v6, v6 row_shr:8 row_mask:0xf bank_mask:0xf bound_ctrl:1
	ds_bpermute_b32 v1, v49, v0
	v_cvt_f32_i32_dpp v3, v3 row_shr:8 row_mask:0xf bank_mask:0xf bound_ctrl:1
	v_add_f32_e32 v5, v5, v10
	v_cvt_i32_f32_e32 v9, v4
	ds_bpermute_b32 v36, v49, v35
	v_add_f32_e32 v3, v57, v3
	v_cvt_i32_f32_e32 v10, v5
	v_cvt_f32_i32_dpp v9, v9 row_shr:1 row_mask:0xf bank_mask:0xf bound_ctrl:1
	s_delay_alu instid0(VALU_DEP_3) | instskip(NEXT) | instid1(VALU_DEP_3)
	v_cvt_i32_f32_e32 v8, v3
	v_cvt_f32_i32_dpp v10, v10 row_shr:2 row_mask:0xf bank_mask:0xf bound_ctrl:1
	v_add_f32_e32 v42, v2, v7
	s_delay_alu instid0(VALU_DEP_4)
	v_add_f32_e32 v30, v4, v9
	v_cvt_i32_f32_e32 v4, v62
	v_cvt_i32_f32_e32 v2, v61
	v_add_f32_e32 v5, v5, v10
	v_cvt_f32_i32_dpp v8, v8 row_shr:4 row_mask:0xf bank_mask:0xf bound_ctrl:1
	v_add_f32_e32 v6, v65, v6
	v_cvt_f32_i32_dpp v4, v4 row_shr:8 row_mask:0xf bank_mask:0xf bound_ctrl:1
	v_cvt_f32_i32_dpp v2, v2 row_shr:8 row_mask:0xf bank_mask:0xf bound_ctrl:1
	v_cvt_i32_f32_e32 v10, v5
	v_add_f32_e32 v3, v3, v8
	v_cvt_i32_f32_e32 v11, v6
	ds_bpermute_b32 v44, v49, v42
	ds_bpermute_b32 v31, v49, v30
	v_cvt_f32_i32_dpp v10, v10 row_shr:1 row_mask:0xf bank_mask:0xf bound_ctrl:1
	v_cvt_i32_f32_e32 v8, v3
	v_cvt_f32_i32_dpp v11, v11 row_shr:4 row_mask:0xf bank_mask:0xf bound_ctrl:1
	s_delay_alu instid0(VALU_DEP_3) | instskip(SKIP_1) | instid1(VALU_DEP_4)
	v_add_f32_e32 v22, v5, v10
	v_cvt_i32_f32_e32 v5, v56
	v_cvt_f32_i32_dpp v8, v8 row_shr:2 row_mask:0xf bank_mask:0xf bound_ctrl:1
	s_delay_alu instid0(VALU_DEP_2) | instskip(SKIP_1) | instid1(VALU_DEP_3)
	v_cvt_f32_i32_dpp v5, v5 row_shr:8 row_mask:0xf bank_mask:0xf bound_ctrl:1
	v_add_f32_e32 v4, v62, v4
	v_add_f32_e32 v3, v3, v8
	s_delay_alu instid0(VALU_DEP_3) | instskip(NEXT) | instid1(VALU_DEP_3)
	v_add_f32_e32 v5, v56, v5
	v_cvt_i32_f32_e32 v9, v4
	s_delay_alu instid0(VALU_DEP_3) | instskip(NEXT) | instid1(VALU_DEP_3)
	v_cvt_i32_f32_e32 v8, v3
	v_cvt_i32_f32_e32 v10, v5
	s_delay_alu instid0(VALU_DEP_3) | instskip(NEXT) | instid1(VALU_DEP_3)
	v_cvt_f32_i32_dpp v9, v9 row_shr:4 row_mask:0xf bank_mask:0xf bound_ctrl:1
	v_cvt_f32_i32_dpp v8, v8 row_shr:1 row_mask:0xf bank_mask:0xf bound_ctrl:1
	s_delay_alu instid0(VALU_DEP_3) | instskip(NEXT) | instid1(VALU_DEP_3)
	v_cvt_f32_i32_dpp v10, v10 row_shr:4 row_mask:0xf bank_mask:0xf bound_ctrl:1
	v_add_f32_e32 v4, v4, v9
	s_delay_alu instid0(VALU_DEP_3) | instskip(SKIP_1) | instid1(VALU_DEP_4)
	v_add_f32_e32 v20, v3, v8
	v_cvt_i32_f32_e32 v3, v54
	v_add_f32_e32 v5, v5, v10
	s_delay_alu instid0(VALU_DEP_4) | instskip(SKIP_4) | instid1(VALU_DEP_3)
	v_cvt_i32_f32_e32 v9, v4
	ds_bpermute_b32 v21, v49, v20
	v_cvt_f32_i32_dpp v3, v3 row_shr:8 row_mask:0xf bank_mask:0xf bound_ctrl:1
	v_cvt_i32_f32_e32 v10, v5
	v_cvt_f32_i32_dpp v9, v9 row_shr:2 row_mask:0xf bank_mask:0xf bound_ctrl:1
	v_add_f32_e32 v3, v54, v3
	s_delay_alu instid0(VALU_DEP_3) | instskip(NEXT) | instid1(VALU_DEP_3)
	v_cvt_f32_i32_dpp v10, v10 row_shr:2 row_mask:0xf bank_mask:0xf bound_ctrl:1
	v_add_f32_e32 v4, v4, v9
	s_delay_alu instid0(VALU_DEP_2) | instskip(NEXT) | instid1(VALU_DEP_2)
	v_dual_add_f32 v6, v6, v11 :: v_dual_add_f32 v5, v5, v10
	v_cvt_i32_f32_e32 v9, v4
	s_delay_alu instid0(VALU_DEP_2) | instskip(NEXT) | instid1(VALU_DEP_3)
	v_cvt_i32_f32_e32 v11, v6
	v_cvt_i32_f32_e32 v10, v5
	s_delay_alu instid0(VALU_DEP_3) | instskip(SKIP_1) | instid1(VALU_DEP_4)
	v_cvt_f32_i32_dpp v9, v9 row_shr:1 row_mask:0xf bank_mask:0xf bound_ctrl:1
	v_add_f32_e32 v2, v61, v2
	v_cvt_f32_i32_dpp v11, v11 row_shr:2 row_mask:0xf bank_mask:0xf bound_ctrl:1
	s_delay_alu instid0(VALU_DEP_4) | instskip(NEXT) | instid1(VALU_DEP_4)
	v_cvt_f32_i32_dpp v10, v10 row_shr:1 row_mask:0xf bank_mask:0xf bound_ctrl:1
	v_add_f32_e32 v27, v4, v9
	s_delay_alu instid0(VALU_DEP_4) | instskip(SKIP_1) | instid1(VALU_DEP_4)
	v_cvt_i32_f32_e32 v7, v2
	v_cvt_i32_f32_e32 v4, v60
	v_add_f32_e32 v12, v5, v10
	v_cvt_i32_f32_e32 v5, v52
	s_delay_alu instid0(VALU_DEP_4)
	v_cvt_f32_i32_dpp v7, v7 row_shr:4 row_mask:0xf bank_mask:0xf bound_ctrl:1
	v_cvt_i32_f32_e32 v10, v3
	v_cvt_f32_i32_dpp v4, v4 row_shr:8 row_mask:0xf bank_mask:0xf bound_ctrl:1
	ds_bpermute_b32 v28, v49, v27
	v_cvt_f32_i32_dpp v5, v5 row_shr:8 row_mask:0xf bank_mask:0xf bound_ctrl:1
	v_add_f32_e32 v2, v2, v7
	v_cvt_f32_i32_dpp v10, v10 row_shr:4 row_mask:0xf bank_mask:0xf bound_ctrl:1
	v_add_f32_e32 v6, v6, v11
	ds_bpermute_b32 v13, v49, v12
	v_add_f32_e32 v5, v52, v5
	v_cvt_i32_f32_e32 v7, v2
	v_add_f32_e32 v3, v3, v10
	v_cvt_i32_f32_e32 v11, v6
	s_delay_alu instid0(VALU_DEP_4) | instskip(NEXT) | instid1(VALU_DEP_4)
	v_cvt_i32_f32_e32 v14, v5
	v_cvt_f32_i32_dpp v7, v7 row_shr:2 row_mask:0xf bank_mask:0xf bound_ctrl:1
	s_delay_alu instid0(VALU_DEP_4) | instskip(NEXT) | instid1(VALU_DEP_4)
	v_cvt_i32_f32_e32 v10, v3
	v_cvt_f32_i32_dpp v11, v11 row_shr:1 row_mask:0xf bank_mask:0xf bound_ctrl:1
	s_delay_alu instid0(VALU_DEP_4) | instskip(NEXT) | instid1(VALU_DEP_4)
	v_cvt_f32_i32_dpp v14, v14 row_shr:4 row_mask:0xf bank_mask:0xf bound_ctrl:1
	v_add_f32_e32 v2, v2, v7
	s_delay_alu instid0(VALU_DEP_4) | instskip(NEXT) | instid1(VALU_DEP_4)
	v_cvt_f32_i32_dpp v10, v10 row_shr:2 row_mask:0xf bank_mask:0xf bound_ctrl:1
	v_add_f32_e32 v18, v6, v11
	v_cvt_i32_f32_e32 v6, v58
	v_add_f32_e32 v5, v5, v14
	v_cvt_i32_f32_e32 v7, v2
	v_add_f32_e32 v3, v3, v10
	ds_bpermute_b32 v19, v49, v18
	v_cvt_f32_i32_dpp v6, v6 row_shr:8 row_mask:0xf bank_mask:0xf bound_ctrl:1
	v_cvt_i32_f32_e32 v14, v5
	v_cvt_f32_i32_dpp v7, v7 row_shr:1 row_mask:0xf bank_mask:0xf bound_ctrl:1
	v_cvt_i32_f32_e32 v10, v3
	s_delay_alu instid0(VALU_DEP_4) | instskip(NEXT) | instid1(VALU_DEP_4)
	v_add_f32_e32 v6, v58, v6
	v_cvt_f32_i32_dpp v14, v14 row_shr:2 row_mask:0xf bank_mask:0xf bound_ctrl:1
	s_delay_alu instid0(VALU_DEP_4)
	v_add_f32_e32 v40, v2, v7
	v_cvt_i32_f32_e32 v2, v59
	v_add_f32_e32 v4, v60, v4
	v_cvt_i32_f32_e32 v11, v6
	v_add_f32_e32 v5, v5, v14
	v_cvt_f32_i32_dpp v10, v10 row_shr:1 row_mask:0xf bank_mask:0xf bound_ctrl:1
	v_cvt_f32_i32_dpp v2, v2 row_shr:8 row_mask:0xf bank_mask:0xf bound_ctrl:1
	v_cvt_i32_f32_e32 v9, v4
	v_cvt_f32_i32_dpp v11, v11 row_shr:4 row_mask:0xf bank_mask:0xf bound_ctrl:1
	ds_bpermute_b32 v41, v49, v40
	v_add_f32_e32 v10, v3, v10
	v_add_f32_e32 v2, v59, v2
	v_cvt_f32_i32_dpp v9, v9 row_shr:4 row_mask:0xf bank_mask:0xf bound_ctrl:1
	v_add_f32_e32 v6, v6, v11
	v_cvt_i32_f32_e32 v14, v5
	s_delay_alu instid0(VALU_DEP_4) | instskip(NEXT) | instid1(VALU_DEP_4)
	v_cvt_i32_f32_e32 v7, v2
	v_add_f32_e32 v4, v4, v9
	s_delay_alu instid0(VALU_DEP_4) | instskip(NEXT) | instid1(VALU_DEP_4)
	v_cvt_i32_f32_e32 v11, v6
	v_cvt_f32_i32_dpp v26, v14 row_shr:1 row_mask:0xf bank_mask:0xf bound_ctrl:1
	s_delay_alu instid0(VALU_DEP_4) | instskip(NEXT) | instid1(VALU_DEP_4)
	v_cvt_f32_i32_dpp v7, v7 row_shr:4 row_mask:0xf bank_mask:0xf bound_ctrl:1
	v_cvt_i32_f32_e32 v9, v4
	s_delay_alu instid0(VALU_DEP_4) | instskip(NEXT) | instid1(VALU_DEP_3)
	v_cvt_f32_i32_dpp v11, v11 row_shr:2 row_mask:0xf bank_mask:0xf bound_ctrl:1
	v_add_f32_e32 v2, v2, v7
	s_delay_alu instid0(VALU_DEP_3) | instskip(NEXT) | instid1(VALU_DEP_3)
	v_cvt_f32_i32_dpp v9, v9 row_shr:2 row_mask:0xf bank_mask:0xf bound_ctrl:1
	v_add_f32_e32 v6, v6, v11
	s_delay_alu instid0(VALU_DEP_3) | instskip(NEXT) | instid1(VALU_DEP_3)
	v_cvt_i32_f32_e32 v7, v2
	v_add_f32_e32 v4, v4, v9
	s_delay_alu instid0(VALU_DEP_3) | instskip(NEXT) | instid1(VALU_DEP_3)
	v_cvt_i32_f32_e32 v11, v6
	v_cvt_f32_i32_dpp v7, v7 row_shr:2 row_mask:0xf bank_mask:0xf bound_ctrl:1
	s_delay_alu instid0(VALU_DEP_3) | instskip(NEXT) | instid1(VALU_DEP_3)
	v_cvt_i32_f32_e32 v9, v4
	v_cvt_f32_i32_dpp v11, v11 row_shr:1 row_mask:0xf bank_mask:0xf bound_ctrl:1
	s_delay_alu instid0(VALU_DEP_3) | instskip(NEXT) | instid1(VALU_DEP_3)
	v_add_f32_e32 v2, v2, v7
	v_cvt_f32_i32_dpp v9, v9 row_shr:1 row_mask:0xf bank_mask:0xf bound_ctrl:1
	s_delay_alu instid0(VALU_DEP_3) | instskip(SKIP_1) | instid1(VALU_DEP_4)
	v_add_f32_e32 v8, v6, v11
	v_cvt_i32_f32_e32 v6, v51
	v_cvt_i32_f32_e32 v7, v2
	s_delay_alu instid0(VALU_DEP_4) | instskip(SKIP_1) | instid1(VALU_DEP_4)
	v_add_f32_e32 v16, v4, v9
	v_cvt_i32_f32_e32 v4, v53
	v_cvt_f32_i32_dpp v6, v6 row_shr:8 row_mask:0xf bank_mask:0xf bound_ctrl:1
	ds_bpermute_b32 v9, v49, v8
	v_cvt_f32_i32_dpp v7, v7 row_shr:1 row_mask:0xf bank_mask:0xf bound_ctrl:1
	ds_bpermute_b32 v17, v49, v16
	v_cvt_f32_i32_dpp v4, v4 row_shr:8 row_mask:0xf bank_mask:0xf bound_ctrl:1
	v_add_f32_e32 v6, v51, v6
	v_add_f32_e32 v24, v2, v7
	v_cvt_i32_f32_e32 v2, v55
	s_delay_alu instid0(VALU_DEP_4) | instskip(NEXT) | instid1(VALU_DEP_4)
	v_add_f32_e32 v4, v53, v4
	v_cvt_i32_f32_e32 v15, v6
	ds_bpermute_b32 v25, v49, v24
	v_cvt_f32_i32_dpp v2, v2 row_shr:8 row_mask:0xf bank_mask:0xf bound_ctrl:1
	v_cvt_i32_f32_e32 v11, v4
	v_cvt_f32_i32_dpp v15, v15 row_shr:4 row_mask:0xf bank_mask:0xf bound_ctrl:1
	s_delay_alu instid0(VALU_DEP_3) | instskip(NEXT) | instid1(VALU_DEP_3)
	v_add_f32_e32 v2, v55, v2
	v_cvt_f32_i32_dpp v11, v11 row_shr:4 row_mask:0xf bank_mask:0xf bound_ctrl:1
	s_delay_alu instid0(VALU_DEP_3) | instskip(NEXT) | instid1(VALU_DEP_3)
	v_add_f32_e32 v6, v6, v15
	v_cvt_i32_f32_e32 v7, v2
	s_delay_alu instid0(VALU_DEP_3) | instskip(NEXT) | instid1(VALU_DEP_3)
	v_add_f32_e32 v4, v4, v11
	v_cvt_i32_f32_e32 v15, v6
	s_delay_alu instid0(VALU_DEP_3) | instskip(NEXT) | instid1(VALU_DEP_3)
	v_cvt_f32_i32_dpp v7, v7 row_shr:4 row_mask:0xf bank_mask:0xf bound_ctrl:1
	v_cvt_i32_f32_e32 v11, v4
	s_delay_alu instid0(VALU_DEP_3) | instskip(NEXT) | instid1(VALU_DEP_3)
	v_cvt_f32_i32_dpp v15, v15 row_shr:2 row_mask:0xf bank_mask:0xf bound_ctrl:1
	v_add_f32_e32 v2, v2, v7
	s_delay_alu instid0(VALU_DEP_3) | instskip(NEXT) | instid1(VALU_DEP_2)
	v_cvt_f32_i32_dpp v11, v11 row_shr:2 row_mask:0xf bank_mask:0xf bound_ctrl:1
	v_cvt_i32_f32_e32 v7, v2
	s_delay_alu instid0(VALU_DEP_2) | instskip(NEXT) | instid1(VALU_DEP_2)
	v_add_f32_e32 v4, v4, v11
	v_cvt_f32_i32_dpp v7, v7 row_shr:2 row_mask:0xf bank_mask:0xf bound_ctrl:1
	s_delay_alu instid0(VALU_DEP_2) | instskip(NEXT) | instid1(VALU_DEP_2)
	v_cvt_i32_f32_e32 v11, v4
	v_add_f32_e32 v2, v2, v7
	v_add_f32_e32 v7, v6, v15
	ds_bpermute_b32 v23, v49, v22
	v_cvt_f32_i32_dpp v11, v11 row_shr:1 row_mask:0xf bank_mask:0xf bound_ctrl:1
	v_cvt_i32_f32_e32 v6, v2
	v_cvt_i32_f32_e32 v15, v7
	s_delay_alu instid0(VALU_DEP_2) | instskip(NEXT) | instid1(VALU_DEP_2)
	v_cvt_f32_i32_dpp v6, v6 row_shr:1 row_mask:0xf bank_mask:0xf bound_ctrl:1
	v_cvt_f32_i32_dpp v15, v15 row_shr:1 row_mask:0xf bank_mask:0xf bound_ctrl:1
	s_delay_alu instid0(VALU_DEP_2) | instskip(NEXT) | instid1(VALU_DEP_2)
	v_add_f32_e32 v14, v2, v6
	v_add_f32_e32 v2, v7, v15
	;; [unrolled: 1-line block ×4, first 2 shown]
	ds_bpermute_b32 v11, v49, v10
	ds_bpermute_b32 v15, v49, v14
	;; [unrolled: 1-line block ×5, first 2 shown]
	s_and_saveexec_b32 s25, s0
	s_cbranch_execz .LBB302_7
; %bb.14:                               ;   in Loop: Header=BB302_8 Depth=1
	v_dual_mov_b32 v65, 0 :: v_dual_mov_b32 v64, 0
	v_dual_mov_b32 v63, 0 :: v_dual_mov_b32 v62, 0
	;; [unrolled: 1-line block ×8, first 2 shown]
	v_mov_b32_e32 v45, 0
	v_mov_b32_e32 v43, 0
	;; [unrolled: 1-line block ×4, first 2 shown]
	s_and_not1_b32 vcc_lo, exec_lo, s19
	s_cbranch_vccnz .LBB302_16
; %bb.15:                               ;   in Loop: Header=BB302_8 Depth=1
	v_mul_hi_u32 v26, v32, v50
	v_or_b32_e32 v29, 1, v32
	v_or_b32_e32 v37, 3, v32
	v_or_b32_e32 v33, 2, v32
	v_mov_b32_e32 v74, v34
	v_mov_b32_e32 v68, v34
	v_mul_hi_u32 v43, v29, v50
	v_mul_hi_u32 v51, v37, v50
	v_mul_lo_u32 v26, v26, s8
	v_mul_hi_u32 v45, v33, v50
	v_mov_b32_e32 v80, v34
	v_mov_b32_e32 v70, v34
	;; [unrolled: 1-line block ×3, first 2 shown]
	v_mul_lo_u32 v43, v43, s8
	v_mul_lo_u32 v51, v51, s8
	v_sub_nc_u32_e32 v26, v32, v26
	v_mul_lo_u32 v45, v45, s8
	s_delay_alu instid0(VALU_DEP_2) | instskip(SKIP_4) | instid1(VALU_DEP_4)
	v_subrev_nc_u32_e32 v53, s8, v26
	v_sub_nc_u32_e32 v29, v29, v43
	v_sub_nc_u32_e32 v37, v37, v51
	v_cmp_le_u32_e32 vcc_lo, s8, v26
	v_sub_nc_u32_e32 v33, v33, v45
	v_subrev_nc_u32_e32 v43, s8, v29
	s_delay_alu instid0(VALU_DEP_4)
	v_subrev_nc_u32_e32 v51, s8, v37
	v_cndmask_b32_e32 v26, v26, v53, vcc_lo
	v_cmp_le_u32_e32 vcc_lo, s8, v29
	v_mov_b32_e32 v52, v34
	v_subrev_nc_u32_e32 v45, s8, v33
	v_cndmask_b32_e32 v29, v29, v43, vcc_lo
	v_cmp_le_u32_e32 vcc_lo, s8, v33
	s_delay_alu instid0(VALU_DEP_3) | instskip(SKIP_1) | instid1(VALU_DEP_4)
	v_dual_mov_b32 v54, v34 :: v_dual_cndmask_b32 v43, v33, v45
	v_cmp_le_u32_e32 vcc_lo, s8, v37
	v_subrev_nc_u32_e32 v45, s8, v29
	v_cndmask_b32_e32 v37, v37, v51, vcc_lo
	v_subrev_nc_u32_e32 v53, s8, v26
	v_cmp_le_u32_e32 vcc_lo, s8, v26
	s_delay_alu instid0(VALU_DEP_3) | instskip(NEXT) | instid1(VALU_DEP_3)
	v_subrev_nc_u32_e32 v55, s8, v37
	v_cndmask_b32_e32 v33, v26, v53, vcc_lo
	v_cmp_le_u32_e32 vcc_lo, s8, v29
	v_mov_b32_e32 v56, v34
	v_subrev_nc_u32_e32 v26, s8, v43
	s_delay_alu instid0(VALU_DEP_4) | instskip(SKIP_3) | instid1(VALU_DEP_3)
	v_lshlrev_b64 v[57:58], 1, v[33:34]
	v_cndmask_b32_e32 v51, v29, v45, vcc_lo
	v_cmp_le_u32_e32 vcc_lo, s8, v43
	v_add_nc_u32_e32 v67, s17, v33
	v_lshlrev_b64 v[59:60], 1, v[51:52]
	v_cndmask_b32_e32 v53, v43, v26, vcc_lo
	v_cmp_le_u32_e32 vcc_lo, s8, v37
	v_add_nc_u32_e32 v69, s17, v51
	v_lshlrev_b64 v[67:68], 1, v[67:68]
	v_add_nc_u32_e32 v79, s20, v51
	v_lshlrev_b64 v[61:62], 1, v[53:54]
	v_cndmask_b32_e32 v55, v37, v55, vcc_lo
	v_add_co_u32 v57, vcc_lo, s10, v57
	v_add_co_ci_u32_e32 v58, vcc_lo, s11, v58, vcc_lo
	v_add_co_u32 v59, vcc_lo, s10, v59
	s_delay_alu instid0(VALU_DEP_4) | instskip(SKIP_3) | instid1(VALU_DEP_4)
	v_lshlrev_b64 v[63:64], 1, v[55:56]
	v_add_co_ci_u32_e32 v60, vcc_lo, s11, v60, vcc_lo
	v_add_co_u32 v61, vcc_lo, s10, v61
	v_add_co_ci_u32_e32 v62, vcc_lo, s11, v62, vcc_lo
	v_add_co_u32 v71, vcc_lo, s10, v63
	v_add_co_ci_u32_e32 v72, vcc_lo, s11, v64, vcc_lo
	v_lshlrev_b64 v[63:64], 1, v[69:70]
	v_add_nc_u32_e32 v69, s17, v53
	v_add_co_u32 v67, vcc_lo, s10, v67
	v_add_nc_u32_e32 v73, s17, v55
	v_add_co_ci_u32_e32 v68, vcc_lo, s11, v68, vcc_lo
	s_delay_alu instid0(VALU_DEP_4) | instskip(SKIP_3) | instid1(VALU_DEP_4)
	v_lshlrev_b64 v[69:70], 1, v[69:70]
	v_add_co_u32 v75, vcc_lo, s10, v63
	v_add_co_ci_u32_e32 v76, vcc_lo, s11, v64, vcc_lo
	v_lshlrev_b64 v[63:64], 1, v[73:74]
	v_add_co_u32 v69, vcc_lo, s10, v69
	v_add_nc_u32_e32 v73, s20, v33
	v_add_co_ci_u32_e32 v70, vcc_lo, s11, v70, vcc_lo
	s_delay_alu instid0(VALU_DEP_4)
	v_add_co_u32 v77, vcc_lo, s10, v63
	v_add_co_ci_u32_e32 v78, vcc_lo, s11, v64, vcc_lo
	s_clause 0x7
	global_load_u16 v65, v[57:58], off
	global_load_u16 v64, v[59:60], off
	;; [unrolled: 1-line block ×8, first 2 shown]
	v_mov_b32_e32 v76, v34
	v_lshlrev_b64 v[73:74], 1, v[73:74]
	v_dual_mov_b32 v70, v34 :: v_dual_add_nc_u32 v69, s20, v53
	v_mov_b32_e32 v78, v34
	v_lshlrev_b64 v[67:68], 1, v[79:80]
	v_add_nc_u32_e32 v75, s21, v33
	v_add_co_u32 v71, vcc_lo, s10, v73
	v_add_co_ci_u32_e32 v72, vcc_lo, s11, v74, vcc_lo
	v_dual_mov_b32 v74, v34 :: v_dual_add_nc_u32 v73, s20, v55
	v_lshlrev_b64 v[69:70], 1, v[69:70]
	v_add_co_u32 v67, vcc_lo, s10, v67
	v_add_nc_u32_e32 v77, s21, v51
	s_delay_alu instid0(VALU_DEP_4)
	v_lshlrev_b64 v[73:74], 1, v[73:74]
	v_add_co_ci_u32_e32 v68, vcc_lo, s11, v68, vcc_lo
	v_add_co_u32 v69, vcc_lo, s10, v69
	v_lshlrev_b64 v[75:76], 1, v[75:76]
	v_add_nc_u32_e32 v79, s21, v53
	v_add_co_ci_u32_e32 v70, vcc_lo, s11, v70, vcc_lo
	v_add_co_u32 v73, vcc_lo, s10, v73
	v_lshlrev_b64 v[77:78], 1, v[77:78]
	v_add_nc_u32_e32 v33, s24, v33
	v_add_nc_u32_e32 v81, s21, v55
	v_add_co_ci_u32_e32 v74, vcc_lo, s11, v74, vcc_lo
	v_add_co_u32 v75, vcc_lo, s10, v75
	v_lshlrev_b64 v[79:80], 1, v[79:80]
	v_add_co_ci_u32_e32 v76, vcc_lo, s11, v76, vcc_lo
	v_lshlrev_b64 v[83:84], 1, v[33:34]
	v_add_nc_u32_e32 v33, s24, v51
	v_add_co_u32 v77, vcc_lo, s10, v77
	v_lshlrev_b64 v[81:82], 1, v[81:82]
	v_add_co_ci_u32_e32 v78, vcc_lo, s11, v78, vcc_lo
	v_add_co_u32 v79, vcc_lo, s10, v79
	v_lshlrev_b64 v[51:52], 1, v[33:34]
	v_add_nc_u32_e32 v33, s24, v53
	v_add_co_ci_u32_e32 v80, vcc_lo, s11, v80, vcc_lo
	v_add_co_u32 v81, vcc_lo, s10, v81
	v_add_co_ci_u32_e32 v82, vcc_lo, s11, v82, vcc_lo
	v_add_co_u32 v83, vcc_lo, s10, v83
	v_lshlrev_b64 v[53:54], 1, v[33:34]
	v_add_nc_u32_e32 v33, s24, v55
	v_add_co_ci_u32_e32 v84, vcc_lo, s11, v84, vcc_lo
	v_add_co_u32 v85, vcc_lo, s10, v51
	v_add_co_ci_u32_e32 v86, vcc_lo, s11, v52, vcc_lo
	s_delay_alu instid0(VALU_DEP_4) | instskip(SKIP_2) | instid1(VALU_DEP_3)
	v_lshlrev_b64 v[51:52], 1, v[33:34]
	v_add_co_u32 v87, vcc_lo, s10, v53
	v_add_co_ci_u32_e32 v88, vcc_lo, s11, v54, vcc_lo
	v_add_co_u32 v89, vcc_lo, s10, v51
	s_delay_alu instid0(VALU_DEP_4)
	v_add_co_ci_u32_e32 v90, vcc_lo, s11, v52, vcc_lo
	s_clause 0xb
	global_load_u16 v59, v[71:72], off
	global_load_u16 v57, v[67:68], off
	;; [unrolled: 1-line block ×12, first 2 shown]
.LBB302_16:                             ;   in Loop: Header=BB302_8 Depth=1
	s_waitcnt vmcnt(19) lgkmcnt(0)
	v_dual_add_f32 v33, v46, v66 :: v_dual_lshlrev_b32 v46, 16, v65
	s_delay_alu instid0(VALU_DEP_1) | instskip(NEXT) | instid1(VALU_DEP_1)
	v_add_f32_e32 v33, v33, v46
	v_and_b32_e32 v46, 0x7f800000, v33
	s_delay_alu instid0(VALU_DEP_1) | instskip(SKIP_1) | instid1(SALU_CYCLE_1)
	v_cmp_ne_u32_e32 vcc_lo, 0x7f800000, v46
                                        ; implicit-def: $vgpr46
	s_and_saveexec_b32 s26, vcc_lo
	s_xor_b32 s26, exec_lo, s26
; %bb.17:                               ;   in Loop: Header=BB302_8 Depth=1
	v_bfe_u32 v46, v33, 16, 1
	s_delay_alu instid0(VALU_DEP_1)
	v_add3_u32 v46, v33, v46, 0x7fff
                                        ; implicit-def: $vgpr33
; %bb.18:                               ;   in Loop: Header=BB302_8 Depth=1
	s_and_not1_saveexec_b32 s26, s26
; %bb.19:                               ;   in Loop: Header=BB302_8 Depth=1
	v_and_b32_e32 v46, 0xffff, v33
	v_or_b32_e32 v65, 0x10000, v33
	s_delay_alu instid0(VALU_DEP_2) | instskip(NEXT) | instid1(VALU_DEP_2)
	v_cmp_eq_u32_e32 vcc_lo, 0, v46
	v_cndmask_b32_e32 v46, v65, v33, vcc_lo
; %bb.20:                               ;   in Loop: Header=BB302_8 Depth=1
	s_or_b32 exec_lo, exec_lo, s26
	s_waitcnt vmcnt(18)
	v_dual_add_f32 v0, v0, v1 :: v_dual_lshlrev_b32 v1, 16, v64
	s_delay_alu instid0(VALU_DEP_1) | instskip(NEXT) | instid1(VALU_DEP_1)
	v_dual_mov_b32 v33, v34 :: v_dual_add_f32 v64, v0, v1
	v_lshlrev_b64 v[0:1], 1, v[32:33]
	s_delay_alu instid0(VALU_DEP_2) | instskip(NEXT) | instid1(VALU_DEP_2)
	v_and_b32_e32 v33, 0x7f800000, v64
	v_add_co_u32 v0, vcc_lo, s12, v0
	s_delay_alu instid0(VALU_DEP_3) | instskip(NEXT) | instid1(VALU_DEP_3)
	v_add_co_ci_u32_e32 v1, vcc_lo, s13, v1, vcc_lo
	v_cmp_ne_u32_e32 vcc_lo, 0x7f800000, v33
                                        ; implicit-def: $vgpr33
	global_store_d16_hi_b16 v[0:1], v46, off
	s_and_saveexec_b32 s26, vcc_lo
	s_delay_alu instid0(SALU_CYCLE_1)
	s_xor_b32 s26, exec_lo, s26
; %bb.21:                               ;   in Loop: Header=BB302_8 Depth=1
	v_bfe_u32 v33, v64, 16, 1
	s_delay_alu instid0(VALU_DEP_1)
	v_add3_u32 v33, v64, v33, 0x7fff
                                        ; implicit-def: $vgpr64
; %bb.22:                               ;   in Loop: Header=BB302_8 Depth=1
	s_and_not1_saveexec_b32 s26, s26
; %bb.23:                               ;   in Loop: Header=BB302_8 Depth=1
	v_and_b32_e32 v33, 0xffff, v64
	v_or_b32_e32 v46, 0x10000, v64
	s_delay_alu instid0(VALU_DEP_2) | instskip(NEXT) | instid1(VALU_DEP_2)
	v_cmp_eq_u32_e32 vcc_lo, 0, v33
	v_cndmask_b32_e32 v33, v46, v64, vcc_lo
; %bb.24:                               ;   in Loop: Header=BB302_8 Depth=1
	s_or_b32 exec_lo, exec_lo, s26
	v_add_f32_e32 v42, v42, v44
	s_waitcnt vmcnt(17)
	v_lshlrev_b32_e32 v44, 16, v63
	s_mov_b32 s26, exec_lo
	global_store_d16_hi_b16 v[0:1], v33, off offset:2
                                        ; implicit-def: $vgpr33
	v_add_f32_e32 v42, v42, v44
	s_delay_alu instid0(VALU_DEP_1) | instskip(NEXT) | instid1(VALU_DEP_1)
	v_and_b32_e32 v44, 0x7f800000, v42
	v_cmpx_ne_u32_e32 0x7f800000, v44
	s_xor_b32 s26, exec_lo, s26
; %bb.25:                               ;   in Loop: Header=BB302_8 Depth=1
	v_bfe_u32 v33, v42, 16, 1
	s_delay_alu instid0(VALU_DEP_1)
	v_add3_u32 v33, v42, v33, 0x7fff
                                        ; implicit-def: $vgpr42
; %bb.26:                               ;   in Loop: Header=BB302_8 Depth=1
	s_and_not1_saveexec_b32 s26, s26
; %bb.27:                               ;   in Loop: Header=BB302_8 Depth=1
	v_and_b32_e32 v33, 0xffff, v42
	v_or_b32_e32 v44, 0x10000, v42
	s_delay_alu instid0(VALU_DEP_2) | instskip(NEXT) | instid1(VALU_DEP_2)
	v_cmp_eq_u32_e32 vcc_lo, 0, v33
	v_cndmask_b32_e32 v33, v44, v42, vcc_lo
; %bb.28:                               ;   in Loop: Header=BB302_8 Depth=1
	s_or_b32 exec_lo, exec_lo, s26
	s_waitcnt vmcnt(16)
	v_dual_add_f32 v38, v38, v39 :: v_dual_lshlrev_b32 v39, 16, v62
	s_mov_b32 s26, exec_lo
	global_store_d16_hi_b16 v[0:1], v33, off offset:4
                                        ; implicit-def: $vgpr33
	v_add_f32_e32 v38, v38, v39
	s_delay_alu instid0(VALU_DEP_1) | instskip(NEXT) | instid1(VALU_DEP_1)
	v_and_b32_e32 v39, 0x7f800000, v38
	v_cmpx_ne_u32_e32 0x7f800000, v39
	s_xor_b32 s26, exec_lo, s26
; %bb.29:                               ;   in Loop: Header=BB302_8 Depth=1
	v_bfe_u32 v33, v38, 16, 1
	s_delay_alu instid0(VALU_DEP_1)
	v_add3_u32 v33, v38, v33, 0x7fff
                                        ; implicit-def: $vgpr38
; %bb.30:                               ;   in Loop: Header=BB302_8 Depth=1
	s_and_not1_saveexec_b32 s26, s26
; %bb.31:                               ;   in Loop: Header=BB302_8 Depth=1
	v_and_b32_e32 v33, 0xffff, v38
	v_or_b32_e32 v39, 0x10000, v38
	s_delay_alu instid0(VALU_DEP_2) | instskip(NEXT) | instid1(VALU_DEP_2)
	v_cmp_eq_u32_e32 vcc_lo, 0, v33
	v_cndmask_b32_e32 v33, v39, v38, vcc_lo
; %bb.32:                               ;   in Loop: Header=BB302_8 Depth=1
	s_or_b32 exec_lo, exec_lo, s26
	s_waitcnt vmcnt(15)
	v_dual_add_f32 v30, v30, v31 :: v_dual_lshlrev_b32 v31, 16, v61
	s_mov_b32 s26, exec_lo
	global_store_d16_hi_b16 v[0:1], v33, off offset:6
                                        ; implicit-def: $vgpr0
	v_add_f32_e32 v30, v30, v31
	s_delay_alu instid0(VALU_DEP_1) | instskip(NEXT) | instid1(VALU_DEP_1)
	v_and_b32_e32 v31, 0x7f800000, v30
	v_cmpx_ne_u32_e32 0x7f800000, v31
	s_xor_b32 s26, exec_lo, s26
; %bb.33:                               ;   in Loop: Header=BB302_8 Depth=1
	v_bfe_u32 v0, v30, 16, 1
	s_delay_alu instid0(VALU_DEP_1)
	v_add3_u32 v0, v30, v0, 0x7fff
                                        ; implicit-def: $vgpr30
; %bb.34:                               ;   in Loop: Header=BB302_8 Depth=1
	s_and_not1_saveexec_b32 s26, s26
; %bb.35:                               ;   in Loop: Header=BB302_8 Depth=1
	v_and_b32_e32 v0, 0xffff, v30
	v_or_b32_e32 v1, 0x10000, v30
	s_delay_alu instid0(VALU_DEP_2) | instskip(NEXT) | instid1(VALU_DEP_2)
	v_cmp_eq_u32_e32 vcc_lo, 0, v0
	v_cndmask_b32_e32 v0, v1, v30, vcc_lo
; %bb.36:                               ;   in Loop: Header=BB302_8 Depth=1
	s_or_b32 exec_lo, exec_lo, s26
	s_waitcnt vmcnt(14)
	v_dual_add_f32 v1, v40, v41 :: v_dual_lshlrev_b32 v30, 16, v60
	v_add_nc_u32_e32 v33, s7, v32
	s_mov_b32 s26, exec_lo
	s_delay_alu instid0(VALU_DEP_2) | instskip(NEXT) | instid1(VALU_DEP_2)
	v_add_f32_e32 v1, v1, v30
	v_lshlrev_b64 v[30:31], 1, v[33:34]
	s_delay_alu instid0(VALU_DEP_2) | instskip(NEXT) | instid1(VALU_DEP_2)
	v_and_b32_e32 v38, 0x7f800000, v1
	v_add_co_u32 v30, vcc_lo, s12, v30
	s_delay_alu instid0(VALU_DEP_3)
	v_add_co_ci_u32_e32 v31, vcc_lo, s13, v31, vcc_lo
	global_store_d16_hi_b16 v[30:31], v0, off
                                        ; implicit-def: $vgpr0
	v_cmpx_ne_u32_e32 0x7f800000, v38
	s_xor_b32 s26, exec_lo, s26
; %bb.37:                               ;   in Loop: Header=BB302_8 Depth=1
	v_bfe_u32 v0, v1, 16, 1
	s_delay_alu instid0(VALU_DEP_1)
	v_add3_u32 v0, v1, v0, 0x7fff
                                        ; implicit-def: $vgpr1
; %bb.38:                               ;   in Loop: Header=BB302_8 Depth=1
	s_and_not1_saveexec_b32 s26, s26
; %bb.39:                               ;   in Loop: Header=BB302_8 Depth=1
	v_and_b32_e32 v0, 0xffff, v1
	v_or_b32_e32 v30, 0x10000, v1
	s_delay_alu instid0(VALU_DEP_2) | instskip(NEXT) | instid1(VALU_DEP_2)
	v_cmp_eq_u32_e32 vcc_lo, 0, v0
	v_cndmask_b32_e32 v0, v30, v1, vcc_lo
; %bb.40:                               ;   in Loop: Header=BB302_8 Depth=1
	s_or_b32 exec_lo, exec_lo, s26
	v_dual_add_f32 v1, v35, v36 :: v_dual_add_nc_u32 v30, 1, v33
	v_mov_b32_e32 v31, v34
	s_waitcnt vmcnt(13)
	v_lshlrev_b32_e32 v35, 16, v58
	s_mov_b32 s26, exec_lo
	s_delay_alu instid0(VALU_DEP_2) | instskip(NEXT) | instid1(VALU_DEP_2)
	v_lshlrev_b64 v[30:31], 1, v[30:31]
	v_add_f32_e32 v1, v1, v35
	s_delay_alu instid0(VALU_DEP_1) | instskip(NEXT) | instid1(VALU_DEP_3)
	v_and_b32_e32 v35, 0x7f800000, v1
	v_add_co_u32 v30, vcc_lo, s12, v30
	s_delay_alu instid0(VALU_DEP_4)
	v_add_co_ci_u32_e32 v31, vcc_lo, s13, v31, vcc_lo
	global_store_d16_hi_b16 v[30:31], v0, off
                                        ; implicit-def: $vgpr0
	v_cmpx_ne_u32_e32 0x7f800000, v35
	s_xor_b32 s26, exec_lo, s26
; %bb.41:                               ;   in Loop: Header=BB302_8 Depth=1
	v_bfe_u32 v0, v1, 16, 1
	s_delay_alu instid0(VALU_DEP_1)
	v_add3_u32 v0, v1, v0, 0x7fff
                                        ; implicit-def: $vgpr1
; %bb.42:                               ;   in Loop: Header=BB302_8 Depth=1
	s_and_not1_saveexec_b32 s26, s26
; %bb.43:                               ;   in Loop: Header=BB302_8 Depth=1
	v_and_b32_e32 v0, 0xffff, v1
	v_or_b32_e32 v30, 0x10000, v1
	s_delay_alu instid0(VALU_DEP_2) | instskip(NEXT) | instid1(VALU_DEP_2)
	v_cmp_eq_u32_e32 vcc_lo, 0, v0
	v_cndmask_b32_e32 v0, v30, v1, vcc_lo
; %bb.44:                               ;   in Loop: Header=BB302_8 Depth=1
	s_or_b32 exec_lo, exec_lo, s26
	v_dual_add_f32 v1, v27, v28 :: v_dual_mov_b32 v28, v34
	v_add_nc_u32_e32 v27, 2, v33
	s_waitcnt vmcnt(12)
	v_lshlrev_b32_e32 v30, 16, v56
	s_mov_b32 s26, exec_lo
	s_delay_alu instid0(VALU_DEP_2) | instskip(NEXT) | instid1(VALU_DEP_2)
	v_lshlrev_b64 v[27:28], 1, v[27:28]
	v_add_f32_e32 v1, v1, v30
	s_delay_alu instid0(VALU_DEP_1) | instskip(NEXT) | instid1(VALU_DEP_3)
	v_and_b32_e32 v30, 0x7f800000, v1
	v_add_co_u32 v27, vcc_lo, s12, v27
	s_delay_alu instid0(VALU_DEP_4)
	v_add_co_ci_u32_e32 v28, vcc_lo, s13, v28, vcc_lo
	global_store_d16_hi_b16 v[27:28], v0, off
                                        ; implicit-def: $vgpr0
	v_cmpx_ne_u32_e32 0x7f800000, v30
	s_xor_b32 s26, exec_lo, s26
; %bb.45:                               ;   in Loop: Header=BB302_8 Depth=1
	v_bfe_u32 v0, v1, 16, 1
	s_delay_alu instid0(VALU_DEP_1)
	v_add3_u32 v0, v1, v0, 0x7fff
                                        ; implicit-def: $vgpr1
; %bb.46:                               ;   in Loop: Header=BB302_8 Depth=1
	s_and_not1_saveexec_b32 s26, s26
; %bb.47:                               ;   in Loop: Header=BB302_8 Depth=1
	v_and_b32_e32 v0, 0xffff, v1
	v_or_b32_e32 v27, 0x10000, v1
	s_delay_alu instid0(VALU_DEP_2) | instskip(NEXT) | instid1(VALU_DEP_2)
	v_cmp_eq_u32_e32 vcc_lo, 0, v0
	v_cndmask_b32_e32 v0, v27, v1, vcc_lo
; %bb.48:                               ;   in Loop: Header=BB302_8 Depth=1
	s_or_b32 exec_lo, exec_lo, s26
	v_dual_add_f32 v1, v22, v23 :: v_dual_add_nc_u32 v22, 3, v33
	v_mov_b32_e32 v23, v34
	s_waitcnt vmcnt(11)
	v_lshlrev_b32_e32 v27, 16, v59
	s_mov_b32 s26, exec_lo
	s_delay_alu instid0(VALU_DEP_2) | instskip(NEXT) | instid1(VALU_DEP_2)
	v_lshlrev_b64 v[22:23], 1, v[22:23]
	v_add_f32_e32 v1, v1, v27
	s_delay_alu instid0(VALU_DEP_1) | instskip(NEXT) | instid1(VALU_DEP_3)
	v_and_b32_e32 v27, 0x7f800000, v1
	v_add_co_u32 v22, vcc_lo, s12, v22
	s_delay_alu instid0(VALU_DEP_4)
	v_add_co_ci_u32_e32 v23, vcc_lo, s13, v23, vcc_lo
	global_store_d16_hi_b16 v[22:23], v0, off
                                        ; implicit-def: $vgpr22
	v_cmpx_ne_u32_e32 0x7f800000, v27
	s_xor_b32 s26, exec_lo, s26
; %bb.49:                               ;   in Loop: Header=BB302_8 Depth=1
	v_bfe_u32 v0, v1, 16, 1
	s_delay_alu instid0(VALU_DEP_1)
	v_add3_u32 v22, v1, v0, 0x7fff
                                        ; implicit-def: $vgpr1
; %bb.50:                               ;   in Loop: Header=BB302_8 Depth=1
	s_and_not1_saveexec_b32 s26, s26
; %bb.51:                               ;   in Loop: Header=BB302_8 Depth=1
	v_and_b32_e32 v0, 0xffff, v1
	v_or_b32_e32 v22, 0x10000, v1
	s_delay_alu instid0(VALU_DEP_2) | instskip(NEXT) | instid1(VALU_DEP_2)
	v_cmp_eq_u32_e32 vcc_lo, 0, v0
	v_cndmask_b32_e32 v22, v22, v1, vcc_lo
; %bb.52:                               ;   in Loop: Header=BB302_8 Depth=1
	s_or_b32 exec_lo, exec_lo, s26
	s_waitcnt vmcnt(10)
	v_dual_add_f32 v0, v18, v19 :: v_dual_lshlrev_b32 v1, 16, v57
	v_add_nc_u32_e32 v33, s7, v33
	s_delay_alu instid0(VALU_DEP_2) | instskip(NEXT) | instid1(VALU_DEP_2)
	v_add_f32_e32 v18, v0, v1
	v_lshlrev_b64 v[0:1], 1, v[33:34]
	s_delay_alu instid0(VALU_DEP_2) | instskip(NEXT) | instid1(VALU_DEP_2)
	v_and_b32_e32 v19, 0x7f800000, v18
	v_add_co_u32 v0, vcc_lo, s12, v0
	s_delay_alu instid0(VALU_DEP_3) | instskip(NEXT) | instid1(VALU_DEP_3)
	v_add_co_ci_u32_e32 v1, vcc_lo, s13, v1, vcc_lo
	v_cmp_ne_u32_e32 vcc_lo, 0x7f800000, v19
                                        ; implicit-def: $vgpr19
	global_store_d16_hi_b16 v[0:1], v22, off
	s_and_saveexec_b32 s26, vcc_lo
	s_delay_alu instid0(SALU_CYCLE_1)
	s_xor_b32 s26, exec_lo, s26
; %bb.53:                               ;   in Loop: Header=BB302_8 Depth=1
	v_bfe_u32 v19, v18, 16, 1
	s_delay_alu instid0(VALU_DEP_1)
	v_add3_u32 v19, v18, v19, 0x7fff
                                        ; implicit-def: $vgpr18
; %bb.54:                               ;   in Loop: Header=BB302_8 Depth=1
	s_and_not1_saveexec_b32 s26, s26
; %bb.55:                               ;   in Loop: Header=BB302_8 Depth=1
	v_and_b32_e32 v19, 0xffff, v18
	v_or_b32_e32 v22, 0x10000, v18
	s_delay_alu instid0(VALU_DEP_2) | instskip(NEXT) | instid1(VALU_DEP_2)
	v_cmp_eq_u32_e32 vcc_lo, 0, v19
	v_cndmask_b32_e32 v19, v22, v18, vcc_lo
; %bb.56:                               ;   in Loop: Header=BB302_8 Depth=1
	s_or_b32 exec_lo, exec_lo, s26
	v_add_f32_e32 v18, v24, v25
	s_waitcnt vmcnt(9)
	v_lshlrev_b32_e32 v22, 16, v55
	s_mov_b32 s26, exec_lo
	global_store_d16_hi_b16 v[0:1], v19, off offset:2
                                        ; implicit-def: $vgpr0
	v_add_f32_e32 v18, v18, v22
	s_delay_alu instid0(VALU_DEP_1) | instskip(NEXT) | instid1(VALU_DEP_1)
	v_and_b32_e32 v22, 0x7f800000, v18
	v_cmpx_ne_u32_e32 0x7f800000, v22
	s_xor_b32 s26, exec_lo, s26
; %bb.57:                               ;   in Loop: Header=BB302_8 Depth=1
	v_bfe_u32 v0, v18, 16, 1
	s_delay_alu instid0(VALU_DEP_1)
	v_add3_u32 v0, v18, v0, 0x7fff
                                        ; implicit-def: $vgpr18
; %bb.58:                               ;   in Loop: Header=BB302_8 Depth=1
	s_and_not1_saveexec_b32 s26, s26
; %bb.59:                               ;   in Loop: Header=BB302_8 Depth=1
	v_and_b32_e32 v0, 0xffff, v18
	v_or_b32_e32 v1, 0x10000, v18
	s_delay_alu instid0(VALU_DEP_2) | instskip(NEXT) | instid1(VALU_DEP_2)
	v_cmp_eq_u32_e32 vcc_lo, 0, v0
	v_cndmask_b32_e32 v0, v1, v18, vcc_lo
; %bb.60:                               ;   in Loop: Header=BB302_8 Depth=1
	s_or_b32 exec_lo, exec_lo, s26
	v_dual_mov_b32 v19, v34 :: v_dual_add_nc_u32 v18, 2, v33
	s_waitcnt vmcnt(8)
	v_dual_add_f32 v1, v20, v21 :: v_dual_lshlrev_b32 v20, 16, v54
	s_mov_b32 s26, exec_lo
	s_delay_alu instid0(VALU_DEP_2) | instskip(NEXT) | instid1(VALU_DEP_2)
	v_lshlrev_b64 v[18:19], 1, v[18:19]
	v_add_f32_e32 v1, v1, v20
	s_delay_alu instid0(VALU_DEP_2) | instskip(NEXT) | instid1(VALU_DEP_2)
	v_add_co_u32 v18, vcc_lo, s12, v18
	v_and_b32_e32 v20, 0x7f800000, v1
	s_delay_alu instid0(VALU_DEP_4)
	v_add_co_ci_u32_e32 v19, vcc_lo, s13, v19, vcc_lo
	global_store_d16_hi_b16 v[18:19], v0, off
                                        ; implicit-def: $vgpr0
	v_cmpx_ne_u32_e32 0x7f800000, v20
	s_xor_b32 s26, exec_lo, s26
; %bb.61:                               ;   in Loop: Header=BB302_8 Depth=1
	v_bfe_u32 v0, v1, 16, 1
	s_delay_alu instid0(VALU_DEP_1)
	v_add3_u32 v0, v1, v0, 0x7fff
                                        ; implicit-def: $vgpr1
; %bb.62:                               ;   in Loop: Header=BB302_8 Depth=1
	s_and_not1_saveexec_b32 s26, s26
; %bb.63:                               ;   in Loop: Header=BB302_8 Depth=1
	v_and_b32_e32 v0, 0xffff, v1
	v_or_b32_e32 v18, 0x10000, v1
	s_delay_alu instid0(VALU_DEP_2) | instskip(NEXT) | instid1(VALU_DEP_2)
	v_cmp_eq_u32_e32 vcc_lo, 0, v0
	v_cndmask_b32_e32 v0, v18, v1, vcc_lo
; %bb.64:                               ;   in Loop: Header=BB302_8 Depth=1
	s_or_b32 exec_lo, exec_lo, s26
	v_add_f32_e32 v1, v16, v17
	v_dual_mov_b32 v17, v34 :: v_dual_add_nc_u32 v16, 3, v33
	s_waitcnt vmcnt(7)
	v_lshlrev_b32_e32 v18, 16, v53
	s_mov_b32 s26, exec_lo
	s_delay_alu instid0(VALU_DEP_2) | instskip(NEXT) | instid1(VALU_DEP_2)
	v_lshlrev_b64 v[16:17], 1, v[16:17]
	v_add_f32_e32 v1, v1, v18
	s_delay_alu instid0(VALU_DEP_1) | instskip(NEXT) | instid1(VALU_DEP_3)
	v_and_b32_e32 v18, 0x7f800000, v1
	v_add_co_u32 v16, vcc_lo, s12, v16
	s_delay_alu instid0(VALU_DEP_4)
	v_add_co_ci_u32_e32 v17, vcc_lo, s13, v17, vcc_lo
	global_store_d16_hi_b16 v[16:17], v0, off
                                        ; implicit-def: $vgpr0
	v_cmpx_ne_u32_e32 0x7f800000, v18
	s_xor_b32 s26, exec_lo, s26
; %bb.65:                               ;   in Loop: Header=BB302_8 Depth=1
	v_bfe_u32 v0, v1, 16, 1
	s_delay_alu instid0(VALU_DEP_1)
	v_add3_u32 v0, v1, v0, 0x7fff
                                        ; implicit-def: $vgpr1
; %bb.66:                               ;   in Loop: Header=BB302_8 Depth=1
	s_and_not1_saveexec_b32 s26, s26
; %bb.67:                               ;   in Loop: Header=BB302_8 Depth=1
	v_and_b32_e32 v0, 0xffff, v1
	v_or_b32_e32 v16, 0x10000, v1
	s_delay_alu instid0(VALU_DEP_2) | instskip(NEXT) | instid1(VALU_DEP_2)
	v_cmp_eq_u32_e32 vcc_lo, 0, v0
	v_cndmask_b32_e32 v0, v16, v1, vcc_lo
; %bb.68:                               ;   in Loop: Header=BB302_8 Depth=1
	s_or_b32 exec_lo, exec_lo, s26
	s_waitcnt vmcnt(6)
	v_dual_add_f32 v1, v12, v13 :: v_dual_lshlrev_b32 v12, 16, v52
	v_add_nc_u32_e32 v33, s7, v33
	s_mov_b32 s26, exec_lo
	s_delay_alu instid0(VALU_DEP_2) | instskip(NEXT) | instid1(VALU_DEP_2)
	v_add_f32_e32 v1, v1, v12
	v_lshlrev_b64 v[12:13], 1, v[33:34]
	s_delay_alu instid0(VALU_DEP_2) | instskip(NEXT) | instid1(VALU_DEP_2)
	v_and_b32_e32 v16, 0x7f800000, v1
	v_add_co_u32 v12, vcc_lo, s12, v12
	s_delay_alu instid0(VALU_DEP_3)
	v_add_co_ci_u32_e32 v13, vcc_lo, s13, v13, vcc_lo
	global_store_d16_hi_b16 v[12:13], v0, off
                                        ; implicit-def: $vgpr0
	v_cmpx_ne_u32_e32 0x7f800000, v16
	s_xor_b32 s26, exec_lo, s26
; %bb.69:                               ;   in Loop: Header=BB302_8 Depth=1
	v_bfe_u32 v0, v1, 16, 1
	s_delay_alu instid0(VALU_DEP_1)
	v_add3_u32 v0, v1, v0, 0x7fff
                                        ; implicit-def: $vgpr1
; %bb.70:                               ;   in Loop: Header=BB302_8 Depth=1
	s_and_not1_saveexec_b32 s26, s26
; %bb.71:                               ;   in Loop: Header=BB302_8 Depth=1
	v_and_b32_e32 v0, 0xffff, v1
	v_or_b32_e32 v12, 0x10000, v1
	s_delay_alu instid0(VALU_DEP_2) | instskip(NEXT) | instid1(VALU_DEP_2)
	v_cmp_eq_u32_e32 vcc_lo, 0, v0
	v_cndmask_b32_e32 v0, v12, v1, vcc_lo
; %bb.72:                               ;   in Loop: Header=BB302_8 Depth=1
	s_or_b32 exec_lo, exec_lo, s26
	s_waitcnt vmcnt(5)
	v_dual_add_f32 v1, v8, v9 :: v_dual_lshlrev_b32 v12, 16, v51
	v_dual_mov_b32 v9, v34 :: v_dual_add_nc_u32 v8, 1, v33
	s_mov_b32 s26, exec_lo
	s_delay_alu instid0(VALU_DEP_2) | instskip(NEXT) | instid1(VALU_DEP_2)
	v_add_f32_e32 v1, v1, v12
	v_lshlrev_b64 v[8:9], 1, v[8:9]
	s_delay_alu instid0(VALU_DEP_2) | instskip(NEXT) | instid1(VALU_DEP_2)
	v_and_b32_e32 v12, 0x7f800000, v1
	v_add_co_u32 v8, vcc_lo, s12, v8
	s_delay_alu instid0(VALU_DEP_3)
	v_add_co_ci_u32_e32 v9, vcc_lo, s13, v9, vcc_lo
	global_store_d16_hi_b16 v[8:9], v0, off
                                        ; implicit-def: $vgpr0
	v_cmpx_ne_u32_e32 0x7f800000, v12
	s_xor_b32 s26, exec_lo, s26
; %bb.73:                               ;   in Loop: Header=BB302_8 Depth=1
	v_bfe_u32 v0, v1, 16, 1
	s_delay_alu instid0(VALU_DEP_1)
	v_add3_u32 v0, v1, v0, 0x7fff
                                        ; implicit-def: $vgpr1
; %bb.74:                               ;   in Loop: Header=BB302_8 Depth=1
	s_and_not1_saveexec_b32 s26, s26
; %bb.75:                               ;   in Loop: Header=BB302_8 Depth=1
	v_and_b32_e32 v0, 0xffff, v1
	v_or_b32_e32 v8, 0x10000, v1
	s_delay_alu instid0(VALU_DEP_2) | instskip(NEXT) | instid1(VALU_DEP_2)
	v_cmp_eq_u32_e32 vcc_lo, 0, v0
	v_cndmask_b32_e32 v0, v8, v1, vcc_lo
; %bb.76:                               ;   in Loop: Header=BB302_8 Depth=1
	s_or_b32 exec_lo, exec_lo, s26
	v_dual_add_f32 v1, v14, v15 :: v_dual_add_nc_u32 v8, 2, v33
	s_waitcnt vmcnt(4)
	v_dual_mov_b32 v9, v34 :: v_dual_lshlrev_b32 v12, 16, v45
	s_mov_b32 s26, exec_lo
	s_delay_alu instid0(VALU_DEP_1) | instskip(NEXT) | instid1(VALU_DEP_2)
	v_add_f32_e32 v1, v1, v12
	v_lshlrev_b64 v[8:9], 1, v[8:9]
	s_delay_alu instid0(VALU_DEP_2) | instskip(NEXT) | instid1(VALU_DEP_2)
	v_and_b32_e32 v12, 0x7f800000, v1
	v_add_co_u32 v8, vcc_lo, s12, v8
	s_delay_alu instid0(VALU_DEP_3)
	v_add_co_ci_u32_e32 v9, vcc_lo, s13, v9, vcc_lo
	global_store_d16_hi_b16 v[8:9], v0, off
                                        ; implicit-def: $vgpr0
	v_cmpx_ne_u32_e32 0x7f800000, v12
	s_xor_b32 s26, exec_lo, s26
; %bb.77:                               ;   in Loop: Header=BB302_8 Depth=1
	v_bfe_u32 v0, v1, 16, 1
	s_delay_alu instid0(VALU_DEP_1)
	v_add3_u32 v0, v1, v0, 0x7fff
                                        ; implicit-def: $vgpr1
; %bb.78:                               ;   in Loop: Header=BB302_8 Depth=1
	s_and_not1_saveexec_b32 s26, s26
; %bb.79:                               ;   in Loop: Header=BB302_8 Depth=1
	v_and_b32_e32 v0, 0xffff, v1
	v_or_b32_e32 v8, 0x10000, v1
	s_delay_alu instid0(VALU_DEP_2) | instskip(NEXT) | instid1(VALU_DEP_2)
	v_cmp_eq_u32_e32 vcc_lo, 0, v0
	v_cndmask_b32_e32 v0, v8, v1, vcc_lo
; %bb.80:                               ;   in Loop: Header=BB302_8 Depth=1
	s_or_b32 exec_lo, exec_lo, s26
	v_dual_add_f32 v1, v10, v11 :: v_dual_add_nc_u32 v8, 3, v33
	s_waitcnt vmcnt(3)
	v_dual_mov_b32 v9, v34 :: v_dual_lshlrev_b32 v10, 16, v43
	s_mov_b32 s26, exec_lo
	s_delay_alu instid0(VALU_DEP_1) | instskip(NEXT) | instid1(VALU_DEP_2)
	v_add_f32_e32 v1, v1, v10
	v_lshlrev_b64 v[8:9], 1, v[8:9]
	s_delay_alu instid0(VALU_DEP_2) | instskip(NEXT) | instid1(VALU_DEP_2)
	v_and_b32_e32 v10, 0x7f800000, v1
	v_add_co_u32 v8, vcc_lo, s12, v8
	s_delay_alu instid0(VALU_DEP_3)
	v_add_co_ci_u32_e32 v9, vcc_lo, s13, v9, vcc_lo
	global_store_d16_hi_b16 v[8:9], v0, off
                                        ; implicit-def: $vgpr8
	v_cmpx_ne_u32_e32 0x7f800000, v10
	s_xor_b32 s26, exec_lo, s26
; %bb.81:                               ;   in Loop: Header=BB302_8 Depth=1
	v_bfe_u32 v0, v1, 16, 1
	s_delay_alu instid0(VALU_DEP_1)
	v_add3_u32 v8, v1, v0, 0x7fff
                                        ; implicit-def: $vgpr1
; %bb.82:                               ;   in Loop: Header=BB302_8 Depth=1
	s_and_not1_saveexec_b32 s26, s26
; %bb.83:                               ;   in Loop: Header=BB302_8 Depth=1
	v_and_b32_e32 v0, 0xffff, v1
	v_or_b32_e32 v8, 0x10000, v1
	s_delay_alu instid0(VALU_DEP_2) | instskip(NEXT) | instid1(VALU_DEP_2)
	v_cmp_eq_u32_e32 vcc_lo, 0, v0
	v_cndmask_b32_e32 v8, v8, v1, vcc_lo
; %bb.84:                               ;   in Loop: Header=BB302_8 Depth=1
	s_or_b32 exec_lo, exec_lo, s26
	s_waitcnt vmcnt(2)
	v_dual_add_f32 v0, v6, v7 :: v_dual_lshlrev_b32 v1, 16, v37
	v_add_nc_u32_e32 v33, s7, v33
	s_delay_alu instid0(VALU_DEP_2) | instskip(NEXT) | instid1(VALU_DEP_2)
	v_add_f32_e32 v6, v0, v1
	v_lshlrev_b64 v[0:1], 1, v[33:34]
	s_delay_alu instid0(VALU_DEP_2) | instskip(NEXT) | instid1(VALU_DEP_2)
	v_and_b32_e32 v7, 0x7f800000, v6
	v_add_co_u32 v0, vcc_lo, s12, v0
	s_delay_alu instid0(VALU_DEP_3) | instskip(NEXT) | instid1(VALU_DEP_3)
	v_add_co_ci_u32_e32 v1, vcc_lo, s13, v1, vcc_lo
	v_cmp_ne_u32_e32 vcc_lo, 0x7f800000, v7
                                        ; implicit-def: $vgpr7
	global_store_d16_hi_b16 v[0:1], v8, off
	s_and_saveexec_b32 s26, vcc_lo
	s_delay_alu instid0(SALU_CYCLE_1)
	s_xor_b32 s26, exec_lo, s26
; %bb.85:                               ;   in Loop: Header=BB302_8 Depth=1
	v_bfe_u32 v7, v6, 16, 1
	s_delay_alu instid0(VALU_DEP_1)
	v_add3_u32 v7, v6, v7, 0x7fff
                                        ; implicit-def: $vgpr6
; %bb.86:                               ;   in Loop: Header=BB302_8 Depth=1
	s_and_not1_saveexec_b32 s26, s26
; %bb.87:                               ;   in Loop: Header=BB302_8 Depth=1
	v_and_b32_e32 v7, 0xffff, v6
	v_or_b32_e32 v8, 0x10000, v6
	s_delay_alu instid0(VALU_DEP_2) | instskip(NEXT) | instid1(VALU_DEP_2)
	v_cmp_eq_u32_e32 vcc_lo, 0, v7
	v_cndmask_b32_e32 v7, v8, v6, vcc_lo
; %bb.88:                               ;   in Loop: Header=BB302_8 Depth=1
	s_or_b32 exec_lo, exec_lo, s26
	v_add_f32_e32 v4, v4, v5
	s_waitcnt vmcnt(1)
	v_lshlrev_b32_e32 v5, 16, v29
	global_store_d16_hi_b16 v[0:1], v7, off offset:2
	v_add_f32_e32 v5, v4, v5
	s_delay_alu instid0(VALU_DEP_1) | instskip(NEXT) | instid1(VALU_DEP_1)
	v_and_b32_e32 v4, 0x7f800000, v5
	v_cmp_ne_u32_e32 vcc_lo, 0x7f800000, v4
                                        ; implicit-def: $vgpr4
	s_and_saveexec_b32 s26, vcc_lo
	s_delay_alu instid0(SALU_CYCLE_1)
	s_xor_b32 s26, exec_lo, s26
; %bb.89:                               ;   in Loop: Header=BB302_8 Depth=1
	v_bfe_u32 v4, v5, 16, 1
	s_delay_alu instid0(VALU_DEP_1)
	v_add3_u32 v4, v5, v4, 0x7fff
                                        ; implicit-def: $vgpr5
; %bb.90:                               ;   in Loop: Header=BB302_8 Depth=1
	s_and_not1_saveexec_b32 s26, s26
; %bb.91:                               ;   in Loop: Header=BB302_8 Depth=1
	v_and_b32_e32 v4, 0xffff, v5
	v_or_b32_e32 v6, 0x10000, v5
	s_delay_alu instid0(VALU_DEP_2) | instskip(NEXT) | instid1(VALU_DEP_2)
	v_cmp_eq_u32_e32 vcc_lo, 0, v4
	v_cndmask_b32_e32 v4, v6, v5, vcc_lo
; %bb.92:                               ;   in Loop: Header=BB302_8 Depth=1
	s_or_b32 exec_lo, exec_lo, s26
	s_waitcnt vmcnt(0)
	v_dual_add_f32 v2, v2, v3 :: v_dual_lshlrev_b32 v3, 16, v26
	global_store_d16_hi_b16 v[0:1], v4, off offset:4
	v_add_f32_e32 v2, v2, v3
	s_delay_alu instid0(VALU_DEP_1) | instskip(NEXT) | instid1(VALU_DEP_1)
	v_and_b32_e32 v3, 0x7f800000, v2
	v_cmp_ne_u32_e32 vcc_lo, 0x7f800000, v3
                                        ; implicit-def: $vgpr3
	s_and_saveexec_b32 s26, vcc_lo
	s_delay_alu instid0(SALU_CYCLE_1)
	s_xor_b32 s26, exec_lo, s26
; %bb.93:                               ;   in Loop: Header=BB302_8 Depth=1
	v_bfe_u32 v3, v2, 16, 1
	s_delay_alu instid0(VALU_DEP_1)
	v_add3_u32 v3, v2, v3, 0x7fff
                                        ; implicit-def: $vgpr2
; %bb.94:                               ;   in Loop: Header=BB302_8 Depth=1
	s_and_not1_saveexec_b32 s26, s26
	s_cbranch_execz .LBB302_6
; %bb.95:                               ;   in Loop: Header=BB302_8 Depth=1
	v_and_b32_e32 v3, 0xffff, v2
	v_or_b32_e32 v4, 0x10000, v2
	s_delay_alu instid0(VALU_DEP_2) | instskip(NEXT) | instid1(VALU_DEP_2)
	v_cmp_eq_u32_e32 vcc_lo, 0, v3
	v_cndmask_b32_e32 v3, v4, v2, vcc_lo
	s_branch .LBB302_6
.LBB302_96:
	s_nop 0
	s_sendmsg sendmsg(MSG_DEALLOC_VGPRS)
	s_endpgm
	.section	.rodata,"a",@progbits
	.p2align	6, 0x0
	.amdhsa_kernel _Z16wvSplitK_hf_sml_I14__hip_bfloat16Li64ELi4ELi16ELi8ELi1ELi5EEviiiiiiPKT_S3_S3_PS1_ii
		.amdhsa_group_segment_fixed_size 65536
		.amdhsa_private_segment_fixed_size 0
		.amdhsa_kernarg_size 64
		.amdhsa_user_sgpr_count 15
		.amdhsa_user_sgpr_dispatch_ptr 0
		.amdhsa_user_sgpr_queue_ptr 0
		.amdhsa_user_sgpr_kernarg_segment_ptr 1
		.amdhsa_user_sgpr_dispatch_id 0
		.amdhsa_user_sgpr_private_segment_size 0
		.amdhsa_wavefront_size32 1
		.amdhsa_uses_dynamic_stack 0
		.amdhsa_enable_private_segment 0
		.amdhsa_system_sgpr_workgroup_id_x 1
		.amdhsa_system_sgpr_workgroup_id_y 0
		.amdhsa_system_sgpr_workgroup_id_z 0
		.amdhsa_system_sgpr_workgroup_info 0
		.amdhsa_system_vgpr_workitem_id 1
		.amdhsa_next_free_vgpr 92
		.amdhsa_next_free_sgpr 27
		.amdhsa_reserve_vcc 1
		.amdhsa_float_round_mode_32 0
		.amdhsa_float_round_mode_16_64 0
		.amdhsa_float_denorm_mode_32 3
		.amdhsa_float_denorm_mode_16_64 3
		.amdhsa_dx10_clamp 1
		.amdhsa_ieee_mode 1
		.amdhsa_fp16_overflow 0
		.amdhsa_workgroup_processor_mode 1
		.amdhsa_memory_ordered 1
		.amdhsa_forward_progress 0
		.amdhsa_shared_vgpr_count 0
		.amdhsa_exception_fp_ieee_invalid_op 0
		.amdhsa_exception_fp_denorm_src 0
		.amdhsa_exception_fp_ieee_div_zero 0
		.amdhsa_exception_fp_ieee_overflow 0
		.amdhsa_exception_fp_ieee_underflow 0
		.amdhsa_exception_fp_ieee_inexact 0
		.amdhsa_exception_int_div_zero 0
	.end_amdhsa_kernel
	.section	.text._Z16wvSplitK_hf_sml_I14__hip_bfloat16Li64ELi4ELi16ELi8ELi1ELi5EEviiiiiiPKT_S3_S3_PS1_ii,"axG",@progbits,_Z16wvSplitK_hf_sml_I14__hip_bfloat16Li64ELi4ELi16ELi8ELi1ELi5EEviiiiiiPKT_S3_S3_PS1_ii,comdat
.Lfunc_end302:
	.size	_Z16wvSplitK_hf_sml_I14__hip_bfloat16Li64ELi4ELi16ELi8ELi1ELi5EEviiiiiiPKT_S3_S3_PS1_ii, .Lfunc_end302-_Z16wvSplitK_hf_sml_I14__hip_bfloat16Li64ELi4ELi16ELi8ELi1ELi5EEviiiiiiPKT_S3_S3_PS1_ii
                                        ; -- End function
	.section	.AMDGPU.csdata,"",@progbits
; Kernel info:
; codeLenInByte = 8480
; NumSgprs: 29
; NumVgprs: 92
; ScratchSize: 0
; MemoryBound: 0
; FloatMode: 240
; IeeeMode: 1
; LDSByteSize: 65536 bytes/workgroup (compile time only)
; SGPRBlocks: 3
; VGPRBlocks: 11
; NumSGPRsForWavesPerEU: 29
; NumVGPRsForWavesPerEU: 92
; Occupancy: 16
; WaveLimiterHint : 0
; COMPUTE_PGM_RSRC2:SCRATCH_EN: 0
; COMPUTE_PGM_RSRC2:USER_SGPR: 15
; COMPUTE_PGM_RSRC2:TRAP_HANDLER: 0
; COMPUTE_PGM_RSRC2:TGID_X_EN: 1
; COMPUTE_PGM_RSRC2:TGID_Y_EN: 0
; COMPUTE_PGM_RSRC2:TGID_Z_EN: 0
; COMPUTE_PGM_RSRC2:TIDIG_COMP_CNT: 1
	.section	.text._Z12wvSplitK_hf_I14__hip_bfloat16Li64ELi4ELi16ELi8ELi1ELi5EEviiiiiiPKT_S3_S3_PS1_ii,"axG",@progbits,_Z12wvSplitK_hf_I14__hip_bfloat16Li64ELi4ELi16ELi8ELi1ELi5EEviiiiiiPKT_S3_S3_PS1_ii,comdat
	.protected	_Z12wvSplitK_hf_I14__hip_bfloat16Li64ELi4ELi16ELi8ELi1ELi5EEviiiiiiPKT_S3_S3_PS1_ii ; -- Begin function _Z12wvSplitK_hf_I14__hip_bfloat16Li64ELi4ELi16ELi8ELi1ELi5EEviiiiiiPKT_S3_S3_PS1_ii
	.globl	_Z12wvSplitK_hf_I14__hip_bfloat16Li64ELi4ELi16ELi8ELi1ELi5EEviiiiiiPKT_S3_S3_PS1_ii
	.p2align	8
	.type	_Z12wvSplitK_hf_I14__hip_bfloat16Li64ELi4ELi16ELi8ELi1ELi5EEviiiiiiPKT_S3_S3_PS1_ii,@function
_Z12wvSplitK_hf_I14__hip_bfloat16Li64ELi4ELi16ELi8ELi1ELi5EEviiiiiiPKT_S3_S3_PS1_ii: ; @_Z12wvSplitK_hf_I14__hip_bfloat16Li64ELi4ELi16ELi8ELi1ELi5EEviiiiiiPKT_S3_S3_PS1_ii
; %bb.0:
	s_clause 0x1
	s_load_b64 s[20:21], s[0:1], 0x38
	s_load_b128 s[8:11], s[0:1], 0x0
	v_bfe_u32 v7, v0, 10, 10
	s_clause 0x1
	s_load_b64 s[12:13], s[0:1], 0x20
	s_load_b64 s[16:17], s[0:1], 0x10
	s_mov_b32 s4, 1
	s_delay_alu instid0(SALU_CYCLE_1) | instskip(SKIP_4) | instid1(SALU_CYCLE_1)
	s_mov_b32 s5, s4
	s_mov_b32 s6, s4
	;; [unrolled: 1-line block ×3, first 2 shown]
	s_waitcnt lgkmcnt(0)
	s_mul_i32 s15, s15, s20
	v_add_lshl_u32 v41, s15, v7, 2
	s_delay_alu instid0(VALU_DEP_1) | instskip(SKIP_1) | instid1(VALU_DEP_2)
	v_add_nc_u32_e32 v1, 4, v41
	v_cmp_gt_u32_e32 vcc_lo, s11, v41
	v_cmp_le_u32_e64 s2, s11, v1
	v_dual_mov_b32 v1, s4 :: v_dual_mov_b32 v4, s7
	v_dual_mov_b32 v2, s5 :: v_dual_mov_b32 v3, s6
	s_delay_alu instid0(VALU_DEP_3) | instskip(NEXT) | instid1(SALU_CYCLE_1)
	s_and_b32 s2, vcc_lo, s2
	s_and_saveexec_b32 s14, s2
	s_cbranch_execz .LBB303_6
; %bb.1:
	v_dual_mov_b32 v1, s4 :: v_dual_mov_b32 v2, s5
	v_dual_mov_b32 v3, s6 :: v_dual_mov_b32 v4, s7
	s_add_i32 s15, s11, -4
	s_mov_b32 s18, exec_lo
	v_cmpx_ne_u32_e64 s15, v41
	s_cbranch_execz .LBB303_5
; %bb.2:
	v_subrev_nc_u32_e32 v1, s15, v41
	s_mov_b32 s19, 0
	s_mov_b64 s[2:3], 0
	s_mov_b32 s5, s4
	s_mov_b32 s6, s4
	v_cmp_lt_u32_e32 vcc_lo, 1, v1
	s_mov_b32 s7, s4
	v_cndmask_b32_e32 v5, 1, v1, vcc_lo
	.p2align	6
.LBB303_3:                              ; =>This Inner Loop Header: Depth=1
	s_cmp_lg_u32 s2, 3
	s_cselect_b32 s7, s7, 0
	s_cmp_lg_u32 s2, 2
	s_cselect_b32 s6, s6, 0
	;; [unrolled: 2-line block ×4, first 2 shown]
	s_add_u32 s2, s2, 1
	v_dual_mov_b32 v1, s4 :: v_dual_mov_b32 v2, s5
	v_cmp_eq_u32_e32 vcc_lo, s2, v5
	v_dual_mov_b32 v3, s6 :: v_dual_mov_b32 v4, s7
	s_addc_u32 s3, s3, 0
	s_or_b32 s19, vcc_lo, s19
	s_delay_alu instid0(SALU_CYCLE_1)
	s_and_not1_b32 exec_lo, exec_lo, s19
	s_cbranch_execnz .LBB303_3
; %bb.4:
	s_or_b32 exec_lo, exec_lo, s19
	v_mov_b32_e32 v41, s15
.LBB303_5:
	s_or_b32 exec_lo, exec_lo, s18
.LBB303_6:
	s_delay_alu instid0(SALU_CYCLE_1)
	s_or_b32 exec_lo, exec_lo, s14
	s_load_b64 s[6:7], s[0:1], 0x28
	v_and_b32_e32 v8, 0x3ff, v0
	s_mul_i32 s2, s10, 5
	s_mov_b32 s4, exec_lo
	s_min_u32 s3, s2, 0x8000
	s_delay_alu instid0(VALU_DEP_1) | instskip(NEXT) | instid1(VALU_DEP_1)
	v_lshlrev_b32_e32 v0, 3, v8
	v_lshl_add_u32 v9, v7, 9, v0
	s_delay_alu instid0(VALU_DEP_1)
	v_cmpx_gt_u32_e64 s3, v9
	s_cbranch_execz .LBB303_9
; %bb.7:
	v_lshlrev_b32_e32 v10, 10, v7
	v_lshlrev_b32_e32 v11, 4, v8
	s_mov_b32 s5, 0
	s_delay_alu instid0(VALU_DEP_1) | instskip(NEXT) | instid1(VALU_DEP_1)
	v_add_co_u32 v5, s2, v10, v11
	v_add_co_ci_u32_e64 v6, null, 0, 0, s2
	v_add_nc_u32_e32 v10, v10, v11
	s_delay_alu instid0(VALU_DEP_3) | instskip(NEXT) | instid1(VALU_DEP_3)
	v_add_co_u32 v5, vcc_lo, s12, v5
	v_add_co_ci_u32_e32 v6, vcc_lo, s13, v6, vcc_lo
	.p2align	6
.LBB303_8:                              ; =>This Inner Loop Header: Depth=1
	global_load_b128 v[11:14], v[5:6], off
	v_add_nc_u32_e32 v9, 0x2000, v9
	v_add_co_u32 v5, vcc_lo, 0x4000, v5
	v_add_co_ci_u32_e32 v6, vcc_lo, 0, v6, vcc_lo
	s_delay_alu instid0(VALU_DEP_3) | instskip(NEXT) | instid1(VALU_DEP_1)
	v_cmp_le_u32_e64 s2, s3, v9
	s_or_b32 s5, s2, s5
	s_waitcnt vmcnt(0)
	ds_store_b128 v10, v[11:14]
	v_add_nc_u32_e32 v10, 0x4000, v10
	s_and_not1_b32 exec_lo, exec_lo, s5
	s_cbranch_execnz .LBB303_8
.LBB303_9:
	s_or_b32 exec_lo, exec_lo, s4
	v_cmp_gt_u32_e32 vcc_lo, s20, v7
	v_cmp_gt_u32_e64 s2, s11, v41
	s_waitcnt lgkmcnt(0)
	s_barrier
	buffer_gl0_inv
	s_and_b32 s2, vcc_lo, s2
	s_delay_alu instid0(SALU_CYCLE_1)
	s_and_saveexec_b32 s3, s2
	s_cbranch_execz .LBB303_166
; %bb.10:
	s_cmp_lg_u32 s8, 0
	s_clause 0x1
	s_load_b64 s[14:15], s[0:1], 0x18
	s_load_b64 s[18:19], s[0:1], 0x30
	s_cselect_b32 s22, -1, 0
	s_add_i32 s23, s8, -8
	s_add_i32 s24, s11, -1
	s_cmp_lg_u64 s[6:7], 0
	s_mul_i32 s0, s20, s21
	s_cselect_b32 s25, -1, 0
	s_abs_i32 s2, s17
	v_cvt_f32_u32_e32 v6, s16
	v_cvt_f32_u32_e32 v5, s2
	s_lshl_b32 s20, s0, 2
	s_sub_i32 s0, 0, s2
	s_add_i32 s21, s11, -4
	s_sub_i32 s3, 0, s16
	v_rcp_iflag_f32_e32 v5, v5
	s_sub_i32 s4, 1, s2
	v_mad_u64_u32 v[44:45], null, s10, 3, v[0:1]
	v_add_nc_u32_e32 v59, s10, v0
	s_mov_b32 s17, 0
	s_mul_i32 s33, s10, 6
	s_waitcnt_depctr 0xfff
	v_dual_mul_f32 v5, 0x4f7ffffe, v5 :: v_dual_lshlrev_b32 v58, 4, v8
	s_delay_alu instid0(VALU_DEP_1) | instskip(NEXT) | instid1(VALU_DEP_1)
	v_cvt_u32_f32_e32 v5, v5
	v_readfirstlane_b32 s1, v5
	v_rcp_iflag_f32_e32 v5, v6
	v_mbcnt_lo_u32_b32 v6, -1, 0
	s_delay_alu instid0(VALU_DEP_2) | instskip(NEXT) | instid1(SALU_CYCLE_1)
	s_mul_i32 s0, s0, s1
	s_mul_hi_u32 s0, s1, s0
	s_delay_alu instid0(SALU_CYCLE_1) | instskip(SKIP_4) | instid1(SALU_CYCLE_1)
	s_add_i32 s1, s1, s0
	s_cmp_lt_u32 s2, 2
	v_cmp_eq_u32_e64 s0, 63, v8
	v_xor_b32_e32 v8, 16, v6
	s_cselect_b32 s4, s4, 1
	s_sub_i32 s5, s4, s2
	s_cmp_ge_u32 s4, s2
	s_delay_alu instid0(VALU_DEP_1)
	v_cmp_gt_i32_e32 vcc_lo, 32, v8
	s_waitcnt_depctr 0xfff
	v_mul_f32_e32 v5, 0x4f7ffffe, v5
	s_cselect_b32 s26, s5, s4
	s_lshr_b32 s4, s1, 31
	s_mul_i32 s26, s26, s16
	v_cndmask_b32_e32 v6, v6, v8, vcc_lo
	s_mul_i32 s4, s4, s2
	v_cvt_u32_f32_e32 v5, v5
	s_sub_i32 s4, 2, s4
	s_delay_alu instid0(VALU_DEP_2)
	v_dual_mov_b32 v43, 0 :: v_dual_lshlrev_b32 v60, 2, v6
	s_sub_i32 s5, s4, s2
	s_cmp_ge_u32 s4, s2
	v_mul_lo_u32 v7, s3, v5
	s_cselect_b32 s3, s5, s4
	s_mul_hi_u32 s4, s1, 3
	s_sub_i32 s5, s3, s2
	s_cmp_ge_u32 s3, s2
	s_mul_i32 s4, s4, s2
	s_cselect_b32 s27, s5, s3
	s_sub_i32 s3, 3, s4
	v_mul_hi_u32 v7, v5, v7
	s_sub_i32 s4, s3, s2
	s_cmp_ge_u32 s3, s2
	s_mul_i32 s27, s27, s16
	s_cselect_b32 s3, s4, s3
	s_delay_alu instid0(SALU_CYCLE_1) | instskip(SKIP_1) | instid1(VALU_DEP_1)
	s_sub_i32 s4, s3, s2
	s_cmp_ge_u32 s3, s2
	v_add_nc_u32_e32 v61, v5, v7
	s_cselect_b32 s28, s4, s3
	s_lshr_b32 s1, s1, 30
	s_mul_i32 s28, s28, s16
	s_mul_i32 s1, s1, s2
	s_delay_alu instid0(SALU_CYCLE_1) | instskip(NEXT) | instid1(SALU_CYCLE_1)
	s_sub_i32 s1, 4, s1
	s_sub_i32 s3, s1, s2
	s_cmp_ge_u32 s1, s2
	s_cselect_b32 s1, s3, s1
	s_delay_alu instid0(SALU_CYCLE_1)
	s_sub_i32 s3, s1, s2
	s_cmp_ge_u32 s1, s2
	s_cselect_b32 s31, s3, s1
	s_lshl_b32 s29, s10, 1
	s_lshl_b32 s30, s10, 2
	v_add_nc_u32_e32 v62, s29, v0
	v_add_nc_u32_e32 v63, s30, v0
	s_mul_i32 s31, s31, s16
	s_lshl_b32 s10, s10, 3
	s_branch .LBB303_13
.LBB303_11:                             ;   in Loop: Header=BB303_13 Depth=1
	s_or_b32 exec_lo, exec_lo, s35
	v_mov_b32_e32 v41, s21
.LBB303_12:                             ;   in Loop: Header=BB303_13 Depth=1
	s_or_b32 exec_lo, exec_lo, s34
	s_delay_alu instid0(VALU_DEP_1) | instskip(SKIP_1) | instid1(SALU_CYCLE_1)
	v_cmp_le_u32_e32 vcc_lo, s11, v41
	s_or_b32 s17, vcc_lo, s17
	s_and_not1_b32 exec_lo, exec_lo, s17
	s_cbranch_execz .LBB303_166
.LBB303_13:                             ; =>This Loop Header: Depth=1
                                        ;     Child Loop BB303_17 Depth 2
                                        ;     Child Loop BB303_164 Depth 2
	s_waitcnt vmcnt(8)
	v_dual_mov_b32 v64, v43 :: v_dual_add_nc_u32 v47, 1, v41
	v_dual_mov_b32 v65, v43 :: v_dual_add_nc_u32 v46, 2, v41
	;; [unrolled: 1-line block ×3, first 2 shown]
	v_mov_b32_e32 v67, v43
	v_mov_b32_e32 v68, v43
	;; [unrolled: 1-line block ×14, first 2 shown]
	s_waitcnt lgkmcnt(0)
	v_mov_b32_e32 v80, v43
	v_mov_b32_e32 v83, v43
	v_mov_b32_e32 v79, v43
	s_and_not1_b32 vcc_lo, exec_lo, s22
	s_cbranch_vccnz .LBB303_38
; %bb.14:                               ;   in Loop: Header=BB303_13 Depth=1
	v_min_u32_e32 v5, s24, v41
	v_min_u32_e32 v6, s24, v47
	;; [unrolled: 1-line block ×4, first 2 shown]
	v_dual_mov_b32 v10, v43 :: v_dual_mov_b32 v81, 0
	v_mul_lo_u32 v42, v5, s9
	v_mul_lo_u32 v5, v6, s9
	v_mul_lo_u32 v7, v7, s9
	v_mul_lo_u32 v9, v8, s9
	v_dual_mov_b32 v6, v43 :: v_dual_mov_b32 v79, 0
	v_dual_mov_b32 v8, v43 :: v_dual_mov_b32 v83, 0
	v_lshlrev_b64 v[48:49], 1, v[42:43]
	s_delay_alu instid0(VALU_DEP_3)
	v_lshlrev_b64 v[50:51], 1, v[5:6]
	v_dual_mov_b32 v84, v58 :: v_dual_mov_b32 v77, 0
	s_waitcnt vmcnt(5)
	v_lshlrev_b64 v[52:53], 1, v[7:8]
	v_lshlrev_b64 v[54:55], 1, v[9:10]
	v_dual_mov_b32 v80, 0 :: v_dual_mov_b32 v75, 0
	v_dual_mov_b32 v82, 0 :: v_dual_mov_b32 v73, 0
	;; [unrolled: 1-line block ×6, first 2 shown]
	v_mov_b32_e32 v70, 0
	v_mov_b32_e32 v68, 0
	;; [unrolled: 1-line block ×4, first 2 shown]
	s_mov_b32 s1, 0
	s_branch .LBB303_17
.LBB303_15:                             ;   in Loop: Header=BB303_17 Depth=2
	s_or_b32 exec_lo, exec_lo, s3
.LBB303_16:                             ;   in Loop: Header=BB303_17 Depth=2
	s_delay_alu instid0(SALU_CYCLE_1)
	s_or_b32 exec_lo, exec_lo, s2
	s_waitcnt vmcnt(0) lgkmcnt(0)
	v_and_b32_e32 v94, 0xffff0000, v38
	v_and_b32_e32 v56, 0xffff0000, v34
	;; [unrolled: 1-line block ×3, first 2 shown]
	v_lshlrev_b32_e32 v99, 16, v40
	v_and_b32_e32 v87, 0xffff0000, v21
	v_add_nc_u32_e32 v84, 0x400, v84
	v_mul_f32_e32 v85, v94, v56
	v_and_b32_e32 v98, 0xffff0000, v40
	v_and_b32_e32 v40, 0xffff0000, v30
	v_lshlrev_b32_e32 v93, 16, v37
	v_and_b32_e32 v37, 0xffff0000, v36
	v_lshlrev_b32_e32 v95, 16, v38
	v_lshlrev_b32_e32 v38, 16, v34
	s_addk_i32 s1, 0x200
	v_and_b32_e32 v96, 0xffff0000, v39
	v_mul_f32_e32 v86, v98, v37
	v_and_b32_e32 v57, 0xffff0000, v33
	v_dual_fmac_f32 v85, v95, v38 :: v_dual_lshlrev_b32 v42, 16, v33
	v_lshlrev_b32_e32 v97, 16, v39
	v_lshlrev_b32_e32 v89, 16, v31
	s_delay_alu instid0(VALU_DEP_4) | instskip(SKIP_1) | instid1(VALU_DEP_1)
	v_mul_f32_e32 v33, v92, v57
	s_cmp_ge_u32 s1, s8
	v_dual_mul_f32 v90, v92, v87 :: v_dual_fmac_f32 v33, v93, v42
	s_delay_alu instid0(VALU_DEP_1)
	v_add_f32_e32 v39, v79, v33
	v_lshlrev_b32_e32 v33, 16, v35
	v_and_b32_e32 v34, 0xffff0000, v35
	v_lshlrev_b32_e32 v35, 16, v36
	v_lshlrev_b32_e32 v36, 16, v29
	v_add_f32_e32 v39, v39, v85
	v_and_b32_e32 v85, 0xffff0000, v29
	v_mul_f32_e32 v79, v96, v34
	s_delay_alu instid0(VALU_DEP_2) | instskip(NEXT) | instid1(VALU_DEP_2)
	v_mul_f32_e32 v29, v92, v85
	v_fmac_f32_e32 v79, v97, v33
	s_delay_alu instid0(VALU_DEP_1) | instskip(SKIP_1) | instid1(VALU_DEP_1)
	v_add_f32_e32 v79, v39, v79
	v_dual_mul_f32 v30, v94, v40 :: v_dual_lshlrev_b32 v39, 16, v30
	v_dual_fmac_f32 v29, v93, v36 :: v_dual_fmac_f32 v30, v95, v39
	s_delay_alu instid0(VALU_DEP_1) | instskip(NEXT) | instid1(VALU_DEP_1)
	v_add_f32_e32 v83, v83, v29
	v_add_f32_e32 v83, v83, v30
	v_and_b32_e32 v30, 0xffff0000, v22
	v_lshlrev_b32_e32 v22, 16, v22
	s_delay_alu instid0(VALU_DEP_2) | instskip(NEXT) | instid1(VALU_DEP_1)
	v_mul_f32_e32 v100, v94, v30
	v_dual_fmac_f32 v100, v95, v22 :: v_dual_lshlrev_b32 v29, 16, v21
	s_delay_alu instid0(VALU_DEP_1) | instskip(SKIP_1) | instid1(VALU_DEP_2)
	v_fmac_f32_e32 v90, v93, v29
	v_fmac_f32_e32 v86, v99, v35
	v_add_f32_e32 v80, v80, v90
	s_delay_alu instid0(VALU_DEP_2) | instskip(SKIP_1) | instid1(VALU_DEP_3)
	v_dual_add_f32 v79, v79, v86 :: v_dual_and_b32 v86, 0xffff0000, v31
	v_lshlrev_b32_e32 v90, 16, v13
	v_dual_add_f32 v80, v80, v100 :: v_dual_and_b32 v91, 0xffff0000, v13
	s_delay_alu instid0(VALU_DEP_3) | instskip(SKIP_2) | instid1(VALU_DEP_3)
	v_dual_mul_f32 v88, v96, v86 :: v_dual_and_b32 v31, 0xffff0000, v32
	v_lshlrev_b32_e32 v21, 16, v32
	v_and_b32_e32 v32, 0xffff0000, v23
	v_dual_fmac_f32 v88, v97, v89 :: v_dual_lshlrev_b32 v23, 16, v23
	s_delay_alu instid0(VALU_DEP_2) | instskip(NEXT) | instid1(VALU_DEP_2)
	v_mul_f32_e32 v102, v96, v32
	v_add_f32_e32 v83, v83, v88
	v_and_b32_e32 v88, 0xffff0000, v24
	s_delay_alu instid0(VALU_DEP_3) | instskip(SKIP_1) | instid1(VALU_DEP_3)
	v_fmac_f32_e32 v102, v97, v23
	v_mul_f32_e32 v101, v98, v31
	v_mul_f32_e32 v100, v98, v88
	s_delay_alu instid0(VALU_DEP_3) | instskip(NEXT) | instid1(VALU_DEP_3)
	v_add_f32_e32 v80, v80, v102
	v_dual_mul_f32 v92, v92, v91 :: v_dual_fmac_f32 v101, v99, v21
	v_lshlrev_b32_e32 v13, 16, v24
	v_and_b32_e32 v24, 0xffff0000, v14
	v_lshlrev_b32_e32 v14, 16, v14
	s_delay_alu instid0(VALU_DEP_4) | instskip(NEXT) | instid1(VALU_DEP_3)
	v_dual_fmac_f32 v92, v93, v90 :: v_dual_add_f32 v83, v83, v101
	v_dual_fmac_f32 v100, v99, v13 :: v_dual_mul_f32 v93, v94, v24
	s_delay_alu instid0(VALU_DEP_2) | instskip(SKIP_2) | instid1(VALU_DEP_4)
	v_add_f32_e32 v82, v82, v92
	v_and_b32_e32 v92, 0xffff0000, v15
	v_lshlrev_b32_e32 v15, 16, v15
	v_dual_fmac_f32 v93, v95, v14 :: v_dual_and_b32 v94, 0xffff0000, v25
	v_dual_add_f32 v80, v80, v100 :: v_dual_lshlrev_b32 v25, 16, v25
	s_delay_alu instid0(VALU_DEP_2) | instskip(NEXT) | instid1(VALU_DEP_3)
	v_dual_mul_f32 v95, v96, v92 :: v_dual_add_f32 v82, v82, v93
	v_dual_mul_f32 v96, v94, v57 :: v_dual_and_b32 v93, 0xffff0000, v16
	s_delay_alu instid0(VALU_DEP_2) | instskip(NEXT) | instid1(VALU_DEP_2)
	v_dual_fmac_f32 v95, v97, v15 :: v_dual_lshlrev_b32 v16, 16, v16
	v_dual_mul_f32 v98, v98, v93 :: v_dual_and_b32 v97, 0xffff0000, v26
	s_delay_alu instid0(VALU_DEP_3) | instskip(NEXT) | instid1(VALU_DEP_3)
	v_dual_fmac_f32 v96, v25, v42 :: v_dual_mul_f32 v101, v94, v87
	v_add_f32_e32 v82, v82, v95
	s_delay_alu instid0(VALU_DEP_3) | instskip(SKIP_1) | instid1(VALU_DEP_4)
	v_dual_mul_f32 v100, v97, v56 :: v_dual_and_b32 v95, 0xffff0000, v27
	v_lshlrev_b32_e32 v27, 16, v27
	v_dual_add_f32 v81, v81, v96 :: v_dual_lshlrev_b32 v26, 16, v26
	v_dual_fmac_f32 v98, v99, v16 :: v_dual_mul_f32 v99, v94, v85
	s_delay_alu instid0(VALU_DEP_4) | instskip(NEXT) | instid1(VALU_DEP_3)
	v_dual_mul_f32 v96, v95, v34 :: v_dual_fmac_f32 v101, v25, v29
	v_fmac_f32_e32 v100, v26, v38
	s_delay_alu instid0(VALU_DEP_3) | instskip(NEXT) | instid1(VALU_DEP_3)
	v_dual_mul_f32 v94, v94, v91 :: v_dual_fmac_f32 v99, v25, v36
	v_fmac_f32_e32 v96, v27, v33
	s_delay_alu instid0(VALU_DEP_4) | instskip(NEXT) | instid1(VALU_DEP_4)
	v_add_f32_e32 v77, v77, v101
	v_dual_add_f32 v81, v81, v100 :: v_dual_add_f32 v82, v82, v98
	v_and_b32_e32 v98, 0xffff0000, v28
	v_lshlrev_b32_e32 v28, 16, v28
	v_dual_add_f32 v74, v74, v99 :: v_dual_mul_f32 v99, v97, v30
	s_delay_alu instid0(VALU_DEP_4) | instskip(NEXT) | instid1(VALU_DEP_4)
	v_add_f32_e32 v81, v81, v96
	v_dual_mul_f32 v96, v97, v40 :: v_dual_mul_f32 v101, v98, v31
	v_fmac_f32_e32 v94, v25, v90
	s_delay_alu instid0(VALU_DEP_4) | instskip(SKIP_1) | instid1(VALU_DEP_4)
	v_fmac_f32_e32 v99, v26, v22
	v_mul_f32_e32 v100, v98, v37
	v_fmac_f32_e32 v101, v28, v21
	s_delay_alu instid0(VALU_DEP_4) | instskip(NEXT) | instid1(VALU_DEP_4)
	v_add_f32_e32 v75, v75, v94
	v_add_f32_e32 v77, v77, v99
	s_delay_alu instid0(VALU_DEP_4) | instskip(SKIP_3) | instid1(VALU_DEP_4)
	v_dual_fmac_f32 v100, v28, v35 :: v_dual_mul_f32 v99, v98, v88
	v_fmac_f32_e32 v96, v26, v39
	v_and_b32_e32 v94, 0xffff0000, v17
	v_lshlrev_b32_e32 v17, 16, v17
	v_dual_add_f32 v81, v81, v100 :: v_dual_mul_f32 v100, v95, v86
	s_delay_alu instid0(VALU_DEP_4) | instskip(SKIP_1) | instid1(VALU_DEP_1)
	v_dual_fmac_f32 v99, v28, v13 :: v_dual_add_f32 v74, v74, v96
	v_mul_f32_e32 v96, v95, v32
	v_fmac_f32_e32 v96, v27, v23
	s_delay_alu instid0(VALU_DEP_1) | instskip(NEXT) | instid1(VALU_DEP_1)
	v_dual_fmac_f32 v100, v27, v89 :: v_dual_add_f32 v25, v77, v96
	v_dual_add_f32 v74, v74, v100 :: v_dual_add_f32 v77, v25, v99
	v_mul_f32_e32 v25, v95, v92
	v_dual_mul_f32 v96, v97, v24 :: v_dual_and_b32 v95, 0xffff0000, v18
	s_delay_alu instid0(VALU_DEP_3) | instskip(NEXT) | instid1(VALU_DEP_3)
	v_dual_add_f32 v74, v74, v101 :: v_dual_and_b32 v97, 0xffff0000, v19
	v_fmac_f32_e32 v25, v27, v15
	v_mul_f32_e32 v27, v98, v93
	s_delay_alu instid0(VALU_DEP_4) | instskip(NEXT) | instid1(VALU_DEP_2)
	v_dual_fmac_f32 v96, v26, v14 :: v_dual_lshlrev_b32 v19, 16, v19
	v_dual_mul_f32 v98, v95, v30 :: v_dual_fmac_f32 v27, v28, v16
	s_delay_alu instid0(VALU_DEP_2) | instskip(SKIP_1) | instid1(VALU_DEP_2)
	v_dual_add_f32 v75, v75, v96 :: v_dual_mul_f32 v26, v94, v57
	v_mul_f32_e32 v96, v95, v56
	v_dual_add_f32 v25, v75, v25 :: v_dual_fmac_f32 v26, v17, v42
	s_delay_alu instid0(VALU_DEP_1) | instskip(NEXT) | instid1(VALU_DEP_2)
	v_dual_add_f32 v75, v25, v27 :: v_dual_lshlrev_b32 v18, 16, v18
	v_dual_mul_f32 v27, v94, v85 :: v_dual_add_f32 v26, v76, v26
	s_delay_alu instid0(VALU_DEP_2) | instskip(NEXT) | instid1(VALU_DEP_2)
	v_dual_fmac_f32 v96, v18, v38 :: v_dual_and_b32 v25, 0xffff0000, v20
	v_dual_fmac_f32 v98, v18, v22 :: v_dual_fmac_f32 v27, v17, v36
	v_mul_f32_e32 v28, v97, v34
	v_lshlrev_b32_e32 v20, 16, v20
	s_delay_alu instid0(VALU_DEP_4) | instskip(NEXT) | instid1(VALU_DEP_4)
	v_add_f32_e32 v26, v26, v96
	v_dual_mul_f32 v96, v95, v40 :: v_dual_add_f32 v27, v78, v27
	s_delay_alu instid0(VALU_DEP_4) | instskip(SKIP_1) | instid1(VALU_DEP_3)
	v_fmac_f32_e32 v28, v19, v33
	v_mul_f32_e32 v78, v97, v86
	v_fmac_f32_e32 v96, v18, v39
	s_delay_alu instid0(VALU_DEP_3) | instskip(SKIP_1) | instid1(VALU_DEP_1)
	v_add_f32_e32 v26, v26, v28
	v_mul_f32_e32 v28, v94, v87
	v_fmac_f32_e32 v28, v17, v29
	v_mul_f32_e32 v76, v25, v37
	s_delay_alu instid0(VALU_DEP_1) | instskip(NEXT) | instid1(VALU_DEP_1)
	v_fmac_f32_e32 v76, v20, v35
	v_add_f32_e32 v76, v26, v76
	v_add_f32_e32 v26, v27, v96
	v_dual_add_f32 v27, v72, v28 :: v_dual_mul_f32 v72, v94, v91
	v_and_b32_e32 v94, 0xffff0000, v9
	v_dual_mul_f32 v28, v97, v32 :: v_dual_lshlrev_b32 v9, 16, v9
	s_delay_alu instid0(VALU_DEP_3) | instskip(NEXT) | instid1(VALU_DEP_4)
	v_add_f32_e32 v27, v27, v98
	v_dual_fmac_f32 v72, v17, v90 :: v_dual_mul_f32 v17, v95, v24
	s_delay_alu instid0(VALU_DEP_3) | instskip(NEXT) | instid1(VALU_DEP_2)
	v_dual_fmac_f32 v28, v19, v23 :: v_dual_and_b32 v95, 0xffff0000, v10
	v_fmac_f32_e32 v17, v18, v14
	s_delay_alu instid0(VALU_DEP_2) | instskip(NEXT) | instid1(VALU_DEP_4)
	v_add_f32_e32 v27, v27, v28
	v_add_f32_e32 v28, v70, v72
	s_delay_alu instid0(VALU_DEP_1) | instskip(SKIP_1) | instid1(VALU_DEP_2)
	v_dual_mul_f32 v72, v97, v92 :: v_dual_add_f32 v17, v28, v17
	v_fmac_f32_e32 v78, v19, v89
	v_fmac_f32_e32 v72, v19, v15
	v_and_b32_e32 v19, 0xffff0000, v11
	v_dual_mul_f32 v70, v25, v88 :: v_dual_lshlrev_b32 v11, 16, v11
	s_delay_alu instid0(VALU_DEP_4) | instskip(SKIP_2) | instid1(VALU_DEP_4)
	v_add_f32_e32 v26, v26, v78
	v_mul_f32_e32 v78, v25, v31
	v_mul_f32_e32 v25, v25, v93
	v_dual_add_f32 v17, v17, v72 :: v_dual_fmac_f32 v70, v20, v13
	s_delay_alu instid0(VALU_DEP_1) | instskip(NEXT) | instid1(VALU_DEP_1)
	v_dual_fmac_f32 v25, v20, v16 :: v_dual_add_f32 v72, v27, v70
	v_add_f32_e32 v70, v17, v25
	v_mul_f32_e32 v17, v94, v85
	v_mul_f32_e32 v25, v94, v87
	s_delay_alu instid0(VALU_DEP_2) | instskip(NEXT) | instid1(VALU_DEP_2)
	v_fmac_f32_e32 v17, v9, v36
	v_fmac_f32_e32 v25, v9, v29
	s_delay_alu instid0(VALU_DEP_2) | instskip(SKIP_1) | instid1(VALU_DEP_3)
	v_add_f32_e32 v17, v69, v17
	v_dual_mul_f32 v69, v19, v86 :: v_dual_fmac_f32 v78, v20, v21
	v_add_f32_e32 v25, v71, v25
	v_mul_f32_e32 v71, v19, v32
	s_delay_alu instid0(VALU_DEP_3) | instskip(NEXT) | instid1(VALU_DEP_2)
	v_dual_fmac_f32 v69, v11, v89 :: v_dual_lshlrev_b32 v10, 16, v10
	v_dual_fmac_f32 v71, v11, v23 :: v_dual_and_b32 v20, 0xffff0000, v12
	v_mul_f32_e32 v28, v95, v56
	s_delay_alu instid0(VALU_DEP_2) | instskip(SKIP_1) | instid1(VALU_DEP_2)
	v_dual_mul_f32 v27, v20, v37 :: v_dual_lshlrev_b32 v12, 16, v12
	v_add_f32_e32 v78, v26, v78
	v_dual_mul_f32 v26, v95, v40 :: v_dual_fmac_f32 v27, v12, v35
	s_delay_alu instid0(VALU_DEP_1) | instskip(NEXT) | instid1(VALU_DEP_1)
	v_fmac_f32_e32 v26, v10, v39
	v_dual_add_f32 v17, v17, v26 :: v_dual_mul_f32 v18, v94, v57
	s_delay_alu instid0(VALU_DEP_1) | instskip(NEXT) | instid1(VALU_DEP_2)
	v_dual_mul_f32 v94, v94, v91 :: v_dual_add_f32 v17, v17, v69
	v_fmac_f32_e32 v18, v9, v42
	v_fmac_f32_e32 v28, v10, v38
	s_delay_alu instid0(VALU_DEP_3) | instskip(NEXT) | instid1(VALU_DEP_3)
	v_dual_fmac_f32 v94, v9, v90 :: v_dual_mul_f32 v9, v95, v24
	v_add_f32_e32 v18, v73, v18
	v_mul_f32_e32 v73, v19, v34
	s_delay_alu instid0(VALU_DEP_3) | instskip(NEXT) | instid1(VALU_DEP_2)
	v_dual_fmac_f32 v9, v10, v14 :: v_dual_mul_f32 v26, v20, v31
	v_fmac_f32_e32 v73, v11, v33
	s_delay_alu instid0(VALU_DEP_2) | instskip(NEXT) | instid1(VALU_DEP_1)
	v_fmac_f32_e32 v26, v12, v21
	v_add_f32_e32 v69, v17, v26
	v_dual_add_f32 v18, v18, v28 :: v_dual_and_b32 v17, 0xffff0000, v5
	v_dual_mul_f32 v28, v95, v30 :: v_dual_lshlrev_b32 v5, 16, v5
	s_delay_alu instid0(VALU_DEP_1) | instskip(SKIP_1) | instid1(VALU_DEP_2)
	v_fmac_f32_e32 v28, v10, v22
	v_mul_f32_e32 v10, v19, v92
	v_add_f32_e32 v25, v25, v28
	s_delay_alu instid0(VALU_DEP_1) | instskip(NEXT) | instid1(VALU_DEP_1)
	v_dual_mul_f32 v28, v20, v88 :: v_dual_add_f32 v25, v25, v71
	v_fmac_f32_e32 v28, v12, v13
	s_delay_alu instid0(VALU_DEP_1) | instskip(SKIP_1) | instid1(VALU_DEP_1)
	v_add_f32_e32 v71, v25, v28
	v_add_f32_e32 v25, v68, v94
	;; [unrolled: 1-line block ×3, first 2 shown]
	v_and_b32_e32 v25, 0xffff0000, v8
	v_and_b32_e32 v26, 0xffff0000, v6
	v_lshlrev_b32_e32 v6, 16, v6
	v_fmac_f32_e32 v10, v11, v15
	v_add_f32_e32 v18, v18, v73
	v_mul_f32_e32 v11, v20, v93
	v_dual_mul_f32 v19, v26, v56 :: v_dual_mul_f32 v20, v17, v85
	s_delay_alu instid0(VALU_DEP_4) | instskip(NEXT) | instid1(VALU_DEP_4)
	v_add_f32_e32 v9, v9, v10
	v_dual_add_f32 v73, v18, v27 :: v_dual_mul_f32 v18, v17, v57
	s_delay_alu instid0(VALU_DEP_3) | instskip(SKIP_2) | instid1(VALU_DEP_4)
	v_fmac_f32_e32 v19, v6, v38
	v_dual_fmac_f32 v11, v12, v16 :: v_dual_and_b32 v10, 0xffff0000, v7
	v_fmac_f32_e32 v20, v5, v36
	v_fmac_f32_e32 v18, v5, v42
	v_lshlrev_b32_e32 v8, 16, v8
	v_lshlrev_b32_e32 v7, 16, v7
	v_mul_f32_e32 v27, v10, v86
	v_add_f32_e32 v20, v66, v20
	v_add_f32_e32 v18, v67, v18
	v_mul_f32_e32 v28, v25, v37
	s_delay_alu instid0(VALU_DEP_4) | instskip(NEXT) | instid1(VALU_DEP_3)
	v_dual_add_f32 v68, v9, v11 :: v_dual_fmac_f32 v27, v7, v89
	v_add_f32_e32 v12, v18, v19
	v_mul_f32_e32 v18, v26, v40
	s_delay_alu instid0(VALU_DEP_4) | instskip(NEXT) | instid1(VALU_DEP_1)
	v_dual_mul_f32 v19, v10, v34 :: v_dual_fmac_f32 v28, v8, v35
	v_dual_fmac_f32 v18, v6, v39 :: v_dual_fmac_f32 v19, v7, v33
	s_delay_alu instid0(VALU_DEP_1) | instskip(NEXT) | instid1(VALU_DEP_1)
	v_add_f32_e32 v18, v20, v18
	v_add_f32_e32 v18, v18, v27
	v_mul_f32_e32 v27, v25, v31
	s_delay_alu instid0(VALU_DEP_1) | instskip(SKIP_4) | instid1(VALU_DEP_4)
	v_fmac_f32_e32 v27, v8, v21
	v_add_f32_e32 v12, v12, v19
	v_mul_f32_e32 v20, v17, v87
	v_mul_f32_e32 v17, v17, v91
	;; [unrolled: 1-line block ×3, first 2 shown]
	v_dual_add_f32 v66, v18, v27 :: v_dual_add_f32 v67, v12, v28
	s_delay_alu instid0(VALU_DEP_4) | instskip(NEXT) | instid1(VALU_DEP_4)
	v_fmac_f32_e32 v20, v5, v29
	v_fmac_f32_e32 v17, v5, v90
	v_mul_f32_e32 v5, v26, v24
	s_delay_alu instid0(VALU_DEP_2) | instskip(SKIP_2) | instid1(VALU_DEP_4)
	v_dual_add_f32 v20, v65, v20 :: v_dual_add_f32 v17, v64, v17
	v_fmac_f32_e32 v19, v6, v22
	v_mul_f32_e32 v22, v10, v32
	v_fmac_f32_e32 v5, v6, v14
	v_mul_f32_e32 v6, v10, v92
	v_mul_f32_e32 v14, v25, v88
	v_add_f32_e32 v10, v20, v19
	s_delay_alu instid0(VALU_DEP_4) | instskip(NEXT) | instid1(VALU_DEP_4)
	v_dual_fmac_f32 v22, v7, v23 :: v_dual_add_f32 v5, v17, v5
	v_dual_fmac_f32 v6, v7, v15 :: v_dual_mul_f32 v7, v25, v93
	s_delay_alu instid0(VALU_DEP_4) | instskip(NEXT) | instid1(VALU_DEP_3)
	v_fmac_f32_e32 v14, v8, v13
	v_add_f32_e32 v10, v10, v22
	s_delay_alu instid0(VALU_DEP_3) | instskip(NEXT) | instid1(VALU_DEP_4)
	v_add_f32_e32 v5, v5, v6
	v_fmac_f32_e32 v7, v8, v16
	s_delay_alu instid0(VALU_DEP_1)
	v_dual_add_f32 v65, v10, v14 :: v_dual_add_f32 v64, v5, v7
	s_cbranch_scc1 .LBB303_38
.LBB303_17:                             ;   Parent Loop BB303_13 Depth=1
                                        ; =>  This Inner Loop Header: Depth=2
	v_add_nc_u32_e32 v56, s1, v0
	v_dual_mov_b32 v20, 0 :: v_dual_mov_b32 v17, 0
	v_dual_mov_b32 v18, 0 :: v_dual_mov_b32 v27, 0
	s_delay_alu instid0(VALU_DEP_3) | instskip(SKIP_3) | instid1(VALU_DEP_3)
	v_min_u32_e32 v42, s23, v56
	v_dual_mov_b32 v28, 0 :: v_dual_mov_b32 v25, 0
	s_waitcnt vmcnt(1)
	v_dual_mov_b32 v26, 0 :: v_dual_mov_b32 v39, 0
	v_lshlrev_b64 v[5:6], 1, v[42:43]
	v_dual_mov_b32 v40, 0 :: v_dual_mov_b32 v37, 0
	v_dual_mov_b32 v38, 0 :: v_dual_mov_b32 v19, 0
	s_waitcnt lgkmcnt(0)
	s_delay_alu instid0(VALU_DEP_3) | instskip(NEXT) | instid1(VALU_DEP_4)
	v_add_co_u32 v11, vcc_lo, s14, v5
	v_add_co_ci_u32_e32 v12, vcc_lo, s15, v6, vcc_lo
	s_delay_alu instid0(VALU_DEP_2) | instskip(NEXT) | instid1(VALU_DEP_2)
	v_add_co_u32 v5, vcc_lo, v11, v48
	v_add_co_ci_u32_e32 v6, vcc_lo, v12, v49, vcc_lo
	v_add_co_u32 v7, vcc_lo, v11, v50
	v_add_co_ci_u32_e32 v8, vcc_lo, v12, v51, vcc_lo
	;; [unrolled: 2-line block ×4, first 2 shown]
	s_clause 0x3
	global_load_b128 v[33:36], v[5:6], off slc dlc
	global_load_b128 v[29:32], v[7:8], off slc dlc
	global_load_b128 v[21:24], v[9:10], off slc dlc
	global_load_b128 v[13:16], v[11:12], off slc dlc
	v_dual_mov_b32 v8, 0 :: v_dual_mov_b32 v5, 0
	v_mov_b32_e32 v7, 0
	v_cmp_gt_u32_e32 vcc_lo, s8, v56
	v_dual_mov_b32 v6, 0 :: v_dual_mov_b32 v11, 0
	v_dual_mov_b32 v12, 0 :: v_dual_mov_b32 v9, 0
	v_mov_b32_e32 v10, 0
	s_and_saveexec_b32 s2, vcc_lo
	s_cbranch_execz .LBB303_16
; %bb.18:                               ;   in Loop: Header=BB303_17 Depth=2
	s_mov_b32 s3, exec_lo
                                        ; implicit-def: $vgpr40
	v_cmpx_lt_u32_e32 0x7fff, v56
	s_xor_b32 s3, exec_lo, s3
	s_cbranch_execz .LBB303_20
; %bb.19:                               ;   in Loop: Header=BB303_17 Depth=2
	v_mov_b32_e32 v57, v43
	s_delay_alu instid0(VALU_DEP_1) | instskip(NEXT) | instid1(VALU_DEP_1)
	v_lshlrev_b64 v[5:6], 1, v[56:57]
	v_add_co_u32 v5, vcc_lo, s12, v5
	s_delay_alu instid0(VALU_DEP_2)
	v_add_co_ci_u32_e32 v6, vcc_lo, s13, v6, vcc_lo
	global_load_b128 v[37:40], v[5:6], off
.LBB303_20:                             ;   in Loop: Header=BB303_17 Depth=2
	s_and_not1_saveexec_b32 s3, s3
	s_cbranch_execz .LBB303_22
; %bb.21:                               ;   in Loop: Header=BB303_17 Depth=2
	s_waitcnt vmcnt(0)
	ds_load_b128 v[37:40], v84
.LBB303_22:                             ;   in Loop: Header=BB303_17 Depth=2
	s_or_b32 exec_lo, exec_lo, s3
	v_add_nc_u32_e32 v42, s1, v59
	s_mov_b32 s3, exec_lo
                                        ; implicit-def: $vgpr28
	s_delay_alu instid0(VALU_DEP_1)
	v_cmpx_lt_u32_e32 0x7fff, v42
	s_xor_b32 s3, exec_lo, s3
	s_cbranch_execz .LBB303_24
; %bb.23:                               ;   in Loop: Header=BB303_17 Depth=2
	v_lshlrev_b64 v[5:6], 1, v[42:43]
	s_delay_alu instid0(VALU_DEP_1) | instskip(NEXT) | instid1(VALU_DEP_2)
	v_add_co_u32 v5, vcc_lo, s12, v5
	v_add_co_ci_u32_e32 v6, vcc_lo, s13, v6, vcc_lo
	global_load_b128 v[25:28], v[5:6], off
.LBB303_24:                             ;   in Loop: Header=BB303_17 Depth=2
	s_and_not1_saveexec_b32 s3, s3
	s_cbranch_execz .LBB303_26
; %bb.25:                               ;   in Loop: Header=BB303_17 Depth=2
	v_add_nc_u32_e32 v5, s29, v84
	s_waitcnt vmcnt(0)
	ds_load_b128 v[25:28], v5
.LBB303_26:                             ;   in Loop: Header=BB303_17 Depth=2
	s_or_b32 exec_lo, exec_lo, s3
	v_add_nc_u32_e32 v42, s1, v62
	s_mov_b32 s3, exec_lo
                                        ; implicit-def: $vgpr20
	s_delay_alu instid0(VALU_DEP_1)
	v_cmpx_lt_u32_e32 0x7fff, v42
	s_xor_b32 s3, exec_lo, s3
	s_cbranch_execz .LBB303_28
; %bb.27:                               ;   in Loop: Header=BB303_17 Depth=2
	v_lshlrev_b64 v[5:6], 1, v[42:43]
	s_delay_alu instid0(VALU_DEP_1) | instskip(NEXT) | instid1(VALU_DEP_2)
	v_add_co_u32 v5, vcc_lo, s12, v5
	v_add_co_ci_u32_e32 v6, vcc_lo, s13, v6, vcc_lo
	global_load_b128 v[17:20], v[5:6], off
.LBB303_28:                             ;   in Loop: Header=BB303_17 Depth=2
	s_and_not1_saveexec_b32 s3, s3
	s_cbranch_execz .LBB303_30
; %bb.29:                               ;   in Loop: Header=BB303_17 Depth=2
	v_add_nc_u32_e32 v5, s30, v84
	s_waitcnt vmcnt(0)
	ds_load_2addr_b32 v[17:18], v5 offset1:1
	ds_load_2addr_b32 v[19:20], v5 offset0:2 offset1:3
.LBB303_30:                             ;   in Loop: Header=BB303_17 Depth=2
	s_or_b32 exec_lo, exec_lo, s3
	v_add_nc_u32_e32 v42, s1, v44
	s_mov_b32 s3, exec_lo
                                        ; implicit-def: $vgpr12
	s_delay_alu instid0(VALU_DEP_1)
	v_cmpx_lt_u32_e32 0x7fff, v42
	s_xor_b32 s3, exec_lo, s3
	s_cbranch_execz .LBB303_32
; %bb.31:                               ;   in Loop: Header=BB303_17 Depth=2
	v_lshlrev_b64 v[5:6], 1, v[42:43]
	s_delay_alu instid0(VALU_DEP_1) | instskip(NEXT) | instid1(VALU_DEP_2)
	v_add_co_u32 v5, vcc_lo, s12, v5
	v_add_co_ci_u32_e32 v6, vcc_lo, s13, v6, vcc_lo
	global_load_b128 v[9:12], v[5:6], off
.LBB303_32:                             ;   in Loop: Header=BB303_17 Depth=2
	s_and_not1_saveexec_b32 s3, s3
	s_cbranch_execz .LBB303_34
; %bb.33:                               ;   in Loop: Header=BB303_17 Depth=2
	v_add_nc_u32_e32 v5, s33, v84
	s_waitcnt vmcnt(0)
	ds_load_b128 v[9:12], v5
.LBB303_34:                             ;   in Loop: Header=BB303_17 Depth=2
	s_or_b32 exec_lo, exec_lo, s3
	v_add_nc_u32_e32 v42, s1, v63
	s_mov_b32 s3, exec_lo
                                        ; implicit-def: $vgpr8
	s_delay_alu instid0(VALU_DEP_1)
	v_cmpx_lt_u32_e32 0x7fff, v42
	s_xor_b32 s3, exec_lo, s3
	s_cbranch_execz .LBB303_36
; %bb.35:                               ;   in Loop: Header=BB303_17 Depth=2
	v_lshlrev_b64 v[5:6], 1, v[42:43]
	s_delay_alu instid0(VALU_DEP_1) | instskip(NEXT) | instid1(VALU_DEP_2)
	v_add_co_u32 v5, vcc_lo, s12, v5
	v_add_co_ci_u32_e32 v6, vcc_lo, s13, v6, vcc_lo
	global_load_b128 v[5:8], v[5:6], off
.LBB303_36:                             ;   in Loop: Header=BB303_17 Depth=2
	s_and_not1_saveexec_b32 s3, s3
	s_cbranch_execz .LBB303_15
; %bb.37:                               ;   in Loop: Header=BB303_17 Depth=2
	s_waitcnt vmcnt(0)
	v_add_nc_u32_e32 v5, s10, v84
	ds_load_2addr_b64 v[5:8], v5 offset1:1
	s_branch .LBB303_15
.LBB303_38:                             ;   in Loop: Header=BB303_13 Depth=1
	s_delay_alu instid0(VALU_DEP_1)
	v_cvt_i32_f32_e32 v5, v79
	v_cvt_i32_f32_e32 v8, v82
	v_cvt_i32_f32_e32 v6, v83
	v_cvt_i32_f32_e32 v7, v80
	v_cvt_i32_f32_e32 v9, v81
	v_cvt_f32_i32_dpp v5, v5 row_shr:8 row_mask:0xf bank_mask:0xf bound_ctrl:1
	v_cvt_f32_i32_dpp v8, v8 row_shr:8 row_mask:0xf bank_mask:0xf bound_ctrl:1
	;; [unrolled: 1-line block ×5, first 2 shown]
	s_delay_alu instid0(VALU_DEP_4) | instskip(NEXT) | instid1(VALU_DEP_3)
	v_dual_add_f32 v5, v79, v5 :: v_dual_add_f32 v8, v82, v8
	v_dual_add_f32 v6, v83, v6 :: v_dual_add_f32 v7, v80, v7
	s_delay_alu instid0(VALU_DEP_2) | instskip(NEXT) | instid1(VALU_DEP_3)
	v_cvt_i32_f32_e32 v10, v5
	v_cvt_i32_f32_e32 v13, v8
	s_delay_alu instid0(VALU_DEP_3) | instskip(NEXT) | instid1(VALU_DEP_4)
	v_cvt_i32_f32_e32 v11, v6
	v_cvt_i32_f32_e32 v12, v7
	s_delay_alu instid0(VALU_DEP_4) | instskip(NEXT) | instid1(VALU_DEP_4)
	v_cvt_f32_i32_dpp v10, v10 row_shr:4 row_mask:0xf bank_mask:0xf bound_ctrl:1
	v_cvt_f32_i32_dpp v13, v13 row_shr:4 row_mask:0xf bank_mask:0xf bound_ctrl:1
	s_delay_alu instid0(VALU_DEP_4) | instskip(SKIP_2) | instid1(VALU_DEP_4)
	v_cvt_f32_i32_dpp v11, v11 row_shr:4 row_mask:0xf bank_mask:0xf bound_ctrl:1
	v_add_f32_e32 v9, v81, v9
	v_cvt_f32_i32_dpp v12, v12 row_shr:4 row_mask:0xf bank_mask:0xf bound_ctrl:1
	v_dual_add_f32 v5, v5, v10 :: v_dual_add_f32 v8, v8, v13
	s_delay_alu instid0(VALU_DEP_4) | instskip(NEXT) | instid1(VALU_DEP_4)
	v_add_f32_e32 v6, v6, v11
	v_cvt_i32_f32_e32 v14, v9
	s_delay_alu instid0(VALU_DEP_3) | instskip(NEXT) | instid1(VALU_DEP_4)
	v_cvt_i32_f32_e32 v10, v5
	v_cvt_i32_f32_e32 v13, v8
	s_delay_alu instid0(VALU_DEP_4) | instskip(NEXT) | instid1(VALU_DEP_4)
	v_cvt_i32_f32_e32 v11, v6
	v_cvt_f32_i32_dpp v14, v14 row_shr:4 row_mask:0xf bank_mask:0xf bound_ctrl:1
	s_delay_alu instid0(VALU_DEP_4) | instskip(NEXT) | instid1(VALU_DEP_4)
	v_cvt_f32_i32_dpp v10, v10 row_shr:2 row_mask:0xf bank_mask:0xf bound_ctrl:1
	v_cvt_f32_i32_dpp v13, v13 row_shr:2 row_mask:0xf bank_mask:0xf bound_ctrl:1
	s_delay_alu instid0(VALU_DEP_4) | instskip(SKIP_1) | instid1(VALU_DEP_3)
	v_cvt_f32_i32_dpp v11, v11 row_shr:2 row_mask:0xf bank_mask:0xf bound_ctrl:1
	v_add_f32_e32 v7, v7, v12
	v_dual_add_f32 v9, v9, v14 :: v_dual_add_f32 v8, v8, v13
	s_delay_alu instid0(VALU_DEP_3) | instskip(NEXT) | instid1(VALU_DEP_3)
	v_add_f32_e32 v6, v6, v11
	v_cvt_i32_f32_e32 v12, v7
	s_delay_alu instid0(VALU_DEP_3) | instskip(NEXT) | instid1(VALU_DEP_4)
	v_cvt_i32_f32_e32 v14, v9
	v_cvt_i32_f32_e32 v13, v8
	s_delay_alu instid0(VALU_DEP_4) | instskip(NEXT) | instid1(VALU_DEP_4)
	v_cvt_i32_f32_e32 v11, v6
	v_cvt_f32_i32_dpp v12, v12 row_shr:2 row_mask:0xf bank_mask:0xf bound_ctrl:1
	s_delay_alu instid0(VALU_DEP_4) | instskip(NEXT) | instid1(VALU_DEP_4)
	v_cvt_f32_i32_dpp v14, v14 row_shr:2 row_mask:0xf bank_mask:0xf bound_ctrl:1
	v_cvt_f32_i32_dpp v13, v13 row_shr:1 row_mask:0xf bank_mask:0xf bound_ctrl:1
	s_delay_alu instid0(VALU_DEP_4) | instskip(NEXT) | instid1(VALU_DEP_4)
	v_cvt_f32_i32_dpp v11, v11 row_shr:1 row_mask:0xf bank_mask:0xf bound_ctrl:1
	v_add_f32_e32 v7, v7, v12
	s_delay_alu instid0(VALU_DEP_3) | instskip(NEXT) | instid1(VALU_DEP_3)
	v_dual_add_f32 v5, v5, v10 :: v_dual_add_f32 v50, v8, v13
	v_add_f32_e32 v48, v6, v11
	v_cvt_i32_f32_e32 v8, v76
	s_delay_alu instid0(VALU_DEP_4)
	v_cvt_i32_f32_e32 v12, v7
	v_cvt_i32_f32_e32 v6, v77
	;; [unrolled: 1-line block ×3, first 2 shown]
	ds_bpermute_b32 v56, v60, v48
	v_cvt_f32_i32_dpp v8, v8 row_shr:8 row_mask:0xf bank_mask:0xf bound_ctrl:1
	v_add_f32_e32 v9, v9, v14
	v_cvt_f32_i32_dpp v12, v12 row_shr:1 row_mask:0xf bank_mask:0xf bound_ctrl:1
	v_cvt_f32_i32_dpp v6, v6 row_shr:8 row_mask:0xf bank_mask:0xf bound_ctrl:1
	v_cvt_f32_i32_dpp v10, v10 row_shr:1 row_mask:0xf bank_mask:0xf bound_ctrl:1
	v_add_f32_e32 v8, v76, v8
	v_cvt_i32_f32_e32 v14, v9
	s_delay_alu instid0(VALU_DEP_4) | instskip(SKIP_1) | instid1(VALU_DEP_4)
	v_dual_add_f32 v53, v7, v12 :: v_dual_add_f32 v6, v77, v6
	v_cvt_i32_f32_e32 v7, v75
	v_cvt_i32_f32_e32 v13, v8
	s_delay_alu instid0(VALU_DEP_4)
	v_cvt_f32_i32_dpp v14, v14 row_shr:1 row_mask:0xf bank_mask:0xf bound_ctrl:1
	ds_bpermute_b32 v54, v60, v53
	v_cvt_i32_f32_e32 v11, v6
	v_cvt_f32_i32_dpp v7, v7 row_shr:8 row_mask:0xf bank_mask:0xf bound_ctrl:1
	v_cvt_f32_i32_dpp v13, v13 row_shr:4 row_mask:0xf bank_mask:0xf bound_ctrl:1
	v_add_f32_e32 v37, v9, v14
	v_cvt_i32_f32_e32 v9, v78
	v_cvt_f32_i32_dpp v11, v11 row_shr:4 row_mask:0xf bank_mask:0xf bound_ctrl:1
	s_delay_alu instid0(VALU_DEP_4) | instskip(SKIP_1) | instid1(VALU_DEP_4)
	v_dual_add_f32 v79, v5, v10 :: v_dual_add_f32 v8, v8, v13
	v_cvt_i32_f32_e32 v5, v74
	v_cvt_f32_i32_dpp v9, v9 row_shr:8 row_mask:0xf bank_mask:0xf bound_ctrl:1
	s_delay_alu instid0(VALU_DEP_4)
	v_add_f32_e32 v6, v6, v11
	ds_bpermute_b32 v80, v60, v79
	v_cvt_i32_f32_e32 v13, v8
	v_cvt_f32_i32_dpp v5, v5 row_shr:8 row_mask:0xf bank_mask:0xf bound_ctrl:1
	ds_bpermute_b32 v51, v60, v50
	v_cvt_i32_f32_e32 v11, v6
	ds_bpermute_b32 v38, v60, v37
	v_cvt_f32_i32_dpp v13, v13 row_shr:2 row_mask:0xf bank_mask:0xf bound_ctrl:1
	v_add_f32_e32 v7, v75, v7
	v_cvt_f32_i32_dpp v11, v11 row_shr:2 row_mask:0xf bank_mask:0xf bound_ctrl:1
	s_delay_alu instid0(VALU_DEP_3) | instskip(NEXT) | instid1(VALU_DEP_3)
	v_add_f32_e32 v8, v8, v13
	v_cvt_i32_f32_e32 v12, v7
	s_delay_alu instid0(VALU_DEP_3) | instskip(NEXT) | instid1(VALU_DEP_3)
	v_add_f32_e32 v6, v6, v11
	v_cvt_i32_f32_e32 v13, v8
	s_delay_alu instid0(VALU_DEP_3) | instskip(NEXT) | instid1(VALU_DEP_3)
	v_cvt_f32_i32_dpp v12, v12 row_shr:4 row_mask:0xf bank_mask:0xf bound_ctrl:1
	v_cvt_i32_f32_e32 v11, v6
	s_delay_alu instid0(VALU_DEP_3) | instskip(NEXT) | instid1(VALU_DEP_3)
	v_cvt_f32_i32_dpp v13, v13 row_shr:1 row_mask:0xf bank_mask:0xf bound_ctrl:1
	v_add_f32_e32 v7, v7, v12
	s_delay_alu instid0(VALU_DEP_3) | instskip(NEXT) | instid1(VALU_DEP_3)
	v_cvt_f32_i32_dpp v11, v11 row_shr:1 row_mask:0xf bank_mask:0xf bound_ctrl:1
	v_add_f32_e32 v29, v8, v13
	s_delay_alu instid0(VALU_DEP_3) | instskip(SKIP_1) | instid1(VALU_DEP_2)
	v_cvt_i32_f32_e32 v12, v7
	v_cvt_i32_f32_e32 v8, v69
	v_cvt_f32_i32_dpp v12, v12 row_shr:2 row_mask:0xf bank_mask:0xf bound_ctrl:1
	s_delay_alu instid0(VALU_DEP_2) | instskip(SKIP_2) | instid1(VALU_DEP_4)
	v_cvt_f32_i32_dpp v8, v8 row_shr:8 row_mask:0xf bank_mask:0xf bound_ctrl:1
	v_add_f32_e32 v35, v6, v11
	v_cvt_i32_f32_e32 v6, v70
	v_add_f32_e32 v7, v7, v12
	s_delay_alu instid0(VALU_DEP_4) | instskip(SKIP_4) | instid1(VALU_DEP_3)
	v_add_f32_e32 v8, v69, v8
	ds_bpermute_b32 v36, v60, v35
	v_cvt_f32_i32_dpp v6, v6 row_shr:8 row_mask:0xf bank_mask:0xf bound_ctrl:1
	v_cvt_i32_f32_e32 v12, v7
	v_cvt_i32_f32_e32 v13, v8
	v_add_f32_e32 v6, v70, v6
	s_delay_alu instid0(VALU_DEP_3) | instskip(SKIP_1) | instid1(VALU_DEP_4)
	v_cvt_f32_i32_dpp v12, v12 row_shr:1 row_mask:0xf bank_mask:0xf bound_ctrl:1
	v_add_f32_e32 v5, v74, v5
	v_cvt_f32_i32_dpp v13, v13 row_shr:4 row_mask:0xf bank_mask:0xf bound_ctrl:1
	s_delay_alu instid0(VALU_DEP_4) | instskip(NEXT) | instid1(VALU_DEP_4)
	v_cvt_i32_f32_e32 v11, v6
	v_add_f32_e32 v32, v7, v12
	s_delay_alu instid0(VALU_DEP_4) | instskip(NEXT) | instid1(VALU_DEP_4)
	v_cvt_i32_f32_e32 v10, v5
	v_add_f32_e32 v8, v8, v13
	v_cvt_i32_f32_e32 v7, v73
	v_cvt_f32_i32_dpp v11, v11 row_shr:4 row_mask:0xf bank_mask:0xf bound_ctrl:1
	ds_bpermute_b32 v33, v60, v32
	v_cvt_f32_i32_dpp v10, v10 row_shr:4 row_mask:0xf bank_mask:0xf bound_ctrl:1
	v_cvt_i32_f32_e32 v13, v8
	v_cvt_f32_i32_dpp v7, v7 row_shr:8 row_mask:0xf bank_mask:0xf bound_ctrl:1
	s_delay_alu instid0(VALU_DEP_3) | instskip(NEXT) | instid1(VALU_DEP_3)
	v_dual_add_f32 v6, v6, v11 :: v_dual_add_f32 v5, v5, v10
	v_cvt_f32_i32_dpp v13, v13 row_shr:2 row_mask:0xf bank_mask:0xf bound_ctrl:1
	s_delay_alu instid0(VALU_DEP_3) | instskip(NEXT) | instid1(VALU_DEP_3)
	v_add_f32_e32 v7, v73, v7
	v_cvt_i32_f32_e32 v11, v6
	s_delay_alu instid0(VALU_DEP_4) | instskip(NEXT) | instid1(VALU_DEP_4)
	v_cvt_i32_f32_e32 v10, v5
	v_add_f32_e32 v8, v8, v13
	s_delay_alu instid0(VALU_DEP_4) | instskip(NEXT) | instid1(VALU_DEP_4)
	v_cvt_i32_f32_e32 v12, v7
	v_cvt_f32_i32_dpp v11, v11 row_shr:2 row_mask:0xf bank_mask:0xf bound_ctrl:1
	s_delay_alu instid0(VALU_DEP_4) | instskip(NEXT) | instid1(VALU_DEP_4)
	v_cvt_f32_i32_dpp v10, v10 row_shr:2 row_mask:0xf bank_mask:0xf bound_ctrl:1
	v_cvt_i32_f32_e32 v13, v8
	s_delay_alu instid0(VALU_DEP_4) | instskip(NEXT) | instid1(VALU_DEP_3)
	v_cvt_f32_i32_dpp v12, v12 row_shr:4 row_mask:0xf bank_mask:0xf bound_ctrl:1
	v_dual_add_f32 v6, v6, v11 :: v_dual_add_f32 v5, v5, v10
	s_delay_alu instid0(VALU_DEP_3) | instskip(NEXT) | instid1(VALU_DEP_2)
	v_cvt_f32_i32_dpp v13, v13 row_shr:1 row_mask:0xf bank_mask:0xf bound_ctrl:1
	v_cvt_i32_f32_e32 v11, v6
	s_delay_alu instid0(VALU_DEP_3) | instskip(NEXT) | instid1(VALU_DEP_3)
	v_cvt_i32_f32_e32 v10, v5
	v_add_f32_e32 v17, v8, v13
	v_cvt_i32_f32_e32 v8, v65
	s_delay_alu instid0(VALU_DEP_4) | instskip(NEXT) | instid1(VALU_DEP_4)
	v_cvt_f32_i32_dpp v11, v11 row_shr:1 row_mask:0xf bank_mask:0xf bound_ctrl:1
	v_cvt_f32_i32_dpp v10, v10 row_shr:1 row_mask:0xf bank_mask:0xf bound_ctrl:1
	v_add_f32_e32 v9, v78, v9
	s_delay_alu instid0(VALU_DEP_4) | instskip(NEXT) | instid1(VALU_DEP_4)
	v_cvt_f32_i32_dpp v8, v8 row_shr:8 row_mask:0xf bank_mask:0xf bound_ctrl:1
	v_add_f32_e32 v22, v6, v11
	v_cvt_i32_f32_e32 v6, v67
	v_add_f32_e32 v40, v5, v10
	v_cvt_i32_f32_e32 v14, v9
	v_cvt_i32_f32_e32 v5, v72
	ds_bpermute_b32 v30, v60, v29
	v_cvt_f32_i32_dpp v6, v6 row_shr:8 row_mask:0xf bank_mask:0xf bound_ctrl:1
	ds_bpermute_b32 v49, v60, v40
	v_cvt_f32_i32_dpp v14, v14 row_shr:4 row_mask:0xf bank_mask:0xf bound_ctrl:1
	v_cvt_f32_i32_dpp v5, v5 row_shr:8 row_mask:0xf bank_mask:0xf bound_ctrl:1
	ds_bpermute_b32 v23, v60, v22
	v_add_f32_e32 v6, v67, v6
	v_add_f32_e32 v8, v65, v8
	;; [unrolled: 1-line block ×4, first 2 shown]
	s_delay_alu instid0(VALU_DEP_4) | instskip(NEXT) | instid1(VALU_DEP_4)
	v_cvt_i32_f32_e32 v11, v6
	v_cvt_i32_f32_e32 v15, v8
	s_delay_alu instid0(VALU_DEP_4) | instskip(NEXT) | instid1(VALU_DEP_4)
	v_cvt_i32_f32_e32 v14, v9
	v_cvt_i32_f32_e32 v10, v5
	s_delay_alu instid0(VALU_DEP_4) | instskip(NEXT) | instid1(VALU_DEP_4)
	v_cvt_f32_i32_dpp v11, v11 row_shr:4 row_mask:0xf bank_mask:0xf bound_ctrl:1
	v_cvt_f32_i32_dpp v15, v15 row_shr:4 row_mask:0xf bank_mask:0xf bound_ctrl:1
	s_delay_alu instid0(VALU_DEP_4) | instskip(NEXT) | instid1(VALU_DEP_4)
	v_cvt_f32_i32_dpp v14, v14 row_shr:2 row_mask:0xf bank_mask:0xf bound_ctrl:1
	v_cvt_f32_i32_dpp v10, v10 row_shr:4 row_mask:0xf bank_mask:0xf bound_ctrl:1
	s_delay_alu instid0(VALU_DEP_4) | instskip(NEXT) | instid1(VALU_DEP_3)
	v_dual_add_f32 v7, v7, v12 :: v_dual_add_f32 v6, v6, v11
	v_dual_add_f32 v8, v8, v15 :: v_dual_add_f32 v9, v9, v14
	s_delay_alu instid0(VALU_DEP_3) | instskip(NEXT) | instid1(VALU_DEP_3)
	v_add_f32_e32 v5, v5, v10
	v_cvt_i32_f32_e32 v12, v7
	s_delay_alu instid0(VALU_DEP_4) | instskip(NEXT) | instid1(VALU_DEP_4)
	v_cvt_i32_f32_e32 v11, v6
	v_cvt_i32_f32_e32 v15, v8
	;; [unrolled: 1-line block ×4, first 2 shown]
	v_cvt_f32_i32_dpp v12, v12 row_shr:2 row_mask:0xf bank_mask:0xf bound_ctrl:1
	v_cvt_f32_i32_dpp v11, v11 row_shr:2 row_mask:0xf bank_mask:0xf bound_ctrl:1
	;; [unrolled: 1-line block ×5, first 2 shown]
	s_delay_alu instid0(VALU_DEP_4) | instskip(NEXT) | instid1(VALU_DEP_4)
	v_dual_add_f32 v7, v7, v12 :: v_dual_add_f32 v6, v6, v11
	v_add_f32_e32 v8, v8, v15
	s_delay_alu instid0(VALU_DEP_4)
	v_add_f32_e32 v24, v9, v14
	v_cvt_i32_f32_e32 v9, v71
	v_add_f32_e32 v5, v5, v10
	v_cvt_i32_f32_e32 v12, v7
	v_cvt_i32_f32_e32 v11, v6
	;; [unrolled: 1-line block ×3, first 2 shown]
	v_cvt_f32_i32_dpp v9, v9 row_shr:8 row_mask:0xf bank_mask:0xf bound_ctrl:1
	v_cvt_i32_f32_e32 v10, v5
	v_cvt_f32_i32_dpp v12, v12 row_shr:1 row_mask:0xf bank_mask:0xf bound_ctrl:1
	ds_bpermute_b32 v25, v60, v24
	v_cvt_f32_i32_dpp v11, v11 row_shr:1 row_mask:0xf bank_mask:0xf bound_ctrl:1
	v_add_f32_e32 v9, v71, v9
	v_cvt_f32_i32_dpp v10, v10 row_shr:1 row_mask:0xf bank_mask:0xf bound_ctrl:1
	v_add_f32_e32 v19, v7, v12
	v_cvt_i32_f32_e32 v7, v66
	s_waitcnt vmcnt(0)
	v_cvt_f32_i32_dpp v21, v15 row_shr:1 row_mask:0xf bank_mask:0xf bound_ctrl:1
	v_cvt_i32_f32_e32 v14, v9
	v_add_f32_e32 v27, v5, v10
	v_cvt_i32_f32_e32 v5, v68
	v_cvt_f32_i32_dpp v7, v7 row_shr:8 row_mask:0xf bank_mask:0xf bound_ctrl:1
	v_add_f32_e32 v11, v6, v11
	v_cvt_f32_i32_dpp v14, v14 row_shr:4 row_mask:0xf bank_mask:0xf bound_ctrl:1
	ds_bpermute_b32 v28, v60, v27
	v_cvt_f32_i32_dpp v5, v5 row_shr:8 row_mask:0xf bank_mask:0xf bound_ctrl:1
	ds_bpermute_b32 v20, v60, v19
	v_add_f32_e32 v7, v66, v7
	v_add_f32_e32 v9, v9, v14
	;; [unrolled: 1-line block ×3, first 2 shown]
	s_delay_alu instid0(VALU_DEP_3) | instskip(NEXT) | instid1(VALU_DEP_3)
	v_cvt_i32_f32_e32 v12, v7
	v_cvt_i32_f32_e32 v14, v9
	s_delay_alu instid0(VALU_DEP_3) | instskip(NEXT) | instid1(VALU_DEP_3)
	v_cvt_i32_f32_e32 v10, v5
	v_cvt_f32_i32_dpp v12, v12 row_shr:4 row_mask:0xf bank_mask:0xf bound_ctrl:1
	s_delay_alu instid0(VALU_DEP_3) | instskip(NEXT) | instid1(VALU_DEP_3)
	v_cvt_f32_i32_dpp v14, v14 row_shr:2 row_mask:0xf bank_mask:0xf bound_ctrl:1
	v_cvt_f32_i32_dpp v10, v10 row_shr:4 row_mask:0xf bank_mask:0xf bound_ctrl:1
	s_delay_alu instid0(VALU_DEP_3) | instskip(NEXT) | instid1(VALU_DEP_3)
	v_add_f32_e32 v7, v7, v12
	v_add_f32_e32 v9, v9, v14
	s_delay_alu instid0(VALU_DEP_3) | instskip(NEXT) | instid1(VALU_DEP_3)
	v_add_f32_e32 v5, v5, v10
	v_cvt_i32_f32_e32 v12, v7
	s_delay_alu instid0(VALU_DEP_3) | instskip(NEXT) | instid1(VALU_DEP_3)
	v_cvt_i32_f32_e32 v14, v9
	v_cvt_i32_f32_e32 v10, v5
	s_delay_alu instid0(VALU_DEP_3) | instskip(NEXT) | instid1(VALU_DEP_3)
	v_cvt_f32_i32_dpp v12, v12 row_shr:2 row_mask:0xf bank_mask:0xf bound_ctrl:1
	v_cvt_f32_i32_dpp v14, v14 row_shr:1 row_mask:0xf bank_mask:0xf bound_ctrl:1
	s_delay_alu instid0(VALU_DEP_3) | instskip(NEXT) | instid1(VALU_DEP_3)
	v_cvt_f32_i32_dpp v10, v10 row_shr:2 row_mask:0xf bank_mask:0xf bound_ctrl:1
	v_add_f32_e32 v7, v7, v12
	s_delay_alu instid0(VALU_DEP_3) | instskip(SKIP_1) | instid1(VALU_DEP_4)
	v_add_f32_e32 v13, v9, v14
	v_cvt_i32_f32_e32 v9, v64
	v_add_f32_e32 v5, v5, v10
	s_delay_alu instid0(VALU_DEP_4) | instskip(SKIP_3) | instid1(VALU_DEP_2)
	v_cvt_i32_f32_e32 v12, v7
	ds_bpermute_b32 v14, v60, v13
	v_cvt_f32_i32_dpp v9, v9 row_shr:8 row_mask:0xf bank_mask:0xf bound_ctrl:1
	v_cvt_f32_i32_dpp v12, v12 row_shr:1 row_mask:0xf bank_mask:0xf bound_ctrl:1
	v_add_f32_e32 v9, v64, v9
	s_delay_alu instid0(VALU_DEP_1) | instskip(NEXT) | instid1(VALU_DEP_1)
	v_cvt_i32_f32_e32 v16, v9
	v_cvt_f32_i32_dpp v16, v16 row_shr:4 row_mask:0xf bank_mask:0xf bound_ctrl:1
	s_delay_alu instid0(VALU_DEP_1) | instskip(NEXT) | instid1(VALU_DEP_1)
	v_add_f32_e32 v9, v9, v16
	v_cvt_i32_f32_e32 v16, v9
	s_delay_alu instid0(VALU_DEP_1) | instskip(NEXT) | instid1(VALU_DEP_1)
	v_cvt_f32_i32_dpp v16, v16 row_shr:2 row_mask:0xf bank_mask:0xf bound_ctrl:1
	v_add_f32_e32 v10, v9, v16
	v_cvt_i32_f32_e32 v9, v5
	ds_bpermute_b32 v18, v60, v17
	v_cvt_i32_f32_e32 v16, v10
	v_cvt_f32_i32_dpp v9, v9 row_shr:1 row_mask:0xf bank_mask:0xf bound_ctrl:1
	s_delay_alu instid0(VALU_DEP_2) | instskip(NEXT) | instid1(VALU_DEP_2)
	v_cvt_f32_i32_dpp v16, v16 row_shr:1 row_mask:0xf bank_mask:0xf bound_ctrl:1
	v_add_f32_e32 v15, v5, v9
	v_add_f32_e32 v9, v7, v12
	;; [unrolled: 1-line block ×3, first 2 shown]
	ds_bpermute_b32 v12, v60, v11
	v_add_f32_e32 v5, v10, v16
	ds_bpermute_b32 v16, v60, v15
	ds_bpermute_b32 v10, v60, v9
	;; [unrolled: 1-line block ×4, first 2 shown]
	s_and_saveexec_b32 s5, s0
	s_cbranch_execz .LBB303_161
; %bb.39:                               ;   in Loop: Header=BB303_13 Depth=1
	v_dual_mov_b32 v75, 0 :: v_dual_mov_b32 v74, 0
	v_dual_mov_b32 v73, 0 :: v_dual_mov_b32 v72, 0
	;; [unrolled: 1-line block ×9, first 2 shown]
	v_mov_b32_e32 v31, 0
	v_mov_b32_e32 v21, 0
	s_and_not1_b32 vcc_lo, exec_lo, s25
	s_cbranch_vccnz .LBB303_41
; %bb.40:                               ;   in Loop: Header=BB303_13 Depth=1
	v_mul_hi_u32 v21, v41, v61
	v_mul_hi_u32 v26, v47, v61
	;; [unrolled: 1-line block ×4, first 2 shown]
	v_mov_b32_e32 v78, v43
	v_mov_b32_e32 v94, v43
	v_mul_lo_u32 v21, v21, s16
	v_mul_lo_u32 v26, v26, s16
	;; [unrolled: 1-line block ×4, first 2 shown]
	s_delay_alu instid0(VALU_DEP_4) | instskip(NEXT) | instid1(VALU_DEP_4)
	v_sub_nc_u32_e32 v21, v41, v21
	v_sub_nc_u32_e32 v26, v47, v26
	s_delay_alu instid0(VALU_DEP_4) | instskip(NEXT) | instid1(VALU_DEP_4)
	v_sub_nc_u32_e32 v31, v46, v31
	v_sub_nc_u32_e32 v34, v45, v34
	s_delay_alu instid0(VALU_DEP_4)
	v_subrev_nc_u32_e32 v39, s16, v21
	v_cmp_le_u32_e32 vcc_lo, s16, v21
	v_mov_b32_e32 v68, v43
	v_subrev_nc_u32_e32 v42, s16, v26
	v_subrev_nc_u32_e32 v52, s16, v31
	;; [unrolled: 1-line block ×3, first 2 shown]
	v_cndmask_b32_e32 v21, v21, v39, vcc_lo
	v_cmp_le_u32_e32 vcc_lo, s16, v26
	v_mov_b32_e32 v65, v43
	s_delay_alu instid0(VALU_DEP_3) | instskip(SKIP_4) | instid1(VALU_DEP_4)
	v_subrev_nc_u32_e32 v39, s16, v21
	v_cndmask_b32_e32 v26, v26, v42, vcc_lo
	v_cmp_le_u32_e32 vcc_lo, s16, v31
	v_cndmask_b32_e32 v31, v31, v52, vcc_lo
	v_cmp_le_u32_e32 vcc_lo, s16, v34
	v_subrev_nc_u32_e32 v52, s16, v26
	v_cndmask_b32_e32 v34, v34, v55, vcc_lo
	v_cmp_le_u32_e32 vcc_lo, s16, v21
	v_subrev_nc_u32_e32 v55, s16, v31
	s_delay_alu instid0(VALU_DEP_3) | instskip(SKIP_2) | instid1(VALU_DEP_2)
	v_subrev_nc_u32_e32 v57, s16, v34
	v_cndmask_b32_e32 v42, v21, v39, vcc_lo
	v_cmp_le_u32_e32 vcc_lo, s16, v26
	v_lshlrev_b64 v[71:72], 1, v[42:43]
	v_cndmask_b32_e32 v64, v26, v52, vcc_lo
	v_cmp_le_u32_e32 vcc_lo, s16, v31
	v_add_nc_u32_e32 v77, s26, v42
	v_cndmask_b32_e32 v67, v31, v55, vcc_lo
	v_cmp_le_u32_e32 vcc_lo, s16, v34
	v_lshlrev_b64 v[65:66], 1, v[64:65]
	v_dual_mov_b32 v70, v43 :: v_dual_add_nc_u32 v93, s27, v64
	s_delay_alu instid0(VALU_DEP_4)
	v_lshlrev_b64 v[73:74], 1, v[67:68]
	v_cndmask_b32_e32 v69, v34, v57, vcc_lo
	v_add_co_u32 v71, vcc_lo, s6, v71
	v_add_co_ci_u32_e32 v72, vcc_lo, s7, v72, vcc_lo
	v_add_co_u32 v65, vcc_lo, s6, v65
	v_add_co_ci_u32_e32 v66, vcc_lo, s7, v66, vcc_lo
	v_lshlrev_b64 v[75:76], 1, v[69:70]
	v_add_co_u32 v81, vcc_lo, s6, v73
	v_add_co_ci_u32_e32 v82, vcc_lo, s7, v74, vcc_lo
	v_lshlrev_b64 v[73:74], 1, v[77:78]
	v_add_nc_u32_e32 v77, s26, v64
	v_add_co_u32 v83, vcc_lo, s6, v75
	v_add_co_ci_u32_e32 v84, vcc_lo, s7, v76, vcc_lo
	s_delay_alu instid0(VALU_DEP_3) | instskip(SKIP_3) | instid1(VALU_DEP_3)
	v_lshlrev_b64 v[75:76], 1, v[77:78]
	v_add_nc_u32_e32 v77, s26, v67
	v_add_co_u32 v85, vcc_lo, s6, v73
	v_add_co_ci_u32_e32 v86, vcc_lo, s7, v74, vcc_lo
	v_lshlrev_b64 v[73:74], 1, v[77:78]
	v_add_nc_u32_e32 v77, s26, v69
	v_add_co_u32 v87, vcc_lo, s6, v75
	v_add_co_ci_u32_e32 v88, vcc_lo, s7, v76, vcc_lo
	s_delay_alu instid0(VALU_DEP_3) | instskip(SKIP_3) | instid1(VALU_DEP_4)
	v_lshlrev_b64 v[75:76], 1, v[77:78]
	v_add_co_u32 v77, vcc_lo, s6, v73
	v_add_co_ci_u32_e32 v78, vcc_lo, s7, v74, vcc_lo
	v_dual_mov_b32 v74, v43 :: v_dual_add_nc_u32 v73, s27, v42
	v_add_co_u32 v89, vcc_lo, s6, v75
	v_add_co_ci_u32_e32 v90, vcc_lo, s7, v76, vcc_lo
	s_delay_alu instid0(VALU_DEP_3)
	v_lshlrev_b64 v[91:92], 1, v[73:74]
	s_clause 0x7
	global_load_u16 v75, v[71:72], off
	global_load_u16 v74, v[65:66], off
	global_load_u16 v73, v[81:82], off
	global_load_u16 v72, v[83:84], off
	global_load_u16 v71, v[85:86], off
	global_load_u16 v70, v[87:88], off
	global_load_u16 v68, v[77:78], off
	global_load_u16 v66, v[89:90], off
	v_dual_mov_b32 v82, v43 :: v_dual_add_nc_u32 v81, s27, v67
	v_mov_b32_e32 v88, v43
	v_mov_b32_e32 v86, v43
	v_lshlrev_b64 v[76:77], 1, v[93:94]
	v_dual_mov_b32 v90, v43 :: v_dual_add_nc_u32 v85, s27, v69
	v_add_co_u32 v83, vcc_lo, s6, v91
	v_lshlrev_b64 v[81:82], 1, v[81:82]
	v_add_nc_u32_e32 v87, s28, v42
	v_add_co_ci_u32_e32 v84, vcc_lo, s7, v92, vcc_lo
	v_mov_b32_e32 v92, v43
	v_add_co_u32 v76, vcc_lo, s6, v76
	v_lshlrev_b64 v[85:86], 1, v[85:86]
	v_add_nc_u32_e32 v89, s28, v64
	v_add_co_ci_u32_e32 v77, vcc_lo, s7, v77, vcc_lo
	v_add_co_u32 v81, vcc_lo, s6, v81
	v_lshlrev_b64 v[87:88], 1, v[87:88]
	v_add_nc_u32_e32 v91, s28, v67
	v_add_co_ci_u32_e32 v82, vcc_lo, s7, v82, vcc_lo
	v_add_co_u32 v85, vcc_lo, s6, v85
	v_lshlrev_b64 v[89:90], 1, v[89:90]
	v_add_nc_u32_e32 v42, s31, v42
	v_add_nc_u32_e32 v93, s28, v69
	v_add_co_ci_u32_e32 v86, vcc_lo, s7, v86, vcc_lo
	v_add_co_u32 v87, vcc_lo, s6, v87
	v_lshlrev_b64 v[91:92], 1, v[91:92]
	v_add_co_ci_u32_e32 v88, vcc_lo, s7, v88, vcc_lo
	v_lshlrev_b64 v[95:96], 1, v[42:43]
	v_add_nc_u32_e32 v42, s31, v64
	v_add_co_u32 v89, vcc_lo, s6, v89
	v_lshlrev_b64 v[93:94], 1, v[93:94]
	v_add_co_ci_u32_e32 v90, vcc_lo, s7, v90, vcc_lo
	v_add_co_u32 v91, vcc_lo, s6, v91
	v_lshlrev_b64 v[64:65], 1, v[42:43]
	v_add_nc_u32_e32 v42, s31, v67
	v_add_co_ci_u32_e32 v92, vcc_lo, s7, v92, vcc_lo
	v_add_co_u32 v93, vcc_lo, s6, v93
	v_add_co_ci_u32_e32 v94, vcc_lo, s7, v94, vcc_lo
	v_add_co_u32 v95, vcc_lo, s6, v95
	v_lshlrev_b64 v[97:98], 1, v[42:43]
	v_add_nc_u32_e32 v42, s31, v69
	v_add_co_ci_u32_e32 v96, vcc_lo, s7, v96, vcc_lo
	v_add_co_u32 v99, vcc_lo, s6, v64
	v_add_co_ci_u32_e32 v100, vcc_lo, s7, v65, vcc_lo
	s_delay_alu instid0(VALU_DEP_4) | instskip(SKIP_2) | instid1(VALU_DEP_3)
	v_lshlrev_b64 v[64:65], 1, v[42:43]
	v_add_co_u32 v97, vcc_lo, s6, v97
	v_add_co_ci_u32_e32 v98, vcc_lo, s7, v98, vcc_lo
	v_add_co_u32 v101, vcc_lo, s6, v64
	s_delay_alu instid0(VALU_DEP_4)
	v_add_co_ci_u32_e32 v102, vcc_lo, s7, v65, vcc_lo
	s_clause 0xb
	global_load_u16 v69, v[83:84], off
	global_load_u16 v67, v[76:77], off
	;; [unrolled: 1-line block ×12, first 2 shown]
.LBB303_41:                             ;   in Loop: Header=BB303_13 Depth=1
	v_cmp_ne_u32_e32 vcc_lo, 0, v1
	s_and_saveexec_b32 s2, vcc_lo
	s_cbranch_execnz .LBB303_61
; %bb.42:                               ;   in Loop: Header=BB303_13 Depth=1
	s_or_b32 exec_lo, exec_lo, s2
	v_cmp_ne_u32_e64 s1, 0, v2
	s_delay_alu instid0(VALU_DEP_1)
	s_and_saveexec_b32 s3, s1
	s_cbranch_execnz .LBB303_66
.LBB303_43:                             ;   in Loop: Header=BB303_13 Depth=1
	s_or_b32 exec_lo, exec_lo, s3
	v_cmp_ne_u32_e64 s2, 0, v3
	s_delay_alu instid0(VALU_DEP_1)
	s_and_saveexec_b32 s4, s2
	s_cbranch_execnz .LBB303_71
.LBB303_44:                             ;   in Loop: Header=BB303_13 Depth=1
	s_or_b32 exec_lo, exec_lo, s4
	v_cmp_ne_u32_e64 s3, 0, v4
	s_delay_alu instid0(VALU_DEP_1)
	s_and_saveexec_b32 s34, s3
	s_cbranch_execnz .LBB303_76
.LBB303_45:                             ;   in Loop: Header=BB303_13 Depth=1
	s_or_b32 exec_lo, exec_lo, s34
	v_add_nc_u32_e32 v42, s11, v41
	s_and_saveexec_b32 s34, vcc_lo
	s_cbranch_execnz .LBB303_81
.LBB303_46:                             ;   in Loop: Header=BB303_13 Depth=1
	s_or_b32 exec_lo, exec_lo, s34
	s_and_saveexec_b32 s34, s1
	s_cbranch_execnz .LBB303_86
.LBB303_47:                             ;   in Loop: Header=BB303_13 Depth=1
	s_or_b32 exec_lo, exec_lo, s34
	s_and_saveexec_b32 s34, s2
	s_cbranch_execnz .LBB303_91
.LBB303_48:                             ;   in Loop: Header=BB303_13 Depth=1
	s_or_b32 exec_lo, exec_lo, s34
	s_and_saveexec_b32 s34, s3
	s_cbranch_execnz .LBB303_96
.LBB303_49:                             ;   in Loop: Header=BB303_13 Depth=1
	s_or_b32 exec_lo, exec_lo, s34
	v_add_nc_u32_e32 v42, s11, v42
	s_and_saveexec_b32 s34, vcc_lo
	s_cbranch_execnz .LBB303_101
.LBB303_50:                             ;   in Loop: Header=BB303_13 Depth=1
	s_or_b32 exec_lo, exec_lo, s34
	s_and_saveexec_b32 s34, s1
	s_cbranch_execnz .LBB303_106
.LBB303_51:                             ;   in Loop: Header=BB303_13 Depth=1
	s_or_b32 exec_lo, exec_lo, s34
	s_and_saveexec_b32 s34, s2
	s_cbranch_execnz .LBB303_111
.LBB303_52:                             ;   in Loop: Header=BB303_13 Depth=1
	s_or_b32 exec_lo, exec_lo, s34
	s_and_saveexec_b32 s34, s3
	s_cbranch_execnz .LBB303_116
.LBB303_53:                             ;   in Loop: Header=BB303_13 Depth=1
	s_or_b32 exec_lo, exec_lo, s34
	v_add_nc_u32_e32 v42, s11, v42
	s_and_saveexec_b32 s34, vcc_lo
	s_cbranch_execnz .LBB303_121
.LBB303_54:                             ;   in Loop: Header=BB303_13 Depth=1
	s_or_b32 exec_lo, exec_lo, s34
	s_and_saveexec_b32 s34, s1
	s_cbranch_execnz .LBB303_126
.LBB303_55:                             ;   in Loop: Header=BB303_13 Depth=1
	s_or_b32 exec_lo, exec_lo, s34
	s_and_saveexec_b32 s34, s2
	s_cbranch_execnz .LBB303_131
.LBB303_56:                             ;   in Loop: Header=BB303_13 Depth=1
	s_or_b32 exec_lo, exec_lo, s34
	s_and_saveexec_b32 s34, s3
	s_cbranch_execnz .LBB303_136
.LBB303_57:                             ;   in Loop: Header=BB303_13 Depth=1
	s_or_b32 exec_lo, exec_lo, s34
	v_add_nc_u32_e32 v42, s11, v42
	s_and_saveexec_b32 s4, vcc_lo
	s_cbranch_execnz .LBB303_141
.LBB303_58:                             ;   in Loop: Header=BB303_13 Depth=1
	s_or_b32 exec_lo, exec_lo, s4
	s_and_saveexec_b32 s4, s1
	s_cbranch_execnz .LBB303_146
.LBB303_59:                             ;   in Loop: Header=BB303_13 Depth=1
	s_or_b32 exec_lo, exec_lo, s4
	s_and_saveexec_b32 s1, s2
	s_cbranch_execnz .LBB303_151
.LBB303_60:                             ;   in Loop: Header=BB303_13 Depth=1
	s_or_b32 exec_lo, exec_lo, s1
	s_delay_alu instid0(SALU_CYCLE_1)
	s_and_b32 exec_lo, exec_lo, s3
	s_cbranch_execnz .LBB303_156
	s_branch .LBB303_161
.LBB303_61:                             ;   in Loop: Header=BB303_13 Depth=1
	s_waitcnt vmcnt(19) lgkmcnt(0)
	v_dual_add_f32 v42, v79, v80 :: v_dual_lshlrev_b32 v75, 16, v75
	s_delay_alu instid0(VALU_DEP_1) | instskip(NEXT) | instid1(VALU_DEP_1)
	v_add_f32_e32 v42, v42, v75
	v_and_b32_e32 v75, 0x7f800000, v42
	s_delay_alu instid0(VALU_DEP_1) | instskip(NEXT) | instid1(VALU_DEP_1)
	v_cmp_ne_u32_e64 s1, 0x7f800000, v75
                                        ; implicit-def: $vgpr75
	s_and_saveexec_b32 s3, s1
	s_delay_alu instid0(SALU_CYCLE_1)
	s_xor_b32 s1, exec_lo, s3
; %bb.62:                               ;   in Loop: Header=BB303_13 Depth=1
	v_bfe_u32 v75, v42, 16, 1
	s_delay_alu instid0(VALU_DEP_1)
	v_add3_u32 v75, v42, v75, 0x7fff
                                        ; implicit-def: $vgpr42
; %bb.63:                               ;   in Loop: Header=BB303_13 Depth=1
	s_and_not1_saveexec_b32 s3, s1
; %bb.64:                               ;   in Loop: Header=BB303_13 Depth=1
	v_and_b32_e32 v75, 0xffff, v42
	v_or_b32_e32 v76, 0x10000, v42
	s_delay_alu instid0(VALU_DEP_2) | instskip(NEXT) | instid1(VALU_DEP_1)
	v_cmp_eq_u32_e64 s1, 0, v75
	v_cndmask_b32_e64 v75, v76, v42, s1
; %bb.65:                               ;   in Loop: Header=BB303_13 Depth=1
	s_or_b32 exec_lo, exec_lo, s3
	v_mov_b32_e32 v42, v43
	s_delay_alu instid0(VALU_DEP_1) | instskip(NEXT) | instid1(VALU_DEP_1)
	v_lshlrev_b64 v[76:77], 1, v[41:42]
	v_add_co_u32 v76, s1, s18, v76
	s_delay_alu instid0(VALU_DEP_1) | instskip(SKIP_3) | instid1(VALU_DEP_1)
	v_add_co_ci_u32_e64 v77, s1, s19, v77, s1
	global_store_d16_hi_b16 v[76:77], v75, off
	s_or_b32 exec_lo, exec_lo, s2
	v_cmp_ne_u32_e64 s1, 0, v2
	s_and_saveexec_b32 s3, s1
	s_cbranch_execz .LBB303_43
.LBB303_66:                             ;   in Loop: Header=BB303_13 Depth=1
	s_waitcnt lgkmcnt(0)
	v_add_f32_e32 v42, v48, v56
	s_waitcnt vmcnt(18)
	v_lshlrev_b32_e32 v48, 16, v74
	s_delay_alu instid0(VALU_DEP_1) | instskip(NEXT) | instid1(VALU_DEP_1)
	v_add_f32_e32 v48, v42, v48
	v_and_b32_e32 v42, 0x7f800000, v48
	s_delay_alu instid0(VALU_DEP_1) | instskip(NEXT) | instid1(VALU_DEP_1)
	v_cmp_ne_u32_e64 s2, 0x7f800000, v42
                                        ; implicit-def: $vgpr42
	s_and_saveexec_b32 s4, s2
	s_delay_alu instid0(SALU_CYCLE_1)
	s_xor_b32 s2, exec_lo, s4
; %bb.67:                               ;   in Loop: Header=BB303_13 Depth=1
	v_bfe_u32 v42, v48, 16, 1
	s_delay_alu instid0(VALU_DEP_1)
	v_add3_u32 v42, v48, v42, 0x7fff
                                        ; implicit-def: $vgpr48
; %bb.68:                               ;   in Loop: Header=BB303_13 Depth=1
	s_and_not1_saveexec_b32 s4, s2
; %bb.69:                               ;   in Loop: Header=BB303_13 Depth=1
	v_and_b32_e32 v42, 0xffff, v48
	v_or_b32_e32 v56, 0x10000, v48
	s_delay_alu instid0(VALU_DEP_2) | instskip(NEXT) | instid1(VALU_DEP_1)
	v_cmp_eq_u32_e64 s2, 0, v42
	v_cndmask_b32_e64 v42, v56, v48, s2
; %bb.70:                               ;   in Loop: Header=BB303_13 Depth=1
	s_or_b32 exec_lo, exec_lo, s4
	v_mov_b32_e32 v48, v43
	s_delay_alu instid0(VALU_DEP_1) | instskip(NEXT) | instid1(VALU_DEP_1)
	v_lshlrev_b64 v[47:48], 1, v[47:48]
	v_add_co_u32 v47, s2, s18, v47
	s_delay_alu instid0(VALU_DEP_1) | instskip(SKIP_3) | instid1(VALU_DEP_1)
	v_add_co_ci_u32_e64 v48, s2, s19, v48, s2
	global_store_d16_hi_b16 v[47:48], v42, off
	s_or_b32 exec_lo, exec_lo, s3
	v_cmp_ne_u32_e64 s2, 0, v3
	s_and_saveexec_b32 s4, s2
	s_cbranch_execz .LBB303_44
.LBB303_71:                             ;   in Loop: Header=BB303_13 Depth=1
	s_waitcnt vmcnt(17) lgkmcnt(0)
	v_dual_add_f32 v42, v53, v54 :: v_dual_lshlrev_b32 v47, 16, v73
	s_delay_alu instid0(VALU_DEP_1) | instskip(NEXT) | instid1(VALU_DEP_1)
	v_add_f32_e32 v47, v42, v47
	v_and_b32_e32 v42, 0x7f800000, v47
	s_delay_alu instid0(VALU_DEP_1) | instskip(NEXT) | instid1(VALU_DEP_1)
	v_cmp_ne_u32_e64 s3, 0x7f800000, v42
                                        ; implicit-def: $vgpr42
	s_and_saveexec_b32 s34, s3
	s_delay_alu instid0(SALU_CYCLE_1)
	s_xor_b32 s3, exec_lo, s34
; %bb.72:                               ;   in Loop: Header=BB303_13 Depth=1
	v_bfe_u32 v42, v47, 16, 1
	s_delay_alu instid0(VALU_DEP_1)
	v_add3_u32 v42, v47, v42, 0x7fff
                                        ; implicit-def: $vgpr47
; %bb.73:                               ;   in Loop: Header=BB303_13 Depth=1
	s_and_not1_saveexec_b32 s34, s3
; %bb.74:                               ;   in Loop: Header=BB303_13 Depth=1
	v_and_b32_e32 v42, 0xffff, v47
	v_or_b32_e32 v48, 0x10000, v47
	s_delay_alu instid0(VALU_DEP_2) | instskip(NEXT) | instid1(VALU_DEP_1)
	v_cmp_eq_u32_e64 s3, 0, v42
	v_cndmask_b32_e64 v42, v48, v47, s3
; %bb.75:                               ;   in Loop: Header=BB303_13 Depth=1
	s_or_b32 exec_lo, exec_lo, s34
	v_mov_b32_e32 v47, v43
	s_delay_alu instid0(VALU_DEP_1) | instskip(NEXT) | instid1(VALU_DEP_1)
	v_lshlrev_b64 v[46:47], 1, v[46:47]
	v_add_co_u32 v46, s3, s18, v46
	s_delay_alu instid0(VALU_DEP_1) | instskip(SKIP_3) | instid1(VALU_DEP_1)
	v_add_co_ci_u32_e64 v47, s3, s19, v47, s3
	global_store_d16_hi_b16 v[46:47], v42, off
	s_or_b32 exec_lo, exec_lo, s4
	v_cmp_ne_u32_e64 s3, 0, v4
	s_and_saveexec_b32 s34, s3
	s_cbranch_execz .LBB303_45
.LBB303_76:                             ;   in Loop: Header=BB303_13 Depth=1
	s_waitcnt lgkmcnt(0)
	v_add_f32_e32 v42, v50, v51
	s_waitcnt vmcnt(16)
	v_lshlrev_b32_e32 v46, 16, v72
	s_delay_alu instid0(VALU_DEP_1) | instskip(NEXT) | instid1(VALU_DEP_1)
	v_add_f32_e32 v46, v42, v46
	v_and_b32_e32 v42, 0x7f800000, v46
	s_delay_alu instid0(VALU_DEP_1) | instskip(NEXT) | instid1(VALU_DEP_1)
	v_cmp_ne_u32_e64 s4, 0x7f800000, v42
                                        ; implicit-def: $vgpr42
	s_and_saveexec_b32 s35, s4
	s_delay_alu instid0(SALU_CYCLE_1)
	s_xor_b32 s4, exec_lo, s35
; %bb.77:                               ;   in Loop: Header=BB303_13 Depth=1
	v_bfe_u32 v42, v46, 16, 1
	s_delay_alu instid0(VALU_DEP_1)
	v_add3_u32 v42, v46, v42, 0x7fff
                                        ; implicit-def: $vgpr46
; %bb.78:                               ;   in Loop: Header=BB303_13 Depth=1
	s_and_not1_saveexec_b32 s35, s4
; %bb.79:                               ;   in Loop: Header=BB303_13 Depth=1
	v_and_b32_e32 v42, 0xffff, v46
	v_or_b32_e32 v47, 0x10000, v46
	s_delay_alu instid0(VALU_DEP_2) | instskip(NEXT) | instid1(VALU_DEP_1)
	v_cmp_eq_u32_e64 s4, 0, v42
	v_cndmask_b32_e64 v42, v47, v46, s4
; %bb.80:                               ;   in Loop: Header=BB303_13 Depth=1
	s_or_b32 exec_lo, exec_lo, s35
	v_mov_b32_e32 v46, v43
	s_delay_alu instid0(VALU_DEP_1) | instskip(NEXT) | instid1(VALU_DEP_1)
	v_lshlrev_b64 v[45:46], 1, v[45:46]
	v_add_co_u32 v45, s4, s18, v45
	s_delay_alu instid0(VALU_DEP_1)
	v_add_co_ci_u32_e64 v46, s4, s19, v46, s4
	global_store_d16_hi_b16 v[45:46], v42, off
	s_or_b32 exec_lo, exec_lo, s34
	v_add_nc_u32_e32 v42, s11, v41
	s_and_saveexec_b32 s34, vcc_lo
	s_cbranch_execz .LBB303_46
.LBB303_81:                             ;   in Loop: Header=BB303_13 Depth=1
	s_waitcnt vmcnt(15) lgkmcnt(0)
	v_dual_add_f32 v37, v37, v38 :: v_dual_lshlrev_b32 v38, 16, v71
	s_delay_alu instid0(VALU_DEP_1) | instskip(NEXT) | instid1(VALU_DEP_1)
	v_add_f32_e32 v38, v37, v38
	v_and_b32_e32 v37, 0x7f800000, v38
	s_delay_alu instid0(VALU_DEP_1) | instskip(NEXT) | instid1(VALU_DEP_1)
	v_cmp_ne_u32_e64 s4, 0x7f800000, v37
                                        ; implicit-def: $vgpr37
	s_and_saveexec_b32 s35, s4
	s_delay_alu instid0(SALU_CYCLE_1)
	s_xor_b32 s4, exec_lo, s35
; %bb.82:                               ;   in Loop: Header=BB303_13 Depth=1
	v_bfe_u32 v37, v38, 16, 1
	s_delay_alu instid0(VALU_DEP_1)
	v_add3_u32 v37, v38, v37, 0x7fff
                                        ; implicit-def: $vgpr38
; %bb.83:                               ;   in Loop: Header=BB303_13 Depth=1
	s_and_not1_saveexec_b32 s35, s4
; %bb.84:                               ;   in Loop: Header=BB303_13 Depth=1
	v_and_b32_e32 v37, 0xffff, v38
	v_or_b32_e32 v45, 0x10000, v38
	s_delay_alu instid0(VALU_DEP_2) | instskip(NEXT) | instid1(VALU_DEP_1)
	v_cmp_eq_u32_e64 s4, 0, v37
	v_cndmask_b32_e64 v37, v45, v38, s4
; %bb.85:                               ;   in Loop: Header=BB303_13 Depth=1
	s_or_b32 exec_lo, exec_lo, s35
	v_lshlrev_b64 v[45:46], 1, v[42:43]
	s_delay_alu instid0(VALU_DEP_1) | instskip(NEXT) | instid1(VALU_DEP_1)
	v_add_co_u32 v45, s4, s18, v45
	v_add_co_ci_u32_e64 v46, s4, s19, v46, s4
	global_store_d16_hi_b16 v[45:46], v37, off
	s_or_b32 exec_lo, exec_lo, s34
	s_and_saveexec_b32 s34, s1
	s_cbranch_execz .LBB303_47
.LBB303_86:                             ;   in Loop: Header=BB303_13 Depth=1
	s_waitcnt vmcnt(14) lgkmcnt(0)
	v_dual_add_f32 v37, v40, v49 :: v_dual_lshlrev_b32 v38, 16, v70
	s_delay_alu instid0(VALU_DEP_1) | instskip(NEXT) | instid1(VALU_DEP_1)
	v_add_f32_e32 v38, v37, v38
	v_and_b32_e32 v37, 0x7f800000, v38
	s_delay_alu instid0(VALU_DEP_1) | instskip(NEXT) | instid1(VALU_DEP_1)
	v_cmp_ne_u32_e64 s4, 0x7f800000, v37
                                        ; implicit-def: $vgpr37
	s_and_saveexec_b32 s35, s4
	s_delay_alu instid0(SALU_CYCLE_1)
	s_xor_b32 s4, exec_lo, s35
; %bb.87:                               ;   in Loop: Header=BB303_13 Depth=1
	v_bfe_u32 v37, v38, 16, 1
	s_delay_alu instid0(VALU_DEP_1)
	v_add3_u32 v37, v38, v37, 0x7fff
                                        ; implicit-def: $vgpr38
; %bb.88:                               ;   in Loop: Header=BB303_13 Depth=1
	s_and_not1_saveexec_b32 s35, s4
; %bb.89:                               ;   in Loop: Header=BB303_13 Depth=1
	v_and_b32_e32 v37, 0xffff, v38
	v_or_b32_e32 v40, 0x10000, v38
	s_delay_alu instid0(VALU_DEP_2) | instskip(NEXT) | instid1(VALU_DEP_1)
	v_cmp_eq_u32_e64 s4, 0, v37
	v_cndmask_b32_e64 v37, v40, v38, s4
; %bb.90:                               ;   in Loop: Header=BB303_13 Depth=1
	s_or_b32 exec_lo, exec_lo, s35
	v_dual_mov_b32 v46, v43 :: v_dual_add_nc_u32 v45, 1, v42
	s_delay_alu instid0(VALU_DEP_1) | instskip(NEXT) | instid1(VALU_DEP_1)
	v_lshlrev_b64 v[45:46], 1, v[45:46]
	v_add_co_u32 v45, s4, s18, v45
	s_delay_alu instid0(VALU_DEP_1)
	v_add_co_ci_u32_e64 v46, s4, s19, v46, s4
	global_store_d16_hi_b16 v[45:46], v37, off
	s_or_b32 exec_lo, exec_lo, s34
	s_and_saveexec_b32 s34, s2
	s_cbranch_execz .LBB303_48
.LBB303_91:                             ;   in Loop: Header=BB303_13 Depth=1
	s_waitcnt lgkmcnt(0)
	v_add_f32_e32 v35, v35, v36
	s_waitcnt vmcnt(13)
	v_lshlrev_b32_e32 v36, 16, v68
	s_delay_alu instid0(VALU_DEP_1) | instskip(NEXT) | instid1(VALU_DEP_1)
	v_add_f32_e32 v36, v35, v36
	v_and_b32_e32 v35, 0x7f800000, v36
	s_delay_alu instid0(VALU_DEP_1) | instskip(NEXT) | instid1(VALU_DEP_1)
	v_cmp_ne_u32_e64 s4, 0x7f800000, v35
                                        ; implicit-def: $vgpr35
	s_and_saveexec_b32 s35, s4
	s_delay_alu instid0(SALU_CYCLE_1)
	s_xor_b32 s4, exec_lo, s35
; %bb.92:                               ;   in Loop: Header=BB303_13 Depth=1
	v_bfe_u32 v35, v36, 16, 1
	s_delay_alu instid0(VALU_DEP_1)
	v_add3_u32 v35, v36, v35, 0x7fff
                                        ; implicit-def: $vgpr36
; %bb.93:                               ;   in Loop: Header=BB303_13 Depth=1
	s_and_not1_saveexec_b32 s35, s4
; %bb.94:                               ;   in Loop: Header=BB303_13 Depth=1
	v_and_b32_e32 v35, 0xffff, v36
	v_or_b32_e32 v37, 0x10000, v36
	s_delay_alu instid0(VALU_DEP_2) | instskip(NEXT) | instid1(VALU_DEP_1)
	v_cmp_eq_u32_e64 s4, 0, v35
	v_cndmask_b32_e64 v35, v37, v36, s4
; %bb.95:                               ;   in Loop: Header=BB303_13 Depth=1
	s_or_b32 exec_lo, exec_lo, s35
	v_dual_mov_b32 v37, v43 :: v_dual_add_nc_u32 v36, 2, v42
	s_delay_alu instid0(VALU_DEP_1) | instskip(NEXT) | instid1(VALU_DEP_1)
	v_lshlrev_b64 v[36:37], 1, v[36:37]
	v_add_co_u32 v36, s4, s18, v36
	s_delay_alu instid0(VALU_DEP_1)
	v_add_co_ci_u32_e64 v37, s4, s19, v37, s4
	global_store_d16_hi_b16 v[36:37], v35, off
	s_or_b32 exec_lo, exec_lo, s34
	s_and_saveexec_b32 s34, s3
	s_cbranch_execz .LBB303_49
.LBB303_96:                             ;   in Loop: Header=BB303_13 Depth=1
	s_waitcnt vmcnt(12) lgkmcnt(0)
	v_dual_add_f32 v32, v32, v33 :: v_dual_lshlrev_b32 v33, 16, v66
	s_delay_alu instid0(VALU_DEP_1) | instskip(NEXT) | instid1(VALU_DEP_1)
	v_add_f32_e32 v33, v32, v33
	v_and_b32_e32 v32, 0x7f800000, v33
	s_delay_alu instid0(VALU_DEP_1) | instskip(NEXT) | instid1(VALU_DEP_1)
	v_cmp_ne_u32_e64 s4, 0x7f800000, v32
                                        ; implicit-def: $vgpr32
	s_and_saveexec_b32 s35, s4
	s_delay_alu instid0(SALU_CYCLE_1)
	s_xor_b32 s4, exec_lo, s35
; %bb.97:                               ;   in Loop: Header=BB303_13 Depth=1
	v_bfe_u32 v32, v33, 16, 1
	s_delay_alu instid0(VALU_DEP_1)
	v_add3_u32 v32, v33, v32, 0x7fff
                                        ; implicit-def: $vgpr33
; %bb.98:                               ;   in Loop: Header=BB303_13 Depth=1
	s_and_not1_saveexec_b32 s35, s4
; %bb.99:                               ;   in Loop: Header=BB303_13 Depth=1
	v_and_b32_e32 v32, 0xffff, v33
	v_or_b32_e32 v35, 0x10000, v33
	s_delay_alu instid0(VALU_DEP_2) | instskip(NEXT) | instid1(VALU_DEP_1)
	v_cmp_eq_u32_e64 s4, 0, v32
	v_cndmask_b32_e64 v32, v35, v33, s4
; %bb.100:                              ;   in Loop: Header=BB303_13 Depth=1
	s_or_b32 exec_lo, exec_lo, s35
	v_dual_mov_b32 v36, v43 :: v_dual_add_nc_u32 v35, 3, v42
	s_delay_alu instid0(VALU_DEP_1) | instskip(NEXT) | instid1(VALU_DEP_1)
	v_lshlrev_b64 v[35:36], 1, v[35:36]
	v_add_co_u32 v35, s4, s18, v35
	s_delay_alu instid0(VALU_DEP_1)
	v_add_co_ci_u32_e64 v36, s4, s19, v36, s4
	global_store_d16_hi_b16 v[35:36], v32, off
	s_or_b32 exec_lo, exec_lo, s34
	v_add_nc_u32_e32 v42, s11, v42
	s_and_saveexec_b32 s34, vcc_lo
	s_cbranch_execz .LBB303_50
.LBB303_101:                            ;   in Loop: Header=BB303_13 Depth=1
	s_waitcnt vmcnt(11) lgkmcnt(0)
	v_dual_add_f32 v29, v29, v30 :: v_dual_lshlrev_b32 v30, 16, v69
	s_delay_alu instid0(VALU_DEP_1) | instskip(NEXT) | instid1(VALU_DEP_1)
	v_add_f32_e32 v30, v29, v30
	v_and_b32_e32 v29, 0x7f800000, v30
	s_delay_alu instid0(VALU_DEP_1) | instskip(NEXT) | instid1(VALU_DEP_1)
	v_cmp_ne_u32_e64 s4, 0x7f800000, v29
                                        ; implicit-def: $vgpr29
	s_and_saveexec_b32 s35, s4
	s_delay_alu instid0(SALU_CYCLE_1)
	s_xor_b32 s4, exec_lo, s35
; %bb.102:                              ;   in Loop: Header=BB303_13 Depth=1
	v_bfe_u32 v29, v30, 16, 1
	s_delay_alu instid0(VALU_DEP_1)
	v_add3_u32 v29, v30, v29, 0x7fff
                                        ; implicit-def: $vgpr30
; %bb.103:                              ;   in Loop: Header=BB303_13 Depth=1
	s_and_not1_saveexec_b32 s35, s4
; %bb.104:                              ;   in Loop: Header=BB303_13 Depth=1
	v_and_b32_e32 v29, 0xffff, v30
	v_or_b32_e32 v32, 0x10000, v30
	s_delay_alu instid0(VALU_DEP_2) | instskip(NEXT) | instid1(VALU_DEP_1)
	v_cmp_eq_u32_e64 s4, 0, v29
	v_cndmask_b32_e64 v29, v32, v30, s4
; %bb.105:                              ;   in Loop: Header=BB303_13 Depth=1
	s_or_b32 exec_lo, exec_lo, s35
	v_lshlrev_b64 v[32:33], 1, v[42:43]
	s_delay_alu instid0(VALU_DEP_1) | instskip(NEXT) | instid1(VALU_DEP_1)
	v_add_co_u32 v32, s4, s18, v32
	v_add_co_ci_u32_e64 v33, s4, s19, v33, s4
	global_store_d16_hi_b16 v[32:33], v29, off
	s_or_b32 exec_lo, exec_lo, s34
	s_and_saveexec_b32 s34, s1
	s_cbranch_execz .LBB303_51
.LBB303_106:                            ;   in Loop: Header=BB303_13 Depth=1
	s_waitcnt vmcnt(10) lgkmcnt(0)
	v_dual_add_f32 v24, v24, v25 :: v_dual_lshlrev_b32 v25, 16, v67
	s_delay_alu instid0(VALU_DEP_1) | instskip(NEXT) | instid1(VALU_DEP_1)
	v_add_f32_e32 v25, v24, v25
	v_and_b32_e32 v24, 0x7f800000, v25
	s_delay_alu instid0(VALU_DEP_1) | instskip(NEXT) | instid1(VALU_DEP_1)
	v_cmp_ne_u32_e64 s4, 0x7f800000, v24
                                        ; implicit-def: $vgpr24
	s_and_saveexec_b32 s35, s4
	s_delay_alu instid0(SALU_CYCLE_1)
	s_xor_b32 s4, exec_lo, s35
; %bb.107:                              ;   in Loop: Header=BB303_13 Depth=1
	v_bfe_u32 v24, v25, 16, 1
	s_delay_alu instid0(VALU_DEP_1)
	v_add3_u32 v24, v25, v24, 0x7fff
                                        ; implicit-def: $vgpr25
; %bb.108:                              ;   in Loop: Header=BB303_13 Depth=1
	s_and_not1_saveexec_b32 s35, s4
; %bb.109:                              ;   in Loop: Header=BB303_13 Depth=1
	v_and_b32_e32 v24, 0xffff, v25
	v_or_b32_e32 v29, 0x10000, v25
	s_delay_alu instid0(VALU_DEP_2) | instskip(NEXT) | instid1(VALU_DEP_1)
	v_cmp_eq_u32_e64 s4, 0, v24
	v_cndmask_b32_e64 v24, v29, v25, s4
; %bb.110:                              ;   in Loop: Header=BB303_13 Depth=1
	s_or_b32 exec_lo, exec_lo, s35
	v_dual_mov_b32 v30, v43 :: v_dual_add_nc_u32 v29, 1, v42
	s_delay_alu instid0(VALU_DEP_1) | instskip(NEXT) | instid1(VALU_DEP_1)
	v_lshlrev_b64 v[29:30], 1, v[29:30]
	v_add_co_u32 v29, s4, s18, v29
	s_delay_alu instid0(VALU_DEP_1)
	v_add_co_ci_u32_e64 v30, s4, s19, v30, s4
	global_store_d16_hi_b16 v[29:30], v24, off
	s_or_b32 exec_lo, exec_lo, s34
	s_and_saveexec_b32 s34, s2
	s_cbranch_execz .LBB303_52
.LBB303_111:                            ;   in Loop: Header=BB303_13 Depth=1
	s_waitcnt vmcnt(9) lgkmcnt(0)
	v_dual_add_f32 v24, v27, v28 :: v_dual_lshlrev_b32 v25, 16, v65
	s_delay_alu instid0(VALU_DEP_1) | instskip(NEXT) | instid1(VALU_DEP_1)
	v_add_f32_e32 v25, v24, v25
	v_and_b32_e32 v24, 0x7f800000, v25
	s_delay_alu instid0(VALU_DEP_1) | instskip(NEXT) | instid1(VALU_DEP_1)
	v_cmp_ne_u32_e64 s4, 0x7f800000, v24
                                        ; implicit-def: $vgpr24
	s_and_saveexec_b32 s35, s4
	s_delay_alu instid0(SALU_CYCLE_1)
	s_xor_b32 s4, exec_lo, s35
; %bb.112:                              ;   in Loop: Header=BB303_13 Depth=1
	v_bfe_u32 v24, v25, 16, 1
	s_delay_alu instid0(VALU_DEP_1)
	v_add3_u32 v24, v25, v24, 0x7fff
                                        ; implicit-def: $vgpr25
; %bb.113:                              ;   in Loop: Header=BB303_13 Depth=1
	s_and_not1_saveexec_b32 s35, s4
; %bb.114:                              ;   in Loop: Header=BB303_13 Depth=1
	v_and_b32_e32 v24, 0xffff, v25
	v_or_b32_e32 v27, 0x10000, v25
	s_delay_alu instid0(VALU_DEP_2) | instskip(NEXT) | instid1(VALU_DEP_1)
	v_cmp_eq_u32_e64 s4, 0, v24
	v_cndmask_b32_e64 v24, v27, v25, s4
; %bb.115:                              ;   in Loop: Header=BB303_13 Depth=1
	s_or_b32 exec_lo, exec_lo, s35
	v_dual_mov_b32 v28, v43 :: v_dual_add_nc_u32 v27, 2, v42
	s_delay_alu instid0(VALU_DEP_1) | instskip(NEXT) | instid1(VALU_DEP_1)
	v_lshlrev_b64 v[27:28], 1, v[27:28]
	v_add_co_u32 v27, s4, s18, v27
	s_delay_alu instid0(VALU_DEP_1)
	v_add_co_ci_u32_e64 v28, s4, s19, v28, s4
	global_store_d16_hi_b16 v[27:28], v24, off
	s_or_b32 exec_lo, exec_lo, s34
	s_and_saveexec_b32 s34, s3
	s_cbranch_execz .LBB303_53
.LBB303_116:                            ;   in Loop: Header=BB303_13 Depth=1
	s_waitcnt vmcnt(8) lgkmcnt(0)
	v_dual_add_f32 v22, v22, v23 :: v_dual_lshlrev_b32 v23, 16, v64
	s_delay_alu instid0(VALU_DEP_1) | instskip(NEXT) | instid1(VALU_DEP_1)
	v_add_f32_e32 v23, v22, v23
	v_and_b32_e32 v22, 0x7f800000, v23
	s_delay_alu instid0(VALU_DEP_1) | instskip(NEXT) | instid1(VALU_DEP_1)
	v_cmp_ne_u32_e64 s4, 0x7f800000, v22
                                        ; implicit-def: $vgpr22
	s_and_saveexec_b32 s35, s4
	s_delay_alu instid0(SALU_CYCLE_1)
	s_xor_b32 s4, exec_lo, s35
; %bb.117:                              ;   in Loop: Header=BB303_13 Depth=1
	v_bfe_u32 v22, v23, 16, 1
	s_delay_alu instid0(VALU_DEP_1)
	v_add3_u32 v22, v23, v22, 0x7fff
                                        ; implicit-def: $vgpr23
; %bb.118:                              ;   in Loop: Header=BB303_13 Depth=1
	s_and_not1_saveexec_b32 s35, s4
; %bb.119:                              ;   in Loop: Header=BB303_13 Depth=1
	v_and_b32_e32 v22, 0xffff, v23
	v_or_b32_e32 v24, 0x10000, v23
	s_delay_alu instid0(VALU_DEP_2) | instskip(NEXT) | instid1(VALU_DEP_1)
	v_cmp_eq_u32_e64 s4, 0, v22
	v_cndmask_b32_e64 v22, v24, v23, s4
; %bb.120:                              ;   in Loop: Header=BB303_13 Depth=1
	s_or_b32 exec_lo, exec_lo, s35
	v_dual_mov_b32 v24, v43 :: v_dual_add_nc_u32 v23, 3, v42
	s_delay_alu instid0(VALU_DEP_1) | instskip(NEXT) | instid1(VALU_DEP_1)
	v_lshlrev_b64 v[23:24], 1, v[23:24]
	v_add_co_u32 v23, s4, s18, v23
	s_delay_alu instid0(VALU_DEP_1)
	v_add_co_ci_u32_e64 v24, s4, s19, v24, s4
	global_store_d16_hi_b16 v[23:24], v22, off
	s_or_b32 exec_lo, exec_lo, s34
	v_add_nc_u32_e32 v42, s11, v42
	s_and_saveexec_b32 s34, vcc_lo
	s_cbranch_execz .LBB303_54
.LBB303_121:                            ;   in Loop: Header=BB303_13 Depth=1
	s_waitcnt vmcnt(7) lgkmcnt(0)
	v_dual_add_f32 v19, v19, v20 :: v_dual_lshlrev_b32 v20, 16, v57
	s_delay_alu instid0(VALU_DEP_1) | instskip(NEXT) | instid1(VALU_DEP_1)
	v_add_f32_e32 v20, v19, v20
	v_and_b32_e32 v19, 0x7f800000, v20
	s_delay_alu instid0(VALU_DEP_1) | instskip(NEXT) | instid1(VALU_DEP_1)
	v_cmp_ne_u32_e64 s4, 0x7f800000, v19
                                        ; implicit-def: $vgpr19
	s_and_saveexec_b32 s35, s4
	s_delay_alu instid0(SALU_CYCLE_1)
	s_xor_b32 s4, exec_lo, s35
; %bb.122:                              ;   in Loop: Header=BB303_13 Depth=1
	v_bfe_u32 v19, v20, 16, 1
	s_delay_alu instid0(VALU_DEP_1)
	v_add3_u32 v19, v20, v19, 0x7fff
                                        ; implicit-def: $vgpr20
; %bb.123:                              ;   in Loop: Header=BB303_13 Depth=1
	s_and_not1_saveexec_b32 s35, s4
; %bb.124:                              ;   in Loop: Header=BB303_13 Depth=1
	v_and_b32_e32 v19, 0xffff, v20
	v_or_b32_e32 v22, 0x10000, v20
	s_delay_alu instid0(VALU_DEP_2) | instskip(NEXT) | instid1(VALU_DEP_1)
	v_cmp_eq_u32_e64 s4, 0, v19
	v_cndmask_b32_e64 v19, v22, v20, s4
; %bb.125:                              ;   in Loop: Header=BB303_13 Depth=1
	s_or_b32 exec_lo, exec_lo, s35
	v_lshlrev_b64 v[22:23], 1, v[42:43]
	s_delay_alu instid0(VALU_DEP_1) | instskip(NEXT) | instid1(VALU_DEP_1)
	v_add_co_u32 v22, s4, s18, v22
	v_add_co_ci_u32_e64 v23, s4, s19, v23, s4
	global_store_d16_hi_b16 v[22:23], v19, off
	s_or_b32 exec_lo, exec_lo, s34
	s_and_saveexec_b32 s34, s1
	s_cbranch_execz .LBB303_55
.LBB303_126:                            ;   in Loop: Header=BB303_13 Depth=1
	s_waitcnt vmcnt(6) lgkmcnt(0)
	v_dual_add_f32 v17, v17, v18 :: v_dual_lshlrev_b32 v18, 16, v55
	s_delay_alu instid0(VALU_DEP_1) | instskip(NEXT) | instid1(VALU_DEP_1)
	v_add_f32_e32 v18, v17, v18
	v_and_b32_e32 v17, 0x7f800000, v18
	s_delay_alu instid0(VALU_DEP_1) | instskip(NEXT) | instid1(VALU_DEP_1)
	v_cmp_ne_u32_e64 s4, 0x7f800000, v17
                                        ; implicit-def: $vgpr17
	s_and_saveexec_b32 s35, s4
	s_delay_alu instid0(SALU_CYCLE_1)
	s_xor_b32 s4, exec_lo, s35
; %bb.127:                              ;   in Loop: Header=BB303_13 Depth=1
	v_bfe_u32 v17, v18, 16, 1
	s_delay_alu instid0(VALU_DEP_1)
	v_add3_u32 v17, v18, v17, 0x7fff
                                        ; implicit-def: $vgpr18
; %bb.128:                              ;   in Loop: Header=BB303_13 Depth=1
	s_and_not1_saveexec_b32 s35, s4
; %bb.129:                              ;   in Loop: Header=BB303_13 Depth=1
	v_and_b32_e32 v17, 0xffff, v18
	v_or_b32_e32 v19, 0x10000, v18
	s_delay_alu instid0(VALU_DEP_2) | instskip(NEXT) | instid1(VALU_DEP_1)
	v_cmp_eq_u32_e64 s4, 0, v17
	v_cndmask_b32_e64 v17, v19, v18, s4
; %bb.130:                              ;   in Loop: Header=BB303_13 Depth=1
	s_or_b32 exec_lo, exec_lo, s35
	v_dual_mov_b32 v19, v43 :: v_dual_add_nc_u32 v18, 1, v42
	s_delay_alu instid0(VALU_DEP_1) | instskip(NEXT) | instid1(VALU_DEP_1)
	v_lshlrev_b64 v[18:19], 1, v[18:19]
	v_add_co_u32 v18, s4, s18, v18
	s_delay_alu instid0(VALU_DEP_1)
	v_add_co_ci_u32_e64 v19, s4, s19, v19, s4
	global_store_d16_hi_b16 v[18:19], v17, off
	s_or_b32 exec_lo, exec_lo, s34
	s_and_saveexec_b32 s34, s2
	s_cbranch_execz .LBB303_56
.LBB303_131:                            ;   in Loop: Header=BB303_13 Depth=1
	s_waitcnt vmcnt(5) lgkmcnt(0)
	v_dual_add_f32 v13, v13, v14 :: v_dual_lshlrev_b32 v14, 16, v52
	s_delay_alu instid0(VALU_DEP_1) | instskip(NEXT) | instid1(VALU_DEP_1)
	v_add_f32_e32 v14, v13, v14
	v_and_b32_e32 v13, 0x7f800000, v14
	s_delay_alu instid0(VALU_DEP_1) | instskip(NEXT) | instid1(VALU_DEP_1)
	v_cmp_ne_u32_e64 s4, 0x7f800000, v13
                                        ; implicit-def: $vgpr13
	s_and_saveexec_b32 s35, s4
	s_delay_alu instid0(SALU_CYCLE_1)
	s_xor_b32 s4, exec_lo, s35
; %bb.132:                              ;   in Loop: Header=BB303_13 Depth=1
	v_bfe_u32 v13, v14, 16, 1
	s_delay_alu instid0(VALU_DEP_1)
	v_add3_u32 v13, v14, v13, 0x7fff
                                        ; implicit-def: $vgpr14
; %bb.133:                              ;   in Loop: Header=BB303_13 Depth=1
	s_and_not1_saveexec_b32 s35, s4
; %bb.134:                              ;   in Loop: Header=BB303_13 Depth=1
	v_and_b32_e32 v13, 0xffff, v14
	v_or_b32_e32 v17, 0x10000, v14
	s_delay_alu instid0(VALU_DEP_2) | instskip(NEXT) | instid1(VALU_DEP_1)
	v_cmp_eq_u32_e64 s4, 0, v13
	v_cndmask_b32_e64 v13, v17, v14, s4
; %bb.135:                              ;   in Loop: Header=BB303_13 Depth=1
	s_or_b32 exec_lo, exec_lo, s35
	v_dual_mov_b32 v18, v43 :: v_dual_add_nc_u32 v17, 2, v42
	s_delay_alu instid0(VALU_DEP_1) | instskip(NEXT) | instid1(VALU_DEP_1)
	v_lshlrev_b64 v[17:18], 1, v[17:18]
	v_add_co_u32 v17, s4, s18, v17
	s_delay_alu instid0(VALU_DEP_1)
	v_add_co_ci_u32_e64 v18, s4, s19, v18, s4
	global_store_d16_hi_b16 v[17:18], v13, off
	s_or_b32 exec_lo, exec_lo, s34
	s_and_saveexec_b32 s34, s3
	s_cbranch_execz .LBB303_57
.LBB303_136:                            ;   in Loop: Header=BB303_13 Depth=1
	s_waitcnt vmcnt(4) lgkmcnt(0)
	v_dual_add_f32 v13, v15, v16 :: v_dual_lshlrev_b32 v14, 16, v39
	s_delay_alu instid0(VALU_DEP_1) | instskip(NEXT) | instid1(VALU_DEP_1)
	v_add_f32_e32 v14, v13, v14
	v_and_b32_e32 v13, 0x7f800000, v14
	s_delay_alu instid0(VALU_DEP_1) | instskip(NEXT) | instid1(VALU_DEP_1)
	v_cmp_ne_u32_e64 s4, 0x7f800000, v13
                                        ; implicit-def: $vgpr13
	s_and_saveexec_b32 s35, s4
	s_delay_alu instid0(SALU_CYCLE_1)
	s_xor_b32 s4, exec_lo, s35
; %bb.137:                              ;   in Loop: Header=BB303_13 Depth=1
	v_bfe_u32 v13, v14, 16, 1
	s_delay_alu instid0(VALU_DEP_1)
	v_add3_u32 v13, v14, v13, 0x7fff
                                        ; implicit-def: $vgpr14
; %bb.138:                              ;   in Loop: Header=BB303_13 Depth=1
	s_and_not1_saveexec_b32 s35, s4
; %bb.139:                              ;   in Loop: Header=BB303_13 Depth=1
	v_and_b32_e32 v13, 0xffff, v14
	v_or_b32_e32 v15, 0x10000, v14
	s_delay_alu instid0(VALU_DEP_2) | instskip(NEXT) | instid1(VALU_DEP_1)
	v_cmp_eq_u32_e64 s4, 0, v13
	v_cndmask_b32_e64 v13, v15, v14, s4
; %bb.140:                              ;   in Loop: Header=BB303_13 Depth=1
	s_or_b32 exec_lo, exec_lo, s35
	v_dual_mov_b32 v15, v43 :: v_dual_add_nc_u32 v14, 3, v42
	s_delay_alu instid0(VALU_DEP_1) | instskip(NEXT) | instid1(VALU_DEP_1)
	v_lshlrev_b64 v[14:15], 1, v[14:15]
	v_add_co_u32 v14, s4, s18, v14
	s_delay_alu instid0(VALU_DEP_1)
	v_add_co_ci_u32_e64 v15, s4, s19, v15, s4
	global_store_d16_hi_b16 v[14:15], v13, off
	s_or_b32 exec_lo, exec_lo, s34
	v_add_nc_u32_e32 v42, s11, v42
	s_and_saveexec_b32 s4, vcc_lo
	s_cbranch_execz .LBB303_58
.LBB303_141:                            ;   in Loop: Header=BB303_13 Depth=1
	s_waitcnt vmcnt(3) lgkmcnt(0)
	v_dual_add_f32 v11, v11, v12 :: v_dual_lshlrev_b32 v12, 16, v34
	s_delay_alu instid0(VALU_DEP_1) | instskip(NEXT) | instid1(VALU_DEP_1)
	v_add_f32_e32 v12, v11, v12
	v_and_b32_e32 v11, 0x7f800000, v12
	s_delay_alu instid0(VALU_DEP_1) | instskip(SKIP_1) | instid1(SALU_CYCLE_1)
	v_cmp_ne_u32_e32 vcc_lo, 0x7f800000, v11
                                        ; implicit-def: $vgpr11
	s_and_saveexec_b32 s34, vcc_lo
	s_xor_b32 s34, exec_lo, s34
; %bb.142:                              ;   in Loop: Header=BB303_13 Depth=1
	v_bfe_u32 v11, v12, 16, 1
	s_delay_alu instid0(VALU_DEP_1)
	v_add3_u32 v11, v12, v11, 0x7fff
                                        ; implicit-def: $vgpr12
; %bb.143:                              ;   in Loop: Header=BB303_13 Depth=1
	s_and_not1_saveexec_b32 s34, s34
; %bb.144:                              ;   in Loop: Header=BB303_13 Depth=1
	v_and_b32_e32 v11, 0xffff, v12
	v_or_b32_e32 v13, 0x10000, v12
	s_delay_alu instid0(VALU_DEP_2) | instskip(NEXT) | instid1(VALU_DEP_2)
	v_cmp_eq_u32_e32 vcc_lo, 0, v11
	v_cndmask_b32_e32 v11, v13, v12, vcc_lo
; %bb.145:                              ;   in Loop: Header=BB303_13 Depth=1
	s_or_b32 exec_lo, exec_lo, s34
	v_lshlrev_b64 v[12:13], 1, v[42:43]
	s_delay_alu instid0(VALU_DEP_1) | instskip(NEXT) | instid1(VALU_DEP_2)
	v_add_co_u32 v12, vcc_lo, s18, v12
	v_add_co_ci_u32_e32 v13, vcc_lo, s19, v13, vcc_lo
	global_store_d16_hi_b16 v[12:13], v11, off
	s_or_b32 exec_lo, exec_lo, s4
	s_and_saveexec_b32 s4, s1
	s_cbranch_execz .LBB303_59
.LBB303_146:                            ;   in Loop: Header=BB303_13 Depth=1
	s_waitcnt vmcnt(2) lgkmcnt(0)
	v_dual_add_f32 v9, v9, v10 :: v_dual_lshlrev_b32 v10, 16, v31
	s_delay_alu instid0(VALU_DEP_1) | instskip(NEXT) | instid1(VALU_DEP_1)
	v_add_f32_e32 v10, v9, v10
	v_and_b32_e32 v9, 0x7f800000, v10
	s_delay_alu instid0(VALU_DEP_1) | instskip(SKIP_1) | instid1(SALU_CYCLE_1)
	v_cmp_ne_u32_e32 vcc_lo, 0x7f800000, v9
                                        ; implicit-def: $vgpr9
	s_and_saveexec_b32 s1, vcc_lo
	s_xor_b32 s1, exec_lo, s1
; %bb.147:                              ;   in Loop: Header=BB303_13 Depth=1
	v_bfe_u32 v9, v10, 16, 1
	s_delay_alu instid0(VALU_DEP_1)
	v_add3_u32 v9, v10, v9, 0x7fff
                                        ; implicit-def: $vgpr10
; %bb.148:                              ;   in Loop: Header=BB303_13 Depth=1
	s_and_not1_saveexec_b32 s1, s1
; %bb.149:                              ;   in Loop: Header=BB303_13 Depth=1
	v_and_b32_e32 v9, 0xffff, v10
	v_or_b32_e32 v11, 0x10000, v10
	s_delay_alu instid0(VALU_DEP_2) | instskip(NEXT) | instid1(VALU_DEP_2)
	v_cmp_eq_u32_e32 vcc_lo, 0, v9
	v_cndmask_b32_e32 v9, v11, v10, vcc_lo
; %bb.150:                              ;   in Loop: Header=BB303_13 Depth=1
	s_or_b32 exec_lo, exec_lo, s1
	v_dual_mov_b32 v11, v43 :: v_dual_add_nc_u32 v10, 1, v42
	s_delay_alu instid0(VALU_DEP_1) | instskip(NEXT) | instid1(VALU_DEP_1)
	v_lshlrev_b64 v[10:11], 1, v[10:11]
	v_add_co_u32 v10, vcc_lo, s18, v10
	s_delay_alu instid0(VALU_DEP_2)
	v_add_co_ci_u32_e32 v11, vcc_lo, s19, v11, vcc_lo
	global_store_d16_hi_b16 v[10:11], v9, off
	s_or_b32 exec_lo, exec_lo, s4
	s_and_saveexec_b32 s1, s2
	s_cbranch_execz .LBB303_60
.LBB303_151:                            ;   in Loop: Header=BB303_13 Depth=1
	s_waitcnt vmcnt(1) lgkmcnt(0)
	v_dual_add_f32 v7, v7, v8 :: v_dual_lshlrev_b32 v8, 16, v26
	s_delay_alu instid0(VALU_DEP_1) | instskip(NEXT) | instid1(VALU_DEP_1)
	v_add_f32_e32 v8, v7, v8
	v_and_b32_e32 v7, 0x7f800000, v8
	s_delay_alu instid0(VALU_DEP_1) | instskip(SKIP_1) | instid1(SALU_CYCLE_1)
	v_cmp_ne_u32_e32 vcc_lo, 0x7f800000, v7
                                        ; implicit-def: $vgpr7
	s_and_saveexec_b32 s2, vcc_lo
	s_xor_b32 s2, exec_lo, s2
; %bb.152:                              ;   in Loop: Header=BB303_13 Depth=1
	v_bfe_u32 v7, v8, 16, 1
	s_delay_alu instid0(VALU_DEP_1)
	v_add3_u32 v7, v8, v7, 0x7fff
                                        ; implicit-def: $vgpr8
; %bb.153:                              ;   in Loop: Header=BB303_13 Depth=1
	s_and_not1_saveexec_b32 s2, s2
; %bb.154:                              ;   in Loop: Header=BB303_13 Depth=1
	v_and_b32_e32 v7, 0xffff, v8
	v_or_b32_e32 v9, 0x10000, v8
	s_delay_alu instid0(VALU_DEP_2) | instskip(NEXT) | instid1(VALU_DEP_2)
	v_cmp_eq_u32_e32 vcc_lo, 0, v7
	v_cndmask_b32_e32 v7, v9, v8, vcc_lo
; %bb.155:                              ;   in Loop: Header=BB303_13 Depth=1
	s_or_b32 exec_lo, exec_lo, s2
	v_dual_mov_b32 v9, v43 :: v_dual_add_nc_u32 v8, 2, v42
	s_delay_alu instid0(VALU_DEP_1) | instskip(NEXT) | instid1(VALU_DEP_1)
	v_lshlrev_b64 v[8:9], 1, v[8:9]
	v_add_co_u32 v8, vcc_lo, s18, v8
	s_delay_alu instid0(VALU_DEP_2) | instskip(SKIP_2) | instid1(SALU_CYCLE_1)
	v_add_co_ci_u32_e32 v9, vcc_lo, s19, v9, vcc_lo
	global_store_d16_hi_b16 v[8:9], v7, off
	s_or_b32 exec_lo, exec_lo, s1
	s_and_b32 exec_lo, exec_lo, s3
	s_cbranch_execz .LBB303_161
.LBB303_156:                            ;   in Loop: Header=BB303_13 Depth=1
	s_waitcnt vmcnt(0) lgkmcnt(0)
	v_dual_add_f32 v5, v5, v6 :: v_dual_lshlrev_b32 v6, 16, v21
	s_delay_alu instid0(VALU_DEP_1) | instskip(NEXT) | instid1(VALU_DEP_1)
	v_add_f32_e32 v6, v5, v6
	v_and_b32_e32 v5, 0x7f800000, v6
	s_delay_alu instid0(VALU_DEP_1) | instskip(SKIP_1) | instid1(SALU_CYCLE_1)
	v_cmp_ne_u32_e32 vcc_lo, 0x7f800000, v5
                                        ; implicit-def: $vgpr5
	s_and_saveexec_b32 s1, vcc_lo
	s_xor_b32 s1, exec_lo, s1
; %bb.157:                              ;   in Loop: Header=BB303_13 Depth=1
	v_bfe_u32 v5, v6, 16, 1
	s_delay_alu instid0(VALU_DEP_1)
	v_add3_u32 v5, v6, v5, 0x7fff
                                        ; implicit-def: $vgpr6
; %bb.158:                              ;   in Loop: Header=BB303_13 Depth=1
	s_and_not1_saveexec_b32 s1, s1
; %bb.159:                              ;   in Loop: Header=BB303_13 Depth=1
	v_and_b32_e32 v5, 0xffff, v6
	v_or_b32_e32 v7, 0x10000, v6
	s_delay_alu instid0(VALU_DEP_2) | instskip(NEXT) | instid1(VALU_DEP_2)
	v_cmp_eq_u32_e32 vcc_lo, 0, v5
	v_cndmask_b32_e32 v5, v7, v6, vcc_lo
; %bb.160:                              ;   in Loop: Header=BB303_13 Depth=1
	s_or_b32 exec_lo, exec_lo, s1
	v_add_nc_u32_e32 v42, 3, v42
	s_delay_alu instid0(VALU_DEP_1) | instskip(NEXT) | instid1(VALU_DEP_1)
	v_lshlrev_b64 v[6:7], 1, v[42:43]
	v_add_co_u32 v6, vcc_lo, s18, v6
	s_delay_alu instid0(VALU_DEP_2)
	v_add_co_ci_u32_e32 v7, vcc_lo, s19, v7, vcc_lo
	global_store_d16_hi_b16 v[6:7], v5, off
.LBB303_161:                            ;   in Loop: Header=BB303_13 Depth=1
	s_or_b32 exec_lo, exec_lo, s5
	v_add_nc_u32_e32 v41, s20, v41
	s_delay_alu instid0(VALU_DEP_1) | instskip(SKIP_1) | instid1(VALU_DEP_2)
	v_add_nc_u32_e32 v5, 4, v41
	v_cmp_gt_u32_e32 vcc_lo, s11, v41
	v_cmp_le_u32_e64 s1, s11, v5
	s_delay_alu instid0(VALU_DEP_1) | instskip(NEXT) | instid1(SALU_CYCLE_1)
	s_and_b32 s1, vcc_lo, s1
	s_and_saveexec_b32 s34, s1
	s_cbranch_execz .LBB303_12
; %bb.162:                              ;   in Loop: Header=BB303_13 Depth=1
	s_mov_b32 s35, exec_lo
	v_cmpx_ne_u32_e64 s21, v41
	s_cbranch_execz .LBB303_11
; %bb.163:                              ;   in Loop: Header=BB303_13 Depth=1
	v_subrev_nc_u32_e32 v5, s21, v41
	s_mov_b32 s36, 0
	s_mov_b64 s[4:5], 0
	s_delay_alu instid0(VALU_DEP_1)
	v_cmp_lt_u32_e32 vcc_lo, 1, v5
	v_cndmask_b32_e32 v5, 1, v5, vcc_lo
	.p2align	6
.LBB303_164:                            ;   Parent Loop BB303_13 Depth=1
                                        ; =>  This Inner Loop Header: Depth=2
	s_cmp_lg_u32 s4, 3
	s_cselect_b32 vcc_lo, -1, 0
	s_cmp_lg_u32 s4, 2
	v_cndmask_b32_e32 v4, 0, v4, vcc_lo
	s_cselect_b32 s1, -1, 0
	s_cmp_lg_u32 s4, 1
	v_cndmask_b32_e64 v3, 0, v3, s1
	s_cselect_b32 s2, -1, 0
	s_cmp_lg_u32 s4, 0
	v_cndmask_b32_e64 v2, 0, v2, s2
	s_cselect_b32 s3, -1, 0
	s_add_u32 s4, s4, 1
	v_cndmask_b32_e64 v1, 0, v1, s3
	v_cmp_eq_u32_e32 vcc_lo, s4, v5
	s_addc_u32 s5, s5, 0
	s_or_b32 s36, vcc_lo, s36
	s_delay_alu instid0(SALU_CYCLE_1)
	s_and_not1_b32 exec_lo, exec_lo, s36
	s_cbranch_execnz .LBB303_164
; %bb.165:                              ;   in Loop: Header=BB303_13 Depth=1
	s_or_b32 exec_lo, exec_lo, s36
	s_branch .LBB303_11
.LBB303_166:
	s_nop 0
	s_sendmsg sendmsg(MSG_DEALLOC_VGPRS)
	s_endpgm
	.section	.rodata,"a",@progbits
	.p2align	6, 0x0
	.amdhsa_kernel _Z12wvSplitK_hf_I14__hip_bfloat16Li64ELi4ELi16ELi8ELi1ELi5EEviiiiiiPKT_S3_S3_PS1_ii
		.amdhsa_group_segment_fixed_size 65536
		.amdhsa_private_segment_fixed_size 0
		.amdhsa_kernarg_size 64
		.amdhsa_user_sgpr_count 15
		.amdhsa_user_sgpr_dispatch_ptr 0
		.amdhsa_user_sgpr_queue_ptr 0
		.amdhsa_user_sgpr_kernarg_segment_ptr 1
		.amdhsa_user_sgpr_dispatch_id 0
		.amdhsa_user_sgpr_private_segment_size 0
		.amdhsa_wavefront_size32 1
		.amdhsa_uses_dynamic_stack 0
		.amdhsa_enable_private_segment 0
		.amdhsa_system_sgpr_workgroup_id_x 1
		.amdhsa_system_sgpr_workgroup_id_y 0
		.amdhsa_system_sgpr_workgroup_id_z 0
		.amdhsa_system_sgpr_workgroup_info 0
		.amdhsa_system_vgpr_workitem_id 1
		.amdhsa_next_free_vgpr 103
		.amdhsa_next_free_sgpr 37
		.amdhsa_reserve_vcc 1
		.amdhsa_float_round_mode_32 0
		.amdhsa_float_round_mode_16_64 0
		.amdhsa_float_denorm_mode_32 3
		.amdhsa_float_denorm_mode_16_64 3
		.amdhsa_dx10_clamp 1
		.amdhsa_ieee_mode 1
		.amdhsa_fp16_overflow 0
		.amdhsa_workgroup_processor_mode 1
		.amdhsa_memory_ordered 1
		.amdhsa_forward_progress 0
		.amdhsa_shared_vgpr_count 0
		.amdhsa_exception_fp_ieee_invalid_op 0
		.amdhsa_exception_fp_denorm_src 0
		.amdhsa_exception_fp_ieee_div_zero 0
		.amdhsa_exception_fp_ieee_overflow 0
		.amdhsa_exception_fp_ieee_underflow 0
		.amdhsa_exception_fp_ieee_inexact 0
		.amdhsa_exception_int_div_zero 0
	.end_amdhsa_kernel
	.section	.text._Z12wvSplitK_hf_I14__hip_bfloat16Li64ELi4ELi16ELi8ELi1ELi5EEviiiiiiPKT_S3_S3_PS1_ii,"axG",@progbits,_Z12wvSplitK_hf_I14__hip_bfloat16Li64ELi4ELi16ELi8ELi1ELi5EEviiiiiiPKT_S3_S3_PS1_ii,comdat
.Lfunc_end303:
	.size	_Z12wvSplitK_hf_I14__hip_bfloat16Li64ELi4ELi16ELi8ELi1ELi5EEviiiiiiPKT_S3_S3_PS1_ii, .Lfunc_end303-_Z12wvSplitK_hf_I14__hip_bfloat16Li64ELi4ELi16ELi8ELi1ELi5EEviiiiiiPKT_S3_S3_PS1_ii
                                        ; -- End function
	.section	.AMDGPU.csdata,"",@progbits
; Kernel info:
; codeLenInByte = 10412
; NumSgprs: 39
; NumVgprs: 103
; ScratchSize: 0
; MemoryBound: 0
; FloatMode: 240
; IeeeMode: 1
; LDSByteSize: 65536 bytes/workgroup (compile time only)
; SGPRBlocks: 4
; VGPRBlocks: 12
; NumSGPRsForWavesPerEU: 39
; NumVGPRsForWavesPerEU: 103
; Occupancy: 12
; WaveLimiterHint : 0
; COMPUTE_PGM_RSRC2:SCRATCH_EN: 0
; COMPUTE_PGM_RSRC2:USER_SGPR: 15
; COMPUTE_PGM_RSRC2:TRAP_HANDLER: 0
; COMPUTE_PGM_RSRC2:TGID_X_EN: 1
; COMPUTE_PGM_RSRC2:TGID_Y_EN: 0
; COMPUTE_PGM_RSRC2:TGID_Z_EN: 0
; COMPUTE_PGM_RSRC2:TIDIG_COMP_CNT: 1
	.section	.text._Z16wvSplitK_hf_big_I14__hip_bfloat16Li64ELi4ELi16ELi8ELi1ELi5EEviiiiiiPKT_S3_S3_PS1_ii,"axG",@progbits,_Z16wvSplitK_hf_big_I14__hip_bfloat16Li64ELi4ELi16ELi8ELi1ELi5EEviiiiiiPKT_S3_S3_PS1_ii,comdat
	.protected	_Z16wvSplitK_hf_big_I14__hip_bfloat16Li64ELi4ELi16ELi8ELi1ELi5EEviiiiiiPKT_S3_S3_PS1_ii ; -- Begin function _Z16wvSplitK_hf_big_I14__hip_bfloat16Li64ELi4ELi16ELi8ELi1ELi5EEviiiiiiPKT_S3_S3_PS1_ii
	.globl	_Z16wvSplitK_hf_big_I14__hip_bfloat16Li64ELi4ELi16ELi8ELi1ELi5EEviiiiiiPKT_S3_S3_PS1_ii
	.p2align	8
	.type	_Z16wvSplitK_hf_big_I14__hip_bfloat16Li64ELi4ELi16ELi8ELi1ELi5EEviiiiiiPKT_S3_S3_PS1_ii,@function
_Z16wvSplitK_hf_big_I14__hip_bfloat16Li64ELi4ELi16ELi8ELi1ELi5EEviiiiiiPKT_S3_S3_PS1_ii: ; @_Z16wvSplitK_hf_big_I14__hip_bfloat16Li64ELi4ELi16ELi8ELi1ELi5EEviiiiiiPKT_S3_S3_PS1_ii
; %bb.0:
	s_load_b64 s[20:21], s[0:1], 0x38
	v_bfe_u32 v5, v0, 10, 10
	s_mov_b32 s2, exec_lo
	s_waitcnt lgkmcnt(0)
	s_delay_alu instid0(VALU_DEP_1)
	v_cmpx_gt_u32_e64 s20, v5
	s_cbranch_execz .LBB304_158
; %bb.1:
	s_load_b128 s[16:19], s[0:1], 0x0
	s_mul_i32 s15, s15, s20
	s_mov_b32 s4, 1
	v_add_lshl_u32 v41, s15, v5, 2
	s_mov_b32 s5, s4
	s_mov_b32 s6, s4
	;; [unrolled: 1-line block ×3, first 2 shown]
	s_delay_alu instid0(VALU_DEP_1) | instskip(SKIP_2) | instid1(VALU_DEP_2)
	v_add_nc_u32_e32 v1, 4, v41
	s_waitcnt lgkmcnt(0)
	v_cmp_gt_u32_e32 vcc_lo, s19, v41
	v_cmp_le_u32_e64 s2, s19, v1
	v_dual_mov_b32 v1, s4 :: v_dual_mov_b32 v4, s7
	v_dual_mov_b32 v2, s5 :: v_dual_mov_b32 v3, s6
	s_delay_alu instid0(VALU_DEP_3) | instskip(NEXT) | instid1(SALU_CYCLE_1)
	s_and_b32 s2, vcc_lo, s2
	s_and_saveexec_b32 s8, s2
	s_cbranch_execz .LBB304_7
; %bb.2:
	v_dual_mov_b32 v1, s4 :: v_dual_mov_b32 v2, s5
	v_dual_mov_b32 v3, s6 :: v_dual_mov_b32 v4, s7
	s_add_i32 s9, s19, -4
	s_mov_b32 s10, exec_lo
	v_cmpx_ne_u32_e64 s9, v41
	s_cbranch_execz .LBB304_6
; %bb.3:
	v_subrev_nc_u32_e32 v1, s9, v41
	s_mov_b32 s11, 0
	s_mov_b64 s[2:3], 0
	s_mov_b32 s5, s4
	s_mov_b32 s6, s4
	v_cmp_lt_u32_e32 vcc_lo, 1, v1
	s_mov_b32 s7, s4
	v_cndmask_b32_e32 v6, 1, v1, vcc_lo
	.p2align	6
.LBB304_4:                              ; =>This Inner Loop Header: Depth=1
	s_cmp_lg_u32 s2, 3
	s_cselect_b32 s7, s7, 0
	s_cmp_lg_u32 s2, 2
	s_cselect_b32 s6, s6, 0
	;; [unrolled: 2-line block ×4, first 2 shown]
	s_add_u32 s2, s2, 1
	v_dual_mov_b32 v1, s4 :: v_dual_mov_b32 v2, s5
	v_cmp_eq_u32_e32 vcc_lo, s2, v6
	v_dual_mov_b32 v3, s6 :: v_dual_mov_b32 v4, s7
	s_addc_u32 s3, s3, 0
	s_or_b32 s11, vcc_lo, s11
	s_delay_alu instid0(SALU_CYCLE_1)
	s_and_not1_b32 exec_lo, exec_lo, s11
	s_cbranch_execnz .LBB304_4
; %bb.5:
	s_or_b32 exec_lo, exec_lo, s11
	v_mov_b32_e32 v41, s9
.LBB304_6:
	s_or_b32 exec_lo, exec_lo, s10
.LBB304_7:
	s_delay_alu instid0(SALU_CYCLE_1)
	s_or_b32 exec_lo, exec_lo, s8
	s_lshl_b32 s2, s20, 2
	s_abs_i32 s6, s19
	s_abs_i32 s3, s2
	s_mov_b32 s23, 0
	v_cvt_f32_u32_e32 v6, s3
	s_sub_i32 s5, 0, s3
	s_delay_alu instid0(VALU_DEP_1) | instskip(SKIP_2) | instid1(VALU_DEP_1)
	v_rcp_iflag_f32_e32 v6, v6
	s_waitcnt_depctr 0xfff
	v_mul_f32_e32 v6, 0x4f7ffffe, v6
	v_cvt_u32_f32_e32 v6, v6
	s_delay_alu instid0(VALU_DEP_1) | instskip(NEXT) | instid1(VALU_DEP_1)
	v_readfirstlane_b32 s4, v6
	s_mul_i32 s5, s5, s4
	s_delay_alu instid0(SALU_CYCLE_1) | instskip(NEXT) | instid1(SALU_CYCLE_1)
	s_mul_hi_u32 s5, s4, s5
	s_add_i32 s4, s4, s5
	s_ashr_i32 s5, s19, 31
	s_mul_hi_u32 s4, s6, s4
	s_delay_alu instid0(SALU_CYCLE_1) | instskip(NEXT) | instid1(SALU_CYCLE_1)
	s_mul_i32 s4, s4, s3
	s_sub_i32 s4, s6, s4
	s_delay_alu instid0(SALU_CYCLE_1) | instskip(SKIP_2) | instid1(SALU_CYCLE_1)
	s_sub_i32 s6, s4, s3
	s_cmp_ge_u32 s4, s3
	s_cselect_b32 s4, s6, s4
	s_sub_i32 s6, s4, s3
	s_cmp_ge_u32 s4, s3
	s_cselect_b32 s3, s6, s4
	s_add_i32 s2, s2, s19
	s_xor_b32 s3, s3, s5
	s_delay_alu instid0(SALU_CYCLE_1) | instskip(NEXT) | instid1(SALU_CYCLE_1)
	s_sub_i32 s3, s3, s5
	s_sub_i32 s2, s2, s3
	s_cmp_eq_u32 s3, 0
	s_cselect_b32 s22, s19, s2
	s_delay_alu instid0(SALU_CYCLE_1)
	v_cmp_gt_u32_e32 vcc_lo, s22, v41
	s_and_b32 exec_lo, exec_lo, vcc_lo
	s_cbranch_execz .LBB304_158
; %bb.8:
	s_load_b256 s[8:15], s[0:1], 0x10
	s_min_u32 s24, s18, 0x1800
	s_cmp_lg_u32 s16, 0
	s_mul_i32 s2, s21, s20
	s_cselect_b32 s25, -1, 0
	s_cmp_lg_u32 s18, 0
	v_and_b32_e32 v0, 0x3ff, v0
	s_cselect_b32 s21, -1, 0
	s_lshl_b32 s26, s20, 9
	s_add_i32 s27, s16, -8
	s_add_i32 s28, s19, -1
	s_lshl_b32 s29, s2, 2
	s_load_b64 s[6:7], s[0:1], 0x30
	v_dual_mov_b32 v44, 0 :: v_dual_lshlrev_b32 v7, 4, v0
	v_mbcnt_lo_u32_b32 v54, -1, 0
	v_lshlrev_b32_e32 v55, 3, v0
	s_delay_alu instid0(VALU_DEP_3)
	v_lshl_add_u32 v56, v5, 10, v7
	s_waitcnt lgkmcnt(0)
	s_cmp_lg_u64 s[14:15], 0
	s_cselect_b32 s30, -1, 0
	s_abs_i32 s2, s9
	s_add_i32 s31, s19, -4
	v_cvt_f32_u32_e32 v6, s2
	s_sub_i32 s1, 0, s2
	s_sub_i32 s3, 0, s8
	;; [unrolled: 1-line block ×3, first 2 shown]
	s_mul_i32 s9, s24, 6
	v_rcp_iflag_f32_e32 v6, v6
	s_waitcnt_depctr 0xfff
	v_mul_f32_e32 v6, 0x4f7ffffe, v6
	s_delay_alu instid0(VALU_DEP_1) | instskip(NEXT) | instid1(VALU_DEP_1)
	v_cvt_u32_f32_e32 v6, v6
	v_readfirstlane_b32 s0, v6
	v_cvt_f32_u32_e32 v6, s8
	s_delay_alu instid0(VALU_DEP_2) | instskip(NEXT) | instid1(VALU_DEP_1)
	s_mul_i32 s1, s1, s0
	v_rcp_iflag_f32_e32 v6, v6
	s_mul_hi_u32 s1, s0, s1
	s_delay_alu instid0(SALU_CYCLE_1) | instskip(SKIP_3) | instid1(SALU_CYCLE_1)
	s_add_i32 s1, s0, s1
	s_cmp_lt_u32 s2, 2
	v_cmp_eq_u32_e64 s0, 63, v0
	s_cselect_b32 s4, s4, 1
	s_sub_i32 s5, s4, s2
	s_cmp_ge_u32 s4, s2
	s_waitcnt_depctr 0xfff
	v_mul_f32_e32 v0, 0x4f7ffffe, v6
	s_cselect_b32 s33, s5, s4
	s_lshr_b32 s4, s1, 31
	s_mul_i32 s33, s33, s8
	s_mul_i32 s4, s4, s2
	v_cvt_u32_f32_e32 v6, v0
	s_sub_i32 s4, 2, s4
	v_lshl_add_u32 v0, v5, 9, v55
	s_sub_i32 s5, s4, s2
	s_cmp_ge_u32 s4, s2
	v_mul_lo_u32 v8, s3, v6
	s_cselect_b32 s3, s5, s4
	s_mul_hi_u32 s4, s1, 3
	s_sub_i32 s5, s3, s2
	s_cmp_ge_u32 s3, s2
	s_mul_i32 s4, s4, s2
	s_cselect_b32 s34, s5, s3
	s_sub_i32 s3, 3, s4
	v_mul_hi_u32 v5, v6, v8
	s_sub_i32 s4, s3, s2
	s_cmp_ge_u32 s3, s2
	v_mad_u64_u32 v[45:46], null, s18, 3, v[0:1]
	s_cselect_b32 s3, s4, s3
	v_lshl_add_u32 v57, s18, 1, v0
	s_sub_i32 s4, s3, s2
	s_cmp_ge_u32 s3, s2
	v_lshl_add_u32 v58, s18, 2, v0
	s_cselect_b32 s35, s4, s3
	s_lshr_b32 s1, s1, 30
	v_add_nc_u32_e32 v59, s18, v0
	s_mul_i32 s1, s1, s2
	v_add_nc_u32_e32 v60, v6, v5
	s_sub_i32 s1, 4, s1
	s_mul_i32 s34, s34, s8
	s_sub_i32 s3, s1, s2
	s_cmp_ge_u32 s1, s2
	s_mul_i32 s35, s35, s8
	s_cselect_b32 s1, s3, s1
	s_delay_alu instid0(SALU_CYCLE_1)
	s_sub_i32 s3, s1, s2
	s_cmp_ge_u32 s1, s2
	s_cselect_b32 s40, s3, s1
	s_add_u32 s36, s6, 2
	s_addc_u32 s37, s7, 0
	s_lshl_b32 s38, s24, 3
	s_lshl_b32 s20, s20, 10
	;; [unrolled: 1-line block ×3, first 2 shown]
	s_mul_i32 s40, s40, s8
	s_lshl_b32 s41, s24, 1
	s_branch .LBB304_12
.LBB304_9:                              ;   in Loop: Header=BB304_12 Depth=1
	s_or_b32 exec_lo, exec_lo, s44
	v_mov_b32_e32 v41, s31
.LBB304_10:                             ;   in Loop: Header=BB304_12 Depth=1
	s_or_b32 exec_lo, exec_lo, s43
.LBB304_11:                             ;   in Loop: Header=BB304_12 Depth=1
	s_delay_alu instid0(SALU_CYCLE_1) | instskip(NEXT) | instid1(VALU_DEP_1)
	s_or_b32 exec_lo, exec_lo, s42
	v_cmp_le_u32_e32 vcc_lo, s22, v41
	s_or_b32 s23, vcc_lo, s23
	s_delay_alu instid0(SALU_CYCLE_1)
	s_and_not1_b32 exec_lo, exec_lo, s23
	s_cbranch_execz .LBB304_158
.LBB304_12:                             ; =>This Loop Header: Depth=1
                                        ;     Child Loop BB304_16 Depth 2
                                        ;       Child Loop BB304_21 Depth 3
                                        ;     Child Loop BB304_156 Depth 2
	s_waitcnt vmcnt(19)
	v_mov_b32_e32 v42, v44
	s_waitcnt vmcnt(7)
	v_mov_b32_e32 v61, v44
	v_mov_b32_e32 v62, v44
	;; [unrolled: 1-line block ×15, first 2 shown]
	s_waitcnt lgkmcnt(17)
	v_mov_b32_e32 v78, v44
	v_mov_b32_e32 v76, v44
	;; [unrolled: 1-line block ×4, first 2 shown]
	s_and_not1_b32 vcc_lo, exec_lo, s25
	s_mov_b32 s3, 0
	s_cbranch_vccnz .LBB304_27
; %bb.13:                               ;   in Loop: Header=BB304_12 Depth=1
	v_dual_mov_b32 v75, 0 :: v_dual_add_nc_u32 v6, 2, v41
	v_add_nc_u32_e32 v5, 1, v41
	v_add_nc_u32_e32 v7, 3, v41
	s_waitcnt lgkmcnt(4)
	v_min_u32_e32 v8, s28, v41
	v_min_u32_e32 v6, s28, v6
	s_waitcnt lgkmcnt(0)
	v_dual_mov_b32 v10, v44 :: v_dual_mov_b32 v79, 0
	v_cmp_gt_u32_e64 s1, s19, v41
	v_mul_lo_u32 v43, v8, s17
	v_mov_b32_e32 v8, v44
	v_min_u32_e32 v9, s28, v7
	v_mul_lo_u32 v7, v6, s17
	v_mov_b32_e32 v6, v44
	v_min_u32_e32 v5, s28, v5
	v_dual_mov_b32 v76, 0 :: v_dual_mov_b32 v77, 0
	v_mul_lo_u32 v9, v9, s17
	s_waitcnt vmcnt(4)
	v_lshlrev_b64 v[46:47], 1, v[43:44]
	v_mul_lo_u32 v5, v5, s17
	v_lshlrev_b64 v[50:51], 1, v[7:8]
	v_dual_mov_b32 v78, 0 :: v_dual_mov_b32 v71, 0
	v_dual_mov_b32 v73, 0 :: v_dual_mov_b32 v70, 0
	v_lshlrev_b64 v[52:53], 1, v[9:10]
	v_dual_mov_b32 v72, 0 :: v_dual_mov_b32 v69, 0
	v_lshlrev_b64 v[48:49], 1, v[5:6]
	v_dual_mov_b32 v74, 0 :: v_dual_mov_b32 v65, 0
	v_dual_mov_b32 v68, 0 :: v_dual_mov_b32 v67, 0
	;; [unrolled: 1-line block ×4, first 2 shown]
	v_mov_b32_e32 v62, 0
	v_mov_b32_e32 v42, 0
	s_mov_b32 s4, 0
	s_branch .LBB304_16
.LBB304_14:                             ;   in Loop: Header=BB304_16 Depth=2
	s_or_b32 exec_lo, exec_lo, s5
	s_waitcnt vmcnt(3)
	v_and_b32_e32 v80, 0xffff0000, v34
	s_waitcnt lgkmcnt(4)
	v_lshlrev_b32_e32 v92, 16, v38
	v_and_b32_e32 v91, 0xffff0000, v38
	v_and_b32_e32 v89, 0xffff0000, v37
	v_lshlrev_b32_e32 v38, 16, v34
	v_and_b32_e32 v95, 0xffff0000, v40
	s_waitcnt vmcnt(2)
	v_lshlrev_b32_e32 v86, 16, v31
	v_dual_mul_f32 v82, v91, v80 :: v_dual_and_b32 v81, 0xffff0000, v33
	v_lshlrev_b32_e32 v96, 16, v40
	v_and_b32_e32 v93, 0xffff0000, v39
	s_waitcnt vmcnt(1)
	v_and_b32_e32 v84, 0xffff0000, v25
	v_fmac_f32_e32 v82, v92, v38
	v_and_b32_e32 v34, 0xffff0000, v35
	v_lshlrev_b32_e32 v90, 16, v37
	v_and_b32_e32 v40, 0xffff0000, v30
	v_lshlrev_b32_e32 v43, 16, v33
	v_mul_f32_e32 v33, v89, v81
	v_and_b32_e32 v37, 0xffff0000, v36
	v_dual_mul_f32 v87, v89, v84 :: v_dual_lshlrev_b32 v94, 16, v39
	s_waitcnt vmcnt(0)
	s_delay_alu instid0(VALU_DEP_3) | instskip(NEXT) | instid1(VALU_DEP_1)
	v_dual_fmac_f32 v33, v90, v43 :: v_dual_and_b32 v88, 0xffff0000, v17
	v_add_f32_e32 v39, v75, v33
	v_lshlrev_b32_e32 v33, 16, v35
	v_lshlrev_b32_e32 v35, 16, v36
	s_delay_alu instid0(VALU_DEP_3) | instskip(SKIP_1) | instid1(VALU_DEP_1)
	v_dual_add_f32 v39, v39, v82 :: v_dual_lshlrev_b32 v36, 16, v29
	v_dual_mul_f32 v75, v93, v34 :: v_dual_and_b32 v82, 0xffff0000, v29
	v_mul_f32_e32 v29, v89, v82
	v_mul_f32_e32 v89, v89, v88
	s_delay_alu instid0(VALU_DEP_2) | instskip(NEXT) | instid1(VALU_DEP_1)
	v_fmac_f32_e32 v29, v90, v36
	v_add_f32_e32 v79, v79, v29
	v_lshlrev_b32_e32 v29, 16, v25
	s_delay_alu instid0(VALU_DEP_1) | instskip(NEXT) | instid1(VALU_DEP_1)
	v_fmac_f32_e32 v87, v90, v29
	v_dual_add_f32 v76, v76, v87 :: v_dual_mul_f32 v83, v95, v37
	v_fmac_f32_e32 v75, v94, v33
	s_delay_alu instid0(VALU_DEP_2) | instskip(NEXT) | instid1(VALU_DEP_2)
	v_fmac_f32_e32 v83, v96, v35
	v_add_f32_e32 v75, v39, v75
	v_dual_mul_f32 v30, v91, v40 :: v_dual_lshlrev_b32 v39, 16, v30
	v_lshlrev_b32_e32 v87, 16, v17
	v_lshlrev_b32_e32 v17, 16, v28
	s_delay_alu instid0(VALU_DEP_4) | instskip(NEXT) | instid1(VALU_DEP_4)
	v_add_f32_e32 v75, v75, v83
	v_fmac_f32_e32 v30, v92, v39
	s_delay_alu instid0(VALU_DEP_4) | instskip(SKIP_1) | instid1(VALU_DEP_3)
	v_fmac_f32_e32 v89, v90, v87
	v_and_b32_e32 v83, 0xffff0000, v31
	v_add_f32_e32 v79, v79, v30
	v_and_b32_e32 v30, 0xffff0000, v26
	s_delay_alu instid0(VALU_DEP_4) | instskip(SKIP_2) | instid1(VALU_DEP_4)
	v_dual_add_f32 v78, v78, v89 :: v_dual_and_b32 v89, 0xffff0000, v19
	v_and_b32_e32 v31, 0xffff0000, v32
	v_lshlrev_b32_e32 v26, 16, v26
	v_mul_f32_e32 v97, v91, v30
	v_lshlrev_b32_e32 v25, 16, v32
	v_and_b32_e32 v32, 0xffff0000, v27
	v_mul_f32_e32 v98, v95, v31
	v_lshlrev_b32_e32 v27, 16, v27
	v_lshlrev_b32_e32 v19, 16, v19
	v_fmac_f32_e32 v97, v92, v26
	s_delay_alu instid0(VALU_DEP_4) | instskip(NEXT) | instid1(VALU_DEP_2)
	v_dual_fmac_f32 v98, v96, v25 :: v_dual_mul_f32 v99, v93, v32
	v_dual_mul_f32 v85, v93, v83 :: v_dual_add_f32 v76, v76, v97
	s_delay_alu instid0(VALU_DEP_2) | instskip(NEXT) | instid1(VALU_DEP_1)
	v_fmac_f32_e32 v99, v94, v27
	v_dual_add_f32 v76, v76, v99 :: v_dual_fmac_f32 v85, v94, v86
	s_delay_alu instid0(VALU_DEP_1) | instskip(SKIP_2) | instid1(VALU_DEP_2)
	v_add_f32_e32 v79, v79, v85
	v_and_b32_e32 v85, 0xffff0000, v28
	v_and_b32_e32 v28, 0xffff0000, v18
	v_dual_mul_f32 v97, v95, v85 :: v_dual_lshlrev_b32 v18, 16, v18
	s_delay_alu instid0(VALU_DEP_2) | instskip(NEXT) | instid1(VALU_DEP_1)
	v_mul_f32_e32 v90, v91, v28
	v_fmac_f32_e32 v90, v92, v18
	v_mul_f32_e32 v92, v93, v89
	s_delay_alu instid0(VALU_DEP_2) | instskip(SKIP_1) | instid1(VALU_DEP_3)
	v_add_f32_e32 v78, v78, v90
	v_and_b32_e32 v90, 0xffff0000, v20
	v_fmac_f32_e32 v92, v94, v19
	v_lshlrev_b32_e32 v20, 16, v20
	s_waitcnt lgkmcnt(3)
	v_and_b32_e32 v94, 0xffff0000, v22
	v_lshlrev_b32_e32 v22, 16, v22
	v_mul_f32_e32 v95, v95, v90
	v_dual_add_f32 v78, v78, v92 :: v_dual_and_b32 v91, 0xffff0000, v21
	v_and_b32_e32 v92, 0xffff0000, v23
	v_lshlrev_b32_e32 v23, 16, v23
	s_delay_alu instid0(VALU_DEP_4) | instskip(NEXT) | instid1(VALU_DEP_1)
	v_fmac_f32_e32 v95, v96, v20
	v_dual_add_f32 v78, v78, v95 :: v_dual_and_b32 v95, 0xffff0000, v24
	v_lshlrev_b32_e32 v21, 16, v21
	v_dual_add_f32 v79, v79, v98 :: v_dual_lshlrev_b32 v24, 16, v24
	v_mul_f32_e32 v98, v91, v84
	s_delay_alu instid0(VALU_DEP_1) | instskip(NEXT) | instid1(VALU_DEP_1)
	v_fmac_f32_e32 v98, v21, v29
	v_dual_add_f32 v73, v73, v98 :: v_dual_mul_f32 v98, v95, v31
	v_dual_fmac_f32 v97, v96, v17 :: v_dual_mul_f32 v96, v91, v82
	s_delay_alu instid0(VALU_DEP_2) | instskip(NEXT) | instid1(VALU_DEP_2)
	v_fmac_f32_e32 v98, v24, v25
	v_fmac_f32_e32 v96, v21, v36
	s_delay_alu instid0(VALU_DEP_1) | instskip(SKIP_1) | instid1(VALU_DEP_1)
	v_dual_add_f32 v76, v76, v97 :: v_dual_add_f32 v71, v71, v96
	v_mul_f32_e32 v96, v94, v30
	v_dual_fmac_f32 v96, v22, v26 :: v_dual_mul_f32 v93, v91, v81
	v_mul_f32_e32 v91, v91, v88
	s_delay_alu instid0(VALU_DEP_2) | instskip(NEXT) | instid1(VALU_DEP_1)
	v_dual_add_f32 v73, v73, v96 :: v_dual_mul_f32 v96, v95, v85
	v_dual_fmac_f32 v91, v21, v87 :: v_dual_fmac_f32 v96, v24, v17
	s_delay_alu instid0(VALU_DEP_1)
	v_add_f32_e32 v70, v70, v91
	v_fmac_f32_e32 v93, v21, v43
	s_waitcnt lgkmcnt(2)
	v_and_b32_e32 v91, 0xffff0000, v13
	v_mul_f32_e32 v97, v94, v80
	v_lshlrev_b32_e32 v13, 16, v13
	v_add_f32_e32 v77, v77, v93
	v_mul_f32_e32 v93, v92, v34
	s_delay_alu instid0(VALU_DEP_4) | instskip(NEXT) | instid1(VALU_DEP_2)
	v_fmac_f32_e32 v97, v22, v38
	v_fmac_f32_e32 v93, v23, v33
	s_delay_alu instid0(VALU_DEP_2) | instskip(SKIP_1) | instid1(VALU_DEP_2)
	v_add_f32_e32 v77, v77, v97
	v_mul_f32_e32 v97, v95, v37
	v_add_f32_e32 v77, v77, v93
	v_mul_f32_e32 v93, v94, v40
	s_delay_alu instid0(VALU_DEP_1) | instskip(NEXT) | instid1(VALU_DEP_1)
	v_fmac_f32_e32 v93, v22, v39
	v_add_f32_e32 v71, v71, v93
	v_mul_f32_e32 v93, v92, v32
	s_delay_alu instid0(VALU_DEP_1) | instskip(NEXT) | instid1(VALU_DEP_1)
	v_fmac_f32_e32 v93, v23, v27
	v_add_f32_e32 v21, v73, v93
	v_dual_mul_f32 v93, v94, v28 :: v_dual_and_b32 v94, 0xffff0000, v15
	v_lshlrev_b32_e32 v15, 16, v15
	s_delay_alu instid0(VALU_DEP_3) | instskip(NEXT) | instid1(VALU_DEP_3)
	v_add_f32_e32 v73, v21, v96
	v_dual_fmac_f32 v93, v22, v18 :: v_dual_mul_f32 v22, v91, v81
	v_mul_f32_e32 v21, v92, v89
	s_delay_alu instid0(VALU_DEP_2) | instskip(NEXT) | instid1(VALU_DEP_3)
	v_add_f32_e32 v70, v70, v93
	v_fmac_f32_e32 v22, v13, v43
	s_delay_alu instid0(VALU_DEP_1) | instskip(SKIP_2) | instid1(VALU_DEP_2)
	v_add_f32_e32 v22, v72, v22
	v_fmac_f32_e32 v97, v24, v35
	v_fmac_f32_e32 v21, v23, v19
	v_add_f32_e32 v77, v77, v97
	v_dual_mul_f32 v97, v92, v83 :: v_dual_and_b32 v92, 0xffff0000, v14
	s_delay_alu instid0(VALU_DEP_3) | instskip(NEXT) | instid1(VALU_DEP_2)
	v_dual_add_f32 v21, v70, v21 :: v_dual_lshlrev_b32 v14, 16, v14
	v_fmac_f32_e32 v97, v23, v86
	v_mul_f32_e32 v23, v95, v90
	s_delay_alu instid0(VALU_DEP_4) | instskip(SKIP_1) | instid1(VALU_DEP_3)
	v_mul_f32_e32 v93, v92, v80
	v_mul_f32_e32 v95, v92, v30
	v_dual_fmac_f32 v23, v24, v20 :: v_dual_mul_f32 v24, v94, v34
	s_delay_alu instid0(VALU_DEP_1) | instskip(SKIP_1) | instid1(VALU_DEP_3)
	v_dual_add_f32 v70, v21, v23 :: v_dual_and_b32 v21, 0xffff0000, v16
	v_dual_mul_f32 v23, v91, v82 :: v_dual_lshlrev_b32 v16, 16, v16
	v_dual_fmac_f32 v93, v14, v38 :: v_dual_fmac_f32 v24, v15, v33
	s_delay_alu instid0(VALU_DEP_3) | instskip(NEXT) | instid1(VALU_DEP_2)
	v_mul_f32_e32 v72, v21, v37
	v_dual_fmac_f32 v23, v13, v36 :: v_dual_add_f32 v22, v22, v93
	v_mul_f32_e32 v93, v92, v40
	s_delay_alu instid0(VALU_DEP_3) | instskip(NEXT) | instid1(VALU_DEP_3)
	v_fmac_f32_e32 v72, v16, v35
	v_add_f32_e32 v23, v74, v23
	v_mul_f32_e32 v74, v94, v83
	v_add_f32_e32 v22, v22, v24
	v_dual_mul_f32 v24, v91, v84 :: v_dual_fmac_f32 v93, v14, v39
	s_delay_alu instid0(VALU_DEP_3) | instskip(NEXT) | instid1(VALU_DEP_3)
	v_fmac_f32_e32 v74, v15, v86
	v_add_f32_e32 v72, v22, v72
	s_delay_alu instid0(VALU_DEP_3) | instskip(NEXT) | instid1(VALU_DEP_1)
	v_fmac_f32_e32 v24, v13, v29
	v_dual_add_f32 v22, v23, v93 :: v_dual_add_f32 v23, v68, v24
	v_dual_mul_f32 v24, v94, v32 :: v_dual_add_f32 v71, v71, v97
	v_mul_f32_e32 v68, v91, v88
	s_delay_alu instid0(VALU_DEP_3) | instskip(SKIP_1) | instid1(VALU_DEP_4)
	v_add_f32_e32 v22, v22, v74
	v_mul_f32_e32 v74, v21, v31
	v_fmac_f32_e32 v24, v15, v27
	s_delay_alu instid0(VALU_DEP_4) | instskip(SKIP_1) | instid1(VALU_DEP_4)
	v_dual_add_f32 v71, v71, v98 :: v_dual_fmac_f32 v68, v13, v87
	v_mul_f32_e32 v13, v92, v28
	v_fmac_f32_e32 v74, v16, v25
	s_waitcnt lgkmcnt(1)
	v_and_b32_e32 v92, 0xffff0000, v10
	v_and_b32_e32 v91, 0xffff0000, v9
	v_lshlrev_b32_e32 v10, 16, v10
	v_dual_add_f32 v74, v22, v74 :: v_dual_lshlrev_b32 v9, 16, v9
	s_delay_alu instid0(VALU_DEP_4) | instskip(NEXT) | instid1(VALU_DEP_1)
	v_mul_f32_e32 v22, v92, v40
	v_fmac_f32_e32 v22, v10, v39
	v_fmac_f32_e32 v95, v14, v26
	s_delay_alu instid0(VALU_DEP_1) | instskip(NEXT) | instid1(VALU_DEP_1)
	v_add_f32_e32 v23, v23, v95
	v_add_f32_e32 v23, v23, v24
	v_add_f32_e32 v24, v66, v68
	v_mul_f32_e32 v66, v21, v85
	v_dual_mul_f32 v21, v21, v90 :: v_dual_mul_f32 v68, v94, v89
	s_delay_alu instid0(VALU_DEP_2) | instskip(NEXT) | instid1(VALU_DEP_2)
	v_fmac_f32_e32 v66, v16, v17
	v_fmac_f32_e32 v21, v16, v20
	v_and_b32_e32 v16, 0xffff0000, v12
	v_dual_fmac_f32 v13, v14, v18 :: v_dual_lshlrev_b32 v12, 16, v12
	v_mul_f32_e32 v14, v91, v81
	s_delay_alu instid0(VALU_DEP_1) | instskip(SKIP_1) | instid1(VALU_DEP_2)
	v_dual_add_f32 v13, v24, v13 :: v_dual_fmac_f32 v14, v9, v43
	v_mul_f32_e32 v24, v92, v80
	v_add_f32_e32 v14, v69, v14
	s_delay_alu instid0(VALU_DEP_2) | instskip(NEXT) | instid1(VALU_DEP_1)
	v_fmac_f32_e32 v24, v10, v38
	v_add_f32_e32 v14, v14, v24
	v_fmac_f32_e32 v68, v15, v19
	v_and_b32_e32 v15, 0xffff0000, v11
	v_dual_mul_f32 v24, v92, v30 :: v_dual_lshlrev_b32 v11, 16, v11
	s_delay_alu instid0(VALU_DEP_3) | instskip(NEXT) | instid1(VALU_DEP_3)
	v_dual_add_f32 v13, v13, v68 :: v_dual_add_f32 v68, v23, v66
	v_mul_f32_e32 v69, v15, v34
	s_delay_alu instid0(VALU_DEP_3) | instskip(NEXT) | instid1(VALU_DEP_3)
	v_fmac_f32_e32 v24, v10, v26
	v_dual_add_f32 v66, v13, v21 :: v_dual_mul_f32 v13, v91, v82
	s_delay_alu instid0(VALU_DEP_1) | instskip(NEXT) | instid1(VALU_DEP_1)
	v_fmac_f32_e32 v13, v9, v36
	v_add_f32_e32 v13, v65, v13
	v_mul_f32_e32 v65, v15, v83
	s_delay_alu instid0(VALU_DEP_2) | instskip(NEXT) | instid1(VALU_DEP_2)
	v_add_f32_e32 v13, v13, v22
	v_dual_fmac_f32 v65, v11, v86 :: v_dual_mul_f32 v22, v16, v31
	s_delay_alu instid0(VALU_DEP_1) | instskip(NEXT) | instid1(VALU_DEP_2)
	v_add_f32_e32 v13, v13, v65
	v_fmac_f32_e32 v22, v12, v25
	s_delay_alu instid0(VALU_DEP_1)
	v_add_f32_e32 v65, v13, v22
	s_waitcnt lgkmcnt(0)
	v_and_b32_e32 v13, 0xffff0000, v5
	v_fmac_f32_e32 v69, v11, v33
	v_lshlrev_b32_e32 v5, 16, v5
	v_dual_mul_f32 v23, v16, v37 :: v_dual_and_b32 v22, 0xffff0000, v6
	v_lshlrev_b32_e32 v6, 16, v6
	s_delay_alu instid0(VALU_DEP_4) | instskip(NEXT) | instid1(VALU_DEP_3)
	v_dual_add_f32 v14, v14, v69 :: v_dual_mul_f32 v21, v91, v84
	v_fmac_f32_e32 v23, v12, v35
	v_mul_f32_e32 v91, v91, v88
	s_delay_alu instid0(VALU_DEP_2) | instskip(NEXT) | instid1(VALU_DEP_1)
	v_dual_add_f32 v69, v14, v23 :: v_dual_mul_f32 v14, v13, v81
	v_fmac_f32_e32 v14, v5, v43
	v_fmac_f32_e32 v21, v9, v29
	s_delay_alu instid0(VALU_DEP_4) | instskip(NEXT) | instid1(VALU_DEP_3)
	v_fmac_f32_e32 v91, v9, v87
	v_dual_mul_f32 v9, v92, v28 :: v_dual_add_f32 v14, v63, v14
	s_delay_alu instid0(VALU_DEP_3) | instskip(NEXT) | instid1(VALU_DEP_2)
	v_add_f32_e32 v21, v67, v21
	v_fmac_f32_e32 v9, v10, v18
	s_delay_alu instid0(VALU_DEP_2) | instskip(NEXT) | instid1(VALU_DEP_1)
	v_dual_add_f32 v21, v21, v24 :: v_dual_mul_f32 v24, v16, v85
	v_dual_fmac_f32 v24, v12, v17 :: v_dual_mul_f32 v67, v15, v32
	v_dual_mul_f32 v10, v15, v89 :: v_dual_mul_f32 v15, v22, v80
	s_delay_alu instid0(VALU_DEP_2) | instskip(NEXT) | instid1(VALU_DEP_2)
	v_fmac_f32_e32 v67, v11, v27
	v_dual_fmac_f32 v10, v11, v19 :: v_dual_mul_f32 v11, v16, v90
	s_delay_alu instid0(VALU_DEP_3) | instskip(NEXT) | instid1(VALU_DEP_2)
	v_fmac_f32_e32 v15, v6, v38
	v_dual_mul_f32 v16, v13, v82 :: v_dual_fmac_f32 v11, v12, v20
	s_delay_alu instid0(VALU_DEP_2) | instskip(NEXT) | instid1(VALU_DEP_2)
	v_add_f32_e32 v12, v14, v15
	v_fmac_f32_e32 v16, v5, v36
	v_mul_f32_e32 v14, v22, v40
	s_delay_alu instid0(VALU_DEP_2) | instskip(NEXT) | instid1(VALU_DEP_2)
	v_add_f32_e32 v16, v62, v16
	v_fmac_f32_e32 v14, v6, v39
	s_delay_alu instid0(VALU_DEP_1) | instskip(SKIP_2) | instid1(VALU_DEP_2)
	v_add_f32_e32 v14, v16, v14
	v_mul_f32_e32 v16, v13, v84
	v_mul_f32_e32 v13, v13, v88
	v_fmac_f32_e32 v16, v5, v29
	v_add_f32_e32 v21, v21, v67
	s_delay_alu instid0(VALU_DEP_2) | instskip(NEXT) | instid1(VALU_DEP_2)
	v_add_f32_e32 v16, v61, v16
	v_add_f32_e32 v67, v21, v24
	v_add_f32_e32 v21, v64, v91
	s_delay_alu instid0(VALU_DEP_1) | instskip(SKIP_1) | instid1(VALU_DEP_2)
	v_add_f32_e32 v9, v21, v9
	v_and_b32_e32 v21, 0xffff0000, v8
	v_dual_add_f32 v9, v9, v10 :: v_dual_lshlrev_b32 v8, 16, v8
	v_and_b32_e32 v10, 0xffff0000, v7
	s_delay_alu instid0(VALU_DEP_3) | instskip(NEXT) | instid1(VALU_DEP_2)
	v_dual_mul_f32 v24, v21, v37 :: v_dual_lshlrev_b32 v7, 16, v7
	v_dual_add_f32 v64, v9, v11 :: v_dual_mul_f32 v15, v10, v34
	v_mul_f32_e32 v23, v10, v83
	v_fmac_f32_e32 v13, v5, v87
	s_delay_alu instid0(VALU_DEP_4) | instskip(NEXT) | instid1(VALU_DEP_4)
	v_dual_mul_f32 v5, v22, v28 :: v_dual_fmac_f32 v24, v8, v35
	v_fmac_f32_e32 v15, v7, v33
	s_delay_alu instid0(VALU_DEP_4) | instskip(NEXT) | instid1(VALU_DEP_4)
	v_fmac_f32_e32 v23, v7, v86
	v_add_f32_e32 v13, v42, v13
	s_delay_alu instid0(VALU_DEP_3)
	v_dual_fmac_f32 v5, v6, v18 :: v_dual_add_f32 v12, v12, v15
	v_mul_f32_e32 v15, v22, v30
	v_mul_f32_e32 v22, v10, v32
	v_add_f32_e32 v14, v14, v23
	v_mul_f32_e32 v23, v21, v31
	v_add_f32_e32 v5, v13, v5
	v_fmac_f32_e32 v15, v6, v26
	v_mul_f32_e32 v6, v10, v89
	s_delay_alu instid0(VALU_DEP_4) | instskip(SKIP_1) | instid1(VALU_DEP_4)
	v_dual_fmac_f32 v22, v7, v27 :: v_dual_fmac_f32 v23, v8, v25
	v_add_f32_e32 v63, v12, v24
	v_dual_add_f32 v10, v16, v15 :: v_dual_mul_f32 v15, v21, v85
	s_delay_alu instid0(VALU_DEP_4) | instskip(NEXT) | instid1(VALU_DEP_4)
	v_fmac_f32_e32 v6, v7, v19
	v_dual_add_f32 v62, v14, v23 :: v_dual_mul_f32 v7, v21, v90
	s_delay_alu instid0(VALU_DEP_3) | instskip(NEXT) | instid1(VALU_DEP_3)
	v_dual_add_f32 v10, v10, v22 :: v_dual_fmac_f32 v15, v8, v17
	v_add_f32_e32 v5, v5, v6
	s_delay_alu instid0(VALU_DEP_3) | instskip(NEXT) | instid1(VALU_DEP_3)
	v_fmac_f32_e32 v7, v8, v20
	v_add_f32_e32 v61, v10, v15
	s_delay_alu instid0(VALU_DEP_2)
	v_add_f32_e32 v42, v5, v7
.LBB304_15:                             ;   in Loop: Header=BB304_16 Depth=2
	s_or_b32 exec_lo, exec_lo, s2
	s_addk_i32 s4, 0x200
	s_delay_alu instid0(SALU_CYCLE_1)
	s_cmp_ge_u32 s4, s16
	s_cbranch_scc1 .LBB304_27
.LBB304_16:                             ;   Parent Loop BB304_12 Depth=1
                                        ; =>  This Loop Header: Depth=2
                                        ;       Child Loop BB304_21 Depth 3
	s_cmp_eq_u32 s4, 0
	s_cselect_b32 s5, -1, 0
	s_add_i32 s2, s3, s24
	s_delay_alu instid0(SALU_CYCLE_1) | instskip(SKIP_1) | instid1(SALU_CYCLE_1)
	s_cmp_eq_u32 s4, s2
	s_cselect_b32 s42, -1, 0
	s_or_b32 s42, s5, s42
	s_delay_alu instid0(SALU_CYCLE_1)
	s_and_not1_b32 vcc_lo, exec_lo, s42
	s_cbranch_vccz .LBB304_18
; %bb.17:                               ;   in Loop: Header=BB304_16 Depth=2
	s_and_saveexec_b32 s2, s1
	s_cbranch_execz .LBB304_15
	s_branch .LBB304_25
.LBB304_18:                             ;   in Loop: Header=BB304_16 Depth=2
	s_and_b32 s5, s5, exec_lo
	s_cselect_b32 s3, s3, s2
	s_and_not1_b32 vcc_lo, exec_lo, s21
	s_waitcnt vmcnt(0)
	s_waitcnt_vscnt null, 0x0
	s_barrier
	buffer_gl0_inv
	s_cbranch_vccnz .LBB304_24
; %bb.19:                               ;   in Loop: Header=BB304_16 Depth=2
	v_dual_mov_b32 v10, v56 :: v_dual_add_nc_u32 v5, s3, v57
	v_add_nc_u32_e32 v6, s3, v45
	v_add_nc_u32_e32 v7, s3, v58
	;; [unrolled: 1-line block ×4, first 2 shown]
	s_mov_b32 s5, 0
	s_mov_b32 s42, 0
                                        ; implicit-def: $sgpr43
	s_branch .LBB304_21
.LBB304_20:                             ;   in Loop: Header=BB304_21 Depth=3
	s_or_b32 exec_lo, exec_lo, s2
	s_delay_alu instid0(SALU_CYCLE_1) | instskip(NEXT) | instid1(SALU_CYCLE_1)
	s_and_b32 s2, exec_lo, s43
	s_or_b32 s5, s2, s5
	s_delay_alu instid0(SALU_CYCLE_1)
	s_and_not1_b32 exec_lo, exec_lo, s5
	s_cbranch_execz .LBB304_23
.LBB304_21:                             ;   Parent Loop BB304_12 Depth=1
                                        ;     Parent Loop BB304_16 Depth=2
                                        ; =>    This Inner Loop Header: Depth=3
	s_delay_alu instid0(VALU_DEP_1) | instskip(SKIP_2) | instid1(VALU_DEP_2)
	v_add_nc_u32_e32 v43, s42, v9
	v_add_nc_u32_e32 v11, s42, v0
	s_or_b32 s43, s43, exec_lo
	v_cmp_gt_u32_e32 vcc_lo, s18, v43
	s_delay_alu instid0(VALU_DEP_2) | instskip(NEXT) | instid1(VALU_DEP_1)
	v_cmp_gt_u32_e64 s2, s24, v11
	s_and_b32 s44, s2, vcc_lo
	s_delay_alu instid0(SALU_CYCLE_1)
	s_and_saveexec_b32 s2, s44
	s_cbranch_execz .LBB304_20
; %bb.22:                               ;   in Loop: Header=BB304_21 Depth=3
	v_lshlrev_b64 v[11:12], 1, v[43:44]
	v_add_nc_u32_e32 v43, s42, v8
	v_add_nc_u32_e32 v31, s41, v10
	;; [unrolled: 1-line block ×3, first 2 shown]
	s_delay_alu instid0(VALU_DEP_3) | instskip(SKIP_3) | instid1(VALU_DEP_3)
	v_lshlrev_b64 v[13:14], 1, v[43:44]
	v_add_nc_u32_e32 v43, s42, v5
	v_add_co_u32 v11, vcc_lo, s12, v11
	v_add_co_ci_u32_e32 v12, vcc_lo, s13, v12, vcc_lo
	v_lshlrev_b64 v[15:16], 1, v[43:44]
	v_add_nc_u32_e32 v43, s42, v6
	v_add_co_u32 v17, vcc_lo, s12, v13
	v_add_co_ci_u32_e32 v18, vcc_lo, s13, v14, vcc_lo
	s_delay_alu instid0(VALU_DEP_3) | instskip(SKIP_3) | instid1(VALU_DEP_3)
	v_lshlrev_b64 v[23:24], 1, v[43:44]
	v_add_nc_u32_e32 v43, s42, v7
	v_add_co_u32 v19, vcc_lo, s12, v15
	v_add_co_ci_u32_e32 v20, vcc_lo, s13, v16, vcc_lo
	v_lshlrev_b64 v[25:26], 1, v[43:44]
	v_add_co_u32 v23, vcc_lo, s12, v23
	v_add_co_ci_u32_e32 v24, vcc_lo, s13, v24, vcc_lo
	s_clause 0x2
	global_load_b128 v[11:14], v[11:12], off
	global_load_b128 v[15:18], v[17:18], off
	;; [unrolled: 1-line block ×3, first 2 shown]
	v_add_co_u32 v27, vcc_lo, s12, v25
	v_add_co_ci_u32_e32 v28, vcc_lo, s13, v26, vcc_lo
	s_clause 0x1
	global_load_b128 v[23:26], v[23:24], off
	global_load_b128 v[27:30], v[27:28], off
	s_add_i32 s42, s42, s26
	s_waitcnt vmcnt(4)
	ds_store_b128 v10, v[11:14]
	s_waitcnt vmcnt(3)
	ds_store_2addr_b64 v31, v[15:16], v[17:18] offset1:1
	s_waitcnt vmcnt(2)
	ds_store_2addr_b32 v32, v19, v20 offset1:1
	ds_store_2addr_b32 v32, v21, v22 offset0:2 offset1:3
	s_cmp_ge_u32 s42, s24
	v_add_nc_u32_e32 v11, s9, v10
	s_cselect_b32 s44, -1, 0
	v_add_nc_u32_e32 v12, s38, v10
	v_add_nc_u32_e32 v10, s20, v10
	s_and_not1_b32 s43, s43, exec_lo
	s_and_b32 s44, s44, exec_lo
	s_waitcnt vmcnt(1)
	ds_store_2addr_b64 v11, v[23:24], v[25:26] offset1:1
	s_or_b32 s43, s43, s44
	s_waitcnt vmcnt(0)
	ds_store_2addr_b64 v12, v[27:28], v[29:30] offset1:1
	s_branch .LBB304_20
.LBB304_23:                             ;   in Loop: Header=BB304_16 Depth=2
	s_or_b32 exec_lo, exec_lo, s5
.LBB304_24:                             ;   in Loop: Header=BB304_16 Depth=2
	s_waitcnt lgkmcnt(0)
	s_barrier
	buffer_gl0_inv
	s_and_saveexec_b32 s2, s1
	s_cbranch_execz .LBB304_15
.LBB304_25:                             ;   in Loop: Header=BB304_16 Depth=2
	v_add_nc_u32_e32 v80, s4, v55
	v_dual_mov_b32 v16, 0 :: v_dual_mov_b32 v13, 0
	s_waitcnt vmcnt(0)
	v_dual_mov_b32 v14, 0 :: v_dual_mov_b32 v23, 0
	s_delay_alu instid0(VALU_DEP_3) | instskip(SKIP_2) | instid1(VALU_DEP_3)
	v_min_u32_e32 v43, s27, v80
	v_dual_mov_b32 v24, 0 :: v_dual_mov_b32 v21, 0
	v_dual_mov_b32 v22, 0 :: v_dual_mov_b32 v39, 0
	v_lshlrev_b64 v[5:6], 1, v[43:44]
	v_dual_mov_b32 v40, 0 :: v_dual_mov_b32 v37, 0
	v_dual_mov_b32 v38, 0 :: v_dual_mov_b32 v15, 0
	s_delay_alu instid0(VALU_DEP_3) | instskip(NEXT) | instid1(VALU_DEP_4)
	v_add_co_u32 v11, vcc_lo, s10, v5
	v_add_co_ci_u32_e32 v12, vcc_lo, s11, v6, vcc_lo
	s_delay_alu instid0(VALU_DEP_2) | instskip(NEXT) | instid1(VALU_DEP_2)
	v_add_co_u32 v5, vcc_lo, v11, v46
	v_add_co_ci_u32_e32 v6, vcc_lo, v12, v47, vcc_lo
	v_add_co_u32 v7, vcc_lo, v11, v48
	v_add_co_ci_u32_e32 v8, vcc_lo, v12, v49, vcc_lo
	v_add_co_u32 v9, vcc_lo, v11, v50
	v_add_co_ci_u32_e32 v10, vcc_lo, v12, v51, vcc_lo
	v_add_co_u32 v11, vcc_lo, v11, v52
	v_add_co_ci_u32_e32 v12, vcc_lo, v12, v53, vcc_lo
	s_clause 0x3
	global_load_b128 v[33:36], v[5:6], off slc dlc
	global_load_b128 v[29:32], v[7:8], off slc dlc
	;; [unrolled: 1-line block ×4, first 2 shown]
	v_dual_mov_b32 v8, 0 :: v_dual_mov_b32 v5, 0
	v_mov_b32_e32 v7, 0
	v_cmp_gt_u32_e32 vcc_lo, s16, v80
	v_dual_mov_b32 v6, 0 :: v_dual_mov_b32 v11, 0
	v_dual_mov_b32 v12, 0 :: v_dual_mov_b32 v9, 0
	v_mov_b32_e32 v10, 0
	s_and_saveexec_b32 s5, vcc_lo
	s_cbranch_execz .LBB304_14
; %bb.26:                               ;   in Loop: Header=BB304_16 Depth=2
	v_subrev_nc_u32_e32 v5, s3, v80
	s_delay_alu instid0(VALU_DEP_1) | instskip(NEXT) | instid1(VALU_DEP_1)
	v_lshlrev_b32_e32 v5, 1, v5
	v_add_nc_u32_e32 v6, s41, v5
	s_delay_alu instid0(VALU_DEP_1) | instskip(NEXT) | instid1(VALU_DEP_1)
	v_add_nc_u32_e32 v7, s41, v6
	v_add_nc_u32_e32 v8, s41, v7
	s_delay_alu instid0(VALU_DEP_1)
	v_add_nc_u32_e32 v43, s41, v8
	ds_load_b128 v[37:40], v5
	ds_load_b128 v[21:24], v6
	;; [unrolled: 1-line block ×5, first 2 shown]
	s_branch .LBB304_14
.LBB304_27:                             ;   in Loop: Header=BB304_12 Depth=1
	s_mov_b32 s1, exec_lo
	v_cmpx_le_u32_e64 s19, v41
	s_xor_b32 s1, exec_lo, s1
; %bb.28:                               ;   in Loop: Header=BB304_12 Depth=1
	v_add_nc_u32_e32 v41, s29, v41
                                        ; implicit-def: $vgpr42
                                        ; implicit-def: $vgpr61
                                        ; implicit-def: $vgpr62
                                        ; implicit-def: $vgpr63
                                        ; implicit-def: $vgpr64
                                        ; implicit-def: $vgpr67
                                        ; implicit-def: $vgpr65
                                        ; implicit-def: $vgpr69
                                        ; implicit-def: $vgpr66
                                        ; implicit-def: $vgpr68
                                        ; implicit-def: $vgpr74
                                        ; implicit-def: $vgpr72
                                        ; implicit-def: $vgpr70
                                        ; implicit-def: $vgpr73
                                        ; implicit-def: $vgpr71
                                        ; implicit-def: $vgpr77
                                        ; implicit-def: $vgpr78
                                        ; implicit-def: $vgpr76
                                        ; implicit-def: $vgpr79
                                        ; implicit-def: $vgpr75
; %bb.29:                               ;   in Loop: Header=BB304_12 Depth=1
	s_and_not1_saveexec_b32 s42, s1
	s_cbranch_execz .LBB304_11
; %bb.30:                               ;   in Loop: Header=BB304_12 Depth=1
	v_xor_b32_e32 v5, 16, v54
	v_cvt_i32_f32_e32 v6, v75
	s_waitcnt lgkmcnt(4)
	v_cvt_i32_f32_e32 v8, v76
	v_cvt_i32_f32_e32 v7, v79
	s_waitcnt lgkmcnt(0)
	v_cvt_i32_f32_e32 v10, v77
	v_cmp_gt_i32_e32 vcc_lo, 32, v5
	v_cvt_f32_i32_dpp v6, v6 row_shr:8 row_mask:0xf bank_mask:0xf bound_ctrl:1
	v_cvt_f32_i32_dpp v8, v8 row_shr:8 row_mask:0xf bank_mask:0xf bound_ctrl:1
	;; [unrolled: 1-line block ×4, first 2 shown]
	s_delay_alu instid0(VALU_DEP_4) | instskip(SKIP_1) | instid1(VALU_DEP_3)
	v_dual_cndmask_b32 v5, v54, v5 :: v_dual_add_f32 v6, v75, v6
	v_cvt_i32_f32_e32 v9, v78
	v_dual_add_f32 v7, v79, v7 :: v_dual_add_f32 v10, v77, v10
	s_delay_alu instid0(VALU_DEP_3) | instskip(NEXT) | instid1(VALU_DEP_4)
	v_dual_add_f32 v8, v76, v8 :: v_dual_lshlrev_b32 v5, 2, v5
	v_cvt_i32_f32_e32 v11, v6
	s_delay_alu instid0(VALU_DEP_3)
	v_cvt_i32_f32_e32 v12, v7
	v_cvt_f32_i32_dpp v9, v9 row_shr:8 row_mask:0xf bank_mask:0xf bound_ctrl:1
	v_cvt_i32_f32_e32 v15, v10
	v_cvt_i32_f32_e32 v13, v8
	v_cvt_f32_i32_dpp v11, v11 row_shr:4 row_mask:0xf bank_mask:0xf bound_ctrl:1
	v_cvt_f32_i32_dpp v12, v12 row_shr:4 row_mask:0xf bank_mask:0xf bound_ctrl:1
	s_delay_alu instid0(VALU_DEP_4) | instskip(NEXT) | instid1(VALU_DEP_4)
	v_cvt_f32_i32_dpp v15, v15 row_shr:4 row_mask:0xf bank_mask:0xf bound_ctrl:1
	v_cvt_f32_i32_dpp v13, v13 row_shr:4 row_mask:0xf bank_mask:0xf bound_ctrl:1
	s_delay_alu instid0(VALU_DEP_3) | instskip(NEXT) | instid1(VALU_DEP_2)
	v_dual_add_f32 v6, v6, v11 :: v_dual_add_f32 v7, v7, v12
	v_add_f32_e32 v8, v8, v13
	s_delay_alu instid0(VALU_DEP_2) | instskip(NEXT) | instid1(VALU_DEP_3)
	v_cvt_i32_f32_e32 v11, v6
	v_cvt_i32_f32_e32 v12, v7
	s_delay_alu instid0(VALU_DEP_3) | instskip(NEXT) | instid1(VALU_DEP_3)
	v_cvt_i32_f32_e32 v13, v8
	v_cvt_f32_i32_dpp v11, v11 row_shr:2 row_mask:0xf bank_mask:0xf bound_ctrl:1
	s_delay_alu instid0(VALU_DEP_3) | instskip(SKIP_1) | instid1(VALU_DEP_4)
	v_cvt_f32_i32_dpp v12, v12 row_shr:2 row_mask:0xf bank_mask:0xf bound_ctrl:1
	v_add_f32_e32 v10, v10, v15
	v_cvt_f32_i32_dpp v13, v13 row_shr:2 row_mask:0xf bank_mask:0xf bound_ctrl:1
	s_delay_alu instid0(VALU_DEP_3) | instskip(NEXT) | instid1(VALU_DEP_3)
	v_add_f32_e32 v7, v7, v12
	v_cvt_i32_f32_e32 v15, v10
	s_delay_alu instid0(VALU_DEP_3) | instskip(NEXT) | instid1(VALU_DEP_3)
	v_add_f32_e32 v8, v8, v13
	v_cvt_i32_f32_e32 v12, v7
	s_delay_alu instid0(VALU_DEP_3) | instskip(NEXT) | instid1(VALU_DEP_3)
	v_cvt_f32_i32_dpp v15, v15 row_shr:2 row_mask:0xf bank_mask:0xf bound_ctrl:1
	v_cvt_i32_f32_e32 v13, v8
	s_delay_alu instid0(VALU_DEP_3) | instskip(NEXT) | instid1(VALU_DEP_3)
	v_cvt_f32_i32_dpp v12, v12 row_shr:1 row_mask:0xf bank_mask:0xf bound_ctrl:1
	v_add_f32_e32 v10, v10, v15
	s_delay_alu instid0(VALU_DEP_3) | instskip(NEXT) | instid1(VALU_DEP_3)
	v_cvt_f32_i32_dpp v13, v13 row_shr:1 row_mask:0xf bank_mask:0xf bound_ctrl:1
	v_add_f32_e32 v75, v7, v12
	v_cvt_i32_f32_e32 v7, v71
	s_delay_alu instid0(VALU_DEP_4) | instskip(NEXT) | instid1(VALU_DEP_4)
	v_cvt_i32_f32_e32 v15, v10
	v_add_f32_e32 v51, v8, v13
	v_cvt_i32_f32_e32 v8, v73
	ds_bpermute_b32 v76, v5, v75
	v_cvt_f32_i32_dpp v7, v7 row_shr:8 row_mask:0xf bank_mask:0xf bound_ctrl:1
	v_cvt_f32_i32_dpp v15, v15 row_shr:1 row_mask:0xf bank_mask:0xf bound_ctrl:1
	v_cvt_f32_i32_dpp v8, v8 row_shr:8 row_mask:0xf bank_mask:0xf bound_ctrl:1
	v_add_f32_e32 v9, v78, v9
	s_delay_alu instid0(VALU_DEP_3) | instskip(SKIP_1) | instid1(VALU_DEP_4)
	v_add_f32_e32 v39, v10, v15
	v_cvt_i32_f32_e32 v10, v72
	v_add_f32_e32 v8, v73, v8
	s_delay_alu instid0(VALU_DEP_4) | instskip(NEXT) | instid1(VALU_DEP_3)
	v_cvt_i32_f32_e32 v14, v9
	v_cvt_f32_i32_dpp v10, v10 row_shr:8 row_mask:0xf bank_mask:0xf bound_ctrl:1
	s_delay_alu instid0(VALU_DEP_3) | instskip(NEXT) | instid1(VALU_DEP_3)
	v_cvt_i32_f32_e32 v13, v8
	v_cvt_f32_i32_dpp v14, v14 row_shr:4 row_mask:0xf bank_mask:0xf bound_ctrl:1
	s_delay_alu instid0(VALU_DEP_3) | instskip(NEXT) | instid1(VALU_DEP_3)
	v_add_f32_e32 v10, v72, v10
	v_cvt_f32_i32_dpp v13, v13 row_shr:4 row_mask:0xf bank_mask:0xf bound_ctrl:1
	s_delay_alu instid0(VALU_DEP_3)
	v_add_f32_e32 v9, v9, v14
	v_add_f32_e32 v7, v71, v7
	ds_bpermute_b32 v40, v5, v39
	v_cvt_i32_f32_e32 v15, v10
	v_add_f32_e32 v8, v8, v13
	v_cvt_i32_f32_e32 v14, v9
	v_cvt_i32_f32_e32 v12, v7
	s_delay_alu instid0(VALU_DEP_4) | instskip(NEXT) | instid1(VALU_DEP_4)
	v_cvt_f32_i32_dpp v15, v15 row_shr:4 row_mask:0xf bank_mask:0xf bound_ctrl:1
	v_cvt_i32_f32_e32 v13, v8
	s_delay_alu instid0(VALU_DEP_4)
	v_cvt_f32_i32_dpp v14, v14 row_shr:2 row_mask:0xf bank_mask:0xf bound_ctrl:1
	v_add_f32_e32 v6, v6, v11
	v_cvt_f32_i32_dpp v12, v12 row_shr:4 row_mask:0xf bank_mask:0xf bound_ctrl:1
	v_add_f32_e32 v10, v10, v15
	;; [unrolled: 2-line block ×3, first 2 shown]
	v_cvt_i32_f32_e32 v11, v6
	v_add_f32_e32 v7, v7, v12
	v_cvt_i32_f32_e32 v15, v10
	v_add_f32_e32 v8, v8, v13
	v_cvt_i32_f32_e32 v14, v9
	v_cvt_f32_i32_dpp v11, v11 row_shr:1 row_mask:0xf bank_mask:0xf bound_ctrl:1
	v_cvt_i32_f32_e32 v12, v7
	v_cvt_f32_i32_dpp v15, v15 row_shr:2 row_mask:0xf bank_mask:0xf bound_ctrl:1
	;; [unrolled: 2-line block ×3, first 2 shown]
	v_add_f32_e32 v77, v6, v11
	v_cvt_i32_f32_e32 v11, v74
	v_cvt_f32_i32_dpp v12, v12 row_shr:2 row_mask:0xf bank_mask:0xf bound_ctrl:1
	v_cvt_f32_i32_dpp v13, v13 row_shr:1 row_mask:0xf bank_mask:0xf bound_ctrl:1
	v_add_f32_e32 v6, v9, v14
	v_cvt_i32_f32_e32 v9, v70
	v_cvt_f32_i32_dpp v11, v11 row_shr:8 row_mask:0xf bank_mask:0xf bound_ctrl:1
	ds_bpermute_b32 v78, v5, v77
	ds_bpermute_b32 v52, v5, v51
	;; [unrolled: 1-line block ×3, first 2 shown]
	v_cvt_f32_i32_dpp v9, v9 row_shr:8 row_mask:0xf bank_mask:0xf bound_ctrl:1
	v_add_f32_e32 v11, v74, v11
	v_add_f32_e32 v10, v10, v15
	s_delay_alu instid0(VALU_DEP_2) | instskip(NEXT) | instid1(VALU_DEP_2)
	v_cvt_i32_f32_e32 v16, v11
	v_cvt_i32_f32_e32 v15, v10
	s_delay_alu instid0(VALU_DEP_2) | instskip(NEXT) | instid1(VALU_DEP_2)
	v_cvt_f32_i32_dpp v16, v16 row_shr:4 row_mask:0xf bank_mask:0xf bound_ctrl:1
	v_cvt_f32_i32_dpp v15, v15 row_shr:1 row_mask:0xf bank_mask:0xf bound_ctrl:1
	s_delay_alu instid0(VALU_DEP_2) | instskip(NEXT) | instid1(VALU_DEP_2)
	v_add_f32_e32 v11, v11, v16
	v_add_f32_e32 v31, v10, v15
	v_cvt_i32_f32_e32 v10, v65
	s_delay_alu instid0(VALU_DEP_3) | instskip(NEXT) | instid1(VALU_DEP_2)
	v_cvt_i32_f32_e32 v16, v11
	v_cvt_f32_i32_dpp v10, v10 row_shr:8 row_mask:0xf bank_mask:0xf bound_ctrl:1
	v_add_f32_e32 v7, v7, v12
	s_delay_alu instid0(VALU_DEP_3) | instskip(NEXT) | instid1(VALU_DEP_3)
	v_cvt_f32_i32_dpp v16, v16 row_shr:2 row_mask:0xf bank_mask:0xf bound_ctrl:1
	v_add_f32_e32 v10, v65, v10
	s_delay_alu instid0(VALU_DEP_3) | instskip(NEXT) | instid1(VALU_DEP_3)
	v_cvt_i32_f32_e32 v12, v7
	v_add_f32_e32 v11, v11, v16
	s_delay_alu instid0(VALU_DEP_3) | instskip(NEXT) | instid1(VALU_DEP_3)
	v_cvt_i32_f32_e32 v15, v10
	v_cvt_f32_i32_dpp v12, v12 row_shr:1 row_mask:0xf bank_mask:0xf bound_ctrl:1
	s_delay_alu instid0(VALU_DEP_3) | instskip(NEXT) | instid1(VALU_DEP_3)
	v_cvt_i32_f32_e32 v16, v11
	v_cvt_f32_i32_dpp v15, v15 row_shr:4 row_mask:0xf bank_mask:0xf bound_ctrl:1
	s_delay_alu instid0(VALU_DEP_3) | instskip(SKIP_1) | instid1(VALU_DEP_4)
	v_add_f32_e32 v47, v7, v12
	v_cvt_i32_f32_e32 v7, v68
	v_cvt_f32_i32_dpp v16, v16 row_shr:1 row_mask:0xf bank_mask:0xf bound_ctrl:1
	v_add_f32_e32 v9, v70, v9
	v_add_f32_e32 v10, v10, v15
	ds_bpermute_b32 v48, v5, v47
	v_cvt_f32_i32_dpp v7, v7 row_shr:8 row_mask:0xf bank_mask:0xf bound_ctrl:1
	v_add_f32_e32 v26, v11, v16
	v_cvt_i32_f32_e32 v14, v9
	v_cvt_i32_f32_e32 v11, v67
	;; [unrolled: 1-line block ×3, first 2 shown]
	ds_bpermute_b32 v27, v5, v26
	v_cvt_f32_i32_dpp v14, v14 row_shr:4 row_mask:0xf bank_mask:0xf bound_ctrl:1
	v_cvt_f32_i32_dpp v11, v11 row_shr:8 row_mask:0xf bank_mask:0xf bound_ctrl:1
	;; [unrolled: 1-line block ×3, first 2 shown]
	v_add_f32_e32 v37, v8, v13
	v_cvt_i32_f32_e32 v8, v66
	s_delay_alu instid0(VALU_DEP_3) | instskip(SKIP_4) | instid1(VALU_DEP_3)
	v_dual_add_f32 v9, v9, v14 :: v_dual_add_f32 v10, v10, v15
	ds_bpermute_b32 v38, v5, v37
	v_cvt_f32_i32_dpp v8, v8 row_shr:8 row_mask:0xf bank_mask:0xf bound_ctrl:1
	v_cvt_i32_f32_e32 v14, v9
	v_cvt_i32_f32_e32 v15, v10
	v_add_f32_e32 v8, v66, v8
	s_delay_alu instid0(VALU_DEP_3) | instskip(NEXT) | instid1(VALU_DEP_3)
	v_cvt_f32_i32_dpp v14, v14 row_shr:2 row_mask:0xf bank_mask:0xf bound_ctrl:1
	v_cvt_f32_i32_dpp v15, v15 row_shr:1 row_mask:0xf bank_mask:0xf bound_ctrl:1
	s_delay_alu instid0(VALU_DEP_3) | instskip(NEXT) | instid1(VALU_DEP_3)
	v_cvt_i32_f32_e32 v13, v8
	v_add_f32_e32 v9, v9, v14
	s_delay_alu instid0(VALU_DEP_3) | instskip(SKIP_1) | instid1(VALU_DEP_4)
	v_add_f32_e32 v19, v10, v15
	v_cvt_i32_f32_e32 v10, v61
	v_cvt_f32_i32_dpp v13, v13 row_shr:4 row_mask:0xf bank_mask:0xf bound_ctrl:1
	s_delay_alu instid0(VALU_DEP_4) | instskip(SKIP_4) | instid1(VALU_DEP_3)
	v_cvt_i32_f32_e32 v14, v9
	ds_bpermute_b32 v20, v5, v19
	v_cvt_f32_i32_dpp v10, v10 row_shr:8 row_mask:0xf bank_mask:0xf bound_ctrl:1
	v_add_f32_e32 v8, v8, v13
	v_cvt_f32_i32_dpp v14, v14 row_shr:1 row_mask:0xf bank_mask:0xf bound_ctrl:1
	v_add_f32_e32 v10, v61, v10
	s_delay_alu instid0(VALU_DEP_3) | instskip(NEXT) | instid1(VALU_DEP_3)
	v_cvt_i32_f32_e32 v13, v8
	v_add_f32_e32 v34, v9, v14
	v_cvt_i32_f32_e32 v9, v69
	s_delay_alu instid0(VALU_DEP_4) | instskip(NEXT) | instid1(VALU_DEP_4)
	v_cvt_i32_f32_e32 v17, v10
	v_cvt_f32_i32_dpp v13, v13 row_shr:2 row_mask:0xf bank_mask:0xf bound_ctrl:1
	ds_bpermute_b32 v35, v5, v34
	v_cvt_f32_i32_dpp v9, v9 row_shr:8 row_mask:0xf bank_mask:0xf bound_ctrl:1
	v_cvt_f32_i32_dpp v17, v17 row_shr:4 row_mask:0xf bank_mask:0xf bound_ctrl:1
	v_add_f32_e32 v8, v8, v13
	ds_bpermute_b32 v32, v5, v31
	v_add_f32_e32 v10, v10, v17
	v_cvt_i32_f32_e32 v13, v8
	s_delay_alu instid0(VALU_DEP_2) | instskip(NEXT) | instid1(VALU_DEP_2)
	v_cvt_i32_f32_e32 v17, v10
	v_cvt_f32_i32_dpp v13, v13 row_shr:1 row_mask:0xf bank_mask:0xf bound_ctrl:1
	v_add_f32_e32 v11, v67, v11
	s_delay_alu instid0(VALU_DEP_3) | instskip(NEXT) | instid1(VALU_DEP_3)
	v_cvt_f32_i32_dpp v17, v17 row_shr:2 row_mask:0xf bank_mask:0xf bound_ctrl:1
	v_add_f32_e32 v24, v8, v13
	v_cvt_i32_f32_e32 v8, v63
	s_delay_alu instid0(VALU_DEP_4) | instskip(NEXT) | instid1(VALU_DEP_4)
	v_cvt_i32_f32_e32 v16, v11
	v_add_f32_e32 v10, v10, v17
	ds_bpermute_b32 v25, v5, v24
	v_cvt_f32_i32_dpp v8, v8 row_shr:8 row_mask:0xf bank_mask:0xf bound_ctrl:1
	v_add_f32_e32 v7, v68, v7
	v_cvt_f32_i32_dpp v16, v16 row_shr:4 row_mask:0xf bank_mask:0xf bound_ctrl:1
	v_cvt_i32_f32_e32 v17, v10
	s_delay_alu instid0(VALU_DEP_4) | instskip(NEXT) | instid1(VALU_DEP_4)
	v_add_f32_e32 v8, v63, v8
	v_cvt_i32_f32_e32 v12, v7
	s_delay_alu instid0(VALU_DEP_4)
	v_add_f32_e32 v11, v11, v16
	s_waitcnt vmcnt(0)
	v_cvt_f32_i32_dpp v23, v17 row_shr:1 row_mask:0xf bank_mask:0xf bound_ctrl:1
	v_cvt_i32_f32_e32 v13, v8
	v_cvt_f32_i32_dpp v12, v12 row_shr:4 row_mask:0xf bank_mask:0xf bound_ctrl:1
	v_cvt_i32_f32_e32 v16, v11
	s_delay_alu instid0(VALU_DEP_3) | instskip(NEXT) | instid1(VALU_DEP_3)
	v_cvt_f32_i32_dpp v13, v13 row_shr:4 row_mask:0xf bank_mask:0xf bound_ctrl:1
	v_add_f32_e32 v7, v7, v12
	s_delay_alu instid0(VALU_DEP_3) | instskip(NEXT) | instid1(VALU_DEP_3)
	v_cvt_f32_i32_dpp v16, v16 row_shr:2 row_mask:0xf bank_mask:0xf bound_ctrl:1
	v_add_f32_e32 v8, v8, v13
	s_delay_alu instid0(VALU_DEP_3) | instskip(NEXT) | instid1(VALU_DEP_3)
	v_cvt_i32_f32_e32 v12, v7
	v_add_f32_e32 v11, v11, v16
	s_delay_alu instid0(VALU_DEP_3) | instskip(NEXT) | instid1(VALU_DEP_3)
	v_cvt_i32_f32_e32 v13, v8
	v_cvt_f32_i32_dpp v12, v12 row_shr:2 row_mask:0xf bank_mask:0xf bound_ctrl:1
	s_delay_alu instid0(VALU_DEP_3) | instskip(NEXT) | instid1(VALU_DEP_3)
	v_cvt_i32_f32_e32 v16, v11
	v_cvt_f32_i32_dpp v13, v13 row_shr:2 row_mask:0xf bank_mask:0xf bound_ctrl:1
	s_delay_alu instid0(VALU_DEP_3) | instskip(NEXT) | instid1(VALU_DEP_3)
	v_add_f32_e32 v7, v7, v12
	v_cvt_f32_i32_dpp v16, v16 row_shr:1 row_mask:0xf bank_mask:0xf bound_ctrl:1
	s_delay_alu instid0(VALU_DEP_3) | instskip(NEXT) | instid1(VALU_DEP_3)
	v_add_f32_e32 v8, v8, v13
	v_cvt_i32_f32_e32 v12, v7
	s_delay_alu instid0(VALU_DEP_3) | instskip(SKIP_1) | instid1(VALU_DEP_4)
	v_add_f32_e32 v15, v11, v16
	v_cvt_i32_f32_e32 v11, v42
	v_cvt_i32_f32_e32 v13, v8
	s_delay_alu instid0(VALU_DEP_4)
	v_cvt_f32_i32_dpp v12, v12 row_shr:1 row_mask:0xf bank_mask:0xf bound_ctrl:1
	ds_bpermute_b32 v16, v5, v15
	v_cvt_f32_i32_dpp v11, v11 row_shr:8 row_mask:0xf bank_mask:0xf bound_ctrl:1
	v_cvt_f32_i32_dpp v13, v13 row_shr:1 row_mask:0xf bank_mask:0xf bound_ctrl:1
	v_add_f32_e32 v29, v7, v12
	v_cvt_i32_f32_e32 v7, v64
	s_delay_alu instid0(VALU_DEP_4) | instskip(NEXT) | instid1(VALU_DEP_4)
	v_add_f32_e32 v11, v42, v11
	v_add_f32_e32 v13, v8, v13
	ds_bpermute_b32 v30, v5, v29
	v_cvt_f32_i32_dpp v7, v7 row_shr:8 row_mask:0xf bank_mask:0xf bound_ctrl:1
	v_cvt_i32_f32_e32 v18, v11
	s_delay_alu instid0(VALU_DEP_2) | instskip(NEXT) | instid1(VALU_DEP_2)
	v_add_f32_e32 v7, v64, v7
	v_cvt_f32_i32_dpp v18, v18 row_shr:4 row_mask:0xf bank_mask:0xf bound_ctrl:1
	s_delay_alu instid0(VALU_DEP_2) | instskip(NEXT) | instid1(VALU_DEP_2)
	v_cvt_i32_f32_e32 v12, v7
	v_add_f32_e32 v11, v11, v18
	s_delay_alu instid0(VALU_DEP_2) | instskip(NEXT) | instid1(VALU_DEP_2)
	v_cvt_f32_i32_dpp v12, v12 row_shr:4 row_mask:0xf bank_mask:0xf bound_ctrl:1
	v_cvt_i32_f32_e32 v18, v11
	s_delay_alu instid0(VALU_DEP_2) | instskip(NEXT) | instid1(VALU_DEP_2)
	v_add_f32_e32 v7, v7, v12
	v_cvt_f32_i32_dpp v18, v18 row_shr:2 row_mask:0xf bank_mask:0xf bound_ctrl:1
	v_add_f32_e32 v9, v69, v9
	s_delay_alu instid0(VALU_DEP_3) | instskip(NEXT) | instid1(VALU_DEP_1)
	v_cvt_i32_f32_e32 v12, v7
	v_cvt_f32_i32_dpp v12, v12 row_shr:2 row_mask:0xf bank_mask:0xf bound_ctrl:1
	s_delay_alu instid0(VALU_DEP_1) | instskip(SKIP_2) | instid1(VALU_DEP_3)
	v_add_f32_e32 v7, v7, v12
	v_add_f32_e32 v12, v11, v18
	v_cvt_i32_f32_e32 v14, v9
	v_cvt_i32_f32_e32 v11, v7
	s_delay_alu instid0(VALU_DEP_3) | instskip(NEXT) | instid1(VALU_DEP_3)
	v_cvt_i32_f32_e32 v18, v12
	v_cvt_f32_i32_dpp v14, v14 row_shr:4 row_mask:0xf bank_mask:0xf bound_ctrl:1
	s_delay_alu instid0(VALU_DEP_3) | instskip(NEXT) | instid1(VALU_DEP_3)
	v_cvt_f32_i32_dpp v11, v11 row_shr:1 row_mask:0xf bank_mask:0xf bound_ctrl:1
	v_cvt_f32_i32_dpp v18, v18 row_shr:1 row_mask:0xf bank_mask:0xf bound_ctrl:1
	s_delay_alu instid0(VALU_DEP_3) | instskip(NEXT) | instid1(VALU_DEP_3)
	v_add_f32_e32 v9, v9, v14
	v_add_f32_e32 v17, v7, v11
	s_delay_alu instid0(VALU_DEP_3) | instskip(NEXT) | instid1(VALU_DEP_3)
	v_add_f32_e32 v7, v12, v18
	v_cvt_i32_f32_e32 v14, v9
	ds_bpermute_b32 v18, v5, v17
	ds_bpermute_b32 v8, v5, v7
	v_cvt_f32_i32_dpp v14, v14 row_shr:2 row_mask:0xf bank_mask:0xf bound_ctrl:1
	s_delay_alu instid0(VALU_DEP_1) | instskip(NEXT) | instid1(VALU_DEP_1)
	v_add_f32_e32 v9, v9, v14
	v_cvt_i32_f32_e32 v14, v9
	s_delay_alu instid0(VALU_DEP_1) | instskip(NEXT) | instid1(VALU_DEP_1)
	v_cvt_f32_i32_dpp v14, v14 row_shr:1 row_mask:0xf bank_mask:0xf bound_ctrl:1
	v_add_f32_e32 v21, v9, v14
	v_cvt_i32_f32_e32 v9, v62
	ds_bpermute_b32 v22, v5, v21
	v_cvt_f32_i32_dpp v9, v9 row_shr:8 row_mask:0xf bank_mask:0xf bound_ctrl:1
	s_delay_alu instid0(VALU_DEP_1) | instskip(NEXT) | instid1(VALU_DEP_1)
	v_add_f32_e32 v9, v62, v9
	v_cvt_i32_f32_e32 v14, v9
	s_delay_alu instid0(VALU_DEP_1) | instskip(NEXT) | instid1(VALU_DEP_1)
	v_cvt_f32_i32_dpp v14, v14 row_shr:4 row_mask:0xf bank_mask:0xf bound_ctrl:1
	v_add_f32_e32 v9, v9, v14
	s_delay_alu instid0(VALU_DEP_1) | instskip(NEXT) | instid1(VALU_DEP_1)
	v_cvt_i32_f32_e32 v14, v9
	v_cvt_f32_i32_dpp v14, v14 row_shr:2 row_mask:0xf bank_mask:0xf bound_ctrl:1
	s_delay_alu instid0(VALU_DEP_1) | instskip(NEXT) | instid1(VALU_DEP_1)
	v_add_f32_e32 v9, v9, v14
	v_cvt_i32_f32_e32 v14, v9
	s_delay_alu instid0(VALU_DEP_1) | instskip(NEXT) | instid1(VALU_DEP_1)
	v_cvt_f32_i32_dpp v14, v14 row_shr:1 row_mask:0xf bank_mask:0xf bound_ctrl:1
	v_add_f32_e32 v11, v9, v14
	v_add_f32_e32 v9, v10, v23
	ds_bpermute_b32 v14, v5, v13
	ds_bpermute_b32 v12, v5, v11
	;; [unrolled: 1-line block ×3, first 2 shown]
	s_and_saveexec_b32 s5, s0
	s_cbranch_execz .LBB304_153
; %bb.31:                               ;   in Loop: Header=BB304_12 Depth=1
	v_dual_mov_b32 v42, 0 :: v_dual_add_nc_u32 v43, 2, v41
	v_dual_mov_b32 v72, 0 :: v_dual_add_nc_u32 v5, 3, v41
	v_dual_mov_b32 v71, 0 :: v_dual_mov_b32 v70, 0
	v_dual_mov_b32 v69, 0 :: v_dual_mov_b32 v68, 0
	;; [unrolled: 1-line block ×9, first 2 shown]
	s_and_not1_b32 vcc_lo, exec_lo, s30
	s_cbranch_vccnz .LBB304_33
; %bb.32:                               ;   in Loop: Header=BB304_12 Depth=1
	v_mul_hi_u32 v23, v41, v60
	v_mul_hi_u32 v33, v43, v60
	v_mul_hi_u32 v36, v5, v60
	s_delay_alu instid0(VALU_DEP_3) | instskip(NEXT) | instid1(VALU_DEP_3)
	v_mul_lo_u32 v23, v23, s8
	v_mul_lo_u32 v33, v33, s8
	s_delay_alu instid0(VALU_DEP_3) | instskip(NEXT) | instid1(VALU_DEP_3)
	v_mul_lo_u32 v36, v36, s8
	v_sub_nc_u32_e32 v23, v41, v23
	s_delay_alu instid0(VALU_DEP_3) | instskip(NEXT) | instid1(VALU_DEP_3)
	v_sub_nc_u32_e32 v33, v43, v33
	v_sub_nc_u32_e32 v36, v5, v36
	s_delay_alu instid0(VALU_DEP_3) | instskip(SKIP_2) | instid1(VALU_DEP_4)
	v_subrev_nc_u32_e32 v46, s8, v23
	v_cmp_le_u32_e32 vcc_lo, s8, v23
	v_add_nc_u32_e32 v28, 1, v41
	v_subrev_nc_u32_e32 v50, s8, v36
	s_delay_alu instid0(VALU_DEP_4) | instskip(NEXT) | instid1(VALU_DEP_3)
	v_cndmask_b32_e32 v23, v23, v46, vcc_lo
	v_mul_hi_u32 v42, v28, v60
	v_cmp_le_u32_e32 vcc_lo, s8, v33
	s_delay_alu instid0(VALU_DEP_2) | instskip(NEXT) | instid1(VALU_DEP_1)
	v_mul_lo_u32 v42, v42, s8
	v_sub_nc_u32_e32 v28, v28, v42
	v_subrev_nc_u32_e32 v42, s8, v33
	v_mov_b32_e32 v62, v44
	s_delay_alu instid0(VALU_DEP_3) | instskip(NEXT) | instid1(VALU_DEP_3)
	v_subrev_nc_u32_e32 v46, s8, v28
	v_cndmask_b32_e32 v33, v33, v42, vcc_lo
	v_cmp_le_u32_e32 vcc_lo, s8, v36
	v_subrev_nc_u32_e32 v42, s8, v23
	v_cndmask_b32_e32 v36, v36, v50, vcc_lo
	v_cmp_le_u32_e32 vcc_lo, s8, v28
	s_delay_alu instid0(VALU_DEP_2)
	v_subrev_nc_u32_e32 v50, s8, v36
	v_cndmask_b32_e32 v28, v28, v46, vcc_lo
	v_cmp_le_u32_e32 vcc_lo, s8, v23
	v_mov_b32_e32 v64, v44
	v_subrev_nc_u32_e32 v46, s8, v33
	v_cndmask_b32_e32 v61, v23, v42, vcc_lo
	v_cmp_le_u32_e32 vcc_lo, s8, v33
	v_mov_b32_e32 v66, v44
	v_mov_b32_e32 v68, v44
	s_delay_alu instid0(VALU_DEP_4) | instskip(SKIP_4) | instid1(VALU_DEP_4)
	v_dual_mov_b32 v84, v44 :: v_dual_add_nc_u32 v89, s34, v61
	v_cndmask_b32_e32 v65, v33, v46, vcc_lo
	v_cmp_le_u32_e32 vcc_lo, s8, v36
	v_lshlrev_b64 v[69:70], 1, v[61:62]
	v_dual_mov_b32 v88, v44 :: v_dual_add_nc_u32 v81, s33, v61
	v_add_nc_u32_e32 v85, s33, v65
	v_subrev_nc_u32_e32 v23, s8, v28
	v_cndmask_b32_e32 v67, v36, v50, vcc_lo
	v_cmp_le_u32_e32 vcc_lo, s8, v28
	v_lshlrev_b64 v[71:72], 1, v[65:66]
	v_mov_b32_e32 v82, v44
	v_mov_b32_e32 v90, v44
	v_lshlrev_b64 v[73:74], 1, v[67:68]
	v_cndmask_b32_e32 v63, v28, v23, vcc_lo
	v_add_co_u32 v68, vcc_lo, s14, v69
	v_add_co_ci_u32_e32 v69, vcc_lo, s15, v70, vcc_lo
	s_delay_alu instid0(VALU_DEP_3)
	v_lshlrev_b64 v[79:80], 1, v[63:64]
	v_add_nc_u32_e32 v83, s33, v63
	v_add_nc_u32_e32 v87, s33, v67
	v_lshlrev_b64 v[81:82], 1, v[81:82]
	v_dual_mov_b32 v86, v44 :: v_dual_add_nc_u32 v91, s34, v63
	v_add_co_u32 v79, vcc_lo, s14, v79
	v_add_co_ci_u32_e32 v80, vcc_lo, s15, v80, vcc_lo
	v_add_co_u32 v70, vcc_lo, s14, v71
	v_add_co_ci_u32_e32 v71, vcc_lo, s15, v72, vcc_lo
	v_add_co_u32 v73, vcc_lo, s14, v73
	v_lshlrev_b64 v[83:84], 1, v[83:84]
	v_add_co_ci_u32_e32 v74, vcc_lo, s15, v74, vcc_lo
	v_add_co_u32 v81, vcc_lo, s14, v81
	v_lshlrev_b64 v[85:86], 1, v[85:86]
	;; [unrolled: 3-line block ×3, first 2 shown]
	v_add_co_ci_u32_e32 v84, vcc_lo, s15, v84, vcc_lo
	v_add_co_u32 v85, vcc_lo, s14, v85
	v_add_co_ci_u32_e32 v86, vcc_lo, s15, v86, vcc_lo
	s_delay_alu instid0(VALU_DEP_4)
	v_add_co_u32 v87, vcc_lo, s14, v87
	v_mov_b32_e32 v92, v44
	v_add_co_ci_u32_e32 v88, vcc_lo, s15, v88, vcc_lo
	s_clause 0x7
	global_load_u16 v42, v[68:69], off
	global_load_u16 v72, v[79:80], off
	;; [unrolled: 1-line block ×8, first 2 shown]
	v_add_nc_u32_e32 v85, s35, v61
	v_add_nc_u32_e32 v83, s34, v67
	v_lshlrev_b64 v[89:90], 1, v[89:90]
	v_dual_mov_b32 v80, v44 :: v_dual_add_nc_u32 v79, s34, v65
	v_add_nc_u32_e32 v87, s35, v63
	v_lshlrev_b64 v[73:74], 1, v[91:92]
	v_mov_b32_e32 v84, v44
	v_add_co_u32 v81, vcc_lo, s14, v89
	v_add_nc_u32_e32 v89, s35, v65
	v_lshlrev_b64 v[79:80], 1, v[79:80]
	v_dual_mov_b32 v86, v44 :: v_dual_add_nc_u32 v91, s35, v67
	v_add_co_ci_u32_e32 v82, vcc_lo, s15, v90, vcc_lo
	v_add_co_u32 v73, vcc_lo, s14, v73
	v_lshlrev_b64 v[83:84], 1, v[83:84]
	v_dual_mov_b32 v88, v44 :: v_dual_add_nc_u32 v61, s40, v61
	v_add_co_ci_u32_e32 v74, vcc_lo, s15, v74, vcc_lo
	v_add_co_u32 v79, vcc_lo, s14, v79
	;; [unrolled: 4-line block ×3, first 2 shown]
	v_lshlrev_b64 v[87:88], 1, v[87:88]
	v_add_co_ci_u32_e32 v84, vcc_lo, s15, v84, vcc_lo
	v_add_co_u32 v85, vcc_lo, s14, v85
	v_lshlrev_b64 v[89:90], 1, v[89:90]
	v_add_co_ci_u32_e32 v86, vcc_lo, s15, v86, vcc_lo
	v_add_co_u32 v87, vcc_lo, s14, v87
	;; [unrolled: 3-line block ×3, first 2 shown]
	v_lshlrev_b64 v[61:62], 1, v[61:62]
	v_add_co_ci_u32_e32 v90, vcc_lo, s15, v90, vcc_lo
	v_dual_mov_b32 v94, v44 :: v_dual_add_nc_u32 v95, s40, v65
	v_add_co_u32 v91, vcc_lo, s14, v91
	v_mov_b32_e32 v96, v44
	v_add_co_ci_u32_e32 v92, vcc_lo, s15, v92, vcc_lo
	v_add_co_u32 v97, vcc_lo, s14, v61
	v_lshlrev_b64 v[93:94], 1, v[93:94]
	v_add_co_ci_u32_e32 v98, vcc_lo, s15, v62, vcc_lo
	v_lshlrev_b64 v[61:62], 1, v[95:96]
	v_add_nc_u32_e32 v95, s40, v67
	s_delay_alu instid0(VALU_DEP_4) | instskip(SKIP_1) | instid1(VALU_DEP_3)
	v_add_co_u32 v93, vcc_lo, s14, v93
	v_add_co_ci_u32_e32 v94, vcc_lo, s15, v94, vcc_lo
	v_lshlrev_b64 v[95:96], 1, v[95:96]
	v_add_co_u32 v99, vcc_lo, s14, v61
	v_add_co_ci_u32_e32 v100, vcc_lo, s15, v62, vcc_lo
	s_delay_alu instid0(VALU_DEP_3) | instskip(NEXT) | instid1(VALU_DEP_4)
	v_add_co_u32 v95, vcc_lo, s14, v95
	v_add_co_ci_u32_e32 v96, vcc_lo, s15, v96, vcc_lo
	s_clause 0xb
	global_load_u16 v67, v[81:82], off
	global_load_u16 v65, v[73:74], off
	global_load_u16 v63, v[79:80], off
	global_load_u16 v62, v[83:84], off
	global_load_u16 v61, v[85:86], off
	global_load_u16 v53, v[87:88], off
	global_load_u16 v50, v[89:90], off
	global_load_u16 v46, v[91:92], off
	global_load_u16 v36, v[97:98], off
	global_load_u16 v33, v[93:94], off
	global_load_u16 v28, v[99:100], off
	global_load_u16 v23, v[95:96], off
.LBB304_33:                             ;   in Loop: Header=BB304_12 Depth=1
	v_cmp_ne_u32_e32 vcc_lo, 0, v1
	s_and_saveexec_b32 s2, vcc_lo
	s_cbranch_execnz .LBB304_53
; %bb.34:                               ;   in Loop: Header=BB304_12 Depth=1
	s_or_b32 exec_lo, exec_lo, s2
	v_cmp_ne_u32_e64 s1, 0, v2
	s_delay_alu instid0(VALU_DEP_1)
	s_and_saveexec_b32 s3, s1
	s_cbranch_execnz .LBB304_58
.LBB304_35:                             ;   in Loop: Header=BB304_12 Depth=1
	s_or_b32 exec_lo, exec_lo, s3
	v_cmp_ne_u32_e64 s2, 0, v3
	s_delay_alu instid0(VALU_DEP_1)
	s_and_saveexec_b32 s4, s2
	s_cbranch_execnz .LBB304_63
.LBB304_36:                             ;   in Loop: Header=BB304_12 Depth=1
	s_or_b32 exec_lo, exec_lo, s4
	v_cmp_ne_u32_e64 s3, 0, v4
	s_delay_alu instid0(VALU_DEP_1)
	s_and_saveexec_b32 s43, s3
	s_cbranch_execnz .LBB304_68
.LBB304_37:                             ;   in Loop: Header=BB304_12 Depth=1
	s_or_b32 exec_lo, exec_lo, s43
	v_add_nc_u32_e32 v43, s19, v41
	s_and_saveexec_b32 s43, vcc_lo
	s_cbranch_execnz .LBB304_73
.LBB304_38:                             ;   in Loop: Header=BB304_12 Depth=1
	s_or_b32 exec_lo, exec_lo, s43
	s_and_saveexec_b32 s43, s1
	s_cbranch_execnz .LBB304_78
.LBB304_39:                             ;   in Loop: Header=BB304_12 Depth=1
	s_or_b32 exec_lo, exec_lo, s43
	s_and_saveexec_b32 s43, s2
	s_cbranch_execnz .LBB304_83
.LBB304_40:                             ;   in Loop: Header=BB304_12 Depth=1
	s_or_b32 exec_lo, exec_lo, s43
	s_and_saveexec_b32 s43, s3
	s_cbranch_execnz .LBB304_88
.LBB304_41:                             ;   in Loop: Header=BB304_12 Depth=1
	s_or_b32 exec_lo, exec_lo, s43
	v_add_nc_u32_e32 v43, s19, v43
	s_and_saveexec_b32 s43, vcc_lo
	s_cbranch_execnz .LBB304_93
.LBB304_42:                             ;   in Loop: Header=BB304_12 Depth=1
	s_or_b32 exec_lo, exec_lo, s43
	s_and_saveexec_b32 s43, s1
	s_cbranch_execnz .LBB304_98
.LBB304_43:                             ;   in Loop: Header=BB304_12 Depth=1
	s_or_b32 exec_lo, exec_lo, s43
	s_and_saveexec_b32 s43, s2
	s_cbranch_execnz .LBB304_103
.LBB304_44:                             ;   in Loop: Header=BB304_12 Depth=1
	s_or_b32 exec_lo, exec_lo, s43
	s_and_saveexec_b32 s43, s3
	s_cbranch_execnz .LBB304_108
.LBB304_45:                             ;   in Loop: Header=BB304_12 Depth=1
	s_or_b32 exec_lo, exec_lo, s43
	v_add_nc_u32_e32 v43, s19, v43
	s_and_saveexec_b32 s43, vcc_lo
	s_cbranch_execnz .LBB304_113
.LBB304_46:                             ;   in Loop: Header=BB304_12 Depth=1
	s_or_b32 exec_lo, exec_lo, s43
	s_and_saveexec_b32 s43, s1
	s_cbranch_execnz .LBB304_118
.LBB304_47:                             ;   in Loop: Header=BB304_12 Depth=1
	s_or_b32 exec_lo, exec_lo, s43
	s_and_saveexec_b32 s43, s2
	s_cbranch_execnz .LBB304_123
.LBB304_48:                             ;   in Loop: Header=BB304_12 Depth=1
	s_or_b32 exec_lo, exec_lo, s43
	s_and_saveexec_b32 s43, s3
	s_cbranch_execnz .LBB304_128
.LBB304_49:                             ;   in Loop: Header=BB304_12 Depth=1
	s_or_b32 exec_lo, exec_lo, s43
	v_add_nc_u32_e32 v43, s19, v43
	s_and_saveexec_b32 s4, vcc_lo
	s_cbranch_execnz .LBB304_133
.LBB304_50:                             ;   in Loop: Header=BB304_12 Depth=1
	s_or_b32 exec_lo, exec_lo, s4
	s_and_saveexec_b32 s4, s1
	s_cbranch_execnz .LBB304_138
.LBB304_51:                             ;   in Loop: Header=BB304_12 Depth=1
	s_or_b32 exec_lo, exec_lo, s4
	s_and_saveexec_b32 s1, s2
	s_cbranch_execnz .LBB304_143
.LBB304_52:                             ;   in Loop: Header=BB304_12 Depth=1
	s_or_b32 exec_lo, exec_lo, s1
	s_delay_alu instid0(SALU_CYCLE_1)
	s_and_b32 exec_lo, exec_lo, s3
	s_cbranch_execnz .LBB304_148
	s_branch .LBB304_153
.LBB304_53:                             ;   in Loop: Header=BB304_12 Depth=1
	s_waitcnt lgkmcnt(17)
	v_add_f32_e32 v73, v77, v78
	s_waitcnt vmcnt(19)
	v_lshlrev_b32_e32 v42, 16, v42
	s_delay_alu instid0(VALU_DEP_1) | instskip(NEXT) | instid1(VALU_DEP_1)
	v_add_f32_e32 v42, v73, v42
	v_and_b32_e32 v73, 0x7f800000, v42
	s_delay_alu instid0(VALU_DEP_1) | instskip(NEXT) | instid1(VALU_DEP_1)
	v_cmp_ne_u32_e64 s1, 0x7f800000, v73
                                        ; implicit-def: $vgpr73
	s_and_saveexec_b32 s3, s1
	s_delay_alu instid0(SALU_CYCLE_1)
	s_xor_b32 s1, exec_lo, s3
; %bb.54:                               ;   in Loop: Header=BB304_12 Depth=1
	v_bfe_u32 v73, v42, 16, 1
	s_delay_alu instid0(VALU_DEP_1)
	v_add3_u32 v73, v42, v73, 0x7fff
                                        ; implicit-def: $vgpr42
; %bb.55:                               ;   in Loop: Header=BB304_12 Depth=1
	s_and_not1_saveexec_b32 s3, s1
; %bb.56:                               ;   in Loop: Header=BB304_12 Depth=1
	v_and_b32_e32 v73, 0xffff, v42
	v_or_b32_e32 v74, 0x10000, v42
	s_delay_alu instid0(VALU_DEP_2) | instskip(NEXT) | instid1(VALU_DEP_1)
	v_cmp_eq_u32_e64 s1, 0, v73
	v_cndmask_b32_e64 v73, v74, v42, s1
; %bb.57:                               ;   in Loop: Header=BB304_12 Depth=1
	s_or_b32 exec_lo, exec_lo, s3
	v_mov_b32_e32 v42, v44
	s_delay_alu instid0(VALU_DEP_1) | instskip(NEXT) | instid1(VALU_DEP_1)
	v_lshlrev_b64 v[77:78], 1, v[41:42]
	v_add_co_u32 v77, s1, s6, v77
	s_delay_alu instid0(VALU_DEP_1) | instskip(SKIP_3) | instid1(VALU_DEP_1)
	v_add_co_ci_u32_e64 v78, s1, s7, v78, s1
	global_store_d16_hi_b16 v[77:78], v73, off
	s_or_b32 exec_lo, exec_lo, s2
	v_cmp_ne_u32_e64 s1, 0, v2
	s_and_saveexec_b32 s3, s1
	s_cbranch_execz .LBB304_35
.LBB304_58:                             ;   in Loop: Header=BB304_12 Depth=1
	s_waitcnt vmcnt(19) lgkmcnt(19)
	v_add_f32_e32 v42, v75, v76
	s_waitcnt vmcnt(18)
	v_lshlrev_b32_e32 v72, 16, v72
	s_delay_alu instid0(VALU_DEP_1) | instskip(NEXT) | instid1(VALU_DEP_1)
	v_add_f32_e32 v42, v42, v72
	v_and_b32_e32 v72, 0x7f800000, v42
	s_delay_alu instid0(VALU_DEP_1) | instskip(NEXT) | instid1(VALU_DEP_1)
	v_cmp_ne_u32_e64 s2, 0x7f800000, v72
                                        ; implicit-def: $vgpr72
	s_and_saveexec_b32 s4, s2
	s_delay_alu instid0(SALU_CYCLE_1)
	s_xor_b32 s2, exec_lo, s4
; %bb.59:                               ;   in Loop: Header=BB304_12 Depth=1
	v_bfe_u32 v72, v42, 16, 1
	s_delay_alu instid0(VALU_DEP_1)
	v_add3_u32 v72, v42, v72, 0x7fff
                                        ; implicit-def: $vgpr42
; %bb.60:                               ;   in Loop: Header=BB304_12 Depth=1
	s_and_not1_saveexec_b32 s4, s2
; %bb.61:                               ;   in Loop: Header=BB304_12 Depth=1
	v_and_b32_e32 v72, 0xffff, v42
	v_or_b32_e32 v73, 0x10000, v42
	s_delay_alu instid0(VALU_DEP_2) | instskip(NEXT) | instid1(VALU_DEP_1)
	v_cmp_eq_u32_e64 s2, 0, v72
	v_cndmask_b32_e64 v72, v73, v42, s2
; %bb.62:                               ;   in Loop: Header=BB304_12 Depth=1
	s_or_b32 exec_lo, exec_lo, s4
	v_mov_b32_e32 v42, v44
	s_delay_alu instid0(VALU_DEP_1) | instskip(NEXT) | instid1(VALU_DEP_1)
	v_lshlrev_b64 v[73:74], 1, v[41:42]
	v_add_co_u32 v73, s2, s36, v73
	s_delay_alu instid0(VALU_DEP_1) | instskip(SKIP_3) | instid1(VALU_DEP_1)
	v_add_co_ci_u32_e64 v74, s2, s37, v74, s2
	global_store_d16_hi_b16 v[73:74], v72, off
	s_or_b32 exec_lo, exec_lo, s3
	v_cmp_ne_u32_e64 s2, 0, v3
	s_and_saveexec_b32 s4, s2
	s_cbranch_execz .LBB304_36
.LBB304_63:                             ;   in Loop: Header=BB304_12 Depth=1
	s_waitcnt vmcnt(17) lgkmcnt(16)
	v_dual_add_f32 v42, v51, v52 :: v_dual_lshlrev_b32 v51, 16, v71
	s_delay_alu instid0(VALU_DEP_1) | instskip(NEXT) | instid1(VALU_DEP_1)
	v_add_f32_e32 v51, v42, v51
	v_and_b32_e32 v42, 0x7f800000, v51
	s_delay_alu instid0(VALU_DEP_1) | instskip(NEXT) | instid1(VALU_DEP_1)
	v_cmp_ne_u32_e64 s3, 0x7f800000, v42
                                        ; implicit-def: $vgpr42
	s_and_saveexec_b32 s43, s3
	s_delay_alu instid0(SALU_CYCLE_1)
	s_xor_b32 s3, exec_lo, s43
; %bb.64:                               ;   in Loop: Header=BB304_12 Depth=1
	v_bfe_u32 v42, v51, 16, 1
	s_delay_alu instid0(VALU_DEP_1)
	v_add3_u32 v42, v51, v42, 0x7fff
                                        ; implicit-def: $vgpr51
; %bb.65:                               ;   in Loop: Header=BB304_12 Depth=1
	s_and_not1_saveexec_b32 s43, s3
; %bb.66:                               ;   in Loop: Header=BB304_12 Depth=1
	v_and_b32_e32 v42, 0xffff, v51
	v_or_b32_e32 v52, 0x10000, v51
	s_delay_alu instid0(VALU_DEP_2) | instskip(NEXT) | instid1(VALU_DEP_1)
	v_cmp_eq_u32_e64 s3, 0, v42
	v_cndmask_b32_e64 v42, v52, v51, s3
; %bb.67:                               ;   in Loop: Header=BB304_12 Depth=1
	s_or_b32 exec_lo, exec_lo, s43
	v_lshlrev_b64 v[51:52], 1, v[43:44]
	s_delay_alu instid0(VALU_DEP_1) | instskip(NEXT) | instid1(VALU_DEP_1)
	v_add_co_u32 v51, s3, s6, v51
	v_add_co_ci_u32_e64 v52, s3, s7, v52, s3
	global_store_d16_hi_b16 v[51:52], v42, off
	s_or_b32 exec_lo, exec_lo, s4
	v_cmp_ne_u32_e64 s3, 0, v4
	s_delay_alu instid0(VALU_DEP_1)
	s_and_saveexec_b32 s43, s3
	s_cbranch_execz .LBB304_37
.LBB304_68:                             ;   in Loop: Header=BB304_12 Depth=1
	s_waitcnt lgkmcnt(15)
	v_add_f32_e32 v6, v6, v49
	s_waitcnt vmcnt(16)
	v_lshlrev_b32_e32 v42, 16, v70
	s_delay_alu instid0(VALU_DEP_1) | instskip(NEXT) | instid1(VALU_DEP_1)
	v_add_f32_e32 v6, v6, v42
	v_and_b32_e32 v42, 0x7f800000, v6
	s_delay_alu instid0(VALU_DEP_1) | instskip(NEXT) | instid1(VALU_DEP_1)
	v_cmp_ne_u32_e64 s4, 0x7f800000, v42
                                        ; implicit-def: $vgpr42
	s_and_saveexec_b32 s44, s4
	s_delay_alu instid0(SALU_CYCLE_1)
	s_xor_b32 s4, exec_lo, s44
; %bb.69:                               ;   in Loop: Header=BB304_12 Depth=1
	v_bfe_u32 v42, v6, 16, 1
	s_delay_alu instid0(VALU_DEP_1)
	v_add3_u32 v42, v6, v42, 0x7fff
                                        ; implicit-def: $vgpr6
; %bb.70:                               ;   in Loop: Header=BB304_12 Depth=1
	s_and_not1_saveexec_b32 s44, s4
; %bb.71:                               ;   in Loop: Header=BB304_12 Depth=1
	v_and_b32_e32 v42, 0xffff, v6
	v_or_b32_e32 v43, 0x10000, v6
	s_delay_alu instid0(VALU_DEP_2) | instskip(NEXT) | instid1(VALU_DEP_1)
	v_cmp_eq_u32_e64 s4, 0, v42
	v_cndmask_b32_e64 v42, v43, v6, s4
; %bb.72:                               ;   in Loop: Header=BB304_12 Depth=1
	s_or_b32 exec_lo, exec_lo, s44
	v_mov_b32_e32 v6, v44
	s_delay_alu instid0(VALU_DEP_1) | instskip(NEXT) | instid1(VALU_DEP_1)
	v_lshlrev_b64 v[5:6], 1, v[5:6]
	v_add_co_u32 v5, s4, s6, v5
	s_delay_alu instid0(VALU_DEP_1)
	v_add_co_ci_u32_e64 v6, s4, s7, v6, s4
	global_store_d16_hi_b16 v[5:6], v42, off
	s_or_b32 exec_lo, exec_lo, s43
	v_add_nc_u32_e32 v43, s19, v41
	s_and_saveexec_b32 s43, vcc_lo
	s_cbranch_execz .LBB304_38
.LBB304_73:                             ;   in Loop: Header=BB304_12 Depth=1
	s_waitcnt vmcnt(15) lgkmcnt(18)
	v_dual_add_f32 v5, v39, v40 :: v_dual_lshlrev_b32 v6, 16, v69
	s_delay_alu instid0(VALU_DEP_1) | instskip(NEXT) | instid1(VALU_DEP_1)
	v_add_f32_e32 v6, v5, v6
	v_and_b32_e32 v5, 0x7f800000, v6
	s_delay_alu instid0(VALU_DEP_1) | instskip(NEXT) | instid1(VALU_DEP_1)
	v_cmp_ne_u32_e64 s4, 0x7f800000, v5
                                        ; implicit-def: $vgpr5
	s_and_saveexec_b32 s44, s4
	s_delay_alu instid0(SALU_CYCLE_1)
	s_xor_b32 s4, exec_lo, s44
; %bb.74:                               ;   in Loop: Header=BB304_12 Depth=1
	v_bfe_u32 v5, v6, 16, 1
	s_delay_alu instid0(VALU_DEP_1)
	v_add3_u32 v5, v6, v5, 0x7fff
                                        ; implicit-def: $vgpr6
; %bb.75:                               ;   in Loop: Header=BB304_12 Depth=1
	s_and_not1_saveexec_b32 s44, s4
; %bb.76:                               ;   in Loop: Header=BB304_12 Depth=1
	v_and_b32_e32 v5, 0xffff, v6
	v_or_b32_e32 v39, 0x10000, v6
	s_delay_alu instid0(VALU_DEP_2) | instskip(NEXT) | instid1(VALU_DEP_1)
	v_cmp_eq_u32_e64 s4, 0, v5
	v_cndmask_b32_e64 v5, v39, v6, s4
; %bb.77:                               ;   in Loop: Header=BB304_12 Depth=1
	s_or_b32 exec_lo, exec_lo, s44
	v_lshlrev_b64 v[39:40], 1, v[43:44]
	s_delay_alu instid0(VALU_DEP_1) | instskip(NEXT) | instid1(VALU_DEP_1)
	v_add_co_u32 v39, s4, s6, v39
	v_add_co_ci_u32_e64 v40, s4, s7, v40, s4
	global_store_d16_hi_b16 v[39:40], v5, off
	s_or_b32 exec_lo, exec_lo, s43
	s_and_saveexec_b32 s43, s1
	s_cbranch_execz .LBB304_39
.LBB304_78:                             ;   in Loop: Header=BB304_12 Depth=1
	s_waitcnt lgkmcnt(14)
	v_add_f32_e32 v5, v47, v48
	s_waitcnt vmcnt(14)
	v_lshlrev_b32_e32 v6, 16, v68
	s_delay_alu instid0(VALU_DEP_1) | instskip(NEXT) | instid1(VALU_DEP_1)
	v_add_f32_e32 v6, v5, v6
	v_and_b32_e32 v5, 0x7f800000, v6
	s_delay_alu instid0(VALU_DEP_1) | instskip(NEXT) | instid1(VALU_DEP_1)
	v_cmp_ne_u32_e64 s4, 0x7f800000, v5
                                        ; implicit-def: $vgpr5
	s_and_saveexec_b32 s44, s4
	s_delay_alu instid0(SALU_CYCLE_1)
	s_xor_b32 s4, exec_lo, s44
; %bb.79:                               ;   in Loop: Header=BB304_12 Depth=1
	v_bfe_u32 v5, v6, 16, 1
	s_delay_alu instid0(VALU_DEP_1)
	v_add3_u32 v5, v6, v5, 0x7fff
                                        ; implicit-def: $vgpr6
; %bb.80:                               ;   in Loop: Header=BB304_12 Depth=1
	s_and_not1_saveexec_b32 s44, s4
; %bb.81:                               ;   in Loop: Header=BB304_12 Depth=1
	v_and_b32_e32 v5, 0xffff, v6
	v_or_b32_e32 v39, 0x10000, v6
	s_delay_alu instid0(VALU_DEP_2) | instskip(NEXT) | instid1(VALU_DEP_1)
	v_cmp_eq_u32_e64 s4, 0, v5
	v_cndmask_b32_e64 v5, v39, v6, s4
; %bb.82:                               ;   in Loop: Header=BB304_12 Depth=1
	s_or_b32 exec_lo, exec_lo, s44
	v_dual_mov_b32 v40, v44 :: v_dual_add_nc_u32 v39, 1, v43
	s_delay_alu instid0(VALU_DEP_1) | instskip(NEXT) | instid1(VALU_DEP_1)
	v_lshlrev_b64 v[39:40], 1, v[39:40]
	v_add_co_u32 v39, s4, s6, v39
	s_delay_alu instid0(VALU_DEP_1)
	v_add_co_ci_u32_e64 v40, s4, s7, v40, s4
	global_store_d16_hi_b16 v[39:40], v5, off
	s_or_b32 exec_lo, exec_lo, s43
	s_and_saveexec_b32 s43, s2
	s_cbranch_execz .LBB304_40
.LBB304_83:                             ;   in Loop: Header=BB304_12 Depth=1
	s_waitcnt lgkmcnt(12)
	v_add_f32_e32 v5, v37, v38
	s_waitcnt vmcnt(13)
	v_lshlrev_b32_e32 v6, 16, v66
	s_delay_alu instid0(VALU_DEP_1) | instskip(NEXT) | instid1(VALU_DEP_1)
	v_add_f32_e32 v6, v5, v6
	v_and_b32_e32 v5, 0x7f800000, v6
	s_delay_alu instid0(VALU_DEP_1) | instskip(NEXT) | instid1(VALU_DEP_1)
	v_cmp_ne_u32_e64 s4, 0x7f800000, v5
                                        ; implicit-def: $vgpr5
	s_and_saveexec_b32 s44, s4
	s_delay_alu instid0(SALU_CYCLE_1)
	s_xor_b32 s4, exec_lo, s44
; %bb.84:                               ;   in Loop: Header=BB304_12 Depth=1
	v_bfe_u32 v5, v6, 16, 1
	s_delay_alu instid0(VALU_DEP_1)
	v_add3_u32 v5, v6, v5, 0x7fff
                                        ; implicit-def: $vgpr6
; %bb.85:                               ;   in Loop: Header=BB304_12 Depth=1
	s_and_not1_saveexec_b32 s44, s4
; %bb.86:                               ;   in Loop: Header=BB304_12 Depth=1
	v_and_b32_e32 v5, 0xffff, v6
	v_or_b32_e32 v37, 0x10000, v6
	s_delay_alu instid0(VALU_DEP_2) | instskip(NEXT) | instid1(VALU_DEP_1)
	v_cmp_eq_u32_e64 s4, 0, v5
	v_cndmask_b32_e64 v5, v37, v6, s4
; %bb.87:                               ;   in Loop: Header=BB304_12 Depth=1
	s_or_b32 exec_lo, exec_lo, s44
	v_dual_mov_b32 v38, v44 :: v_dual_add_nc_u32 v37, 2, v43
	s_delay_alu instid0(VALU_DEP_1) | instskip(NEXT) | instid1(VALU_DEP_1)
	v_lshlrev_b64 v[37:38], 1, v[37:38]
	v_add_co_u32 v37, s4, s6, v37
	s_delay_alu instid0(VALU_DEP_1)
	v_add_co_ci_u32_e64 v38, s4, s7, v38, s4
	global_store_d16_hi_b16 v[37:38], v5, off
	s_or_b32 exec_lo, exec_lo, s43
	s_and_saveexec_b32 s43, s3
	s_cbranch_execz .LBB304_41
.LBB304_88:                             ;   in Loop: Header=BB304_12 Depth=1
	s_waitcnt vmcnt(12) lgkmcnt(10)
	v_dual_add_f32 v5, v34, v35 :: v_dual_lshlrev_b32 v6, 16, v64
	s_delay_alu instid0(VALU_DEP_1) | instskip(NEXT) | instid1(VALU_DEP_1)
	v_add_f32_e32 v6, v5, v6
	v_and_b32_e32 v5, 0x7f800000, v6
	s_delay_alu instid0(VALU_DEP_1) | instskip(NEXT) | instid1(VALU_DEP_1)
	v_cmp_ne_u32_e64 s4, 0x7f800000, v5
                                        ; implicit-def: $vgpr5
	s_and_saveexec_b32 s44, s4
	s_delay_alu instid0(SALU_CYCLE_1)
	s_xor_b32 s4, exec_lo, s44
; %bb.89:                               ;   in Loop: Header=BB304_12 Depth=1
	v_bfe_u32 v5, v6, 16, 1
	s_delay_alu instid0(VALU_DEP_1)
	v_add3_u32 v5, v6, v5, 0x7fff
                                        ; implicit-def: $vgpr6
; %bb.90:                               ;   in Loop: Header=BB304_12 Depth=1
	s_and_not1_saveexec_b32 s44, s4
; %bb.91:                               ;   in Loop: Header=BB304_12 Depth=1
	v_and_b32_e32 v5, 0xffff, v6
	v_or_b32_e32 v34, 0x10000, v6
	s_delay_alu instid0(VALU_DEP_2) | instskip(NEXT) | instid1(VALU_DEP_1)
	v_cmp_eq_u32_e64 s4, 0, v5
	v_cndmask_b32_e64 v5, v34, v6, s4
; %bb.92:                               ;   in Loop: Header=BB304_12 Depth=1
	s_or_b32 exec_lo, exec_lo, s44
	v_dual_mov_b32 v35, v44 :: v_dual_add_nc_u32 v34, 3, v43
	s_delay_alu instid0(VALU_DEP_1) | instskip(NEXT) | instid1(VALU_DEP_1)
	v_lshlrev_b64 v[34:35], 1, v[34:35]
	v_add_co_u32 v34, s4, s6, v34
	s_delay_alu instid0(VALU_DEP_1)
	v_add_co_ci_u32_e64 v35, s4, s7, v35, s4
	global_store_d16_hi_b16 v[34:35], v5, off
	s_or_b32 exec_lo, exec_lo, s43
	v_add_nc_u32_e32 v43, s19, v43
	s_and_saveexec_b32 s43, vcc_lo
	s_cbranch_execz .LBB304_42
.LBB304_93:                             ;   in Loop: Header=BB304_12 Depth=1
	s_waitcnt vmcnt(11) lgkmcnt(9)
	v_dual_add_f32 v5, v31, v32 :: v_dual_lshlrev_b32 v6, 16, v67
	s_delay_alu instid0(VALU_DEP_1) | instskip(NEXT) | instid1(VALU_DEP_1)
	v_add_f32_e32 v6, v5, v6
	v_and_b32_e32 v5, 0x7f800000, v6
	s_delay_alu instid0(VALU_DEP_1) | instskip(NEXT) | instid1(VALU_DEP_1)
	v_cmp_ne_u32_e64 s4, 0x7f800000, v5
                                        ; implicit-def: $vgpr5
	s_and_saveexec_b32 s44, s4
	s_delay_alu instid0(SALU_CYCLE_1)
	s_xor_b32 s4, exec_lo, s44
; %bb.94:                               ;   in Loop: Header=BB304_12 Depth=1
	v_bfe_u32 v5, v6, 16, 1
	s_delay_alu instid0(VALU_DEP_1)
	v_add3_u32 v5, v6, v5, 0x7fff
                                        ; implicit-def: $vgpr6
; %bb.95:                               ;   in Loop: Header=BB304_12 Depth=1
	s_and_not1_saveexec_b32 s44, s4
; %bb.96:                               ;   in Loop: Header=BB304_12 Depth=1
	v_and_b32_e32 v5, 0xffff, v6
	v_or_b32_e32 v31, 0x10000, v6
	s_delay_alu instid0(VALU_DEP_2) | instskip(NEXT) | instid1(VALU_DEP_1)
	v_cmp_eq_u32_e64 s4, 0, v5
	v_cndmask_b32_e64 v5, v31, v6, s4
; %bb.97:                               ;   in Loop: Header=BB304_12 Depth=1
	s_or_b32 exec_lo, exec_lo, s44
	v_lshlrev_b64 v[31:32], 1, v[43:44]
	s_delay_alu instid0(VALU_DEP_1) | instskip(NEXT) | instid1(VALU_DEP_1)
	v_add_co_u32 v31, s4, s6, v31
	v_add_co_ci_u32_e64 v32, s4, s7, v32, s4
	global_store_d16_hi_b16 v[31:32], v5, off
	s_or_b32 exec_lo, exec_lo, s43
	s_and_saveexec_b32 s43, s1
	s_cbranch_execz .LBB304_43
.LBB304_98:                             ;   in Loop: Header=BB304_12 Depth=1
	s_waitcnt vmcnt(10) lgkmcnt(13)
	v_dual_add_f32 v5, v26, v27 :: v_dual_lshlrev_b32 v6, 16, v65
	s_delay_alu instid0(VALU_DEP_1) | instskip(NEXT) | instid1(VALU_DEP_1)
	v_add_f32_e32 v6, v5, v6
	v_and_b32_e32 v5, 0x7f800000, v6
	s_delay_alu instid0(VALU_DEP_1) | instskip(NEXT) | instid1(VALU_DEP_1)
	v_cmp_ne_u32_e64 s4, 0x7f800000, v5
                                        ; implicit-def: $vgpr5
	s_and_saveexec_b32 s44, s4
	s_delay_alu instid0(SALU_CYCLE_1)
	s_xor_b32 s4, exec_lo, s44
; %bb.99:                               ;   in Loop: Header=BB304_12 Depth=1
	v_bfe_u32 v5, v6, 16, 1
	s_delay_alu instid0(VALU_DEP_1)
	v_add3_u32 v5, v6, v5, 0x7fff
                                        ; implicit-def: $vgpr6
; %bb.100:                              ;   in Loop: Header=BB304_12 Depth=1
	s_and_not1_saveexec_b32 s44, s4
; %bb.101:                              ;   in Loop: Header=BB304_12 Depth=1
	v_and_b32_e32 v5, 0xffff, v6
	v_or_b32_e32 v26, 0x10000, v6
	s_delay_alu instid0(VALU_DEP_2) | instskip(NEXT) | instid1(VALU_DEP_1)
	v_cmp_eq_u32_e64 s4, 0, v5
	v_cndmask_b32_e64 v5, v26, v6, s4
; %bb.102:                              ;   in Loop: Header=BB304_12 Depth=1
	s_or_b32 exec_lo, exec_lo, s44
	v_dual_mov_b32 v27, v44 :: v_dual_add_nc_u32 v26, 1, v43
	s_delay_alu instid0(VALU_DEP_1) | instskip(NEXT) | instid1(VALU_DEP_1)
	v_lshlrev_b64 v[26:27], 1, v[26:27]
	v_add_co_u32 v26, s4, s6, v26
	s_delay_alu instid0(VALU_DEP_1)
	v_add_co_ci_u32_e64 v27, s4, s7, v27, s4
	global_store_d16_hi_b16 v[26:27], v5, off
	s_or_b32 exec_lo, exec_lo, s43
	s_and_saveexec_b32 s43, s2
	s_cbranch_execz .LBB304_44
.LBB304_103:                            ;   in Loop: Header=BB304_12 Depth=1
	s_waitcnt vmcnt(9) lgkmcnt(6)
	v_dual_add_f32 v5, v29, v30 :: v_dual_lshlrev_b32 v6, 16, v63
	s_delay_alu instid0(VALU_DEP_1) | instskip(NEXT) | instid1(VALU_DEP_1)
	v_add_f32_e32 v6, v5, v6
	v_and_b32_e32 v5, 0x7f800000, v6
	s_delay_alu instid0(VALU_DEP_1) | instskip(NEXT) | instid1(VALU_DEP_1)
	v_cmp_ne_u32_e64 s4, 0x7f800000, v5
                                        ; implicit-def: $vgpr5
	s_and_saveexec_b32 s44, s4
	s_delay_alu instid0(SALU_CYCLE_1)
	s_xor_b32 s4, exec_lo, s44
; %bb.104:                              ;   in Loop: Header=BB304_12 Depth=1
	v_bfe_u32 v5, v6, 16, 1
	s_delay_alu instid0(VALU_DEP_1)
	v_add3_u32 v5, v6, v5, 0x7fff
                                        ; implicit-def: $vgpr6
; %bb.105:                              ;   in Loop: Header=BB304_12 Depth=1
	s_and_not1_saveexec_b32 s44, s4
; %bb.106:                              ;   in Loop: Header=BB304_12 Depth=1
	v_and_b32_e32 v5, 0xffff, v6
	v_or_b32_e32 v26, 0x10000, v6
	s_delay_alu instid0(VALU_DEP_2) | instskip(NEXT) | instid1(VALU_DEP_1)
	v_cmp_eq_u32_e64 s4, 0, v5
	v_cndmask_b32_e64 v5, v26, v6, s4
; %bb.107:                              ;   in Loop: Header=BB304_12 Depth=1
	s_or_b32 exec_lo, exec_lo, s44
	v_dual_mov_b32 v27, v44 :: v_dual_add_nc_u32 v26, 2, v43
	s_delay_alu instid0(VALU_DEP_1) | instskip(NEXT) | instid1(VALU_DEP_1)
	v_lshlrev_b64 v[26:27], 1, v[26:27]
	v_add_co_u32 v26, s4, s6, v26
	s_delay_alu instid0(VALU_DEP_1)
	v_add_co_ci_u32_e64 v27, s4, s7, v27, s4
	global_store_d16_hi_b16 v[26:27], v5, off
	s_or_b32 exec_lo, exec_lo, s43
	s_and_saveexec_b32 s43, s3
	s_cbranch_execz .LBB304_45
.LBB304_108:                            ;   in Loop: Header=BB304_12 Depth=1
	s_waitcnt vmcnt(8) lgkmcnt(8)
	v_dual_add_f32 v5, v24, v25 :: v_dual_lshlrev_b32 v6, 16, v62
	s_delay_alu instid0(VALU_DEP_1) | instskip(NEXT) | instid1(VALU_DEP_1)
	v_add_f32_e32 v6, v5, v6
	v_and_b32_e32 v5, 0x7f800000, v6
	s_delay_alu instid0(VALU_DEP_1) | instskip(NEXT) | instid1(VALU_DEP_1)
	v_cmp_ne_u32_e64 s4, 0x7f800000, v5
                                        ; implicit-def: $vgpr5
	s_and_saveexec_b32 s44, s4
	s_delay_alu instid0(SALU_CYCLE_1)
	s_xor_b32 s4, exec_lo, s44
; %bb.109:                              ;   in Loop: Header=BB304_12 Depth=1
	v_bfe_u32 v5, v6, 16, 1
	s_delay_alu instid0(VALU_DEP_1)
	v_add3_u32 v5, v6, v5, 0x7fff
                                        ; implicit-def: $vgpr6
; %bb.110:                              ;   in Loop: Header=BB304_12 Depth=1
	s_and_not1_saveexec_b32 s44, s4
; %bb.111:                              ;   in Loop: Header=BB304_12 Depth=1
	v_and_b32_e32 v5, 0xffff, v6
	v_or_b32_e32 v24, 0x10000, v6
	s_delay_alu instid0(VALU_DEP_2) | instskip(NEXT) | instid1(VALU_DEP_1)
	v_cmp_eq_u32_e64 s4, 0, v5
	v_cndmask_b32_e64 v5, v24, v6, s4
; %bb.112:                              ;   in Loop: Header=BB304_12 Depth=1
	s_or_b32 exec_lo, exec_lo, s44
	v_dual_mov_b32 v25, v44 :: v_dual_add_nc_u32 v24, 3, v43
	s_delay_alu instid0(VALU_DEP_1) | instskip(NEXT) | instid1(VALU_DEP_1)
	v_lshlrev_b64 v[24:25], 1, v[24:25]
	v_add_co_u32 v24, s4, s6, v24
	s_delay_alu instid0(VALU_DEP_1)
	v_add_co_ci_u32_e64 v25, s4, s7, v25, s4
	global_store_d16_hi_b16 v[24:25], v5, off
	s_or_b32 exec_lo, exec_lo, s43
	v_add_nc_u32_e32 v43, s19, v43
	s_and_saveexec_b32 s43, vcc_lo
	s_cbranch_execz .LBB304_46
.LBB304_113:                            ;   in Loop: Header=BB304_12 Depth=1
	s_waitcnt vmcnt(7) lgkmcnt(3)
	v_dual_add_f32 v5, v21, v22 :: v_dual_lshlrev_b32 v6, 16, v61
	s_delay_alu instid0(VALU_DEP_1) | instskip(NEXT) | instid1(VALU_DEP_1)
	v_add_f32_e32 v6, v5, v6
	v_and_b32_e32 v5, 0x7f800000, v6
	s_delay_alu instid0(VALU_DEP_1) | instskip(NEXT) | instid1(VALU_DEP_1)
	v_cmp_ne_u32_e64 s4, 0x7f800000, v5
                                        ; implicit-def: $vgpr5
	s_and_saveexec_b32 s44, s4
	s_delay_alu instid0(SALU_CYCLE_1)
	s_xor_b32 s4, exec_lo, s44
; %bb.114:                              ;   in Loop: Header=BB304_12 Depth=1
	v_bfe_u32 v5, v6, 16, 1
	s_delay_alu instid0(VALU_DEP_1)
	v_add3_u32 v5, v6, v5, 0x7fff
                                        ; implicit-def: $vgpr6
; %bb.115:                              ;   in Loop: Header=BB304_12 Depth=1
	s_and_not1_saveexec_b32 s44, s4
; %bb.116:                              ;   in Loop: Header=BB304_12 Depth=1
	v_and_b32_e32 v5, 0xffff, v6
	v_or_b32_e32 v21, 0x10000, v6
	s_delay_alu instid0(VALU_DEP_2) | instskip(NEXT) | instid1(VALU_DEP_1)
	v_cmp_eq_u32_e64 s4, 0, v5
	v_cndmask_b32_e64 v5, v21, v6, s4
; %bb.117:                              ;   in Loop: Header=BB304_12 Depth=1
	s_or_b32 exec_lo, exec_lo, s44
	v_lshlrev_b64 v[21:22], 1, v[43:44]
	s_delay_alu instid0(VALU_DEP_1) | instskip(NEXT) | instid1(VALU_DEP_1)
	v_add_co_u32 v21, s4, s6, v21
	v_add_co_ci_u32_e64 v22, s4, s7, v22, s4
	global_store_d16_hi_b16 v[21:22], v5, off
	s_or_b32 exec_lo, exec_lo, s43
	s_and_saveexec_b32 s43, s1
	s_cbranch_execz .LBB304_47
.LBB304_118:                            ;   in Loop: Header=BB304_12 Depth=1
	s_waitcnt vmcnt(6) lgkmcnt(11)
	v_dual_add_f32 v5, v19, v20 :: v_dual_lshlrev_b32 v6, 16, v53
	s_delay_alu instid0(VALU_DEP_1) | instskip(NEXT) | instid1(VALU_DEP_1)
	v_add_f32_e32 v6, v5, v6
	v_and_b32_e32 v5, 0x7f800000, v6
	s_delay_alu instid0(VALU_DEP_1) | instskip(NEXT) | instid1(VALU_DEP_1)
	v_cmp_ne_u32_e64 s4, 0x7f800000, v5
                                        ; implicit-def: $vgpr5
	s_and_saveexec_b32 s44, s4
	s_delay_alu instid0(SALU_CYCLE_1)
	s_xor_b32 s4, exec_lo, s44
; %bb.119:                              ;   in Loop: Header=BB304_12 Depth=1
	v_bfe_u32 v5, v6, 16, 1
	s_delay_alu instid0(VALU_DEP_1)
	v_add3_u32 v5, v6, v5, 0x7fff
                                        ; implicit-def: $vgpr6
; %bb.120:                              ;   in Loop: Header=BB304_12 Depth=1
	s_and_not1_saveexec_b32 s44, s4
; %bb.121:                              ;   in Loop: Header=BB304_12 Depth=1
	v_and_b32_e32 v5, 0xffff, v6
	v_or_b32_e32 v19, 0x10000, v6
	s_delay_alu instid0(VALU_DEP_2) | instskip(NEXT) | instid1(VALU_DEP_1)
	v_cmp_eq_u32_e64 s4, 0, v5
	v_cndmask_b32_e64 v5, v19, v6, s4
; %bb.122:                              ;   in Loop: Header=BB304_12 Depth=1
	s_or_b32 exec_lo, exec_lo, s44
	v_dual_mov_b32 v20, v44 :: v_dual_add_nc_u32 v19, 1, v43
	s_delay_alu instid0(VALU_DEP_1) | instskip(NEXT) | instid1(VALU_DEP_1)
	v_lshlrev_b64 v[19:20], 1, v[19:20]
	v_add_co_u32 v19, s4, s6, v19
	s_delay_alu instid0(VALU_DEP_1)
	v_add_co_ci_u32_e64 v20, s4, s7, v20, s4
	global_store_d16_hi_b16 v[19:20], v5, off
	s_or_b32 exec_lo, exec_lo, s43
	s_and_saveexec_b32 s43, s2
	s_cbranch_execz .LBB304_48
.LBB304_123:                            ;   in Loop: Header=BB304_12 Depth=1
	s_waitcnt vmcnt(5) lgkmcnt(7)
	v_dual_add_f32 v5, v15, v16 :: v_dual_lshlrev_b32 v6, 16, v50
	s_delay_alu instid0(VALU_DEP_1) | instskip(NEXT) | instid1(VALU_DEP_1)
	v_add_f32_e32 v6, v5, v6
	v_and_b32_e32 v5, 0x7f800000, v6
	s_delay_alu instid0(VALU_DEP_1) | instskip(NEXT) | instid1(VALU_DEP_1)
	v_cmp_ne_u32_e64 s4, 0x7f800000, v5
                                        ; implicit-def: $vgpr5
	s_and_saveexec_b32 s44, s4
	s_delay_alu instid0(SALU_CYCLE_1)
	s_xor_b32 s4, exec_lo, s44
; %bb.124:                              ;   in Loop: Header=BB304_12 Depth=1
	v_bfe_u32 v5, v6, 16, 1
	s_delay_alu instid0(VALU_DEP_1)
	v_add3_u32 v5, v6, v5, 0x7fff
                                        ; implicit-def: $vgpr6
; %bb.125:                              ;   in Loop: Header=BB304_12 Depth=1
	s_and_not1_saveexec_b32 s44, s4
; %bb.126:                              ;   in Loop: Header=BB304_12 Depth=1
	v_and_b32_e32 v5, 0xffff, v6
	v_or_b32_e32 v15, 0x10000, v6
	s_delay_alu instid0(VALU_DEP_2) | instskip(NEXT) | instid1(VALU_DEP_1)
	v_cmp_eq_u32_e64 s4, 0, v5
	v_cndmask_b32_e64 v5, v15, v6, s4
; %bb.127:                              ;   in Loop: Header=BB304_12 Depth=1
	s_or_b32 exec_lo, exec_lo, s44
	v_dual_mov_b32 v16, v44 :: v_dual_add_nc_u32 v15, 2, v43
	s_delay_alu instid0(VALU_DEP_1) | instskip(NEXT) | instid1(VALU_DEP_1)
	v_lshlrev_b64 v[15:16], 1, v[15:16]
	v_add_co_u32 v15, s4, s6, v15
	s_delay_alu instid0(VALU_DEP_1)
	v_add_co_ci_u32_e64 v16, s4, s7, v16, s4
	global_store_d16_hi_b16 v[15:16], v5, off
	s_or_b32 exec_lo, exec_lo, s43
	s_and_saveexec_b32 s43, s3
	s_cbranch_execz .LBB304_49
.LBB304_128:                            ;   in Loop: Header=BB304_12 Depth=1
	s_waitcnt lgkmcnt(5)
	v_add_f32_e32 v5, v17, v18
	s_waitcnt vmcnt(4)
	v_lshlrev_b32_e32 v6, 16, v46
	s_delay_alu instid0(VALU_DEP_1) | instskip(NEXT) | instid1(VALU_DEP_1)
	v_add_f32_e32 v6, v5, v6
	v_and_b32_e32 v5, 0x7f800000, v6
	s_delay_alu instid0(VALU_DEP_1) | instskip(NEXT) | instid1(VALU_DEP_1)
	v_cmp_ne_u32_e64 s4, 0x7f800000, v5
                                        ; implicit-def: $vgpr5
	s_and_saveexec_b32 s44, s4
	s_delay_alu instid0(SALU_CYCLE_1)
	s_xor_b32 s4, exec_lo, s44
; %bb.129:                              ;   in Loop: Header=BB304_12 Depth=1
	v_bfe_u32 v5, v6, 16, 1
	s_delay_alu instid0(VALU_DEP_1)
	v_add3_u32 v5, v6, v5, 0x7fff
                                        ; implicit-def: $vgpr6
; %bb.130:                              ;   in Loop: Header=BB304_12 Depth=1
	s_and_not1_saveexec_b32 s44, s4
; %bb.131:                              ;   in Loop: Header=BB304_12 Depth=1
	v_and_b32_e32 v5, 0xffff, v6
	v_or_b32_e32 v15, 0x10000, v6
	s_delay_alu instid0(VALU_DEP_2) | instskip(NEXT) | instid1(VALU_DEP_1)
	v_cmp_eq_u32_e64 s4, 0, v5
	v_cndmask_b32_e64 v5, v15, v6, s4
; %bb.132:                              ;   in Loop: Header=BB304_12 Depth=1
	s_or_b32 exec_lo, exec_lo, s44
	v_dual_mov_b32 v16, v44 :: v_dual_add_nc_u32 v15, 3, v43
	s_delay_alu instid0(VALU_DEP_1) | instskip(NEXT) | instid1(VALU_DEP_1)
	v_lshlrev_b64 v[15:16], 1, v[15:16]
	v_add_co_u32 v15, s4, s6, v15
	s_delay_alu instid0(VALU_DEP_1)
	v_add_co_ci_u32_e64 v16, s4, s7, v16, s4
	global_store_d16_hi_b16 v[15:16], v5, off
	s_or_b32 exec_lo, exec_lo, s43
	v_add_nc_u32_e32 v43, s19, v43
	s_and_saveexec_b32 s4, vcc_lo
	s_cbranch_execz .LBB304_50
.LBB304_133:                            ;   in Loop: Header=BB304_12 Depth=1
	s_waitcnt vmcnt(3) lgkmcnt(2)
	v_dual_add_f32 v5, v13, v14 :: v_dual_lshlrev_b32 v6, 16, v36
	s_delay_alu instid0(VALU_DEP_1) | instskip(NEXT) | instid1(VALU_DEP_1)
	v_add_f32_e32 v6, v5, v6
	v_and_b32_e32 v5, 0x7f800000, v6
	s_delay_alu instid0(VALU_DEP_1) | instskip(SKIP_1) | instid1(SALU_CYCLE_1)
	v_cmp_ne_u32_e32 vcc_lo, 0x7f800000, v5
                                        ; implicit-def: $vgpr5
	s_and_saveexec_b32 s43, vcc_lo
	s_xor_b32 s43, exec_lo, s43
; %bb.134:                              ;   in Loop: Header=BB304_12 Depth=1
	v_bfe_u32 v5, v6, 16, 1
	s_delay_alu instid0(VALU_DEP_1)
	v_add3_u32 v5, v6, v5, 0x7fff
                                        ; implicit-def: $vgpr6
; %bb.135:                              ;   in Loop: Header=BB304_12 Depth=1
	s_and_not1_saveexec_b32 s43, s43
; %bb.136:                              ;   in Loop: Header=BB304_12 Depth=1
	v_and_b32_e32 v5, 0xffff, v6
	v_or_b32_e32 v13, 0x10000, v6
	s_delay_alu instid0(VALU_DEP_2) | instskip(NEXT) | instid1(VALU_DEP_2)
	v_cmp_eq_u32_e32 vcc_lo, 0, v5
	v_cndmask_b32_e32 v5, v13, v6, vcc_lo
; %bb.137:                              ;   in Loop: Header=BB304_12 Depth=1
	s_or_b32 exec_lo, exec_lo, s43
	v_lshlrev_b64 v[13:14], 1, v[43:44]
	s_delay_alu instid0(VALU_DEP_1) | instskip(NEXT) | instid1(VALU_DEP_2)
	v_add_co_u32 v13, vcc_lo, s6, v13
	v_add_co_ci_u32_e32 v14, vcc_lo, s7, v14, vcc_lo
	global_store_d16_hi_b16 v[13:14], v5, off
	s_or_b32 exec_lo, exec_lo, s4
	s_and_saveexec_b32 s4, s1
	s_cbranch_execz .LBB304_51
.LBB304_138:                            ;   in Loop: Header=BB304_12 Depth=1
	s_waitcnt vmcnt(2) lgkmcnt(1)
	v_dual_add_f32 v5, v11, v12 :: v_dual_lshlrev_b32 v6, 16, v33
	s_delay_alu instid0(VALU_DEP_1) | instskip(NEXT) | instid1(VALU_DEP_1)
	v_add_f32_e32 v6, v5, v6
	v_and_b32_e32 v5, 0x7f800000, v6
	s_delay_alu instid0(VALU_DEP_1) | instskip(SKIP_1) | instid1(SALU_CYCLE_1)
	v_cmp_ne_u32_e32 vcc_lo, 0x7f800000, v5
                                        ; implicit-def: $vgpr5
	s_and_saveexec_b32 s1, vcc_lo
	s_xor_b32 s1, exec_lo, s1
; %bb.139:                              ;   in Loop: Header=BB304_12 Depth=1
	v_bfe_u32 v5, v6, 16, 1
	s_delay_alu instid0(VALU_DEP_1)
	v_add3_u32 v5, v6, v5, 0x7fff
                                        ; implicit-def: $vgpr6
; %bb.140:                              ;   in Loop: Header=BB304_12 Depth=1
	s_and_not1_saveexec_b32 s1, s1
; %bb.141:                              ;   in Loop: Header=BB304_12 Depth=1
	v_and_b32_e32 v5, 0xffff, v6
	v_or_b32_e32 v11, 0x10000, v6
	s_delay_alu instid0(VALU_DEP_2) | instskip(NEXT) | instid1(VALU_DEP_2)
	v_cmp_eq_u32_e32 vcc_lo, 0, v5
	v_cndmask_b32_e32 v5, v11, v6, vcc_lo
; %bb.142:                              ;   in Loop: Header=BB304_12 Depth=1
	s_or_b32 exec_lo, exec_lo, s1
	v_dual_mov_b32 v12, v44 :: v_dual_add_nc_u32 v11, 1, v43
	s_delay_alu instid0(VALU_DEP_1) | instskip(NEXT) | instid1(VALU_DEP_1)
	v_lshlrev_b64 v[11:12], 1, v[11:12]
	v_add_co_u32 v11, vcc_lo, s6, v11
	s_delay_alu instid0(VALU_DEP_2)
	v_add_co_ci_u32_e32 v12, vcc_lo, s7, v12, vcc_lo
	global_store_d16_hi_b16 v[11:12], v5, off
	s_or_b32 exec_lo, exec_lo, s4
	s_and_saveexec_b32 s1, s2
	s_cbranch_execz .LBB304_52
.LBB304_143:                            ;   in Loop: Header=BB304_12 Depth=1
	s_waitcnt vmcnt(1) lgkmcnt(0)
	v_dual_add_f32 v5, v9, v10 :: v_dual_lshlrev_b32 v6, 16, v28
	s_delay_alu instid0(VALU_DEP_1) | instskip(NEXT) | instid1(VALU_DEP_1)
	v_add_f32_e32 v6, v5, v6
	v_and_b32_e32 v5, 0x7f800000, v6
	s_delay_alu instid0(VALU_DEP_1) | instskip(SKIP_1) | instid1(SALU_CYCLE_1)
	v_cmp_ne_u32_e32 vcc_lo, 0x7f800000, v5
                                        ; implicit-def: $vgpr5
	s_and_saveexec_b32 s2, vcc_lo
	s_xor_b32 s2, exec_lo, s2
; %bb.144:                              ;   in Loop: Header=BB304_12 Depth=1
	v_bfe_u32 v5, v6, 16, 1
	s_delay_alu instid0(VALU_DEP_1)
	v_add3_u32 v5, v6, v5, 0x7fff
                                        ; implicit-def: $vgpr6
; %bb.145:                              ;   in Loop: Header=BB304_12 Depth=1
	s_and_not1_saveexec_b32 s2, s2
; %bb.146:                              ;   in Loop: Header=BB304_12 Depth=1
	v_and_b32_e32 v5, 0xffff, v6
	v_or_b32_e32 v9, 0x10000, v6
	s_delay_alu instid0(VALU_DEP_2) | instskip(NEXT) | instid1(VALU_DEP_2)
	v_cmp_eq_u32_e32 vcc_lo, 0, v5
	v_cndmask_b32_e32 v5, v9, v6, vcc_lo
; %bb.147:                              ;   in Loop: Header=BB304_12 Depth=1
	s_or_b32 exec_lo, exec_lo, s2
	v_dual_mov_b32 v10, v44 :: v_dual_add_nc_u32 v9, 2, v43
	s_delay_alu instid0(VALU_DEP_1) | instskip(NEXT) | instid1(VALU_DEP_1)
	v_lshlrev_b64 v[9:10], 1, v[9:10]
	v_add_co_u32 v9, vcc_lo, s6, v9
	s_delay_alu instid0(VALU_DEP_2) | instskip(SKIP_2) | instid1(SALU_CYCLE_1)
	v_add_co_ci_u32_e32 v10, vcc_lo, s7, v10, vcc_lo
	global_store_d16_hi_b16 v[9:10], v5, off
	s_or_b32 exec_lo, exec_lo, s1
	s_and_b32 exec_lo, exec_lo, s3
	s_cbranch_execz .LBB304_153
.LBB304_148:                            ;   in Loop: Header=BB304_12 Depth=1
	s_waitcnt vmcnt(0) lgkmcnt(4)
	v_dual_add_f32 v5, v7, v8 :: v_dual_lshlrev_b32 v6, 16, v23
	s_delay_alu instid0(VALU_DEP_1) | instskip(NEXT) | instid1(VALU_DEP_1)
	v_add_f32_e32 v6, v5, v6
	v_and_b32_e32 v5, 0x7f800000, v6
	s_delay_alu instid0(VALU_DEP_1) | instskip(SKIP_1) | instid1(SALU_CYCLE_1)
	v_cmp_ne_u32_e32 vcc_lo, 0x7f800000, v5
                                        ; implicit-def: $vgpr5
	s_and_saveexec_b32 s1, vcc_lo
	s_xor_b32 s1, exec_lo, s1
; %bb.149:                              ;   in Loop: Header=BB304_12 Depth=1
	v_bfe_u32 v5, v6, 16, 1
	s_delay_alu instid0(VALU_DEP_1)
	v_add3_u32 v5, v6, v5, 0x7fff
                                        ; implicit-def: $vgpr6
; %bb.150:                              ;   in Loop: Header=BB304_12 Depth=1
	s_and_not1_saveexec_b32 s1, s1
; %bb.151:                              ;   in Loop: Header=BB304_12 Depth=1
	v_and_b32_e32 v5, 0xffff, v6
	v_or_b32_e32 v7, 0x10000, v6
	s_delay_alu instid0(VALU_DEP_2) | instskip(NEXT) | instid1(VALU_DEP_2)
	v_cmp_eq_u32_e32 vcc_lo, 0, v5
	v_cndmask_b32_e32 v5, v7, v6, vcc_lo
; %bb.152:                              ;   in Loop: Header=BB304_12 Depth=1
	s_or_b32 exec_lo, exec_lo, s1
	v_add_nc_u32_e32 v43, 3, v43
	s_delay_alu instid0(VALU_DEP_1) | instskip(NEXT) | instid1(VALU_DEP_1)
	v_lshlrev_b64 v[6:7], 1, v[43:44]
	v_add_co_u32 v6, vcc_lo, s6, v6
	s_delay_alu instid0(VALU_DEP_2)
	v_add_co_ci_u32_e32 v7, vcc_lo, s7, v7, vcc_lo
	global_store_d16_hi_b16 v[6:7], v5, off
.LBB304_153:                            ;   in Loop: Header=BB304_12 Depth=1
	s_or_b32 exec_lo, exec_lo, s5
	v_add_nc_u32_e32 v41, s29, v41
	s_delay_alu instid0(VALU_DEP_1) | instskip(SKIP_1) | instid1(VALU_DEP_2)
	v_add_nc_u32_e32 v5, 4, v41
	v_cmp_gt_u32_e32 vcc_lo, s19, v41
	v_cmp_le_u32_e64 s1, s19, v5
	s_delay_alu instid0(VALU_DEP_1) | instskip(NEXT) | instid1(SALU_CYCLE_1)
	s_and_b32 s1, vcc_lo, s1
	s_and_saveexec_b32 s43, s1
	s_cbranch_execz .LBB304_10
; %bb.154:                              ;   in Loop: Header=BB304_12 Depth=1
	s_mov_b32 s44, exec_lo
	v_cmpx_ne_u32_e64 s31, v41
	s_cbranch_execz .LBB304_9
; %bb.155:                              ;   in Loop: Header=BB304_12 Depth=1
	v_subrev_nc_u32_e32 v5, s31, v41
	s_mov_b32 s45, 0
	s_mov_b64 s[4:5], 0
	s_delay_alu instid0(VALU_DEP_1)
	v_cmp_lt_u32_e32 vcc_lo, 1, v5
	v_cndmask_b32_e32 v5, 1, v5, vcc_lo
	.p2align	6
.LBB304_156:                            ;   Parent Loop BB304_12 Depth=1
                                        ; =>  This Inner Loop Header: Depth=2
	s_cmp_lg_u32 s4, 3
	s_cselect_b32 vcc_lo, -1, 0
	s_cmp_lg_u32 s4, 2
	v_cndmask_b32_e32 v4, 0, v4, vcc_lo
	s_cselect_b32 s1, -1, 0
	s_cmp_lg_u32 s4, 1
	v_cndmask_b32_e64 v3, 0, v3, s1
	s_cselect_b32 s2, -1, 0
	s_cmp_lg_u32 s4, 0
	v_cndmask_b32_e64 v2, 0, v2, s2
	s_cselect_b32 s3, -1, 0
	s_add_u32 s4, s4, 1
	v_cndmask_b32_e64 v1, 0, v1, s3
	v_cmp_eq_u32_e32 vcc_lo, s4, v5
	s_addc_u32 s5, s5, 0
	s_or_b32 s45, vcc_lo, s45
	s_delay_alu instid0(SALU_CYCLE_1)
	s_and_not1_b32 exec_lo, exec_lo, s45
	s_cbranch_execnz .LBB304_156
; %bb.157:                              ;   in Loop: Header=BB304_12 Depth=1
	s_or_b32 exec_lo, exec_lo, s45
	s_branch .LBB304_9
.LBB304_158:
	s_nop 0
	s_sendmsg sendmsg(MSG_DEALLOC_VGPRS)
	s_endpgm
	.section	.rodata,"a",@progbits
	.p2align	6, 0x0
	.amdhsa_kernel _Z16wvSplitK_hf_big_I14__hip_bfloat16Li64ELi4ELi16ELi8ELi1ELi5EEviiiiiiPKT_S3_S3_PS1_ii
		.amdhsa_group_segment_fixed_size 65536
		.amdhsa_private_segment_fixed_size 0
		.amdhsa_kernarg_size 64
		.amdhsa_user_sgpr_count 15
		.amdhsa_user_sgpr_dispatch_ptr 0
		.amdhsa_user_sgpr_queue_ptr 0
		.amdhsa_user_sgpr_kernarg_segment_ptr 1
		.amdhsa_user_sgpr_dispatch_id 0
		.amdhsa_user_sgpr_private_segment_size 0
		.amdhsa_wavefront_size32 1
		.amdhsa_uses_dynamic_stack 0
		.amdhsa_enable_private_segment 0
		.amdhsa_system_sgpr_workgroup_id_x 1
		.amdhsa_system_sgpr_workgroup_id_y 0
		.amdhsa_system_sgpr_workgroup_id_z 0
		.amdhsa_system_sgpr_workgroup_info 0
		.amdhsa_system_vgpr_workitem_id 1
		.amdhsa_next_free_vgpr 101
		.amdhsa_next_free_sgpr 46
		.amdhsa_reserve_vcc 1
		.amdhsa_float_round_mode_32 0
		.amdhsa_float_round_mode_16_64 0
		.amdhsa_float_denorm_mode_32 3
		.amdhsa_float_denorm_mode_16_64 3
		.amdhsa_dx10_clamp 1
		.amdhsa_ieee_mode 1
		.amdhsa_fp16_overflow 0
		.amdhsa_workgroup_processor_mode 1
		.amdhsa_memory_ordered 1
		.amdhsa_forward_progress 0
		.amdhsa_shared_vgpr_count 0
		.amdhsa_exception_fp_ieee_invalid_op 0
		.amdhsa_exception_fp_denorm_src 0
		.amdhsa_exception_fp_ieee_div_zero 0
		.amdhsa_exception_fp_ieee_overflow 0
		.amdhsa_exception_fp_ieee_underflow 0
		.amdhsa_exception_fp_ieee_inexact 0
		.amdhsa_exception_int_div_zero 0
	.end_amdhsa_kernel
	.section	.text._Z16wvSplitK_hf_big_I14__hip_bfloat16Li64ELi4ELi16ELi8ELi1ELi5EEviiiiiiPKT_S3_S3_PS1_ii,"axG",@progbits,_Z16wvSplitK_hf_big_I14__hip_bfloat16Li64ELi4ELi16ELi8ELi1ELi5EEviiiiiiPKT_S3_S3_PS1_ii,comdat
.Lfunc_end304:
	.size	_Z16wvSplitK_hf_big_I14__hip_bfloat16Li64ELi4ELi16ELi8ELi1ELi5EEviiiiiiPKT_S3_S3_PS1_ii, .Lfunc_end304-_Z16wvSplitK_hf_big_I14__hip_bfloat16Li64ELi4ELi16ELi8ELi1ELi5EEviiiiiiPKT_S3_S3_PS1_ii
                                        ; -- End function
	.section	.AMDGPU.csdata,"",@progbits
; Kernel info:
; codeLenInByte = 10684
; NumSgprs: 48
; NumVgprs: 101
; ScratchSize: 0
; MemoryBound: 0
; FloatMode: 240
; IeeeMode: 1
; LDSByteSize: 65536 bytes/workgroup (compile time only)
; SGPRBlocks: 5
; VGPRBlocks: 12
; NumSGPRsForWavesPerEU: 48
; NumVGPRsForWavesPerEU: 101
; Occupancy: 12
; WaveLimiterHint : 0
; COMPUTE_PGM_RSRC2:SCRATCH_EN: 0
; COMPUTE_PGM_RSRC2:USER_SGPR: 15
; COMPUTE_PGM_RSRC2:TRAP_HANDLER: 0
; COMPUTE_PGM_RSRC2:TGID_X_EN: 1
; COMPUTE_PGM_RSRC2:TGID_Y_EN: 0
; COMPUTE_PGM_RSRC2:TGID_Z_EN: 0
; COMPUTE_PGM_RSRC2:TIDIG_COMP_CNT: 1
	.section	.text._Z16wvSplitK_hf_sml_I14__hip_bfloat16Li64ELi4ELi16ELi8ELi2ELi5EEviiiiiiPKT_S3_S3_PS1_ii,"axG",@progbits,_Z16wvSplitK_hf_sml_I14__hip_bfloat16Li64ELi4ELi16ELi8ELi2ELi5EEviiiiiiPKT_S3_S3_PS1_ii,comdat
	.protected	_Z16wvSplitK_hf_sml_I14__hip_bfloat16Li64ELi4ELi16ELi8ELi2ELi5EEviiiiiiPKT_S3_S3_PS1_ii ; -- Begin function _Z16wvSplitK_hf_sml_I14__hip_bfloat16Li64ELi4ELi16ELi8ELi2ELi5EEviiiiiiPKT_S3_S3_PS1_ii
	.globl	_Z16wvSplitK_hf_sml_I14__hip_bfloat16Li64ELi4ELi16ELi8ELi2ELi5EEviiiiiiPKT_S3_S3_PS1_ii
	.p2align	8
	.type	_Z16wvSplitK_hf_sml_I14__hip_bfloat16Li64ELi4ELi16ELi8ELi2ELi5EEviiiiiiPKT_S3_S3_PS1_ii,@function
_Z16wvSplitK_hf_sml_I14__hip_bfloat16Li64ELi4ELi16ELi8ELi2ELi5EEviiiiiiPKT_S3_S3_PS1_ii: ; @_Z16wvSplitK_hf_sml_I14__hip_bfloat16Li64ELi4ELi16ELi8ELi2ELi5EEviiiiiiPKT_S3_S3_PS1_ii
; %bb.0:
	s_clause 0x2
	s_load_b128 s[4:7], s[0:1], 0x0
	s_load_b64 s[8:9], s[0:1], 0x10
	s_load_b64 s[10:11], s[0:1], 0x28
	v_and_b32_e32 v2, 0x3ff, v0
	v_bfe_u32 v3, v0, 10, 10
	s_mov_b32 s12, exec_lo
	s_delay_alu instid0(VALU_DEP_2) | instskip(NEXT) | instid1(VALU_DEP_1)
	v_lshlrev_b32_e32 v83, 3, v2
	v_lshl_add_u32 v4, v3, 9, v83
	s_waitcnt lgkmcnt(0)
	s_mul_i32 s2, s6, 5
	s_delay_alu instid0(SALU_CYCLE_1)
	s_min_u32 s3, s2, 0x8000
	s_delay_alu instid0(VALU_DEP_1) | instid1(SALU_CYCLE_1)
	v_cmpx_gt_u32_e64 s3, v4
	s_cbranch_execz .LBB305_3
; %bb.1:
	s_load_b64 s[16:17], s[0:1], 0x20
	v_lshlrev_b32_e32 v5, 10, v3
	v_lshlrev_b32_e32 v6, 4, v2
	s_mov_b32 s13, 0
	s_delay_alu instid0(VALU_DEP_1) | instskip(NEXT) | instid1(VALU_DEP_1)
	v_add_co_u32 v0, s2, v5, v6
	v_add_co_ci_u32_e64 v1, null, 0, 0, s2
	v_add_nc_u32_e32 v5, v5, v6
	s_waitcnt lgkmcnt(0)
	s_delay_alu instid0(VALU_DEP_3) | instskip(NEXT) | instid1(VALU_DEP_3)
	v_add_co_u32 v0, vcc_lo, s16, v0
	v_add_co_ci_u32_e32 v1, vcc_lo, s17, v1, vcc_lo
	.p2align	6
.LBB305_2:                              ; =>This Inner Loop Header: Depth=1
	global_load_b128 v[6:9], v[0:1], off
	v_add_nc_u32_e32 v4, 0x2000, v4
	v_add_co_u32 v0, vcc_lo, 0x4000, v0
	v_add_co_ci_u32_e32 v1, vcc_lo, 0, v1, vcc_lo
	s_delay_alu instid0(VALU_DEP_3) | instskip(NEXT) | instid1(VALU_DEP_1)
	v_cmp_le_u32_e64 s2, s3, v4
	s_or_b32 s13, s2, s13
	s_waitcnt vmcnt(0)
	ds_store_b128 v5, v[6:9]
	v_add_nc_u32_e32 v5, 0x4000, v5
	s_and_not1_b32 exec_lo, exec_lo, s13
	s_cbranch_execnz .LBB305_2
.LBB305_3:
	s_or_b32 exec_lo, exec_lo, s12
	s_load_b64 s[16:17], s[0:1], 0x38
	s_waitcnt lgkmcnt(0)
	s_barrier
	buffer_gl0_inv
	s_mov_b32 s2, exec_lo
	v_cmpx_gt_u32_e64 s16, v3
	s_cbranch_execz .LBB305_98
; %bb.4:
	s_mul_i32 s15, s15, s16
	s_delay_alu instid0(SALU_CYCLE_1) | instskip(NEXT) | instid1(VALU_DEP_1)
	v_add_lshl_u32 v64, s15, v3, 2
	v_cmp_gt_u32_e32 vcc_lo, s7, v64
	s_and_b32 exec_lo, exec_lo, vcc_lo
	s_cbranch_execz .LBB305_98
; %bb.5:
	s_cmp_lg_u32 s4, 0
	v_cvt_f32_u32_e32 v1, s8
	s_cselect_b32 s14, -1, 0
	s_add_i32 s15, s4, -8
	s_add_i32 s18, s7, -1
	s_cmp_lg_u64 s[10:11], 0
	s_clause 0x1
	s_load_b64 s[2:3], s[0:1], 0x18
	s_load_b64 s[12:13], s[0:1], 0x30
	s_cselect_b32 s19, -1, 0
	s_abs_i32 s21, s9
	s_mul_i32 s0, s16, s17
	v_cvt_f32_u32_e32 v0, s21
	s_lshl_b32 s9, s0, 2
	s_sub_i32 s0, 0, s21
	s_sub_i32 s17, 0, s8
	;; [unrolled: 1-line block ×3, first 2 shown]
	v_rcp_iflag_f32_e32 v0, v0
	v_lshlrev_b32_e32 v84, 4, v2
	v_mov_b32_e32 v66, 0
	s_mov_b32 s1, 0
	s_waitcnt_depctr 0xfff
	v_mul_f32_e32 v0, 0x4f7ffffe, v0
	s_delay_alu instid0(VALU_DEP_1) | instskip(NEXT) | instid1(VALU_DEP_1)
	v_cvt_u32_f32_e32 v0, v0
	v_readfirstlane_b32 s16, v0
	v_rcp_iflag_f32_e32 v0, v1
	v_mbcnt_lo_u32_b32 v1, -1, 0
	s_delay_alu instid0(VALU_DEP_2) | instskip(NEXT) | instid1(SALU_CYCLE_1)
	s_mul_i32 s0, s0, s16
	s_mul_hi_u32 s0, s16, s0
	s_delay_alu instid0(VALU_DEP_1)
	v_xor_b32_e32 v3, 16, v1
	s_add_i32 s22, s16, s0
	s_cmp_lt_u32 s21, 2
	v_cmp_eq_u32_e64 s0, 63, v2
	s_cselect_b32 s16, s20, 1
	v_cmp_gt_i32_e32 vcc_lo, 32, v3
	s_sub_i32 s20, s16, s21
	s_cmp_ge_u32 s16, s21
	s_cselect_b32 s20, s20, s16
	s_waitcnt_depctr 0xfff
	v_dual_cndmask_b32 v1, v1, v3 :: v_dual_mul_f32 v0, 0x4f7ffffe, v0
	s_lshr_b32 s16, s22, 31
	s_delay_alu instid0(SALU_CYCLE_1) | instskip(NEXT) | instid1(VALU_DEP_1)
	s_mul_i32 s16, s16, s21
	v_lshlrev_b32_e32 v85, 2, v1
	s_sub_i32 s16, 2, s16
	v_cvt_u32_f32_e32 v0, v0
	s_sub_i32 s23, s16, s21
	s_cmp_ge_u32 s16, s21
	s_cselect_b32 s16, s23, s16
	s_delay_alu instid0(VALU_DEP_1)
	v_mul_lo_u32 v2, s17, v0
	s_mul_hi_u32 s17, s22, 3
	s_sub_i32 s23, s16, s21
	s_cmp_ge_u32 s16, s21
	s_mul_i32 s17, s17, s21
	s_cselect_b32 s23, s23, s16
	s_sub_i32 s17, 3, s17
	s_mul_i32 s16, s6, 6
	s_sub_i32 s24, s17, s21
	s_cmp_ge_u32 s17, s21
	v_mul_hi_u32 v2, v0, v2
	s_cselect_b32 s17, s24, s17
	s_delay_alu instid0(SALU_CYCLE_1) | instskip(SKIP_3) | instid1(VALU_DEP_1)
	s_sub_i32 s24, s17, s21
	s_cmp_ge_u32 s17, s21
	s_cselect_b32 s24, s24, s17
	s_lshr_b32 s17, s22, 30
	v_add_nc_u32_e32 v86, v0, v2
	s_mul_i32 s17, s17, s21
	s_delay_alu instid0(SALU_CYCLE_1)
	s_sub_i32 s22, 4, s17
	s_mul_i32 s17, s20, s8
	s_sub_i32 s25, s22, s21
	s_cmp_ge_u32 s22, s21
	s_mul_i32 s20, s23, s8
	s_cselect_b32 s22, s25, s22
	s_delay_alu instid0(SALU_CYCLE_1)
	s_sub_i32 s23, s22, s21
	s_cmp_ge_u32 s22, s21
	s_mul_i32 s21, s24, s8
	s_cselect_b32 s24, s23, s22
	s_lshl_b32 s22, s6, 3
	s_lshl_b32 s23, s6, 2
	s_mul_i32 s24, s24, s8
	s_lshl_b32 s6, s6, 1
	s_branch .LBB305_8
.LBB305_6:                              ;   in Loop: Header=BB305_8 Depth=1
	s_or_b32 exec_lo, exec_lo, s26
	global_store_d16_hi_b16 v[0:1], v3, off offset:6
.LBB305_7:                              ;   in Loop: Header=BB305_8 Depth=1
	s_or_b32 exec_lo, exec_lo, s25
	v_add_nc_u32_e32 v64, s9, v64
	s_delay_alu instid0(VALU_DEP_1) | instskip(SKIP_1) | instid1(SALU_CYCLE_1)
	v_cmp_le_u32_e32 vcc_lo, s7, v64
	s_or_b32 s1, vcc_lo, s1
	s_and_not1_b32 exec_lo, exec_lo, s1
	s_cbranch_execz .LBB305_98
.LBB305_8:                              ; =>This Loop Header: Depth=1
                                        ;     Child Loop BB305_12 Depth 2
	v_mov_b32_e32 v88, v66
	v_mov_b32_e32 v89, v66
	;; [unrolled: 1-line block ×20, first 2 shown]
	s_and_not1_b32 vcc_lo, exec_lo, s14
	s_cbranch_vccnz .LBB305_15
; %bb.9:                                ;   in Loop: Header=BB305_8 Depth=1
	v_or_b32_e32 v0, 1, v64
	s_waitcnt lgkmcnt(0)
	v_or_b32_e32 v1, 2, v64
	v_or_b32_e32 v2, 3, v64
	v_min_u32_e32 v3, s18, v64
	v_dual_mov_b32 v5, v66 :: v_dual_mov_b32 v98, 0
	v_min_u32_e32 v0, s18, v0
	v_min_u32_e32 v1, s18, v1
	;; [unrolled: 1-line block ×3, first 2 shown]
	v_mul_lo_u32 v65, v3, s5
	v_dual_mov_b32 v3, v66 :: v_dual_mov_b32 v104, 0
	v_mul_lo_u32 v0, v0, s5
	v_mul_lo_u32 v2, v1, s5
	;; [unrolled: 1-line block ×3, first 2 shown]
	v_dual_mov_b32 v1, v66 :: v_dual_mov_b32 v106, 0
	v_lshlrev_b64 v[67:68], 1, v[65:66]
	v_dual_mov_b32 v87, v84 :: v_dual_mov_b32 v100, 0
	s_delay_alu instid0(VALU_DEP_3)
	v_lshlrev_b64 v[69:70], 1, v[0:1]
	v_lshlrev_b64 v[71:72], 1, v[2:3]
	;; [unrolled: 1-line block ×3, first 2 shown]
	v_dual_mov_b32 v107, 0 :: v_dual_mov_b32 v102, 0
	v_dual_mov_b32 v105, 0 :: v_dual_mov_b32 v96, 0
	;; [unrolled: 1-line block ×6, first 2 shown]
	v_mov_b32_e32 v95, 0
	v_mov_b32_e32 v93, 0
	v_mov_b32_e32 v91, 0
	v_mov_b32_e32 v89, 0
	s_mov_b32 s25, 0
	s_branch .LBB305_12
.LBB305_10:                             ;   in Loop: Header=BB305_12 Depth=2
	s_or_b32 exec_lo, exec_lo, s27
.LBB305_11:                             ;   in Loop: Header=BB305_12 Depth=2
	s_delay_alu instid0(SALU_CYCLE_1)
	s_or_b32 exec_lo, exec_lo, s26
	s_waitcnt lgkmcnt(1)
	v_lshlrev_b32_e32 v117, 16, v60
	v_and_b32_e32 v116, 0xffff0000, v60
	v_and_b32_e32 v118, 0xffff0000, v61
	v_lshlrev_b32_e32 v119, 16, v61
	s_waitcnt vmcnt(7)
	v_and_b32_e32 v61, 0xffff0000, v57
	v_and_b32_e32 v65, 0xffff0000, v56
	v_and_b32_e32 v122, 0xffff0000, v63
	v_lshlrev_b32_e32 v123, 16, v63
	s_delay_alu instid0(VALU_DEP_4) | instskip(NEXT) | instid1(VALU_DEP_4)
	v_dual_mul_f32 v110, v118, v61 :: v_dual_and_b32 v63, 0xffff0000, v59
	v_dual_mul_f32 v109, v116, v65 :: v_dual_lshlrev_b32 v60, 16, v56
	s_delay_alu instid0(VALU_DEP_2) | instskip(SKIP_2) | instid1(VALU_DEP_4)
	v_dual_mul_f32 v113, v122, v63 :: v_dual_and_b32 v108, 0xffff0000, v58
	v_lshlrev_b32_e32 v56, 16, v58
	v_lshlrev_b32_e32 v59, 16, v59
	v_fmac_f32_e32 v109, v117, v60
	v_add_nc_u32_e32 v87, 0x800, v87
	s_addk_i32 s25, 0x400
	s_delay_alu instid0(VALU_DEP_2) | instskip(SKIP_3) | instid1(VALU_DEP_1)
	v_dual_fmac_f32 v113, v123, v59 :: v_dual_add_f32 v58, v106, v109
	s_waitcnt vmcnt(6)
	v_and_b32_e32 v106, 0xffff0000, v53
	s_cmp_ge_u32 s25, s4
	v_dual_mul_f32 v112, v118, v106 :: v_dual_lshlrev_b32 v57, 16, v57
	s_delay_alu instid0(VALU_DEP_1) | instskip(SKIP_2) | instid1(VALU_DEP_3)
	v_dual_fmac_f32 v110, v119, v57 :: v_dual_lshlrev_b32 v121, 16, v62
	v_and_b32_e32 v120, 0xffff0000, v62
	v_and_b32_e32 v62, 0xffff0000, v52
	v_add_f32_e32 v110, v58, v110
	s_delay_alu instid0(VALU_DEP_2) | instskip(NEXT) | instid1(VALU_DEP_4)
	v_dual_mul_f32 v111, v116, v62 :: v_dual_lshlrev_b32 v58, 16, v52
	v_mul_f32_e32 v109, v120, v108
	s_delay_alu instid0(VALU_DEP_2) | instskip(NEXT) | instid1(VALU_DEP_2)
	v_fmac_f32_e32 v111, v117, v58
	v_fmac_f32_e32 v109, v121, v56
	s_delay_alu instid0(VALU_DEP_2) | instskip(SKIP_4) | instid1(VALU_DEP_2)
	v_add_f32_e32 v107, v107, v111
	s_waitcnt vmcnt(5)
	v_and_b32_e32 v111, 0xffff0000, v49
	v_lshlrev_b32_e32 v52, 16, v53
	v_dual_add_f32 v115, v110, v109 :: v_dual_lshlrev_b32 v110, 16, v48
	v_dual_mul_f32 v125, v118, v111 :: v_dual_fmac_f32 v112, v119, v52
	s_delay_alu instid0(VALU_DEP_1) | instskip(NEXT) | instid1(VALU_DEP_1)
	v_dual_add_f32 v112, v107, v112 :: v_dual_and_b32 v107, 0xffff0000, v55
	v_dual_mul_f32 v124, v122, v107 :: v_dual_and_b32 v109, 0xffff0000, v48
	s_delay_alu instid0(VALU_DEP_1) | instskip(SKIP_1) | instid1(VALU_DEP_2)
	v_dual_mul_f32 v48, v116, v109 :: v_dual_and_b32 v53, 0xffff0000, v54
	v_lshlrev_b32_e32 v54, 16, v54
	v_dual_mul_f32 v114, v120, v53 :: v_dual_lshlrev_b32 v55, 16, v55
	s_delay_alu instid0(VALU_DEP_3) | instskip(NEXT) | instid1(VALU_DEP_2)
	v_fmac_f32_e32 v48, v117, v110
	v_fmac_f32_e32 v124, v123, v55
	s_delay_alu instid0(VALU_DEP_3) | instskip(NEXT) | instid1(VALU_DEP_1)
	v_fmac_f32_e32 v114, v121, v54
	v_add_f32_e32 v114, v112, v114
	v_lshlrev_b32_e32 v112, 16, v49
	v_add_f32_e32 v49, v115, v113
	v_add_f32_e32 v115, v105, v48
	s_delay_alu instid0(VALU_DEP_4) | instskip(NEXT) | instid1(VALU_DEP_4)
	v_dual_add_f32 v48, v114, v124 :: v_dual_and_b32 v113, 0xffff0000, v50
	v_dual_fmac_f32 v125, v119, v112 :: v_dual_lshlrev_b32 v50, 16, v50
	s_waitcnt vmcnt(4)
	s_delay_alu instid0(VALU_DEP_2) | instskip(NEXT) | instid1(VALU_DEP_2)
	v_dual_mul_f32 v124, v120, v113 :: v_dual_and_b32 v105, 0xffff0000, v40
	v_add_f32_e32 v125, v115, v125
	s_delay_alu instid0(VALU_DEP_2) | instskip(SKIP_3) | instid1(VALU_DEP_4)
	v_dual_mul_f32 v40, v116, v105 :: v_dual_lshlrev_b32 v115, 16, v40
	v_and_b32_e32 v116, 0xffff0000, v41
	v_and_b32_e32 v114, 0xffff0000, v51
	v_dual_fmac_f32 v124, v121, v50 :: v_dual_lshlrev_b32 v51, 16, v51
	v_dual_fmac_f32 v40, v117, v115 :: v_dual_lshlrev_b32 v117, 16, v41
	s_delay_alu instid0(VALU_DEP_4) | instskip(NEXT) | instid1(VALU_DEP_4)
	v_dual_mul_f32 v41, v118, v116 :: v_dual_and_b32 v118, 0xffff0000, v42
	v_mul_f32_e32 v126, v122, v114
	v_lshlrev_b32_e32 v42, 16, v42
	s_delay_alu instid0(VALU_DEP_3) | instskip(NEXT) | instid1(VALU_DEP_4)
	v_dual_add_f32 v104, v104, v40 :: v_dual_fmac_f32 v41, v119, v117
	v_mul_f32_e32 v120, v120, v118
	s_delay_alu instid0(VALU_DEP_4) | instskip(NEXT) | instid1(VALU_DEP_2)
	v_dual_fmac_f32 v126, v123, v51 :: v_dual_and_b32 v119, 0xffff0000, v44
	v_dual_fmac_f32 v120, v121, v42 :: v_dual_and_b32 v121, 0xffff0000, v45
	s_delay_alu instid0(VALU_DEP_4) | instskip(SKIP_1) | instid1(VALU_DEP_3)
	v_dual_add_f32 v124, v125, v124 :: v_dual_add_f32 v41, v104, v41
	v_lshlrev_b32_e32 v125, 16, v45
	v_dual_mul_f32 v45, v121, v61 :: v_dual_and_b32 v104, 0xffff0000, v43
	s_delay_alu instid0(VALU_DEP_3) | instskip(SKIP_2) | instid1(VALU_DEP_4)
	v_add_f32_e32 v40, v124, v126
	v_lshlrev_b32_e32 v44, 16, v44
	v_dual_mul_f32 v124, v119, v65 :: v_dual_lshlrev_b32 v43, 16, v43
	v_dual_fmac_f32 v45, v125, v57 :: v_dual_mul_f32 v122, v122, v104
	s_delay_alu instid0(VALU_DEP_2) | instskip(NEXT) | instid1(VALU_DEP_1)
	v_fmac_f32_e32 v124, v44, v60
	v_add_f32_e32 v103, v103, v124
	s_delay_alu instid0(VALU_DEP_1) | instskip(SKIP_3) | instid1(VALU_DEP_3)
	v_add_f32_e32 v45, v103, v45
	v_and_b32_e32 v103, 0xffff0000, v47
	v_lshlrev_b32_e32 v47, 16, v47
	v_dual_add_f32 v41, v41, v120 :: v_dual_and_b32 v120, 0xffff0000, v46
	v_dual_mul_f32 v126, v121, v106 :: v_dual_mul_f32 v127, v103, v63
	v_fmac_f32_e32 v122, v123, v43
	s_delay_alu instid0(VALU_DEP_3) | instskip(NEXT) | instid1(VALU_DEP_3)
	v_dual_mul_f32 v123, v119, v62 :: v_dual_mul_f32 v124, v120, v108
	v_fmac_f32_e32 v127, v47, v59
	s_delay_alu instid0(VALU_DEP_2) | instskip(NEXT) | instid1(VALU_DEP_1)
	v_fmac_f32_e32 v123, v44, v58
	v_dual_add_f32 v101, v101, v123 :: v_dual_lshlrev_b32 v46, 16, v46
	s_delay_alu instid0(VALU_DEP_1) | instskip(NEXT) | instid1(VALU_DEP_1)
	v_dual_mul_f32 v123, v120, v53 :: v_dual_fmac_f32 v124, v46, v56
	v_dual_fmac_f32 v126, v125, v52 :: v_dual_fmac_f32 v123, v46, v54
	s_delay_alu instid0(VALU_DEP_1) | instskip(SKIP_1) | instid1(VALU_DEP_4)
	v_add_f32_e32 v126, v101, v126
	v_add_f32_e32 v101, v41, v122
	v_dual_add_f32 v45, v45, v124 :: v_dual_mul_f32 v124, v119, v109
	v_mul_f32_e32 v119, v119, v105
	s_delay_alu instid0(VALU_DEP_2)
	v_dual_add_f32 v41, v45, v127 :: v_dual_fmac_f32 v124, v44, v110
	v_mul_f32_e32 v45, v121, v111
	v_add_f32_e32 v122, v126, v123
	v_mul_f32_e32 v123, v103, v107
	v_fmac_f32_e32 v119, v44, v115
	v_dual_add_f32 v99, v99, v124 :: v_dual_mul_f32 v124, v120, v113
	v_fmac_f32_e32 v45, v125, v112
	s_delay_alu instid0(VALU_DEP_4) | instskip(NEXT) | instid1(VALU_DEP_3)
	v_dual_fmac_f32 v123, v47, v55 :: v_dual_mul_f32 v44, v121, v116
	v_fmac_f32_e32 v124, v46, v50
	s_delay_alu instid0(VALU_DEP_2) | instskip(NEXT) | instid1(VALU_DEP_4)
	v_fmac_f32_e32 v44, v125, v117
	v_dual_add_f32 v99, v99, v45 :: v_dual_add_f32 v98, v98, v119
	s_delay_alu instid0(VALU_DEP_4) | instskip(SKIP_1) | instid1(VALU_DEP_3)
	v_add_f32_e32 v45, v122, v123
	v_dual_mul_f32 v119, v120, v118 :: v_dual_and_b32 v120, 0xffff0000, v81
	v_dual_mul_f32 v121, v103, v114 :: v_dual_add_f32 v44, v98, v44
	v_mul_f32_e32 v103, v103, v104
	v_dual_add_f32 v99, v99, v124 :: v_dual_lshlrev_b32 v98, 16, v81
	v_and_b32_e32 v122, 0xffff0000, v82
	s_delay_alu instid0(VALU_DEP_3) | instskip(SKIP_2) | instid1(VALU_DEP_2)
	v_dual_fmac_f32 v103, v47, v43 :: v_dual_lshlrev_b32 v82, 16, v82
	v_dual_fmac_f32 v119, v46, v42 :: v_dual_mul_f32 v46, v120, v65
	v_fmac_f32_e32 v121, v47, v51
	v_add_f32_e32 v44, v44, v119
	s_delay_alu instid0(VALU_DEP_2) | instskip(SKIP_2) | instid1(VALU_DEP_3)
	v_dual_fmac_f32 v46, v98, v60 :: v_dual_add_f32 v81, v99, v121
	v_and_b32_e32 v99, 0xffff0000, v79
	v_mul_f32_e32 v119, v122, v61
	v_add_f32_e32 v47, v100, v46
	v_add_f32_e32 v46, v44, v103
	v_mul_f32_e32 v44, v120, v62
	s_delay_alu instid0(VALU_DEP_1) | instskip(SKIP_3) | instid1(VALU_DEP_4)
	v_fmac_f32_e32 v44, v98, v58
	v_dual_mul_f32 v100, v99, v108 :: v_dual_lshlrev_b32 v79, 16, v79
	v_and_b32_e32 v103, 0xffff0000, v80
	v_lshlrev_b32_e32 v80, 16, v80
	v_add_f32_e32 v44, v102, v44
	v_mul_f32_e32 v102, v99, v53
	v_dual_fmac_f32 v119, v82, v57 :: v_dual_fmac_f32 v100, v79, v56
	s_delay_alu instid0(VALU_DEP_2) | instskip(NEXT) | instid1(VALU_DEP_2)
	v_fmac_f32_e32 v102, v79, v54
	v_add_f32_e32 v47, v47, v119
	v_mul_f32_e32 v119, v122, v106
	s_delay_alu instid0(VALU_DEP_2) | instskip(SKIP_1) | instid1(VALU_DEP_3)
	v_dual_add_f32 v47, v47, v100 :: v_dual_mul_f32 v100, v120, v109
	v_mul_f32_e32 v121, v103, v63
	v_fmac_f32_e32 v119, v82, v52
	s_delay_alu instid0(VALU_DEP_2) | instskip(NEXT) | instid1(VALU_DEP_2)
	v_dual_fmac_f32 v100, v98, v110 :: v_dual_fmac_f32 v121, v80, v59
	v_add_f32_e32 v44, v44, v119
	s_delay_alu instid0(VALU_DEP_2) | instskip(SKIP_1) | instid1(VALU_DEP_3)
	v_dual_mul_f32 v119, v103, v107 :: v_dual_add_f32 v96, v96, v100
	v_mul_f32_e32 v100, v99, v113
	v_add_f32_e32 v44, v44, v102
	s_delay_alu instid0(VALU_DEP_3) | instskip(SKIP_2) | instid1(VALU_DEP_1)
	v_fmac_f32_e32 v119, v80, v55
	v_add_f32_e32 v47, v47, v121
	v_dual_mul_f32 v121, v122, v111 :: v_dual_mul_f32 v102, v120, v105
	v_dual_fmac_f32 v100, v79, v50 :: v_dual_fmac_f32 v121, v82, v112
	s_delay_alu instid0(VALU_DEP_2) | instskip(SKIP_2) | instid1(VALU_DEP_2)
	v_fmac_f32_e32 v102, v98, v115
	v_mul_f32_e32 v98, v122, v116
	v_dual_add_f32 v44, v44, v119 :: v_dual_mul_f32 v119, v103, v114
	v_fmac_f32_e32 v98, v82, v117
	v_dual_mul_f32 v82, v99, v118 :: v_dual_and_b32 v99, 0xffff0000, v36
	s_delay_alu instid0(VALU_DEP_3) | instskip(SKIP_1) | instid1(VALU_DEP_2)
	v_dual_add_f32 v94, v94, v102 :: v_dual_fmac_f32 v119, v80, v51
	v_lshlrev_b32_e32 v36, 16, v36
	v_add_f32_e32 v94, v94, v98
	s_delay_alu instid0(VALU_DEP_4) | instskip(NEXT) | instid1(VALU_DEP_1)
	v_mul_f32_e32 v98, v99, v65
	v_fmac_f32_e32 v98, v36, v60
	s_delay_alu instid0(VALU_DEP_1) | instskip(NEXT) | instid1(VALU_DEP_1)
	v_dual_add_f32 v96, v96, v121 :: v_dual_add_f32 v97, v97, v98
	v_add_f32_e32 v96, v96, v100
	v_mul_f32_e32 v100, v103, v104
	s_delay_alu instid0(VALU_DEP_1) | instskip(SKIP_2) | instid1(VALU_DEP_2)
	v_fmac_f32_e32 v100, v80, v43
	v_and_b32_e32 v80, 0xffff0000, v38
	v_mul_f32_e32 v98, v99, v62
	v_dual_mul_f32 v103, v80, v108 :: v_dual_lshlrev_b32 v38, 16, v38
	v_dual_fmac_f32 v82, v79, v42 :: v_dual_add_f32 v79, v96, v119
	v_and_b32_e32 v96, 0xffff0000, v37
	s_delay_alu instid0(VALU_DEP_3) | instskip(NEXT) | instid1(VALU_DEP_3)
	v_dual_fmac_f32 v98, v36, v58 :: v_dual_fmac_f32 v103, v38, v56
	v_add_f32_e32 v82, v94, v82
	s_delay_alu instid0(VALU_DEP_2) | instskip(NEXT) | instid1(VALU_DEP_2)
	v_dual_add_f32 v95, v95, v98 :: v_dual_lshlrev_b32 v94, 16, v37
	v_dual_add_f32 v37, v82, v100 :: v_dual_and_b32 v100, 0xffff0000, v39
	s_delay_alu instid0(VALU_DEP_1) | instskip(SKIP_1) | instid1(VALU_DEP_1)
	v_mul_f32_e32 v119, v100, v63
	v_mul_f32_e32 v102, v96, v61
	v_fmac_f32_e32 v102, v94, v57
	s_delay_alu instid0(VALU_DEP_1) | instskip(SKIP_2) | instid1(VALU_DEP_3)
	v_dual_add_f32 v97, v97, v102 :: v_dual_lshlrev_b32 v102, 16, v39
	v_dual_mul_f32 v82, v96, v106 :: v_dual_mul_f32 v39, v99, v109
	v_mul_f32_e32 v99, v99, v105
	v_dual_mul_f32 v98, v80, v53 :: v_dual_fmac_f32 v119, v102, v59
	s_delay_alu instid0(VALU_DEP_3) | instskip(NEXT) | instid1(VALU_DEP_3)
	v_dual_fmac_f32 v39, v36, v110 :: v_dual_fmac_f32 v82, v94, v52
	v_fmac_f32_e32 v99, v36, v115
	s_delay_alu instid0(VALU_DEP_2) | instskip(SKIP_4) | instid1(VALU_DEP_4)
	v_dual_add_f32 v93, v93, v39 :: v_dual_add_f32 v82, v95, v82
	v_add_f32_e32 v95, v97, v103
	v_mul_f32_e32 v97, v96, v111
	v_mul_f32_e32 v103, v80, v113
	v_add_f32_e32 v92, v92, v99
	v_dual_mul_f32 v80, v80, v118 :: v_dual_add_f32 v39, v95, v119
	s_delay_alu instid0(VALU_DEP_4) | instskip(NEXT) | instid1(VALU_DEP_1)
	v_fmac_f32_e32 v97, v94, v112
	v_dual_add_f32 v93, v93, v97 :: v_dual_fmac_f32 v98, v38, v54
	v_fmac_f32_e32 v103, v38, v50
	v_mul_f32_e32 v95, v100, v114
	s_delay_alu instid0(VALU_DEP_3) | instskip(SKIP_1) | instid1(VALU_DEP_4)
	v_add_f32_e32 v82, v82, v98
	v_mul_f32_e32 v98, v100, v107
	v_add_f32_e32 v93, v93, v103
	s_delay_alu instid0(VALU_DEP_4) | instskip(NEXT) | instid1(VALU_DEP_3)
	v_fmac_f32_e32 v95, v102, v51
	v_fmac_f32_e32 v98, v102, v55
	s_delay_alu instid0(VALU_DEP_1) | instskip(SKIP_3) | instid1(VALU_DEP_2)
	v_add_f32_e32 v36, v82, v98
	v_mul_f32_e32 v82, v96, v116
	s_waitcnt lgkmcnt(0)
	v_and_b32_e32 v96, 0xffff0000, v32
	v_fmac_f32_e32 v82, v94, v117
	v_lshlrev_b32_e32 v94, 16, v32
	s_delay_alu instid0(VALU_DEP_3) | instskip(NEXT) | instid1(VALU_DEP_3)
	v_mul_f32_e32 v32, v96, v65
	v_dual_add_f32 v65, v92, v82 :: v_dual_and_b32 v82, 0xffff0000, v33
	s_delay_alu instid0(VALU_DEP_2) | instskip(SKIP_2) | instid1(VALU_DEP_3)
	v_fmac_f32_e32 v32, v94, v60
	v_lshlrev_b32_e32 v60, 16, v33
	v_fmac_f32_e32 v80, v38, v42
	v_dual_mul_f32 v33, v82, v61 :: v_dual_add_f32 v32, v91, v32
	v_and_b32_e32 v91, 0xffff0000, v35
	s_delay_alu instid0(VALU_DEP_3) | instskip(SKIP_1) | instid1(VALU_DEP_4)
	v_add_f32_e32 v61, v65, v80
	v_and_b32_e32 v65, 0xffff0000, v34
	v_fmac_f32_e32 v33, v60, v57
	s_delay_alu instid0(VALU_DEP_2) | instskip(NEXT) | instid1(VALU_DEP_1)
	v_dual_mul_f32 v34, v65, v108 :: v_dual_lshlrev_b32 v57, 16, v34
	v_dual_add_f32 v33, v32, v33 :: v_dual_fmac_f32 v34, v57, v56
	v_lshlrev_b32_e32 v56, 16, v35
	v_mul_f32_e32 v35, v91, v63
	v_and_b32_e32 v63, 0xffff0000, v31
	s_delay_alu instid0(VALU_DEP_4) | instskip(SKIP_1) | instid1(VALU_DEP_4)
	v_add_f32_e32 v33, v33, v34
	v_mul_f32_e32 v62, v96, v62
	v_fmac_f32_e32 v35, v56, v59
	v_add_f32_e32 v38, v93, v95
	s_delay_alu instid0(VALU_DEP_3) | instskip(NEXT) | instid1(VALU_DEP_3)
	v_fmac_f32_e32 v62, v94, v58
	v_dual_mul_f32 v58, v82, v106 :: v_dual_add_f32 v33, v33, v35
	s_delay_alu instid0(VALU_DEP_1) | instskip(NEXT) | instid1(VALU_DEP_1)
	v_dual_add_f32 v59, v90, v62 :: v_dual_fmac_f32 v58, v60, v52
	v_dual_mul_f32 v52, v65, v53 :: v_dual_add_f32 v53, v59, v58
	s_delay_alu instid0(VALU_DEP_1) | instskip(SKIP_3) | instid1(VALU_DEP_3)
	v_fmac_f32_e32 v52, v57, v54
	v_dual_mul_f32 v54, v91, v107 :: v_dual_mul_f32 v59, v96, v105
	v_mul_f32_e32 v80, v100, v104
	v_dual_mul_f32 v58, v65, v113 :: v_dual_mul_f32 v35, v82, v111
	v_fmac_f32_e32 v54, v56, v55
	s_delay_alu instid0(VALU_DEP_4) | instskip(NEXT) | instid1(VALU_DEP_4)
	v_fmac_f32_e32 v59, v94, v115
	v_dual_fmac_f32 v80, v102, v43 :: v_dual_mul_f32 v55, v65, v118
	s_delay_alu instid0(VALU_DEP_4) | instskip(SKIP_2) | instid1(VALU_DEP_4)
	v_dual_fmac_f32 v58, v57, v50 :: v_dual_fmac_f32 v35, v60, v112
	v_add_f32_e32 v52, v53, v52
	v_mul_f32_e32 v53, v82, v116
	v_fmac_f32_e32 v55, v57, v42
	v_dual_mul_f32 v34, v96, v109 :: v_dual_lshlrev_b32 v57, 16, v28
	v_dual_add_f32 v32, v61, v80 :: v_dual_lshlrev_b32 v65, 16, v31
	v_lshlrev_b32_e32 v61, 16, v29
	s_waitcnt vmcnt(3)
	v_lshlrev_b32_e32 v42, 16, v25
	s_waitcnt vmcnt(2)
	v_dual_fmac_f32 v34, v94, v110 :: v_dual_lshlrev_b32 v31, 16, v21
	s_delay_alu instid0(VALU_DEP_1) | instskip(NEXT) | instid1(VALU_DEP_1)
	v_add_f32_e32 v34, v89, v34
	v_dual_add_f32 v35, v34, v35 :: v_dual_add_f32 v34, v52, v54
	v_dual_fmac_f32 v53, v60, v117 :: v_dual_mul_f32 v52, v91, v114
	s_delay_alu instid0(VALU_DEP_2) | instskip(SKIP_2) | instid1(VALU_DEP_4)
	v_dual_add_f32 v54, v35, v58 :: v_dual_add_f32 v35, v88, v59
	v_and_b32_e32 v58, 0xffff0000, v28
	v_and_b32_e32 v50, 0xffff0000, v24
	v_dual_fmac_f32 v52, v56, v51 :: v_dual_and_b32 v51, 0xffff0000, v25
	s_delay_alu instid0(VALU_DEP_4) | instskip(SKIP_1) | instid1(VALU_DEP_4)
	v_add_f32_e32 v53, v35, v53
	v_lshlrev_b32_e32 v35, 16, v24
	v_mul_f32_e32 v59, v58, v50
	v_and_b32_e32 v62, 0xffff0000, v30
	v_and_b32_e32 v28, 0xffff0000, v26
	v_lshlrev_b32_e32 v25, 16, v26
	v_lshlrev_b32_e32 v26, 16, v27
	v_fmac_f32_e32 v59, v57, v35
	s_delay_alu instid0(VALU_DEP_1) | instskip(SKIP_3) | instid1(VALU_DEP_1)
	v_add_f32_e32 v49, v49, v59
	v_lshlrev_b32_e32 v59, 16, v30
	v_lshlrev_b32_e32 v30, 16, v20
	v_and_b32_e32 v60, 0xffff0000, v29
	v_mul_f32_e32 v29, v60, v51
	s_delay_alu instid0(VALU_DEP_1) | instskip(NEXT) | instid1(VALU_DEP_1)
	v_fmac_f32_e32 v29, v61, v42
	v_add_f32_e32 v49, v49, v29
	v_and_b32_e32 v29, 0xffff0000, v27
	s_delay_alu instid0(VALU_DEP_1) | instskip(SKIP_1) | instid1(VALU_DEP_2)
	v_dual_mul_f32 v27, v63, v29 :: v_dual_add_f32 v24, v54, v52
	v_dual_add_f32 v52, v53, v55 :: v_dual_mul_f32 v53, v91, v104
	v_dual_mul_f32 v54, v62, v28 :: v_dual_fmac_f32 v27, v65, v26
	s_delay_alu instid0(VALU_DEP_2) | instskip(NEXT) | instid1(VALU_DEP_1)
	v_fmac_f32_e32 v53, v56, v43
	v_dual_add_f32 v20, v52, v53 :: v_dual_and_b32 v43, 0xffff0000, v20
	s_delay_alu instid0(VALU_DEP_1) | instskip(NEXT) | instid1(VALU_DEP_4)
	v_mul_f32_e32 v55, v58, v43
	v_dual_fmac_f32 v54, v59, v25 :: v_dual_lshlrev_b32 v53, 16, v22
	v_and_b32_e32 v52, 0xffff0000, v22
	s_delay_alu instid0(VALU_DEP_3) | instskip(NEXT) | instid1(VALU_DEP_3)
	v_fmac_f32_e32 v55, v57, v30
	v_dual_add_f32 v54, v49, v54 :: v_dual_and_b32 v49, 0xffff0000, v21
	s_waitcnt vmcnt(1)
	s_delay_alu instid0(VALU_DEP_1) | instskip(NEXT) | instid1(VALU_DEP_3)
	v_dual_add_f32 v106, v54, v27 :: v_dual_lshlrev_b32 v21, 16, v16
	v_dual_add_f32 v27, v48, v55 :: v_dual_and_b32 v48, 0xffff0000, v16
	s_delay_alu instid0(VALU_DEP_3) | instskip(NEXT) | instid1(VALU_DEP_2)
	v_mul_f32_e32 v56, v60, v49
	v_dual_mul_f32 v55, v58, v48 :: v_dual_lshlrev_b32 v16, 16, v23
	s_delay_alu instid0(VALU_DEP_1) | instskip(NEXT) | instid1(VALU_DEP_1)
	v_dual_mul_f32 v54, v62, v52 :: v_dual_fmac_f32 v55, v57, v21
	v_fmac_f32_e32 v54, v59, v53
	s_waitcnt vmcnt(0)
	s_delay_alu instid0(VALU_DEP_2) | instskip(SKIP_1) | instid1(VALU_DEP_2)
	v_dual_add_f32 v40, v40, v55 :: v_dual_and_b32 v55, 0xffff0000, v8
	v_fmac_f32_e32 v56, v61, v31
	v_mul_f32_e32 v58, v58, v55
	s_delay_alu instid0(VALU_DEP_2) | instskip(SKIP_1) | instid1(VALU_DEP_2)
	v_dual_add_f32 v56, v27, v56 :: v_dual_and_b32 v27, 0xffff0000, v23
	v_and_b32_e32 v23, 0xffff0000, v18
	v_add_f32_e32 v56, v56, v54
	s_delay_alu instid0(VALU_DEP_3) | instskip(SKIP_1) | instid1(VALU_DEP_4)
	v_mul_f32_e32 v82, v63, v27
	v_lshlrev_b32_e32 v54, 16, v8
	v_mul_f32_e32 v88, v62, v23
	s_delay_alu instid0(VALU_DEP_3) | instskip(NEXT) | instid1(VALU_DEP_3)
	v_fmac_f32_e32 v82, v65, v16
	v_fmac_f32_e32 v58, v57, v54
	s_delay_alu instid0(VALU_DEP_2) | instskip(SKIP_4) | instid1(VALU_DEP_3)
	v_add_f32_e32 v107, v56, v82
	v_and_b32_e32 v56, 0xffff0000, v10
	v_and_b32_e32 v22, 0xffff0000, v17
	v_lshlrev_b32_e32 v17, 16, v17
	v_lshlrev_b32_e32 v10, 16, v10
	v_mul_f32_e32 v80, v60, v22
	s_delay_alu instid0(VALU_DEP_1) | instskip(NEXT) | instid1(VALU_DEP_1)
	v_fmac_f32_e32 v80, v61, v17
	v_add_f32_e32 v80, v40, v80
	v_and_b32_e32 v40, 0xffff0000, v19
	s_delay_alu instid0(VALU_DEP_1) | instskip(SKIP_2) | instid1(VALU_DEP_3)
	v_dual_mul_f32 v89, v63, v40 :: v_dual_lshlrev_b32 v8, 16, v19
	v_and_b32_e32 v19, 0xffff0000, v9
	v_dual_add_f32 v58, v101, v58 :: v_dual_lshlrev_b32 v9, 16, v9
	v_fmac_f32_e32 v89, v65, v8
	s_delay_alu instid0(VALU_DEP_3) | instskip(NEXT) | instid1(VALU_DEP_1)
	v_mul_f32_e32 v57, v60, v19
	v_fmac_f32_e32 v57, v61, v9
	v_mul_f32_e32 v61, v62, v56
	v_and_b32_e32 v60, 0xffff0000, v12
	v_lshlrev_b32_e32 v12, 16, v12
	s_delay_alu instid0(VALU_DEP_4) | instskip(SKIP_1) | instid1(VALU_DEP_4)
	v_dual_add_f32 v58, v58, v57 :: v_dual_and_b32 v57, 0xffff0000, v11
	v_lshlrev_b32_e32 v18, 16, v18
	v_mul_f32_e32 v62, v60, v50
	v_fmac_f32_e32 v61, v59, v10
	v_lshlrev_b32_e32 v11, 16, v11
	s_delay_alu instid0(VALU_DEP_3) | instskip(NEXT) | instid1(VALU_DEP_3)
	v_dual_mul_f32 v63, v63, v57 :: v_dual_fmac_f32 v62, v12, v35
	v_dual_add_f32 v58, v58, v61 :: v_dual_and_b32 v61, 0xffff0000, v14
	s_delay_alu instid0(VALU_DEP_2) | instskip(NEXT) | instid1(VALU_DEP_3)
	v_fmac_f32_e32 v63, v65, v11
	v_add_f32_e32 v41, v41, v62
	v_dual_fmac_f32 v88, v59, v18 :: v_dual_and_b32 v59, 0xffff0000, v13
	s_delay_alu instid0(VALU_DEP_3) | instskip(SKIP_2) | instid1(VALU_DEP_4)
	v_add_f32_e32 v104, v58, v63
	v_mul_f32_e32 v63, v60, v43
	v_and_b32_e32 v58, 0xffff0000, v15
	v_dual_add_f32 v80, v80, v88 :: v_dual_lshlrev_b32 v15, 16, v15
	v_lshlrev_b32_e32 v13, 16, v13
	s_delay_alu instid0(VALU_DEP_4) | instskip(NEXT) | instid1(VALU_DEP_4)
	v_fmac_f32_e32 v63, v12, v30
	v_mul_f32_e32 v65, v58, v29
	s_delay_alu instid0(VALU_DEP_4) | instskip(NEXT) | instid1(VALU_DEP_3)
	v_dual_add_f32 v105, v80, v89 :: v_dual_mul_f32 v62, v61, v28
	v_add_f32_e32 v45, v45, v63
	v_mul_f32_e32 v80, v59, v51
	s_delay_alu instid0(VALU_DEP_4) | instskip(SKIP_2) | instid1(VALU_DEP_4)
	v_fmac_f32_e32 v65, v15, v26
	v_lshlrev_b32_e32 v14, 16, v14
	v_mul_f32_e32 v63, v59, v22
	v_fmac_f32_e32 v80, v13, v42
	s_delay_alu instid0(VALU_DEP_3) | instskip(NEXT) | instid1(VALU_DEP_3)
	v_fmac_f32_e32 v62, v14, v25
	v_fmac_f32_e32 v63, v13, v17
	s_delay_alu instid0(VALU_DEP_3) | instskip(NEXT) | instid1(VALU_DEP_1)
	v_add_f32_e32 v41, v41, v80
	v_dual_add_f32 v41, v41, v62 :: v_dual_mul_f32 v62, v59, v49
	v_dual_mul_f32 v59, v59, v19 :: v_dual_mul_f32 v80, v60, v48
	s_delay_alu instid0(VALU_DEP_2) | instskip(NEXT) | instid1(VALU_DEP_3)
	v_dual_mul_f32 v60, v60, v55 :: v_dual_add_f32 v103, v41, v65
	v_fmac_f32_e32 v62, v13, v31
	v_mul_f32_e32 v41, v61, v52
	s_delay_alu instid0(VALU_DEP_4) | instskip(SKIP_1) | instid1(VALU_DEP_4)
	v_fmac_f32_e32 v59, v13, v9
	v_lshlrev_b32_e32 v13, 16, v77
	v_dual_fmac_f32 v80, v12, v21 :: v_dual_add_f32 v45, v45, v62
	s_delay_alu instid0(VALU_DEP_4) | instskip(SKIP_1) | instid1(VALU_DEP_3)
	v_dual_fmac_f32 v41, v14, v53 :: v_dual_fmac_f32 v60, v12, v54
	v_mul_f32_e32 v62, v61, v23
	v_dual_add_f32 v65, v81, v80 :: v_dual_mul_f32 v80, v58, v27
	s_delay_alu instid0(VALU_DEP_3) | instskip(NEXT) | instid1(VALU_DEP_2)
	v_add_f32_e32 v41, v45, v41
	v_dual_add_f32 v63, v65, v63 :: v_dual_fmac_f32 v80, v15, v16
	s_delay_alu instid0(VALU_DEP_1) | instskip(SKIP_2) | instid1(VALU_DEP_2)
	v_add_f32_e32 v101, v41, v80
	v_add_f32_e32 v41, v46, v60
	v_dual_mul_f32 v45, v58, v40 :: v_dual_and_b32 v46, 0xffff0000, v77
	v_add_f32_e32 v41, v41, v59
	s_delay_alu instid0(VALU_DEP_2) | instskip(SKIP_1) | instid1(VALU_DEP_2)
	v_dual_fmac_f32 v45, v15, v8 :: v_dual_fmac_f32 v62, v14, v18
	v_and_b32_e32 v59, 0xffff0000, v78
	v_add_f32_e32 v12, v63, v62
	s_delay_alu instid0(VALU_DEP_2) | instskip(NEXT) | instid1(VALU_DEP_2)
	v_mul_f32_e32 v63, v59, v22
	v_dual_add_f32 v99, v12, v45 :: v_dual_mul_f32 v12, v61, v56
	v_mul_f32_e32 v45, v46, v50
	s_delay_alu instid0(VALU_DEP_2) | instskip(NEXT) | instid1(VALU_DEP_2)
	v_fmac_f32_e32 v12, v14, v10
	v_dual_mul_f32 v14, v58, v57 :: v_dual_fmac_f32 v45, v13, v35
	s_delay_alu instid0(VALU_DEP_2) | instskip(NEXT) | instid1(VALU_DEP_2)
	v_add_f32_e32 v12, v41, v12
	v_fmac_f32_e32 v14, v15, v11
	v_and_b32_e32 v41, 0xffff0000, v75
	s_delay_alu instid0(VALU_DEP_4) | instskip(NEXT) | instid1(VALU_DEP_3)
	v_add_f32_e32 v15, v47, v45
	v_dual_add_f32 v98, v12, v14 :: v_dual_lshlrev_b32 v45, 16, v75
	v_and_b32_e32 v12, 0xffff0000, v76
	s_delay_alu instid0(VALU_DEP_4) | instskip(NEXT) | instid1(VALU_DEP_2)
	v_dual_mul_f32 v47, v41, v28 :: v_dual_lshlrev_b32 v58, 16, v78
	v_dual_mul_f32 v61, v12, v29 :: v_dual_mul_f32 v60, v59, v51
	s_delay_alu instid0(VALU_DEP_2) | instskip(NEXT) | instid1(VALU_DEP_2)
	v_fmac_f32_e32 v63, v58, v17
	v_dual_fmac_f32 v47, v45, v25 :: v_dual_fmac_f32 v60, v58, v42
	s_delay_alu instid0(VALU_DEP_1) | instskip(NEXT) | instid1(VALU_DEP_1)
	v_dual_add_f32 v15, v15, v60 :: v_dual_mul_f32 v14, v46, v43
	v_dual_add_f32 v15, v15, v47 :: v_dual_lshlrev_b32 v60, 16, v76
	v_mul_f32_e32 v47, v46, v48
	v_mul_f32_e32 v46, v46, v55
	s_delay_alu instid0(VALU_DEP_4) | instskip(NEXT) | instid1(VALU_DEP_3)
	v_fmac_f32_e32 v14, v13, v30
	v_fmac_f32_e32 v47, v13, v21
	s_delay_alu instid0(VALU_DEP_3) | instskip(SKIP_2) | instid1(VALU_DEP_3)
	v_dual_fmac_f32 v46, v13, v54 :: v_dual_mul_f32 v13, v59, v19
	v_dual_fmac_f32 v61, v60, v26 :: v_dual_mul_f32 v62, v59, v49
	v_and_b32_e32 v59, 0xffff0000, v4
	v_add_f32_e32 v37, v37, v46
	s_delay_alu instid0(VALU_DEP_4) | instskip(NEXT) | instid1(VALU_DEP_4)
	v_fmac_f32_e32 v13, v58, v9
	v_add_f32_e32 v100, v15, v61
	v_add_f32_e32 v15, v79, v47
	v_dual_mul_f32 v47, v41, v23 :: v_dual_mul_f32 v46, v59, v50
	s_delay_alu instid0(VALU_DEP_4) | instskip(NEXT) | instid1(VALU_DEP_3)
	v_add_f32_e32 v13, v37, v13
	v_add_f32_e32 v15, v15, v63
	s_delay_alu instid0(VALU_DEP_3) | instskip(SKIP_2) | instid1(VALU_DEP_3)
	v_dual_fmac_f32 v47, v45, v18 :: v_dual_fmac_f32 v62, v58, v31
	v_and_b32_e32 v58, 0xffff0000, v5
	v_lshlrev_b32_e32 v5, 16, v5
	v_dual_add_f32 v15, v15, v47 :: v_dual_add_f32 v14, v44, v14
	v_mul_f32_e32 v44, v41, v52
	v_mul_f32_e32 v41, v41, v56
	;; [unrolled: 1-line block ×4, first 2 shown]
	v_add_f32_e32 v14, v14, v62
	v_fmac_f32_e32 v44, v45, v53
	v_dual_fmac_f32 v41, v45, v10 :: v_dual_lshlrev_b32 v4, 16, v4
	v_fmac_f32_e32 v47, v60, v8
	s_delay_alu instid0(VALU_DEP_3) | instskip(NEXT) | instid1(VALU_DEP_3)
	v_dual_add_f32 v14, v14, v44 :: v_dual_and_b32 v45, 0xffff0000, v6
	v_dual_add_f32 v13, v13, v41 :: v_dual_fmac_f32 v46, v4, v35
	v_mul_f32_e32 v44, v12, v27
	v_mul_f32_e32 v12, v12, v57
	v_add_f32_e32 v96, v15, v47
	v_mul_f32_e32 v15, v59, v48
	s_delay_alu instid0(VALU_DEP_4) | instskip(NEXT) | instid1(VALU_DEP_4)
	v_dual_add_f32 v39, v39, v46 :: v_dual_fmac_f32 v44, v60, v16
	v_dual_fmac_f32 v37, v5, v42 :: v_dual_fmac_f32 v12, v60, v11
	s_delay_alu instid0(VALU_DEP_3) | instskip(NEXT) | instid1(VALU_DEP_2)
	v_dual_fmac_f32 v15, v4, v21 :: v_dual_lshlrev_b32 v6, 16, v6
	v_dual_add_f32 v102, v14, v44 :: v_dual_add_f32 v37, v39, v37
	s_delay_alu instid0(VALU_DEP_2) | instskip(SKIP_2) | instid1(VALU_DEP_2)
	v_dual_add_f32 v94, v13, v12 :: v_dual_add_f32 v15, v38, v15
	v_and_b32_e32 v14, 0xffff0000, v7
	v_dual_mul_f32 v46, v45, v28 :: v_dual_lshlrev_b32 v7, 16, v7
	v_mul_f32_e32 v39, v14, v29
	s_delay_alu instid0(VALU_DEP_1) | instskip(NEXT) | instid1(VALU_DEP_1)
	v_dual_fmac_f32 v46, v6, v25 :: v_dual_fmac_f32 v39, v7, v26
	v_add_f32_e32 v13, v37, v46
	v_mul_f32_e32 v41, v58, v22
	v_mul_f32_e32 v37, v58, v49
	s_delay_alu instid0(VALU_DEP_3) | instskip(NEXT) | instid1(VALU_DEP_3)
	v_add_f32_e32 v97, v13, v39
	v_fmac_f32_e32 v41, v5, v17
	s_delay_alu instid0(VALU_DEP_3) | instskip(NEXT) | instid1(VALU_DEP_2)
	v_fmac_f32_e32 v37, v5, v31
	v_add_f32_e32 v15, v15, v41
	v_dual_mul_f32 v12, v59, v43 :: v_dual_mul_f32 v41, v14, v40
	s_delay_alu instid0(VALU_DEP_1) | instskip(NEXT) | instid1(VALU_DEP_1)
	v_dual_fmac_f32 v12, v4, v30 :: v_dual_fmac_f32 v41, v7, v8
	v_add_f32_e32 v12, v36, v12
	s_delay_alu instid0(VALU_DEP_1) | instskip(NEXT) | instid1(VALU_DEP_1)
	v_dual_add_f32 v12, v12, v37 :: v_dual_mul_f32 v37, v14, v27
	v_dual_mul_f32 v38, v45, v23 :: v_dual_fmac_f32 v37, v7, v16
	s_delay_alu instid0(VALU_DEP_1) | instskip(NEXT) | instid1(VALU_DEP_1)
	v_fmac_f32_e32 v38, v6, v18
	v_dual_mul_f32 v36, v45, v52 :: v_dual_add_f32 v15, v15, v38
	s_delay_alu instid0(VALU_DEP_1) | instskip(NEXT) | instid1(VALU_DEP_1)
	v_fmac_f32_e32 v36, v6, v53
	v_dual_add_f32 v93, v15, v41 :: v_dual_add_f32 v12, v12, v36
	s_delay_alu instid0(VALU_DEP_1) | instskip(NEXT) | instid1(VALU_DEP_1)
	v_dual_add_f32 v95, v12, v37 :: v_dual_and_b32 v12, 0xffff0000, v0
	v_dual_mul_f32 v36, v59, v55 :: v_dual_mul_f32 v13, v12, v50
	s_delay_alu instid0(VALU_DEP_1) | instskip(SKIP_1) | instid1(VALU_DEP_1)
	v_fmac_f32_e32 v36, v4, v54
	v_mul_f32_e32 v4, v58, v19
	v_fmac_f32_e32 v4, v5, v9
	v_mul_f32_e32 v5, v45, v56
	s_delay_alu instid0(VALU_DEP_4) | instskip(SKIP_1) | instid1(VALU_DEP_2)
	v_dual_add_f32 v15, v32, v36 :: v_dual_and_b32 v32, 0xffff0000, v1
	v_lshlrev_b32_e32 v1, 16, v1
	v_dual_fmac_f32 v5, v6, v10 :: v_dual_add_f32 v4, v15, v4
	v_lshlrev_b32_e32 v0, 16, v0
	s_delay_alu instid0(VALU_DEP_1) | instskip(SKIP_1) | instid1(VALU_DEP_2)
	v_fmac_f32_e32 v13, v0, v35
	v_dual_mul_f32 v35, v32, v51 :: v_dual_mul_f32 v6, v14, v57
	v_dual_mul_f32 v14, v12, v43 :: v_dual_add_f32 v13, v33, v13
	s_delay_alu instid0(VALU_DEP_2) | instskip(NEXT) | instid1(VALU_DEP_3)
	v_dual_fmac_f32 v35, v1, v42 :: v_dual_add_f32 v4, v4, v5
	v_dual_fmac_f32 v6, v7, v11 :: v_dual_and_b32 v5, 0xffff0000, v2
	s_delay_alu instid0(VALU_DEP_2) | instskip(SKIP_1) | instid1(VALU_DEP_2)
	v_dual_fmac_f32 v14, v0, v30 :: v_dual_add_f32 v7, v13, v35
	v_dual_mul_f32 v13, v32, v49 :: v_dual_lshlrev_b32 v2, 16, v2
	v_dual_mul_f32 v15, v5, v28 :: v_dual_add_f32 v14, v34, v14
	s_delay_alu instid0(VALU_DEP_2) | instskip(NEXT) | instid1(VALU_DEP_2)
	v_dual_add_f32 v92, v4, v6 :: v_dual_fmac_f32 v13, v1, v31
	v_dual_fmac_f32 v15, v2, v25 :: v_dual_and_b32 v28, 0xffff0000, v3
	v_dual_mul_f32 v30, v5, v52 :: v_dual_lshlrev_b32 v3, 16, v3
	s_delay_alu instid0(VALU_DEP_3) | instskip(NEXT) | instid1(VALU_DEP_3)
	v_dual_add_f32 v13, v14, v13 :: v_dual_mul_f32 v14, v12, v48
	v_mul_f32_e32 v25, v28, v29
	s_delay_alu instid0(VALU_DEP_3) | instskip(SKIP_1) | instid1(VALU_DEP_3)
	v_dual_fmac_f32 v30, v2, v53 :: v_dual_add_f32 v7, v7, v15
	v_mul_f32_e32 v12, v12, v55
	v_dual_fmac_f32 v14, v0, v21 :: v_dual_fmac_f32 v25, v3, v26
	s_delay_alu instid0(VALU_DEP_3) | instskip(SKIP_1) | instid1(VALU_DEP_4)
	v_add_f32_e32 v13, v13, v30
	v_mul_f32_e32 v21, v28, v27
	v_fmac_f32_e32 v12, v0, v54
	v_mul_f32_e32 v0, v32, v19
	v_mul_f32_e32 v15, v32, v22
	v_add_f32_e32 v14, v24, v14
	s_delay_alu instid0(VALU_DEP_3) | instskip(NEXT) | instid1(VALU_DEP_3)
	v_fmac_f32_e32 v0, v1, v9
	v_fmac_f32_e32 v15, v1, v17
	v_dual_mul_f32 v17, v5, v23 :: v_dual_add_f32 v12, v20, v12
	v_mul_f32_e32 v1, v5, v56
	s_delay_alu instid0(VALU_DEP_3) | instskip(NEXT) | instid1(VALU_DEP_3)
	v_add_f32_e32 v5, v14, v15
	v_dual_fmac_f32 v17, v2, v18 :: v_dual_add_f32 v0, v12, v0
	s_delay_alu instid0(VALU_DEP_3) | instskip(SKIP_2) | instid1(VALU_DEP_4)
	v_dual_fmac_f32 v1, v2, v10 :: v_dual_mul_f32 v2, v28, v57
	v_mul_f32_e32 v9, v28, v40
	v_fmac_f32_e32 v21, v3, v16
	v_add_f32_e32 v5, v5, v17
	s_delay_alu instid0(VALU_DEP_4) | instskip(SKIP_1) | instid1(VALU_DEP_4)
	v_add_f32_e32 v0, v0, v1
	v_fmac_f32_e32 v2, v3, v11
	v_dual_fmac_f32 v9, v3, v8 :: v_dual_add_f32 v90, v13, v21
	s_delay_alu instid0(VALU_DEP_2) | instskip(NEXT) | instid1(VALU_DEP_2)
	v_dual_add_f32 v91, v7, v25 :: v_dual_add_f32 v88, v0, v2
	v_add_f32_e32 v89, v5, v9
	s_cbranch_scc1 .LBB305_15
.LBB305_12:                             ;   Parent Loop BB305_8 Depth=1
                                        ; =>  This Inner Loop Header: Depth=2
	v_add_nc_u32_e32 v12, s25, v83
	v_dual_mov_b32 v76, 0 :: v_dual_mov_b32 v15, 0
	v_dual_mov_b32 v78, 0 :: v_dual_mov_b32 v13, 0
	s_delay_alu instid0(VALU_DEP_3) | instskip(SKIP_3) | instid1(VALU_DEP_4)
	v_min_u32_e32 v65, s15, v12
	v_add_nc_u32_e32 v108, 0x200, v12
	v_dual_mov_b32 v14, 0 :: v_dual_mov_b32 v31, 0
	v_dual_mov_b32 v30, 0 :: v_dual_mov_b32 v35, 0
	v_lshlrev_b64 v[0:1], 1, v[65:66]
	s_delay_alu instid0(VALU_DEP_4) | instskip(SKIP_3) | instid1(VALU_DEP_4)
	v_min_u32_e32 v65, s15, v108
	v_dual_mov_b32 v28, 0 :: v_dual_mov_b32 v33, 0
	v_dual_mov_b32 v34, 0 :: v_dual_mov_b32 v39, 0
	s_waitcnt lgkmcnt(0)
	v_add_co_u32 v8, vcc_lo, s2, v0
	v_add_co_ci_u32_e32 v9, vcc_lo, s3, v1, vcc_lo
	v_lshlrev_b64 v[0:1], 1, v[65:66]
	s_delay_alu instid0(VALU_DEP_3) | instskip(NEXT) | instid1(VALU_DEP_3)
	v_add_co_u32 v2, vcc_lo, v8, v67
	v_add_co_ci_u32_e32 v3, vcc_lo, v9, v68, vcc_lo
	v_add_co_u32 v4, vcc_lo, v8, v69
	v_add_co_ci_u32_e32 v5, vcc_lo, v9, v70, vcc_lo
	;; [unrolled: 2-line block ×5, first 2 shown]
	s_clause 0x1
	global_load_b128 v[56:59], v[2:3], off slc dlc
	global_load_b128 v[52:55], v[4:5], off slc dlc
	v_add_co_u32 v2, vcc_lo, v10, v67
	v_add_co_ci_u32_e32 v3, vcc_lo, v11, v68, vcc_lo
	v_add_co_u32 v4, vcc_lo, v10, v69
	v_add_co_ci_u32_e32 v5, vcc_lo, v11, v70, vcc_lo
	;; [unrolled: 2-line block ×4, first 2 shown]
	s_clause 0x5
	global_load_b128 v[48:51], v[6:7], off slc dlc
	global_load_b128 v[40:43], v[0:1], off slc dlc
	;; [unrolled: 1-line block ×6, first 2 shown]
	v_mov_b32_e32 v3, 0
	v_cmp_gt_u32_e32 vcc_lo, s4, v12
	v_dual_mov_b32 v2, 0 :: v_dual_mov_b32 v7, 0
	v_dual_mov_b32 v1, 0 :: v_dual_mov_b32 v0, 0
	;; [unrolled: 1-line block ×13, first 2 shown]
	v_mov_b32_e32 v60, 0
	s_and_saveexec_b32 s26, vcc_lo
	s_cbranch_execz .LBB305_11
; %bb.13:                               ;   in Loop: Header=BB305_12 Depth=2
	v_dual_mov_b32 v28, 0 :: v_dual_add_nc_u32 v109, s6, v87
	v_dual_mov_b32 v30, 0 :: v_dual_add_nc_u32 v111, s23, v87
	;; [unrolled: 1-line block ×4, first 2 shown]
	ds_load_b128 v[44:47], v109
	ds_load_2addr_b32 v[81:82], v111 offset1:1
	ds_load_2addr_b32 v[79:80], v111 offset0:2 offset1:3
	ds_load_b128 v[36:39], v110
	ds_load_b128 v[60:63], v87
	ds_load_2addr_b64 v[32:35], v65 offset1:1
	v_cmp_gt_u32_e32 vcc_lo, s4, v108
	v_dual_mov_b32 v31, 0 :: v_dual_mov_b32 v14, 0
	v_dual_mov_b32 v13, 0 :: v_dual_mov_b32 v78, 0
	;; [unrolled: 1-line block ×7, first 2 shown]
	v_mov_b32_e32 v1, 0
	v_mov_b32_e32 v3, 0
	s_and_saveexec_b32 s27, vcc_lo
	s_cbranch_execz .LBB305_10
; %bb.14:                               ;   in Loop: Header=BB305_12 Depth=2
	v_add_nc_u32_e32 v0, 0x408, v111
	v_add_nc_u32_e32 v1, 0x400, v111
	ds_load_b128 v[12:15], v109 offset:1024
	ds_load_b128 v[4:7], v110 offset:1024
	;; [unrolled: 1-line block ×3, first 2 shown]
	ds_load_2addr_b32 v[75:76], v0 offset1:1
	ds_load_2addr_b32 v[77:78], v1 offset1:1
	ds_load_2addr_b64 v[0:3], v65 offset0:128 offset1:129
	s_branch .LBB305_10
.LBB305_15:                             ;   in Loop: Header=BB305_8 Depth=1
	; sched_barrier mask(0x00000000)
	s_delay_alu instid0(VALU_DEP_1)
	v_cvt_i32_f32_e32 v0, v106
	s_waitcnt lgkmcnt(0)
	v_cvt_i32_f32_e32 v1, v107
	v_cvt_i32_f32_e32 v2, v105
	;; [unrolled: 1-line block ×4, first 2 shown]
	v_cvt_f32_i32_dpp v0, v0 row_shr:8 row_mask:0xf bank_mask:0xf bound_ctrl:1
	v_cvt_f32_i32_dpp v1, v1 row_shr:8 row_mask:0xf bank_mask:0xf bound_ctrl:1
	;; [unrolled: 1-line block ×5, first 2 shown]
	s_delay_alu instid0(VALU_DEP_4) | instskip(NEXT) | instid1(VALU_DEP_3)
	v_dual_add_f32 v0, v106, v0 :: v_dual_add_f32 v1, v107, v1
	v_dual_add_f32 v2, v105, v2 :: v_dual_add_f32 v3, v104, v3
	s_delay_alu instid0(VALU_DEP_2) | instskip(NEXT) | instid1(VALU_DEP_3)
	v_cvt_i32_f32_e32 v5, v0
	v_cvt_i32_f32_e32 v6, v1
	s_delay_alu instid0(VALU_DEP_3) | instskip(NEXT) | instid1(VALU_DEP_4)
	v_cvt_i32_f32_e32 v7, v2
	v_cvt_i32_f32_e32 v8, v3
	s_delay_alu instid0(VALU_DEP_4) | instskip(NEXT) | instid1(VALU_DEP_4)
	v_cvt_f32_i32_dpp v5, v5 row_shr:4 row_mask:0xf bank_mask:0xf bound_ctrl:1
	v_cvt_f32_i32_dpp v6, v6 row_shr:4 row_mask:0xf bank_mask:0xf bound_ctrl:1
	v_add_f32_e32 v4, v103, v4
	v_cvt_f32_i32_dpp v7, v7 row_shr:4 row_mask:0xf bank_mask:0xf bound_ctrl:1
	v_cvt_f32_i32_dpp v8, v8 row_shr:4 row_mask:0xf bank_mask:0xf bound_ctrl:1
	s_delay_alu instid0(VALU_DEP_4) | instskip(NEXT) | instid1(VALU_DEP_4)
	v_dual_add_f32 v0, v0, v5 :: v_dual_add_f32 v1, v1, v6
	v_cvt_i32_f32_e32 v9, v4
	s_delay_alu instid0(VALU_DEP_3) | instskip(NEXT) | instid1(VALU_DEP_3)
	v_add_f32_e32 v3, v3, v8
	v_cvt_i32_f32_e32 v5, v0
	s_delay_alu instid0(VALU_DEP_4) | instskip(NEXT) | instid1(VALU_DEP_4)
	v_cvt_i32_f32_e32 v6, v1
	v_cvt_f32_i32_dpp v9, v9 row_shr:4 row_mask:0xf bank_mask:0xf bound_ctrl:1
	s_delay_alu instid0(VALU_DEP_4) | instskip(NEXT) | instid1(VALU_DEP_4)
	v_cvt_i32_f32_e32 v8, v3
	v_cvt_f32_i32_dpp v5, v5 row_shr:2 row_mask:0xf bank_mask:0xf bound_ctrl:1
	s_delay_alu instid0(VALU_DEP_4) | instskip(SKIP_1) | instid1(VALU_DEP_4)
	v_cvt_f32_i32_dpp v6, v6 row_shr:2 row_mask:0xf bank_mask:0xf bound_ctrl:1
	v_add_f32_e32 v2, v2, v7
	v_cvt_f32_i32_dpp v8, v8 row_shr:2 row_mask:0xf bank_mask:0xf bound_ctrl:1
	s_delay_alu instid0(VALU_DEP_3) | instskip(NEXT) | instid1(VALU_DEP_3)
	v_dual_add_f32 v4, v4, v9 :: v_dual_add_f32 v1, v1, v6
	v_cvt_i32_f32_e32 v7, v2
	s_delay_alu instid0(VALU_DEP_3) | instskip(NEXT) | instid1(VALU_DEP_3)
	v_add_f32_e32 v3, v3, v8
	v_cvt_i32_f32_e32 v9, v4
	s_delay_alu instid0(VALU_DEP_4) | instskip(NEXT) | instid1(VALU_DEP_4)
	v_cvt_i32_f32_e32 v6, v1
	v_cvt_f32_i32_dpp v7, v7 row_shr:2 row_mask:0xf bank_mask:0xf bound_ctrl:1
	s_delay_alu instid0(VALU_DEP_4) | instskip(NEXT) | instid1(VALU_DEP_4)
	v_cvt_i32_f32_e32 v8, v3
	v_cvt_f32_i32_dpp v9, v9 row_shr:2 row_mask:0xf bank_mask:0xf bound_ctrl:1
	s_delay_alu instid0(VALU_DEP_4) | instskip(NEXT) | instid1(VALU_DEP_4)
	v_cvt_f32_i32_dpp v6, v6 row_shr:1 row_mask:0xf bank_mask:0xf bound_ctrl:1
	v_add_f32_e32 v2, v2, v7
	s_delay_alu instid0(VALU_DEP_4) | instskip(NEXT) | instid1(VALU_DEP_4)
	v_cvt_f32_i32_dpp v8, v8 row_shr:1 row_mask:0xf bank_mask:0xf bound_ctrl:1
	v_add_f32_e32 v4, v4, v9
	s_delay_alu instid0(VALU_DEP_3) | instskip(NEXT) | instid1(VALU_DEP_3)
	v_cvt_i32_f32_e32 v7, v2
	v_add_f32_e32 v35, v3, v8
	v_cvt_i32_f32_e32 v3, v99
	s_delay_alu instid0(VALU_DEP_4) | instskip(NEXT) | instid1(VALU_DEP_4)
	v_cvt_i32_f32_e32 v9, v4
	v_cvt_f32_i32_dpp v7, v7 row_shr:1 row_mask:0xf bank_mask:0xf bound_ctrl:1
	v_add_f32_e32 v0, v0, v5
	ds_bpermute_b32 v36, v85, v35
	v_cvt_f32_i32_dpp v3, v3 row_shr:8 row_mask:0xf bank_mask:0xf bound_ctrl:1
	v_cvt_f32_i32_dpp v9, v9 row_shr:1 row_mask:0xf bank_mask:0xf bound_ctrl:1
	v_add_f32_e32 v39, v2, v7
	v_cvt_i32_f32_e32 v5, v0
	v_cvt_i32_f32_e32 v2, v101
	v_add_f32_e32 v3, v99, v3
	ds_bpermute_b32 v41, v85, v39
	v_cvt_f32_i32_dpp v5, v5 row_shr:1 row_mask:0xf bank_mask:0xf bound_ctrl:1
	v_cvt_f32_i32_dpp v2, v2 row_shr:8 row_mask:0xf bank_mask:0xf bound_ctrl:1
	v_cvt_i32_f32_e32 v8, v3
	s_delay_alu instid0(VALU_DEP_3)
	v_add_f32_e32 v43, v0, v5
	v_cvt_i32_f32_e32 v5, v100
	v_add_f32_e32 v0, v1, v6
	v_cvt_i32_f32_e32 v6, v102
	v_cvt_f32_i32_dpp v8, v8 row_shr:4 row_mask:0xf bank_mask:0xf bound_ctrl:1
	v_add_f32_e32 v30, v4, v9
	v_cvt_f32_i32_dpp v5, v5 row_shr:8 row_mask:0xf bank_mask:0xf bound_ctrl:1
	v_add_f32_e32 v2, v101, v2
	v_cvt_i32_f32_e32 v4, v98
	v_cvt_f32_i32_dpp v6, v6 row_shr:8 row_mask:0xf bank_mask:0xf bound_ctrl:1
	ds_bpermute_b32 v44, v85, v43
	v_add_f32_e32 v5, v100, v5
	v_cvt_i32_f32_e32 v7, v2
	v_cvt_f32_i32_dpp v4, v4 row_shr:8 row_mask:0xf bank_mask:0xf bound_ctrl:1
	v_add_f32_e32 v3, v3, v8
	ds_bpermute_b32 v1, v85, v0
	v_cvt_i32_f32_e32 v10, v5
	v_cvt_f32_i32_dpp v7, v7 row_shr:4 row_mask:0xf bank_mask:0xf bound_ctrl:1
	ds_bpermute_b32 v31, v85, v30
	v_cvt_i32_f32_e32 v8, v3
	v_cvt_f32_i32_dpp v10, v10 row_shr:4 row_mask:0xf bank_mask:0xf bound_ctrl:1
	v_add_f32_e32 v4, v98, v4
	s_delay_alu instid0(VALU_DEP_3) | instskip(SKIP_1) | instid1(VALU_DEP_4)
	v_cvt_f32_i32_dpp v8, v8 row_shr:2 row_mask:0xf bank_mask:0xf bound_ctrl:1
	v_add_f32_e32 v6, v102, v6
	v_add_f32_e32 v5, v5, v10
	s_delay_alu instid0(VALU_DEP_4) | instskip(NEXT) | instid1(VALU_DEP_4)
	v_cvt_i32_f32_e32 v9, v4
	v_add_f32_e32 v3, v3, v8
	s_delay_alu instid0(VALU_DEP_4) | instskip(NEXT) | instid1(VALU_DEP_4)
	v_cvt_i32_f32_e32 v11, v6
	v_cvt_i32_f32_e32 v10, v5
	s_delay_alu instid0(VALU_DEP_4) | instskip(NEXT) | instid1(VALU_DEP_4)
	v_cvt_f32_i32_dpp v9, v9 row_shr:4 row_mask:0xf bank_mask:0xf bound_ctrl:1
	v_cvt_i32_f32_e32 v8, v3
	s_delay_alu instid0(VALU_DEP_4) | instskip(NEXT) | instid1(VALU_DEP_4)
	v_cvt_f32_i32_dpp v11, v11 row_shr:4 row_mask:0xf bank_mask:0xf bound_ctrl:1
	v_cvt_f32_i32_dpp v10, v10 row_shr:2 row_mask:0xf bank_mask:0xf bound_ctrl:1
	v_add_f32_e32 v2, v2, v7
	s_delay_alu instid0(VALU_DEP_4) | instskip(NEXT) | instid1(VALU_DEP_3)
	v_cvt_f32_i32_dpp v8, v8 row_shr:1 row_mask:0xf bank_mask:0xf bound_ctrl:1
	v_add_f32_e32 v5, v5, v10
	s_delay_alu instid0(VALU_DEP_3) | instskip(NEXT) | instid1(VALU_DEP_2)
	v_cvt_i32_f32_e32 v7, v2
	v_cvt_i32_f32_e32 v10, v5
	s_delay_alu instid0(VALU_DEP_2) | instskip(NEXT) | instid1(VALU_DEP_2)
	v_cvt_f32_i32_dpp v7, v7 row_shr:2 row_mask:0xf bank_mask:0xf bound_ctrl:1
	v_cvt_f32_i32_dpp v10, v10 row_shr:1 row_mask:0xf bank_mask:0xf bound_ctrl:1
	s_delay_alu instid0(VALU_DEP_1) | instskip(SKIP_1) | instid1(VALU_DEP_1)
	v_add_f32_e32 v22, v5, v10
	v_cvt_i32_f32_e32 v5, v95
	v_cvt_f32_i32_dpp v5, v5 row_shr:8 row_mask:0xf bank_mask:0xf bound_ctrl:1
	s_delay_alu instid0(VALU_DEP_1) | instskip(NEXT) | instid1(VALU_DEP_1)
	v_dual_add_f32 v2, v2, v7 :: v_dual_add_f32 v5, v95, v5
	v_cvt_i32_f32_e32 v7, v2
	s_delay_alu instid0(VALU_DEP_2) | instskip(NEXT) | instid1(VALU_DEP_2)
	v_cvt_i32_f32_e32 v10, v5
	v_cvt_f32_i32_dpp v7, v7 row_shr:1 row_mask:0xf bank_mask:0xf bound_ctrl:1
	v_add_f32_e32 v4, v4, v9
	s_delay_alu instid0(VALU_DEP_3) | instskip(NEXT) | instid1(VALU_DEP_3)
	v_cvt_f32_i32_dpp v10, v10 row_shr:4 row_mask:0xf bank_mask:0xf bound_ctrl:1
	v_add_f32_e32 v37, v2, v7
	s_delay_alu instid0(VALU_DEP_3)
	v_cvt_i32_f32_e32 v9, v4
	v_add_f32_e32 v32, v3, v8
	v_cvt_i32_f32_e32 v3, v94
	v_add_f32_e32 v5, v5, v10
	v_cvt_i32_f32_e32 v2, v96
	v_cvt_f32_i32_dpp v9, v9 row_shr:2 row_mask:0xf bank_mask:0xf bound_ctrl:1
	ds_bpermute_b32 v38, v85, v37
	v_cvt_f32_i32_dpp v3, v3 row_shr:8 row_mask:0xf bank_mask:0xf bound_ctrl:1
	v_cvt_i32_f32_e32 v10, v5
	v_cvt_f32_i32_dpp v2, v2 row_shr:8 row_mask:0xf bank_mask:0xf bound_ctrl:1
	v_add_f32_e32 v4, v4, v9
	ds_bpermute_b32 v33, v85, v32
	v_add_f32_e32 v3, v94, v3
	v_cvt_f32_i32_dpp v10, v10 row_shr:2 row_mask:0xf bank_mask:0xf bound_ctrl:1
	v_cvt_i32_f32_e32 v9, v4
	s_delay_alu instid0(VALU_DEP_3) | instskip(NEXT) | instid1(VALU_DEP_3)
	v_cvt_i32_f32_e32 v8, v3
	v_add_f32_e32 v5, v5, v10
	s_delay_alu instid0(VALU_DEP_3) | instskip(SKIP_1) | instid1(VALU_DEP_4)
	v_cvt_f32_i32_dpp v9, v9 row_shr:1 row_mask:0xf bank_mask:0xf bound_ctrl:1
	v_add_f32_e32 v6, v6, v11
	v_cvt_f32_i32_dpp v8, v8 row_shr:4 row_mask:0xf bank_mask:0xf bound_ctrl:1
	s_delay_alu instid0(VALU_DEP_4) | instskip(NEXT) | instid1(VALU_DEP_4)
	v_cvt_i32_f32_e32 v10, v5
	v_add_f32_e32 v27, v4, v9
	s_delay_alu instid0(VALU_DEP_4) | instskip(NEXT) | instid1(VALU_DEP_4)
	v_cvt_i32_f32_e32 v11, v6
	v_add_f32_e32 v3, v3, v8
	v_cvt_i32_f32_e32 v4, v97
	v_cvt_f32_i32_dpp v10, v10 row_shr:1 row_mask:0xf bank_mask:0xf bound_ctrl:1
	ds_bpermute_b32 v28, v85, v27
	v_cvt_f32_i32_dpp v11, v11 row_shr:2 row_mask:0xf bank_mask:0xf bound_ctrl:1
	v_cvt_i32_f32_e32 v8, v3
	v_cvt_f32_i32_dpp v4, v4 row_shr:8 row_mask:0xf bank_mask:0xf bound_ctrl:1
	v_add_f32_e32 v12, v5, v10
	v_cvt_i32_f32_e32 v5, v89
	v_add_f32_e32 v6, v6, v11
	v_cvt_f32_i32_dpp v8, v8 row_shr:2 row_mask:0xf bank_mask:0xf bound_ctrl:1
	ds_bpermute_b32 v13, v85, v12
	v_cvt_f32_i32_dpp v5, v5 row_shr:8 row_mask:0xf bank_mask:0xf bound_ctrl:1
	v_cvt_i32_f32_e32 v11, v6
	v_add_f32_e32 v3, v3, v8
	ds_bpermute_b32 v23, v85, v22
	v_add_f32_e32 v5, v89, v5
	v_cvt_f32_i32_dpp v11, v11 row_shr:1 row_mask:0xf bank_mask:0xf bound_ctrl:1
	v_cvt_i32_f32_e32 v8, v3
	s_delay_alu instid0(VALU_DEP_3) | instskip(NEXT) | instid1(VALU_DEP_3)
	v_cvt_i32_f32_e32 v14, v5
	v_add_f32_e32 v18, v6, v11
	s_delay_alu instid0(VALU_DEP_3) | instskip(SKIP_1) | instid1(VALU_DEP_4)
	v_cvt_f32_i32_dpp v8, v8 row_shr:1 row_mask:0xf bank_mask:0xf bound_ctrl:1
	v_cvt_i32_f32_e32 v6, v93
	v_cvt_f32_i32_dpp v14, v14 row_shr:4 row_mask:0xf bank_mask:0xf bound_ctrl:1
	ds_bpermute_b32 v19, v85, v18
	v_add_f32_e32 v20, v3, v8
	v_cvt_i32_f32_e32 v3, v91
	v_cvt_f32_i32_dpp v6, v6 row_shr:8 row_mask:0xf bank_mask:0xf bound_ctrl:1
	v_add_f32_e32 v5, v5, v14
	ds_bpermute_b32 v21, v85, v20
	v_cvt_f32_i32_dpp v3, v3 row_shr:8 row_mask:0xf bank_mask:0xf bound_ctrl:1
	v_add_f32_e32 v2, v96, v2
	v_add_f32_e32 v6, v93, v6
	v_cvt_i32_f32_e32 v14, v5
	s_delay_alu instid0(VALU_DEP_4) | instskip(NEXT) | instid1(VALU_DEP_4)
	v_add_f32_e32 v3, v91, v3
	v_cvt_i32_f32_e32 v7, v2
	s_delay_alu instid0(VALU_DEP_4) | instskip(NEXT) | instid1(VALU_DEP_4)
	v_cvt_i32_f32_e32 v11, v6
	v_cvt_f32_i32_dpp v14, v14 row_shr:2 row_mask:0xf bank_mask:0xf bound_ctrl:1
	s_delay_alu instid0(VALU_DEP_4) | instskip(NEXT) | instid1(VALU_DEP_4)
	v_cvt_i32_f32_e32 v10, v3
	v_cvt_f32_i32_dpp v7, v7 row_shr:4 row_mask:0xf bank_mask:0xf bound_ctrl:1
	s_delay_alu instid0(VALU_DEP_4) | instskip(NEXT) | instid1(VALU_DEP_4)
	v_cvt_f32_i32_dpp v11, v11 row_shr:4 row_mask:0xf bank_mask:0xf bound_ctrl:1
	v_add_f32_e32 v5, v5, v14
	s_delay_alu instid0(VALU_DEP_4) | instskip(SKIP_2) | instid1(VALU_DEP_4)
	v_cvt_f32_i32_dpp v10, v10 row_shr:4 row_mask:0xf bank_mask:0xf bound_ctrl:1
	v_add_f32_e32 v4, v97, v4
	v_add_f32_e32 v2, v2, v7
	v_cvt_i32_f32_e32 v14, v5
	s_delay_alu instid0(VALU_DEP_4) | instskip(NEXT) | instid1(VALU_DEP_4)
	v_add_f32_e32 v3, v3, v10
	v_cvt_i32_f32_e32 v9, v4
	s_delay_alu instid0(VALU_DEP_4) | instskip(NEXT) | instid1(VALU_DEP_4)
	v_cvt_i32_f32_e32 v7, v2
	v_cvt_f32_i32_dpp v26, v14 row_shr:1 row_mask:0xf bank_mask:0xf bound_ctrl:1
	s_delay_alu instid0(VALU_DEP_4) | instskip(NEXT) | instid1(VALU_DEP_4)
	v_cvt_i32_f32_e32 v10, v3
	v_cvt_f32_i32_dpp v9, v9 row_shr:4 row_mask:0xf bank_mask:0xf bound_ctrl:1
	s_delay_alu instid0(VALU_DEP_4) | instskip(NEXT) | instid1(VALU_DEP_3)
	v_cvt_f32_i32_dpp v7, v7 row_shr:2 row_mask:0xf bank_mask:0xf bound_ctrl:1
	v_cvt_f32_i32_dpp v10, v10 row_shr:2 row_mask:0xf bank_mask:0xf bound_ctrl:1
	v_add_f32_e32 v6, v6, v11
	s_delay_alu instid0(VALU_DEP_4) | instskip(NEXT) | instid1(VALU_DEP_3)
	v_add_f32_e32 v4, v4, v9
	v_dual_add_f32 v2, v2, v7 :: v_dual_add_f32 v3, v3, v10
	s_delay_alu instid0(VALU_DEP_3) | instskip(NEXT) | instid1(VALU_DEP_3)
	v_cvt_i32_f32_e32 v11, v6
	v_cvt_i32_f32_e32 v9, v4
	s_delay_alu instid0(VALU_DEP_3) | instskip(NEXT) | instid1(VALU_DEP_4)
	v_cvt_i32_f32_e32 v7, v2
	v_cvt_i32_f32_e32 v10, v3
	s_delay_alu instid0(VALU_DEP_4) | instskip(NEXT) | instid1(VALU_DEP_4)
	v_cvt_f32_i32_dpp v11, v11 row_shr:2 row_mask:0xf bank_mask:0xf bound_ctrl:1
	v_cvt_f32_i32_dpp v9, v9 row_shr:2 row_mask:0xf bank_mask:0xf bound_ctrl:1
	s_delay_alu instid0(VALU_DEP_4) | instskip(NEXT) | instid1(VALU_DEP_4)
	v_cvt_f32_i32_dpp v7, v7 row_shr:1 row_mask:0xf bank_mask:0xf bound_ctrl:1
	v_cvt_f32_i32_dpp v10, v10 row_shr:1 row_mask:0xf bank_mask:0xf bound_ctrl:1
	s_delay_alu instid0(VALU_DEP_4) | instskip(NEXT) | instid1(VALU_DEP_3)
	v_add_f32_e32 v6, v6, v11
	v_add_f32_e32 v24, v2, v7
	v_cvt_i32_f32_e32 v2, v92
	s_delay_alu instid0(VALU_DEP_4) | instskip(NEXT) | instid1(VALU_DEP_4)
	v_add_f32_e32 v10, v3, v10
	v_cvt_i32_f32_e32 v11, v6
	ds_bpermute_b32 v25, v85, v24
	v_cvt_f32_i32_dpp v2, v2 row_shr:8 row_mask:0xf bank_mask:0xf bound_ctrl:1
	v_cvt_f32_i32_dpp v11, v11 row_shr:1 row_mask:0xf bank_mask:0xf bound_ctrl:1
	s_delay_alu instid0(VALU_DEP_2) | instskip(NEXT) | instid1(VALU_DEP_2)
	v_add_f32_e32 v2, v92, v2
	v_add_f32_e32 v8, v6, v11
	v_cvt_i32_f32_e32 v6, v88
	s_delay_alu instid0(VALU_DEP_3) | instskip(NEXT) | instid1(VALU_DEP_2)
	v_cvt_i32_f32_e32 v7, v2
	v_cvt_f32_i32_dpp v6, v6 row_shr:8 row_mask:0xf bank_mask:0xf bound_ctrl:1
	s_delay_alu instid0(VALU_DEP_2) | instskip(NEXT) | instid1(VALU_DEP_2)
	v_cvt_f32_i32_dpp v7, v7 row_shr:4 row_mask:0xf bank_mask:0xf bound_ctrl:1
	v_add_f32_e32 v6, v88, v6
	s_delay_alu instid0(VALU_DEP_2) | instskip(NEXT) | instid1(VALU_DEP_2)
	v_add_f32_e32 v2, v2, v7
	v_cvt_i32_f32_e32 v15, v6
	s_delay_alu instid0(VALU_DEP_2) | instskip(NEXT) | instid1(VALU_DEP_2)
	v_cvt_i32_f32_e32 v7, v2
	v_cvt_f32_i32_dpp v15, v15 row_shr:4 row_mask:0xf bank_mask:0xf bound_ctrl:1
	s_delay_alu instid0(VALU_DEP_2) | instskip(NEXT) | instid1(VALU_DEP_2)
	v_cvt_f32_i32_dpp v7, v7 row_shr:2 row_mask:0xf bank_mask:0xf bound_ctrl:1
	v_add_f32_e32 v6, v6, v15
	s_delay_alu instid0(VALU_DEP_2) | instskip(NEXT) | instid1(VALU_DEP_2)
	v_add_f32_e32 v2, v2, v7
	v_cvt_i32_f32_e32 v15, v6
	s_delay_alu instid0(VALU_DEP_1) | instskip(NEXT) | instid1(VALU_DEP_1)
	v_cvt_f32_i32_dpp v15, v15 row_shr:2 row_mask:0xf bank_mask:0xf bound_ctrl:1
	v_dual_add_f32 v4, v4, v9 :: v_dual_add_f32 v7, v6, v15
	s_delay_alu instid0(VALU_DEP_1) | instskip(SKIP_1) | instid1(VALU_DEP_3)
	v_cvt_i32_f32_e32 v9, v4
	v_cvt_i32_f32_e32 v6, v2
	;; [unrolled: 1-line block ×3, first 2 shown]
	s_delay_alu instid0(VALU_DEP_3) | instskip(NEXT) | instid1(VALU_DEP_3)
	v_cvt_f32_i32_dpp v9, v9 row_shr:1 row_mask:0xf bank_mask:0xf bound_ctrl:1
	v_cvt_f32_i32_dpp v6, v6 row_shr:1 row_mask:0xf bank_mask:0xf bound_ctrl:1
	s_delay_alu instid0(VALU_DEP_3) | instskip(NEXT) | instid1(VALU_DEP_3)
	v_cvt_f32_i32_dpp v15, v15 row_shr:1 row_mask:0xf bank_mask:0xf bound_ctrl:1
	v_add_f32_e32 v16, v4, v9
	v_cvt_i32_f32_e32 v4, v90
	s_delay_alu instid0(VALU_DEP_4)
	v_add_f32_e32 v14, v2, v6
	ds_bpermute_b32 v9, v85, v8
	v_add_f32_e32 v2, v7, v15
	ds_bpermute_b32 v17, v85, v16
	v_cvt_f32_i32_dpp v4, v4 row_shr:8 row_mask:0xf bank_mask:0xf bound_ctrl:1
	ds_bpermute_b32 v15, v85, v14
	ds_bpermute_b32 v3, v85, v2
	v_add_f32_e32 v4, v90, v4
	s_delay_alu instid0(VALU_DEP_1) | instskip(NEXT) | instid1(VALU_DEP_1)
	v_cvt_i32_f32_e32 v11, v4
	v_cvt_f32_i32_dpp v11, v11 row_shr:4 row_mask:0xf bank_mask:0xf bound_ctrl:1
	s_delay_alu instid0(VALU_DEP_1) | instskip(NEXT) | instid1(VALU_DEP_1)
	v_add_f32_e32 v4, v4, v11
	v_cvt_i32_f32_e32 v11, v4
	s_delay_alu instid0(VALU_DEP_1) | instskip(NEXT) | instid1(VALU_DEP_1)
	v_cvt_f32_i32_dpp v11, v11 row_shr:2 row_mask:0xf bank_mask:0xf bound_ctrl:1
	v_add_f32_e32 v4, v4, v11
	s_delay_alu instid0(VALU_DEP_1) | instskip(NEXT) | instid1(VALU_DEP_1)
	v_cvt_i32_f32_e32 v11, v4
	v_cvt_f32_i32_dpp v11, v11 row_shr:1 row_mask:0xf bank_mask:0xf bound_ctrl:1
	s_delay_alu instid0(VALU_DEP_1)
	v_add_f32_e32 v6, v4, v11
	v_add_f32_e32 v4, v5, v26
	ds_bpermute_b32 v11, v85, v10
	ds_bpermute_b32 v7, v85, v6
	;; [unrolled: 1-line block ×3, first 2 shown]
	s_and_saveexec_b32 s25, s0
	s_cbranch_execz .LBB305_7
; %bb.16:                               ;   in Loop: Header=BB305_8 Depth=1
	v_dual_mov_b32 v59, 0 :: v_dual_mov_b32 v58, 0
	v_dual_mov_b32 v57, 0 :: v_dual_mov_b32 v56, 0
	;; [unrolled: 1-line block ×9, first 2 shown]
	v_mov_b32_e32 v34, 0
	v_mov_b32_e32 v26, 0
	s_and_not1_b32 vcc_lo, exec_lo, s19
	s_cbranch_vccnz .LBB305_18
; %bb.17:                               ;   in Loop: Header=BB305_8 Depth=1
	v_mul_hi_u32 v26, v64, v86
	v_or_b32_e32 v29, 1, v64
	v_or_b32_e32 v34, 2, v64
	;; [unrolled: 1-line block ×3, first 2 shown]
	v_mov_b32_e32 v60, v66
	v_mov_b32_e32 v62, v66
	v_mul_hi_u32 v42, v29, v86
	v_mul_hi_u32 v45, v34, v86
	v_mul_lo_u32 v26, v26, s8
	v_mul_hi_u32 v46, v40, v86
	v_mov_b32_e32 v78, v66
	v_mov_b32_e32 v63, v66
	v_mul_lo_u32 v42, v42, s8
	v_mul_lo_u32 v45, v45, s8
	v_sub_nc_u32_e32 v26, v64, v26
	v_mul_lo_u32 v47, v46, s8
	s_delay_alu instid0(VALU_DEP_2) | instskip(SKIP_4) | instid1(VALU_DEP_4)
	v_subrev_nc_u32_e32 v49, s8, v26
	v_sub_nc_u32_e32 v29, v29, v42
	v_cmp_le_u32_e32 vcc_lo, s8, v26
	v_sub_nc_u32_e32 v34, v34, v45
	v_sub_nc_u32_e32 v40, v40, v47
	v_subrev_nc_u32_e32 v42, s8, v29
	v_cndmask_b32_e32 v26, v26, v49, vcc_lo
	v_cmp_le_u32_e32 vcc_lo, s8, v29
	v_mov_b32_e32 v46, v66
	v_subrev_nc_u32_e32 v45, s8, v34
	v_subrev_nc_u32_e32 v47, s8, v40
	;; [unrolled: 1-line block ×3, first 2 shown]
	v_cndmask_b32_e32 v29, v29, v42, vcc_lo
	v_cmp_le_u32_e32 vcc_lo, s8, v34
	s_delay_alu instid0(VALU_DEP_2)
	v_subrev_nc_u32_e32 v42, s8, v29
	v_cndmask_b32_e32 v34, v34, v45, vcc_lo
	v_cmp_le_u32_e32 vcc_lo, s8, v40
	v_cndmask_b32_e32 v40, v40, v47, vcc_lo
	v_cmp_le_u32_e32 vcc_lo, s8, v26
	;; [unrolled: 2-line block ×3, first 2 shown]
	v_mov_b32_e32 v48, v66
	v_subrev_nc_u32_e32 v26, s8, v34
	v_subrev_nc_u32_e32 v49, s8, v40
	v_lshlrev_b64 v[51:52], 1, v[65:66]
	v_cndmask_b32_e32 v45, v29, v42, vcc_lo
	v_cmp_le_u32_e32 vcc_lo, s8, v34
	v_add_nc_u32_e32 v59, s17, v65
	s_delay_alu instid0(VALU_DEP_3) | instskip(SKIP_4) | instid1(VALU_DEP_4)
	v_lshlrev_b64 v[53:54], 1, v[45:46]
	v_cndmask_b32_e32 v47, v34, v26, vcc_lo
	v_cmp_le_u32_e32 vcc_lo, s8, v40
	v_dual_mov_b32 v50, v66 :: v_dual_add_nc_u32 v61, s17, v45
	v_lshlrev_b64 v[59:60], 1, v[59:60]
	v_lshlrev_b64 v[55:56], 1, v[47:48]
	v_cndmask_b32_e32 v49, v40, v49, vcc_lo
	v_add_co_u32 v51, vcc_lo, s10, v51
	v_add_co_ci_u32_e32 v52, vcc_lo, s11, v52, vcc_lo
	v_add_co_u32 v53, vcc_lo, s10, v53
	s_delay_alu instid0(VALU_DEP_4) | instskip(SKIP_3) | instid1(VALU_DEP_4)
	v_lshlrev_b64 v[57:58], 1, v[49:50]
	v_add_co_ci_u32_e32 v54, vcc_lo, s11, v54, vcc_lo
	v_add_co_u32 v55, vcc_lo, s10, v55
	v_add_co_ci_u32_e32 v56, vcc_lo, s11, v56, vcc_lo
	v_add_co_u32 v67, vcc_lo, s10, v57
	v_add_co_ci_u32_e32 v68, vcc_lo, s11, v58, vcc_lo
	v_lshlrev_b64 v[57:58], 1, v[61:62]
	v_add_nc_u32_e32 v61, s17, v47
	v_add_co_u32 v69, vcc_lo, s10, v59
	v_add_co_ci_u32_e32 v70, vcc_lo, s11, v60, vcc_lo
	s_delay_alu instid0(VALU_DEP_3) | instskip(SKIP_3) | instid1(VALU_DEP_3)
	v_lshlrev_b64 v[59:60], 1, v[61:62]
	v_add_nc_u32_e32 v61, s17, v49
	v_add_co_u32 v71, vcc_lo, s10, v57
	v_add_co_ci_u32_e32 v72, vcc_lo, s11, v58, vcc_lo
	v_lshlrev_b64 v[57:58], 1, v[61:62]
	v_add_co_u32 v61, vcc_lo, s10, v59
	v_add_co_ci_u32_e32 v62, vcc_lo, s11, v60, vcc_lo
	v_dual_mov_b32 v60, v66 :: v_dual_add_nc_u32 v59, s20, v65
	v_add_nc_u32_e32 v77, s20, v45
	v_add_co_u32 v73, vcc_lo, s10, v57
	v_add_co_ci_u32_e32 v74, vcc_lo, s11, v58, vcc_lo
	s_delay_alu instid0(VALU_DEP_4)
	v_lshlrev_b64 v[75:76], 1, v[59:60]
	s_clause 0x7
	global_load_u16 v59, v[51:52], off
	global_load_u16 v58, v[53:54], off
	;; [unrolled: 1-line block ×8, first 2 shown]
	v_mov_b32_e32 v70, v66
	v_add_nc_u32_e32 v62, s20, v47
	v_lshlrev_b64 v[60:61], 1, v[77:78]
	v_dual_mov_b32 v72, v66 :: v_dual_add_nc_u32 v69, s20, v49
	v_add_co_u32 v67, vcc_lo, s10, v75
	s_delay_alu instid0(VALU_DEP_4)
	v_lshlrev_b64 v[62:63], 1, v[62:63]
	v_dual_mov_b32 v74, v66 :: v_dual_add_nc_u32 v71, s21, v65
	v_add_co_ci_u32_e32 v68, vcc_lo, s11, v76, vcc_lo
	v_add_co_u32 v60, vcc_lo, s10, v60
	v_lshlrev_b64 v[69:70], 1, v[69:70]
	v_dual_mov_b32 v76, v66 :: v_dual_add_nc_u32 v73, s21, v45
	v_add_co_ci_u32_e32 v61, vcc_lo, s11, v61, vcc_lo
	v_add_co_u32 v62, vcc_lo, s10, v62
	v_lshlrev_b64 v[71:72], 1, v[71:72]
	v_add_nc_u32_e32 v75, s21, v47
	v_add_co_ci_u32_e32 v63, vcc_lo, s11, v63, vcc_lo
	v_add_co_u32 v69, vcc_lo, s10, v69
	v_lshlrev_b64 v[73:74], 1, v[73:74]
	v_add_nc_u32_e32 v65, s24, v65
	v_add_nc_u32_e32 v77, s21, v49
	v_add_co_ci_u32_e32 v70, vcc_lo, s11, v70, vcc_lo
	v_add_co_u32 v71, vcc_lo, s10, v71
	v_lshlrev_b64 v[75:76], 1, v[75:76]
	v_add_co_ci_u32_e32 v72, vcc_lo, s11, v72, vcc_lo
	v_lshlrev_b64 v[79:80], 1, v[65:66]
	v_add_nc_u32_e32 v65, s24, v45
	v_add_co_u32 v73, vcc_lo, s10, v73
	v_lshlrev_b64 v[77:78], 1, v[77:78]
	v_add_co_ci_u32_e32 v74, vcc_lo, s11, v74, vcc_lo
	v_add_co_u32 v75, vcc_lo, s10, v75
	v_lshlrev_b64 v[45:46], 1, v[65:66]
	v_add_nc_u32_e32 v65, s24, v47
	v_add_co_ci_u32_e32 v76, vcc_lo, s11, v76, vcc_lo
	v_add_co_u32 v77, vcc_lo, s10, v77
	v_add_co_ci_u32_e32 v78, vcc_lo, s11, v78, vcc_lo
	v_add_co_u32 v79, vcc_lo, s10, v79
	v_lshlrev_b64 v[47:48], 1, v[65:66]
	v_add_nc_u32_e32 v65, s24, v49
	v_add_co_ci_u32_e32 v80, vcc_lo, s11, v80, vcc_lo
	v_add_co_u32 v81, vcc_lo, s10, v45
	v_add_co_ci_u32_e32 v82, vcc_lo, s11, v46, vcc_lo
	s_delay_alu instid0(VALU_DEP_4) | instskip(SKIP_2) | instid1(VALU_DEP_3)
	v_lshlrev_b64 v[45:46], 1, v[65:66]
	v_add_co_u32 v87, vcc_lo, s10, v47
	v_add_co_ci_u32_e32 v88, vcc_lo, s11, v48, vcc_lo
	v_add_co_u32 v89, vcc_lo, s10, v45
	s_delay_alu instid0(VALU_DEP_4)
	v_add_co_ci_u32_e32 v90, vcc_lo, s11, v46, vcc_lo
	s_clause 0xb
	global_load_u16 v53, v[67:68], off
	global_load_u16 v51, v[60:61], off
	;; [unrolled: 1-line block ×12, first 2 shown]
.LBB305_18:                             ;   in Loop: Header=BB305_8 Depth=1
	s_waitcnt vmcnt(19) lgkmcnt(0)
	v_dual_add_f32 v43, v43, v44 :: v_dual_lshlrev_b32 v44, 16, v59
	s_delay_alu instid0(VALU_DEP_1) | instskip(NEXT) | instid1(VALU_DEP_1)
	v_add_f32_e32 v44, v43, v44
	v_and_b32_e32 v43, 0x7f800000, v44
	s_delay_alu instid0(VALU_DEP_1) | instskip(SKIP_1) | instid1(SALU_CYCLE_1)
	v_cmp_ne_u32_e32 vcc_lo, 0x7f800000, v43
                                        ; implicit-def: $vgpr43
	s_and_saveexec_b32 s26, vcc_lo
	s_xor_b32 s26, exec_lo, s26
; %bb.19:                               ;   in Loop: Header=BB305_8 Depth=1
	v_bfe_u32 v43, v44, 16, 1
	s_delay_alu instid0(VALU_DEP_1)
	v_add3_u32 v43, v44, v43, 0x7fff
                                        ; implicit-def: $vgpr44
; %bb.20:                               ;   in Loop: Header=BB305_8 Depth=1
	s_and_not1_saveexec_b32 s26, s26
; %bb.21:                               ;   in Loop: Header=BB305_8 Depth=1
	v_and_b32_e32 v43, 0xffff, v44
	v_or_b32_e32 v59, 0x10000, v44
	s_delay_alu instid0(VALU_DEP_2) | instskip(NEXT) | instid1(VALU_DEP_2)
	v_cmp_eq_u32_e32 vcc_lo, 0, v43
	v_cndmask_b32_e32 v43, v59, v44, vcc_lo
; %bb.22:                               ;   in Loop: Header=BB305_8 Depth=1
	s_or_b32 exec_lo, exec_lo, s26
	s_waitcnt vmcnt(18)
	v_dual_add_f32 v0, v0, v1 :: v_dual_lshlrev_b32 v1, 16, v58
	v_mov_b32_e32 v65, v66
	s_mov_b32 s26, exec_lo
	s_delay_alu instid0(VALU_DEP_2) | instskip(NEXT) | instid1(VALU_DEP_2)
	v_add_f32_e32 v44, v0, v1
	v_lshlrev_b64 v[0:1], 1, v[64:65]
	s_delay_alu instid0(VALU_DEP_2) | instskip(NEXT) | instid1(VALU_DEP_2)
	v_and_b32_e32 v58, 0x7f800000, v44
	v_add_co_u32 v0, vcc_lo, s12, v0
	s_delay_alu instid0(VALU_DEP_3)
	v_add_co_ci_u32_e32 v1, vcc_lo, s13, v1, vcc_lo
	global_store_d16_hi_b16 v[0:1], v43, off
                                        ; implicit-def: $vgpr43
	v_cmpx_ne_u32_e32 0x7f800000, v58
	s_xor_b32 s26, exec_lo, s26
; %bb.23:                               ;   in Loop: Header=BB305_8 Depth=1
	v_bfe_u32 v43, v44, 16, 1
	s_delay_alu instid0(VALU_DEP_1)
	v_add3_u32 v43, v44, v43, 0x7fff
                                        ; implicit-def: $vgpr44
; %bb.24:                               ;   in Loop: Header=BB305_8 Depth=1
	s_and_not1_saveexec_b32 s26, s26
; %bb.25:                               ;   in Loop: Header=BB305_8 Depth=1
	v_and_b32_e32 v43, 0xffff, v44
	v_or_b32_e32 v58, 0x10000, v44
	s_delay_alu instid0(VALU_DEP_2) | instskip(NEXT) | instid1(VALU_DEP_2)
	v_cmp_eq_u32_e32 vcc_lo, 0, v43
	v_cndmask_b32_e32 v43, v58, v44, vcc_lo
; %bb.26:                               ;   in Loop: Header=BB305_8 Depth=1
	s_or_b32 exec_lo, exec_lo, s26
	v_add_f32_e32 v39, v39, v41
	s_waitcnt vmcnt(17)
	v_lshlrev_b32_e32 v41, 16, v57
	global_store_d16_hi_b16 v[0:1], v43, off offset:2
	v_add_f32_e32 v41, v39, v41
	s_delay_alu instid0(VALU_DEP_1) | instskip(NEXT) | instid1(VALU_DEP_1)
	v_and_b32_e32 v39, 0x7f800000, v41
	v_cmp_ne_u32_e32 vcc_lo, 0x7f800000, v39
                                        ; implicit-def: $vgpr39
	s_and_saveexec_b32 s26, vcc_lo
	s_delay_alu instid0(SALU_CYCLE_1)
	s_xor_b32 s26, exec_lo, s26
; %bb.27:                               ;   in Loop: Header=BB305_8 Depth=1
	v_bfe_u32 v39, v41, 16, 1
	s_delay_alu instid0(VALU_DEP_1)
	v_add3_u32 v39, v41, v39, 0x7fff
                                        ; implicit-def: $vgpr41
; %bb.28:                               ;   in Loop: Header=BB305_8 Depth=1
	s_and_not1_saveexec_b32 s26, s26
; %bb.29:                               ;   in Loop: Header=BB305_8 Depth=1
	v_and_b32_e32 v39, 0xffff, v41
	v_or_b32_e32 v43, 0x10000, v41
	s_delay_alu instid0(VALU_DEP_2) | instskip(NEXT) | instid1(VALU_DEP_2)
	v_cmp_eq_u32_e32 vcc_lo, 0, v39
	v_cndmask_b32_e32 v39, v43, v41, vcc_lo
; %bb.30:                               ;   in Loop: Header=BB305_8 Depth=1
	s_or_b32 exec_lo, exec_lo, s26
	v_add_f32_e32 v35, v35, v36
	s_waitcnt vmcnt(16)
	v_lshlrev_b32_e32 v36, 16, v56
	global_store_d16_hi_b16 v[0:1], v39, off offset:4
	v_add_f32_e32 v36, v35, v36
	s_delay_alu instid0(VALU_DEP_1) | instskip(NEXT) | instid1(VALU_DEP_1)
	v_and_b32_e32 v35, 0x7f800000, v36
	v_cmp_ne_u32_e32 vcc_lo, 0x7f800000, v35
                                        ; implicit-def: $vgpr35
	s_and_saveexec_b32 s26, vcc_lo
	s_delay_alu instid0(SALU_CYCLE_1)
	s_xor_b32 s26, exec_lo, s26
; %bb.31:                               ;   in Loop: Header=BB305_8 Depth=1
	v_bfe_u32 v35, v36, 16, 1
	s_delay_alu instid0(VALU_DEP_1)
	v_add3_u32 v35, v36, v35, 0x7fff
                                        ; implicit-def: $vgpr36
; %bb.32:                               ;   in Loop: Header=BB305_8 Depth=1
	s_and_not1_saveexec_b32 s26, s26
; %bb.33:                               ;   in Loop: Header=BB305_8 Depth=1
	v_and_b32_e32 v35, 0xffff, v36
	v_or_b32_e32 v39, 0x10000, v36
	s_delay_alu instid0(VALU_DEP_2) | instskip(NEXT) | instid1(VALU_DEP_2)
	v_cmp_eq_u32_e32 vcc_lo, 0, v35
	v_cndmask_b32_e32 v35, v39, v36, vcc_lo
; %bb.34:                               ;   in Loop: Header=BB305_8 Depth=1
	s_or_b32 exec_lo, exec_lo, s26
	v_add_f32_e32 v30, v30, v31
	s_waitcnt vmcnt(15)
	v_lshlrev_b32_e32 v31, 16, v55
	s_mov_b32 s26, exec_lo
	global_store_d16_hi_b16 v[0:1], v35, off offset:6
                                        ; implicit-def: $vgpr0
	v_add_f32_e32 v30, v30, v31
	s_delay_alu instid0(VALU_DEP_1) | instskip(NEXT) | instid1(VALU_DEP_1)
	v_and_b32_e32 v31, 0x7f800000, v30
	v_cmpx_ne_u32_e32 0x7f800000, v31
	s_xor_b32 s26, exec_lo, s26
; %bb.35:                               ;   in Loop: Header=BB305_8 Depth=1
	v_bfe_u32 v0, v30, 16, 1
	s_delay_alu instid0(VALU_DEP_1)
	v_add3_u32 v0, v30, v0, 0x7fff
                                        ; implicit-def: $vgpr30
; %bb.36:                               ;   in Loop: Header=BB305_8 Depth=1
	s_and_not1_saveexec_b32 s26, s26
; %bb.37:                               ;   in Loop: Header=BB305_8 Depth=1
	v_and_b32_e32 v0, 0xffff, v30
	v_or_b32_e32 v1, 0x10000, v30
	s_delay_alu instid0(VALU_DEP_2) | instskip(NEXT) | instid1(VALU_DEP_2)
	v_cmp_eq_u32_e32 vcc_lo, 0, v0
	v_cndmask_b32_e32 v0, v1, v30, vcc_lo
; %bb.38:                               ;   in Loop: Header=BB305_8 Depth=1
	s_or_b32 exec_lo, exec_lo, s26
	v_add_f32_e32 v1, v37, v38
	s_waitcnt vmcnt(14)
	v_lshlrev_b32_e32 v30, 16, v54
	v_add_nc_u32_e32 v65, s7, v64
	s_mov_b32 s26, exec_lo
	s_delay_alu instid0(VALU_DEP_2) | instskip(NEXT) | instid1(VALU_DEP_2)
	v_add_f32_e32 v1, v1, v30
	v_lshlrev_b64 v[30:31], 1, v[65:66]
	s_delay_alu instid0(VALU_DEP_2) | instskip(NEXT) | instid1(VALU_DEP_2)
	v_and_b32_e32 v35, 0x7f800000, v1
	v_add_co_u32 v30, vcc_lo, s12, v30
	s_delay_alu instid0(VALU_DEP_3)
	v_add_co_ci_u32_e32 v31, vcc_lo, s13, v31, vcc_lo
	global_store_d16_hi_b16 v[30:31], v0, off
                                        ; implicit-def: $vgpr0
	v_cmpx_ne_u32_e32 0x7f800000, v35
	s_xor_b32 s26, exec_lo, s26
; %bb.39:                               ;   in Loop: Header=BB305_8 Depth=1
	v_bfe_u32 v0, v1, 16, 1
	s_delay_alu instid0(VALU_DEP_1)
	v_add3_u32 v0, v1, v0, 0x7fff
                                        ; implicit-def: $vgpr1
; %bb.40:                               ;   in Loop: Header=BB305_8 Depth=1
	s_and_not1_saveexec_b32 s26, s26
; %bb.41:                               ;   in Loop: Header=BB305_8 Depth=1
	v_and_b32_e32 v0, 0xffff, v1
	v_or_b32_e32 v30, 0x10000, v1
	s_delay_alu instid0(VALU_DEP_2) | instskip(NEXT) | instid1(VALU_DEP_2)
	v_cmp_eq_u32_e32 vcc_lo, 0, v0
	v_cndmask_b32_e32 v0, v30, v1, vcc_lo
; %bb.42:                               ;   in Loop: Header=BB305_8 Depth=1
	s_or_b32 exec_lo, exec_lo, s26
	v_dual_mov_b32 v31, v66 :: v_dual_add_nc_u32 v30, 1, v65
	s_waitcnt vmcnt(13)
	v_dual_add_f32 v1, v32, v33 :: v_dual_lshlrev_b32 v32, 16, v52
	s_mov_b32 s26, exec_lo
	s_delay_alu instid0(VALU_DEP_2) | instskip(NEXT) | instid1(VALU_DEP_2)
	v_lshlrev_b64 v[30:31], 1, v[30:31]
	v_add_f32_e32 v1, v1, v32
	s_delay_alu instid0(VALU_DEP_2) | instskip(NEXT) | instid1(VALU_DEP_2)
	v_add_co_u32 v30, vcc_lo, s12, v30
	v_and_b32_e32 v32, 0x7f800000, v1
	s_delay_alu instid0(VALU_DEP_4)
	v_add_co_ci_u32_e32 v31, vcc_lo, s13, v31, vcc_lo
	global_store_d16_hi_b16 v[30:31], v0, off
                                        ; implicit-def: $vgpr0
	v_cmpx_ne_u32_e32 0x7f800000, v32
	s_xor_b32 s26, exec_lo, s26
; %bb.43:                               ;   in Loop: Header=BB305_8 Depth=1
	v_bfe_u32 v0, v1, 16, 1
	s_delay_alu instid0(VALU_DEP_1)
	v_add3_u32 v0, v1, v0, 0x7fff
                                        ; implicit-def: $vgpr1
; %bb.44:                               ;   in Loop: Header=BB305_8 Depth=1
	s_and_not1_saveexec_b32 s26, s26
; %bb.45:                               ;   in Loop: Header=BB305_8 Depth=1
	v_and_b32_e32 v0, 0xffff, v1
	v_or_b32_e32 v30, 0x10000, v1
	s_delay_alu instid0(VALU_DEP_2) | instskip(NEXT) | instid1(VALU_DEP_2)
	v_cmp_eq_u32_e32 vcc_lo, 0, v0
	v_cndmask_b32_e32 v0, v30, v1, vcc_lo
; %bb.46:                               ;   in Loop: Header=BB305_8 Depth=1
	s_or_b32 exec_lo, exec_lo, s26
	s_waitcnt vmcnt(12)
	v_dual_add_f32 v1, v27, v28 :: v_dual_lshlrev_b32 v30, 16, v50
	v_dual_mov_b32 v28, v66 :: v_dual_add_nc_u32 v27, 2, v65
	s_mov_b32 s26, exec_lo
	s_delay_alu instid0(VALU_DEP_2) | instskip(NEXT) | instid1(VALU_DEP_2)
	v_add_f32_e32 v1, v1, v30
	v_lshlrev_b64 v[27:28], 1, v[27:28]
	s_delay_alu instid0(VALU_DEP_2) | instskip(NEXT) | instid1(VALU_DEP_2)
	v_and_b32_e32 v30, 0x7f800000, v1
	v_add_co_u32 v27, vcc_lo, s12, v27
	s_delay_alu instid0(VALU_DEP_3)
	v_add_co_ci_u32_e32 v28, vcc_lo, s13, v28, vcc_lo
	global_store_d16_hi_b16 v[27:28], v0, off
                                        ; implicit-def: $vgpr0
	v_cmpx_ne_u32_e32 0x7f800000, v30
	s_xor_b32 s26, exec_lo, s26
; %bb.47:                               ;   in Loop: Header=BB305_8 Depth=1
	v_bfe_u32 v0, v1, 16, 1
	s_delay_alu instid0(VALU_DEP_1)
	v_add3_u32 v0, v1, v0, 0x7fff
                                        ; implicit-def: $vgpr1
; %bb.48:                               ;   in Loop: Header=BB305_8 Depth=1
	s_and_not1_saveexec_b32 s26, s26
; %bb.49:                               ;   in Loop: Header=BB305_8 Depth=1
	v_and_b32_e32 v0, 0xffff, v1
	v_or_b32_e32 v27, 0x10000, v1
	s_delay_alu instid0(VALU_DEP_2) | instskip(NEXT) | instid1(VALU_DEP_2)
	v_cmp_eq_u32_e32 vcc_lo, 0, v0
	v_cndmask_b32_e32 v0, v27, v1, vcc_lo
; %bb.50:                               ;   in Loop: Header=BB305_8 Depth=1
	s_or_b32 exec_lo, exec_lo, s26
	v_dual_add_f32 v1, v22, v23 :: v_dual_add_nc_u32 v22, 3, v65
	v_mov_b32_e32 v23, v66
	s_waitcnt vmcnt(11)
	v_lshlrev_b32_e32 v27, 16, v53
	s_mov_b32 s26, exec_lo
	s_delay_alu instid0(VALU_DEP_2) | instskip(NEXT) | instid1(VALU_DEP_2)
	v_lshlrev_b64 v[22:23], 1, v[22:23]
	v_add_f32_e32 v1, v1, v27
	s_delay_alu instid0(VALU_DEP_1) | instskip(NEXT) | instid1(VALU_DEP_3)
	v_and_b32_e32 v27, 0x7f800000, v1
	v_add_co_u32 v22, vcc_lo, s12, v22
	s_delay_alu instid0(VALU_DEP_4)
	v_add_co_ci_u32_e32 v23, vcc_lo, s13, v23, vcc_lo
	global_store_d16_hi_b16 v[22:23], v0, off
                                        ; implicit-def: $vgpr22
	v_cmpx_ne_u32_e32 0x7f800000, v27
	s_xor_b32 s26, exec_lo, s26
; %bb.51:                               ;   in Loop: Header=BB305_8 Depth=1
	v_bfe_u32 v0, v1, 16, 1
	s_delay_alu instid0(VALU_DEP_1)
	v_add3_u32 v22, v1, v0, 0x7fff
                                        ; implicit-def: $vgpr1
; %bb.52:                               ;   in Loop: Header=BB305_8 Depth=1
	s_and_not1_saveexec_b32 s26, s26
; %bb.53:                               ;   in Loop: Header=BB305_8 Depth=1
	v_and_b32_e32 v0, 0xffff, v1
	v_or_b32_e32 v22, 0x10000, v1
	s_delay_alu instid0(VALU_DEP_2) | instskip(NEXT) | instid1(VALU_DEP_2)
	v_cmp_eq_u32_e32 vcc_lo, 0, v0
	v_cndmask_b32_e32 v22, v22, v1, vcc_lo
; %bb.54:                               ;   in Loop: Header=BB305_8 Depth=1
	s_or_b32 exec_lo, exec_lo, s26
	v_dual_add_f32 v0, v18, v19 :: v_dual_add_nc_u32 v65, s7, v65
	s_waitcnt vmcnt(10)
	v_lshlrev_b32_e32 v1, 16, v51
	s_delay_alu instid0(VALU_DEP_1) | instskip(NEXT) | instid1(VALU_DEP_3)
	v_add_f32_e32 v18, v0, v1
	v_lshlrev_b64 v[0:1], 1, v[65:66]
	s_delay_alu instid0(VALU_DEP_2) | instskip(NEXT) | instid1(VALU_DEP_2)
	v_and_b32_e32 v19, 0x7f800000, v18
	v_add_co_u32 v0, vcc_lo, s12, v0
	s_delay_alu instid0(VALU_DEP_3) | instskip(NEXT) | instid1(VALU_DEP_3)
	v_add_co_ci_u32_e32 v1, vcc_lo, s13, v1, vcc_lo
	v_cmp_ne_u32_e32 vcc_lo, 0x7f800000, v19
                                        ; implicit-def: $vgpr19
	global_store_d16_hi_b16 v[0:1], v22, off
	s_and_saveexec_b32 s26, vcc_lo
	s_delay_alu instid0(SALU_CYCLE_1)
	s_xor_b32 s26, exec_lo, s26
; %bb.55:                               ;   in Loop: Header=BB305_8 Depth=1
	v_bfe_u32 v19, v18, 16, 1
	s_delay_alu instid0(VALU_DEP_1)
	v_add3_u32 v19, v18, v19, 0x7fff
                                        ; implicit-def: $vgpr18
; %bb.56:                               ;   in Loop: Header=BB305_8 Depth=1
	s_and_not1_saveexec_b32 s26, s26
; %bb.57:                               ;   in Loop: Header=BB305_8 Depth=1
	v_and_b32_e32 v19, 0xffff, v18
	v_or_b32_e32 v22, 0x10000, v18
	s_delay_alu instid0(VALU_DEP_2) | instskip(NEXT) | instid1(VALU_DEP_2)
	v_cmp_eq_u32_e32 vcc_lo, 0, v19
	v_cndmask_b32_e32 v19, v22, v18, vcc_lo
; %bb.58:                               ;   in Loop: Header=BB305_8 Depth=1
	s_or_b32 exec_lo, exec_lo, s26
	v_add_f32_e32 v18, v24, v25
	s_waitcnt vmcnt(9)
	v_lshlrev_b32_e32 v22, 16, v49
	s_mov_b32 s26, exec_lo
	global_store_d16_hi_b16 v[0:1], v19, off offset:2
                                        ; implicit-def: $vgpr0
	v_add_f32_e32 v18, v18, v22
	s_delay_alu instid0(VALU_DEP_1) | instskip(NEXT) | instid1(VALU_DEP_1)
	v_and_b32_e32 v22, 0x7f800000, v18
	v_cmpx_ne_u32_e32 0x7f800000, v22
	s_xor_b32 s26, exec_lo, s26
; %bb.59:                               ;   in Loop: Header=BB305_8 Depth=1
	v_bfe_u32 v0, v18, 16, 1
	s_delay_alu instid0(VALU_DEP_1)
	v_add3_u32 v0, v18, v0, 0x7fff
                                        ; implicit-def: $vgpr18
; %bb.60:                               ;   in Loop: Header=BB305_8 Depth=1
	s_and_not1_saveexec_b32 s26, s26
; %bb.61:                               ;   in Loop: Header=BB305_8 Depth=1
	v_and_b32_e32 v0, 0xffff, v18
	v_or_b32_e32 v1, 0x10000, v18
	s_delay_alu instid0(VALU_DEP_2) | instskip(NEXT) | instid1(VALU_DEP_2)
	v_cmp_eq_u32_e32 vcc_lo, 0, v0
	v_cndmask_b32_e32 v0, v1, v18, vcc_lo
; %bb.62:                               ;   in Loop: Header=BB305_8 Depth=1
	s_or_b32 exec_lo, exec_lo, s26
	v_dual_mov_b32 v19, v66 :: v_dual_add_nc_u32 v18, 2, v65
	s_waitcnt vmcnt(8)
	v_dual_add_f32 v1, v20, v21 :: v_dual_lshlrev_b32 v20, 16, v48
	s_mov_b32 s26, exec_lo
	s_delay_alu instid0(VALU_DEP_2) | instskip(NEXT) | instid1(VALU_DEP_2)
	v_lshlrev_b64 v[18:19], 1, v[18:19]
	v_add_f32_e32 v1, v1, v20
	s_delay_alu instid0(VALU_DEP_2) | instskip(NEXT) | instid1(VALU_DEP_2)
	v_add_co_u32 v18, vcc_lo, s12, v18
	v_and_b32_e32 v20, 0x7f800000, v1
	s_delay_alu instid0(VALU_DEP_4)
	v_add_co_ci_u32_e32 v19, vcc_lo, s13, v19, vcc_lo
	global_store_d16_hi_b16 v[18:19], v0, off
                                        ; implicit-def: $vgpr0
	v_cmpx_ne_u32_e32 0x7f800000, v20
	s_xor_b32 s26, exec_lo, s26
; %bb.63:                               ;   in Loop: Header=BB305_8 Depth=1
	v_bfe_u32 v0, v1, 16, 1
	s_delay_alu instid0(VALU_DEP_1)
	v_add3_u32 v0, v1, v0, 0x7fff
                                        ; implicit-def: $vgpr1
; %bb.64:                               ;   in Loop: Header=BB305_8 Depth=1
	s_and_not1_saveexec_b32 s26, s26
; %bb.65:                               ;   in Loop: Header=BB305_8 Depth=1
	v_and_b32_e32 v0, 0xffff, v1
	v_or_b32_e32 v18, 0x10000, v1
	s_delay_alu instid0(VALU_DEP_2) | instskip(NEXT) | instid1(VALU_DEP_2)
	v_cmp_eq_u32_e32 vcc_lo, 0, v0
	v_cndmask_b32_e32 v0, v18, v1, vcc_lo
; %bb.66:                               ;   in Loop: Header=BB305_8 Depth=1
	s_or_b32 exec_lo, exec_lo, s26
	s_waitcnt vmcnt(7)
	v_dual_add_f32 v1, v16, v17 :: v_dual_lshlrev_b32 v18, 16, v47
	v_dual_mov_b32 v17, v66 :: v_dual_add_nc_u32 v16, 3, v65
	s_mov_b32 s26, exec_lo
	s_delay_alu instid0(VALU_DEP_2) | instskip(NEXT) | instid1(VALU_DEP_2)
	v_add_f32_e32 v1, v1, v18
	v_lshlrev_b64 v[16:17], 1, v[16:17]
	s_delay_alu instid0(VALU_DEP_2) | instskip(NEXT) | instid1(VALU_DEP_2)
	v_and_b32_e32 v18, 0x7f800000, v1
	v_add_co_u32 v16, vcc_lo, s12, v16
	s_delay_alu instid0(VALU_DEP_3)
	v_add_co_ci_u32_e32 v17, vcc_lo, s13, v17, vcc_lo
	global_store_d16_hi_b16 v[16:17], v0, off
                                        ; implicit-def: $vgpr0
	v_cmpx_ne_u32_e32 0x7f800000, v18
	s_xor_b32 s26, exec_lo, s26
; %bb.67:                               ;   in Loop: Header=BB305_8 Depth=1
	v_bfe_u32 v0, v1, 16, 1
	s_delay_alu instid0(VALU_DEP_1)
	v_add3_u32 v0, v1, v0, 0x7fff
                                        ; implicit-def: $vgpr1
; %bb.68:                               ;   in Loop: Header=BB305_8 Depth=1
	s_and_not1_saveexec_b32 s26, s26
; %bb.69:                               ;   in Loop: Header=BB305_8 Depth=1
	v_and_b32_e32 v0, 0xffff, v1
	v_or_b32_e32 v16, 0x10000, v1
	s_delay_alu instid0(VALU_DEP_2) | instskip(NEXT) | instid1(VALU_DEP_2)
	v_cmp_eq_u32_e32 vcc_lo, 0, v0
	v_cndmask_b32_e32 v0, v16, v1, vcc_lo
; %bb.70:                               ;   in Loop: Header=BB305_8 Depth=1
	s_or_b32 exec_lo, exec_lo, s26
	s_waitcnt vmcnt(6)
	v_dual_add_f32 v1, v12, v13 :: v_dual_lshlrev_b32 v12, 16, v46
	v_add_nc_u32_e32 v65, s7, v65
	s_mov_b32 s26, exec_lo
	s_delay_alu instid0(VALU_DEP_2) | instskip(NEXT) | instid1(VALU_DEP_2)
	v_add_f32_e32 v1, v1, v12
	v_lshlrev_b64 v[12:13], 1, v[65:66]
	s_delay_alu instid0(VALU_DEP_2) | instskip(NEXT) | instid1(VALU_DEP_2)
	v_and_b32_e32 v16, 0x7f800000, v1
	v_add_co_u32 v12, vcc_lo, s12, v12
	s_delay_alu instid0(VALU_DEP_3)
	v_add_co_ci_u32_e32 v13, vcc_lo, s13, v13, vcc_lo
	global_store_d16_hi_b16 v[12:13], v0, off
                                        ; implicit-def: $vgpr0
	v_cmpx_ne_u32_e32 0x7f800000, v16
	s_xor_b32 s26, exec_lo, s26
; %bb.71:                               ;   in Loop: Header=BB305_8 Depth=1
	v_bfe_u32 v0, v1, 16, 1
	s_delay_alu instid0(VALU_DEP_1)
	v_add3_u32 v0, v1, v0, 0x7fff
                                        ; implicit-def: $vgpr1
; %bb.72:                               ;   in Loop: Header=BB305_8 Depth=1
	s_and_not1_saveexec_b32 s26, s26
; %bb.73:                               ;   in Loop: Header=BB305_8 Depth=1
	v_and_b32_e32 v0, 0xffff, v1
	v_or_b32_e32 v12, 0x10000, v1
	s_delay_alu instid0(VALU_DEP_2) | instskip(NEXT) | instid1(VALU_DEP_2)
	v_cmp_eq_u32_e32 vcc_lo, 0, v0
	v_cndmask_b32_e32 v0, v12, v1, vcc_lo
; %bb.74:                               ;   in Loop: Header=BB305_8 Depth=1
	s_or_b32 exec_lo, exec_lo, s26
	v_add_f32_e32 v1, v8, v9
	v_dual_mov_b32 v9, v66 :: v_dual_add_nc_u32 v8, 1, v65
	s_waitcnt vmcnt(5)
	v_lshlrev_b32_e32 v12, 16, v45
	s_mov_b32 s26, exec_lo
	s_delay_alu instid0(VALU_DEP_2) | instskip(NEXT) | instid1(VALU_DEP_2)
	v_lshlrev_b64 v[8:9], 1, v[8:9]
	v_add_f32_e32 v1, v1, v12
	s_delay_alu instid0(VALU_DEP_1) | instskip(NEXT) | instid1(VALU_DEP_3)
	v_and_b32_e32 v12, 0x7f800000, v1
	v_add_co_u32 v8, vcc_lo, s12, v8
	s_delay_alu instid0(VALU_DEP_4)
	v_add_co_ci_u32_e32 v9, vcc_lo, s13, v9, vcc_lo
	global_store_d16_hi_b16 v[8:9], v0, off
                                        ; implicit-def: $vgpr0
	v_cmpx_ne_u32_e32 0x7f800000, v12
	s_xor_b32 s26, exec_lo, s26
; %bb.75:                               ;   in Loop: Header=BB305_8 Depth=1
	v_bfe_u32 v0, v1, 16, 1
	s_delay_alu instid0(VALU_DEP_1)
	v_add3_u32 v0, v1, v0, 0x7fff
                                        ; implicit-def: $vgpr1
; %bb.76:                               ;   in Loop: Header=BB305_8 Depth=1
	s_and_not1_saveexec_b32 s26, s26
; %bb.77:                               ;   in Loop: Header=BB305_8 Depth=1
	v_and_b32_e32 v0, 0xffff, v1
	v_or_b32_e32 v8, 0x10000, v1
	s_delay_alu instid0(VALU_DEP_2) | instskip(NEXT) | instid1(VALU_DEP_2)
	v_cmp_eq_u32_e32 vcc_lo, 0, v0
	v_cndmask_b32_e32 v0, v8, v1, vcc_lo
; %bb.78:                               ;   in Loop: Header=BB305_8 Depth=1
	s_or_b32 exec_lo, exec_lo, s26
	v_dual_add_f32 v1, v14, v15 :: v_dual_add_nc_u32 v8, 2, v65
	s_waitcnt vmcnt(4)
	v_dual_mov_b32 v9, v66 :: v_dual_lshlrev_b32 v12, 16, v42
	s_mov_b32 s26, exec_lo
	s_delay_alu instid0(VALU_DEP_1) | instskip(NEXT) | instid1(VALU_DEP_2)
	v_add_f32_e32 v1, v1, v12
	v_lshlrev_b64 v[8:9], 1, v[8:9]
	s_delay_alu instid0(VALU_DEP_2) | instskip(NEXT) | instid1(VALU_DEP_2)
	v_and_b32_e32 v12, 0x7f800000, v1
	v_add_co_u32 v8, vcc_lo, s12, v8
	s_delay_alu instid0(VALU_DEP_3)
	v_add_co_ci_u32_e32 v9, vcc_lo, s13, v9, vcc_lo
	global_store_d16_hi_b16 v[8:9], v0, off
                                        ; implicit-def: $vgpr0
	v_cmpx_ne_u32_e32 0x7f800000, v12
	s_xor_b32 s26, exec_lo, s26
; %bb.79:                               ;   in Loop: Header=BB305_8 Depth=1
	v_bfe_u32 v0, v1, 16, 1
	s_delay_alu instid0(VALU_DEP_1)
	v_add3_u32 v0, v1, v0, 0x7fff
                                        ; implicit-def: $vgpr1
; %bb.80:                               ;   in Loop: Header=BB305_8 Depth=1
	s_and_not1_saveexec_b32 s26, s26
; %bb.81:                               ;   in Loop: Header=BB305_8 Depth=1
	v_and_b32_e32 v0, 0xffff, v1
	v_or_b32_e32 v8, 0x10000, v1
	s_delay_alu instid0(VALU_DEP_2) | instskip(NEXT) | instid1(VALU_DEP_2)
	v_cmp_eq_u32_e32 vcc_lo, 0, v0
	v_cndmask_b32_e32 v0, v8, v1, vcc_lo
; %bb.82:                               ;   in Loop: Header=BB305_8 Depth=1
	s_or_b32 exec_lo, exec_lo, s26
	v_dual_add_f32 v1, v10, v11 :: v_dual_add_nc_u32 v8, 3, v65
	s_waitcnt vmcnt(3)
	v_dual_mov_b32 v9, v66 :: v_dual_lshlrev_b32 v10, 16, v40
	s_mov_b32 s26, exec_lo
	s_delay_alu instid0(VALU_DEP_1) | instskip(NEXT) | instid1(VALU_DEP_2)
	v_add_f32_e32 v1, v1, v10
	v_lshlrev_b64 v[8:9], 1, v[8:9]
	s_delay_alu instid0(VALU_DEP_2) | instskip(NEXT) | instid1(VALU_DEP_2)
	v_and_b32_e32 v10, 0x7f800000, v1
	v_add_co_u32 v8, vcc_lo, s12, v8
	s_delay_alu instid0(VALU_DEP_3)
	v_add_co_ci_u32_e32 v9, vcc_lo, s13, v9, vcc_lo
	global_store_d16_hi_b16 v[8:9], v0, off
                                        ; implicit-def: $vgpr8
	v_cmpx_ne_u32_e32 0x7f800000, v10
	s_xor_b32 s26, exec_lo, s26
; %bb.83:                               ;   in Loop: Header=BB305_8 Depth=1
	v_bfe_u32 v0, v1, 16, 1
	s_delay_alu instid0(VALU_DEP_1)
	v_add3_u32 v8, v1, v0, 0x7fff
                                        ; implicit-def: $vgpr1
; %bb.84:                               ;   in Loop: Header=BB305_8 Depth=1
	s_and_not1_saveexec_b32 s26, s26
; %bb.85:                               ;   in Loop: Header=BB305_8 Depth=1
	v_and_b32_e32 v0, 0xffff, v1
	v_or_b32_e32 v8, 0x10000, v1
	s_delay_alu instid0(VALU_DEP_2) | instskip(NEXT) | instid1(VALU_DEP_2)
	v_cmp_eq_u32_e32 vcc_lo, 0, v0
	v_cndmask_b32_e32 v8, v8, v1, vcc_lo
; %bb.86:                               ;   in Loop: Header=BB305_8 Depth=1
	s_or_b32 exec_lo, exec_lo, s26
	s_waitcnt vmcnt(2)
	v_dual_add_f32 v0, v6, v7 :: v_dual_lshlrev_b32 v1, 16, v34
	v_add_nc_u32_e32 v65, s7, v65
	s_delay_alu instid0(VALU_DEP_2) | instskip(NEXT) | instid1(VALU_DEP_2)
	v_add_f32_e32 v6, v0, v1
	v_lshlrev_b64 v[0:1], 1, v[65:66]
	s_delay_alu instid0(VALU_DEP_2) | instskip(NEXT) | instid1(VALU_DEP_2)
	v_and_b32_e32 v7, 0x7f800000, v6
	v_add_co_u32 v0, vcc_lo, s12, v0
	s_delay_alu instid0(VALU_DEP_3) | instskip(NEXT) | instid1(VALU_DEP_3)
	v_add_co_ci_u32_e32 v1, vcc_lo, s13, v1, vcc_lo
	v_cmp_ne_u32_e32 vcc_lo, 0x7f800000, v7
                                        ; implicit-def: $vgpr7
	global_store_d16_hi_b16 v[0:1], v8, off
	s_and_saveexec_b32 s26, vcc_lo
	s_delay_alu instid0(SALU_CYCLE_1)
	s_xor_b32 s26, exec_lo, s26
; %bb.87:                               ;   in Loop: Header=BB305_8 Depth=1
	v_bfe_u32 v7, v6, 16, 1
	s_delay_alu instid0(VALU_DEP_1)
	v_add3_u32 v7, v6, v7, 0x7fff
                                        ; implicit-def: $vgpr6
; %bb.88:                               ;   in Loop: Header=BB305_8 Depth=1
	s_and_not1_saveexec_b32 s26, s26
; %bb.89:                               ;   in Loop: Header=BB305_8 Depth=1
	v_and_b32_e32 v7, 0xffff, v6
	v_or_b32_e32 v8, 0x10000, v6
	s_delay_alu instid0(VALU_DEP_2) | instskip(NEXT) | instid1(VALU_DEP_2)
	v_cmp_eq_u32_e32 vcc_lo, 0, v7
	v_cndmask_b32_e32 v7, v8, v6, vcc_lo
; %bb.90:                               ;   in Loop: Header=BB305_8 Depth=1
	s_or_b32 exec_lo, exec_lo, s26
	v_add_f32_e32 v4, v4, v5
	s_waitcnt vmcnt(1)
	v_lshlrev_b32_e32 v5, 16, v29
	global_store_d16_hi_b16 v[0:1], v7, off offset:2
	v_add_f32_e32 v5, v4, v5
	s_delay_alu instid0(VALU_DEP_1) | instskip(NEXT) | instid1(VALU_DEP_1)
	v_and_b32_e32 v4, 0x7f800000, v5
	v_cmp_ne_u32_e32 vcc_lo, 0x7f800000, v4
                                        ; implicit-def: $vgpr4
	s_and_saveexec_b32 s26, vcc_lo
	s_delay_alu instid0(SALU_CYCLE_1)
	s_xor_b32 s26, exec_lo, s26
; %bb.91:                               ;   in Loop: Header=BB305_8 Depth=1
	v_bfe_u32 v4, v5, 16, 1
	s_delay_alu instid0(VALU_DEP_1)
	v_add3_u32 v4, v5, v4, 0x7fff
                                        ; implicit-def: $vgpr5
; %bb.92:                               ;   in Loop: Header=BB305_8 Depth=1
	s_and_not1_saveexec_b32 s26, s26
; %bb.93:                               ;   in Loop: Header=BB305_8 Depth=1
	v_and_b32_e32 v4, 0xffff, v5
	v_or_b32_e32 v6, 0x10000, v5
	s_delay_alu instid0(VALU_DEP_2) | instskip(NEXT) | instid1(VALU_DEP_2)
	v_cmp_eq_u32_e32 vcc_lo, 0, v4
	v_cndmask_b32_e32 v4, v6, v5, vcc_lo
; %bb.94:                               ;   in Loop: Header=BB305_8 Depth=1
	s_or_b32 exec_lo, exec_lo, s26
	s_waitcnt vmcnt(0)
	v_dual_add_f32 v2, v2, v3 :: v_dual_lshlrev_b32 v3, 16, v26
	global_store_d16_hi_b16 v[0:1], v4, off offset:4
	v_add_f32_e32 v2, v2, v3
	s_delay_alu instid0(VALU_DEP_1) | instskip(NEXT) | instid1(VALU_DEP_1)
	v_and_b32_e32 v3, 0x7f800000, v2
	v_cmp_ne_u32_e32 vcc_lo, 0x7f800000, v3
                                        ; implicit-def: $vgpr3
	s_and_saveexec_b32 s26, vcc_lo
	s_delay_alu instid0(SALU_CYCLE_1)
	s_xor_b32 s26, exec_lo, s26
; %bb.95:                               ;   in Loop: Header=BB305_8 Depth=1
	v_bfe_u32 v3, v2, 16, 1
	s_delay_alu instid0(VALU_DEP_1)
	v_add3_u32 v3, v2, v3, 0x7fff
                                        ; implicit-def: $vgpr2
; %bb.96:                               ;   in Loop: Header=BB305_8 Depth=1
	s_and_not1_saveexec_b32 s26, s26
	s_cbranch_execz .LBB305_6
; %bb.97:                               ;   in Loop: Header=BB305_8 Depth=1
	v_and_b32_e32 v3, 0xffff, v2
	v_or_b32_e32 v4, 0x10000, v2
	s_delay_alu instid0(VALU_DEP_2) | instskip(NEXT) | instid1(VALU_DEP_2)
	v_cmp_eq_u32_e32 vcc_lo, 0, v3
	v_cndmask_b32_e32 v3, v4, v2, vcc_lo
	s_branch .LBB305_6
.LBB305_98:
	s_nop 0
	s_sendmsg sendmsg(MSG_DEALLOC_VGPRS)
	s_endpgm
	.section	.rodata,"a",@progbits
	.p2align	6, 0x0
	.amdhsa_kernel _Z16wvSplitK_hf_sml_I14__hip_bfloat16Li64ELi4ELi16ELi8ELi2ELi5EEviiiiiiPKT_S3_S3_PS1_ii
		.amdhsa_group_segment_fixed_size 65536
		.amdhsa_private_segment_fixed_size 0
		.amdhsa_kernarg_size 64
		.amdhsa_user_sgpr_count 15
		.amdhsa_user_sgpr_dispatch_ptr 0
		.amdhsa_user_sgpr_queue_ptr 0
		.amdhsa_user_sgpr_kernarg_segment_ptr 1
		.amdhsa_user_sgpr_dispatch_id 0
		.amdhsa_user_sgpr_private_segment_size 0
		.amdhsa_wavefront_size32 1
		.amdhsa_uses_dynamic_stack 0
		.amdhsa_enable_private_segment 0
		.amdhsa_system_sgpr_workgroup_id_x 1
		.amdhsa_system_sgpr_workgroup_id_y 0
		.amdhsa_system_sgpr_workgroup_id_z 0
		.amdhsa_system_sgpr_workgroup_info 0
		.amdhsa_system_vgpr_workitem_id 1
		.amdhsa_next_free_vgpr 128
		.amdhsa_next_free_sgpr 28
		.amdhsa_reserve_vcc 1
		.amdhsa_float_round_mode_32 0
		.amdhsa_float_round_mode_16_64 0
		.amdhsa_float_denorm_mode_32 3
		.amdhsa_float_denorm_mode_16_64 3
		.amdhsa_dx10_clamp 1
		.amdhsa_ieee_mode 1
		.amdhsa_fp16_overflow 0
		.amdhsa_workgroup_processor_mode 1
		.amdhsa_memory_ordered 1
		.amdhsa_forward_progress 0
		.amdhsa_shared_vgpr_count 0
		.amdhsa_exception_fp_ieee_invalid_op 0
		.amdhsa_exception_fp_denorm_src 0
		.amdhsa_exception_fp_ieee_div_zero 0
		.amdhsa_exception_fp_ieee_overflow 0
		.amdhsa_exception_fp_ieee_underflow 0
		.amdhsa_exception_fp_ieee_inexact 0
		.amdhsa_exception_int_div_zero 0
	.end_amdhsa_kernel
	.section	.text._Z16wvSplitK_hf_sml_I14__hip_bfloat16Li64ELi4ELi16ELi8ELi2ELi5EEviiiiiiPKT_S3_S3_PS1_ii,"axG",@progbits,_Z16wvSplitK_hf_sml_I14__hip_bfloat16Li64ELi4ELi16ELi8ELi2ELi5EEviiiiiiPKT_S3_S3_PS1_ii,comdat
.Lfunc_end305:
	.size	_Z16wvSplitK_hf_sml_I14__hip_bfloat16Li64ELi4ELi16ELi8ELi2ELi5EEviiiiiiPKT_S3_S3_PS1_ii, .Lfunc_end305-_Z16wvSplitK_hf_sml_I14__hip_bfloat16Li64ELi4ELi16ELi8ELi2ELi5EEviiiiiiPKT_S3_S3_PS1_ii
                                        ; -- End function
	.section	.AMDGPU.csdata,"",@progbits
; Kernel info:
; codeLenInByte = 10524
; NumSgprs: 30
; NumVgprs: 128
; ScratchSize: 0
; MemoryBound: 0
; FloatMode: 240
; IeeeMode: 1
; LDSByteSize: 65536 bytes/workgroup (compile time only)
; SGPRBlocks: 3
; VGPRBlocks: 15
; NumSGPRsForWavesPerEU: 30
; NumVGPRsForWavesPerEU: 128
; Occupancy: 10
; WaveLimiterHint : 0
; COMPUTE_PGM_RSRC2:SCRATCH_EN: 0
; COMPUTE_PGM_RSRC2:USER_SGPR: 15
; COMPUTE_PGM_RSRC2:TRAP_HANDLER: 0
; COMPUTE_PGM_RSRC2:TGID_X_EN: 1
; COMPUTE_PGM_RSRC2:TGID_Y_EN: 0
; COMPUTE_PGM_RSRC2:TGID_Z_EN: 0
; COMPUTE_PGM_RSRC2:TIDIG_COMP_CNT: 1
	.section	.text._Z12wvSplitK_hf_I14__hip_bfloat16Li64ELi4ELi16ELi8ELi2ELi5EEviiiiiiPKT_S3_S3_PS1_ii,"axG",@progbits,_Z12wvSplitK_hf_I14__hip_bfloat16Li64ELi4ELi16ELi8ELi2ELi5EEviiiiiiPKT_S3_S3_PS1_ii,comdat
	.protected	_Z12wvSplitK_hf_I14__hip_bfloat16Li64ELi4ELi16ELi8ELi2ELi5EEviiiiiiPKT_S3_S3_PS1_ii ; -- Begin function _Z12wvSplitK_hf_I14__hip_bfloat16Li64ELi4ELi16ELi8ELi2ELi5EEviiiiiiPKT_S3_S3_PS1_ii
	.globl	_Z12wvSplitK_hf_I14__hip_bfloat16Li64ELi4ELi16ELi8ELi2ELi5EEviiiiiiPKT_S3_S3_PS1_ii
	.p2align	8
	.type	_Z12wvSplitK_hf_I14__hip_bfloat16Li64ELi4ELi16ELi8ELi2ELi5EEviiiiiiPKT_S3_S3_PS1_ii,@function
_Z12wvSplitK_hf_I14__hip_bfloat16Li64ELi4ELi16ELi8ELi2ELi5EEviiiiiiPKT_S3_S3_PS1_ii: ; @_Z12wvSplitK_hf_I14__hip_bfloat16Li64ELi4ELi16ELi8ELi2ELi5EEviiiiiiPKT_S3_S3_PS1_ii
; %bb.0:
	s_clause 0x1
	s_load_b64 s[20:21], s[0:1], 0x38
	s_load_b128 s[8:11], s[0:1], 0x0
	v_bfe_u32 v7, v0, 10, 10
	s_clause 0x1
	s_load_b64 s[12:13], s[0:1], 0x20
	s_load_b64 s[16:17], s[0:1], 0x10
	s_mov_b32 s4, 1
	s_delay_alu instid0(SALU_CYCLE_1) | instskip(SKIP_4) | instid1(SALU_CYCLE_1)
	s_mov_b32 s5, s4
	s_mov_b32 s6, s4
	;; [unrolled: 1-line block ×3, first 2 shown]
	s_waitcnt lgkmcnt(0)
	s_mul_i32 s15, s15, s20
	v_add_lshl_u32 v77, s15, v7, 2
	s_delay_alu instid0(VALU_DEP_1) | instskip(SKIP_1) | instid1(VALU_DEP_2)
	v_add_nc_u32_e32 v1, 4, v77
	v_cmp_gt_u32_e32 vcc_lo, s11, v77
	v_cmp_le_u32_e64 s2, s11, v1
	v_dual_mov_b32 v1, s4 :: v_dual_mov_b32 v4, s7
	v_dual_mov_b32 v2, s5 :: v_dual_mov_b32 v3, s6
	s_delay_alu instid0(VALU_DEP_3) | instskip(NEXT) | instid1(SALU_CYCLE_1)
	s_and_b32 s2, vcc_lo, s2
	s_and_saveexec_b32 s14, s2
	s_cbranch_execz .LBB306_6
; %bb.1:
	v_dual_mov_b32 v1, s4 :: v_dual_mov_b32 v2, s5
	v_dual_mov_b32 v3, s6 :: v_dual_mov_b32 v4, s7
	s_add_i32 s15, s11, -4
	s_mov_b32 s18, exec_lo
	v_cmpx_ne_u32_e64 s15, v77
	s_cbranch_execz .LBB306_5
; %bb.2:
	v_subrev_nc_u32_e32 v1, s15, v77
	s_mov_b32 s19, 0
	s_mov_b64 s[2:3], 0
	s_mov_b32 s5, s4
	s_mov_b32 s6, s4
	v_cmp_lt_u32_e32 vcc_lo, 1, v1
	s_mov_b32 s7, s4
	v_cndmask_b32_e32 v5, 1, v1, vcc_lo
	.p2align	6
.LBB306_3:                              ; =>This Inner Loop Header: Depth=1
	s_cmp_lg_u32 s2, 3
	s_cselect_b32 s7, s7, 0
	s_cmp_lg_u32 s2, 2
	s_cselect_b32 s6, s6, 0
	;; [unrolled: 2-line block ×4, first 2 shown]
	s_add_u32 s2, s2, 1
	v_dual_mov_b32 v1, s4 :: v_dual_mov_b32 v2, s5
	v_cmp_eq_u32_e32 vcc_lo, s2, v5
	v_dual_mov_b32 v3, s6 :: v_dual_mov_b32 v4, s7
	s_addc_u32 s3, s3, 0
	s_or_b32 s19, vcc_lo, s19
	s_delay_alu instid0(SALU_CYCLE_1)
	s_and_not1_b32 exec_lo, exec_lo, s19
	s_cbranch_execnz .LBB306_3
; %bb.4:
	s_or_b32 exec_lo, exec_lo, s19
	v_mov_b32_e32 v77, s15
.LBB306_5:
	s_or_b32 exec_lo, exec_lo, s18
.LBB306_6:
	s_delay_alu instid0(SALU_CYCLE_1)
	s_or_b32 exec_lo, exec_lo, s14
	s_load_b64 s[6:7], s[0:1], 0x28
	v_and_b32_e32 v8, 0x3ff, v0
	s_mul_i32 s2, s10, 5
	s_mov_b32 s4, exec_lo
	s_min_u32 s3, s2, 0x8000
	s_delay_alu instid0(VALU_DEP_1) | instskip(NEXT) | instid1(VALU_DEP_1)
	v_lshlrev_b32_e32 v0, 3, v8
	v_lshl_add_u32 v9, v7, 9, v0
	s_delay_alu instid0(VALU_DEP_1)
	v_cmpx_gt_u32_e64 s3, v9
	s_cbranch_execz .LBB306_9
; %bb.7:
	v_lshlrev_b32_e32 v10, 10, v7
	v_lshlrev_b32_e32 v11, 4, v8
	s_mov_b32 s5, 0
	s_delay_alu instid0(VALU_DEP_1) | instskip(NEXT) | instid1(VALU_DEP_1)
	v_add_co_u32 v5, s2, v10, v11
	v_add_co_ci_u32_e64 v6, null, 0, 0, s2
	v_add_nc_u32_e32 v10, v10, v11
	s_delay_alu instid0(VALU_DEP_3) | instskip(NEXT) | instid1(VALU_DEP_3)
	v_add_co_u32 v5, vcc_lo, s12, v5
	v_add_co_ci_u32_e32 v6, vcc_lo, s13, v6, vcc_lo
	.p2align	6
.LBB306_8:                              ; =>This Inner Loop Header: Depth=1
	global_load_b128 v[11:14], v[5:6], off
	v_add_nc_u32_e32 v9, 0x2000, v9
	v_add_co_u32 v5, vcc_lo, 0x4000, v5
	v_add_co_ci_u32_e32 v6, vcc_lo, 0, v6, vcc_lo
	s_delay_alu instid0(VALU_DEP_3) | instskip(NEXT) | instid1(VALU_DEP_1)
	v_cmp_le_u32_e64 s2, s3, v9
	s_or_b32 s5, s2, s5
	s_waitcnt vmcnt(0)
	ds_store_b128 v10, v[11:14]
	v_add_nc_u32_e32 v10, 0x4000, v10
	s_and_not1_b32 exec_lo, exec_lo, s5
	s_cbranch_execnz .LBB306_8
.LBB306_9:
	s_or_b32 exec_lo, exec_lo, s4
	v_cmp_gt_u32_e32 vcc_lo, s20, v7
	v_cmp_gt_u32_e64 s2, s11, v77
	s_waitcnt lgkmcnt(0)
	s_barrier
	buffer_gl0_inv
	s_and_b32 s2, vcc_lo, s2
	s_delay_alu instid0(SALU_CYCLE_1)
	s_and_saveexec_b32 s3, s2
	s_cbranch_execz .LBB306_188
; %bb.10:
	s_cmp_lg_u32 s8, 0
	s_clause 0x1
	s_load_b64 s[14:15], s[0:1], 0x18
	s_load_b64 s[18:19], s[0:1], 0x30
	s_cselect_b32 s22, -1, 0
	s_add_i32 s23, s8, -8
	s_add_i32 s24, s11, -1
	s_cmp_lg_u64 s[6:7], 0
	s_mul_i32 s0, s20, s21
	s_cselect_b32 s25, -1, 0
	s_abs_i32 s2, s17
	s_lshl_b32 s20, s0, 2
	v_cvt_f32_u32_e32 v5, s2
	s_sub_i32 s0, 0, s2
	v_cvt_f32_u32_e32 v7, s16
	s_add_i32 s21, s11, -4
	s_lshl_b32 s26, s10, 1
	v_rcp_iflag_f32_e32 v5, v5
	s_sub_i32 s3, 0, s16
	s_sub_i32 s4, 1, s2
	v_mbcnt_lo_u32_b32 v6, -1, 0
	v_mad_u64_u32 v[80:81], null, s10, 3, v[0:1]
	v_add_nc_u32_e32 v101, s10, v0
	v_lshlrev_b32_e32 v100, 4, v8
	s_mov_b32 s17, 0
	s_mul_i32 s33, s10, 6
	s_waitcnt_depctr 0xfff
	v_dual_mul_f32 v5, 0x4f7ffffe, v5 :: v_dual_add_nc_u32 v102, s26, v0
	s_delay_alu instid0(VALU_DEP_1) | instskip(NEXT) | instid1(VALU_DEP_1)
	v_cvt_u32_f32_e32 v5, v5
	v_readfirstlane_b32 s1, v5
	v_rcp_iflag_f32_e32 v5, v7
	v_xor_b32_e32 v7, 16, v6
	s_delay_alu instid0(VALU_DEP_2) | instskip(NEXT) | instid1(SALU_CYCLE_1)
	s_mul_i32 s0, s0, s1
	s_mul_hi_u32 s0, s1, s0
	s_delay_alu instid0(VALU_DEP_1)
	v_cmp_gt_i32_e32 vcc_lo, 32, v7
	s_add_i32 s1, s1, s0
	s_cmp_lt_u32 s2, 2
	s_waitcnt_depctr 0xfff
	v_mul_f32_e32 v5, 0x4f7ffffe, v5
	s_cselect_b32 s4, s4, 1
	v_cmp_eq_u32_e64 s0, 63, v8
	s_sub_i32 s5, s4, s2
	s_cmp_ge_u32 s4, s2
	v_cvt_u32_f32_e32 v5, v5
	s_cselect_b32 s27, s5, s4
	s_lshr_b32 s4, s1, 31
	v_dual_mov_b32 v79, 0 :: v_dual_cndmask_b32 v6, v6, v7
	s_mul_i32 s4, s4, s2
	v_mul_lo_u32 v8, s3, v5
	s_sub_i32 s4, 2, s4
	s_mul_i32 s27, s27, s16
	s_sub_i32 s5, s4, s2
	s_cmp_ge_u32 s4, s2
	v_lshlrev_b32_e32 v103, 2, v6
	s_cselect_b32 s4, s5, s4
	s_mul_hi_u32 s5, s1, 3
	s_sub_i32 s28, s4, s2
	s_cmp_ge_u32 s4, s2
	s_mul_i32 s5, s5, s2
	s_cselect_b32 s28, s28, s4
	s_sub_i32 s4, 3, s5
	v_mul_hi_u32 v7, v5, v8
	s_sub_i32 s3, s4, s2
	s_cmp_ge_u32 s4, s2
	s_mul_i32 s28, s28, s16
	s_cselect_b32 s3, s3, s4
	s_delay_alu instid0(SALU_CYCLE_1) | instskip(SKIP_1) | instid1(VALU_DEP_1)
	s_sub_i32 s4, s3, s2
	s_cmp_ge_u32 s3, s2
	v_add_nc_u32_e32 v104, v5, v7
	s_cselect_b32 s30, s4, s3
	s_lshr_b32 s1, s1, 30
	s_mul_i32 s30, s30, s16
	s_mul_i32 s1, s1, s2
	s_delay_alu instid0(SALU_CYCLE_1) | instskip(NEXT) | instid1(SALU_CYCLE_1)
	s_sub_i32 s1, 4, s1
	s_sub_i32 s3, s1, s2
	s_cmp_ge_u32 s1, s2
	s_cselect_b32 s1, s3, s1
	s_delay_alu instid0(SALU_CYCLE_1)
	s_sub_i32 s3, s1, s2
	s_cmp_ge_u32 s1, s2
	s_cselect_b32 s31, s3, s1
	s_lshl_b32 s29, s10, 2
	s_mul_i32 s31, s31, s16
	v_add_nc_u32_e32 v105, s29, v0
	s_lshl_b32 s10, s10, 3
	s_branch .LBB306_13
.LBB306_11:                             ;   in Loop: Header=BB306_13 Depth=1
	s_or_b32 exec_lo, exec_lo, s35
	v_mov_b32_e32 v77, s21
.LBB306_12:                             ;   in Loop: Header=BB306_13 Depth=1
	s_or_b32 exec_lo, exec_lo, s34
	s_delay_alu instid0(VALU_DEP_1) | instskip(SKIP_1) | instid1(SALU_CYCLE_1)
	v_cmp_le_u32_e32 vcc_lo, s11, v77
	s_or_b32 s17, vcc_lo, s17
	s_and_not1_b32 exec_lo, exec_lo, s17
	s_cbranch_execz .LBB306_188
.LBB306_13:                             ; =>This Loop Header: Depth=1
                                        ;     Child Loop BB306_18 Depth 2
                                        ;     Child Loop BB306_186 Depth 2
	v_dual_mov_b32 v106, v79 :: v_dual_add_nc_u32 v83, 1, v77
	v_dual_mov_b32 v107, v79 :: v_dual_add_nc_u32 v82, 2, v77
	;; [unrolled: 1-line block ×3, first 2 shown]
	v_mov_b32_e32 v109, v79
	v_mov_b32_e32 v115, v79
	;; [unrolled: 1-line block ×17, first 2 shown]
	s_and_not1_b32 vcc_lo, exec_lo, s22
	s_cbranch_vccnz .LBB306_60
; %bb.14:                               ;   in Loop: Header=BB306_13 Depth=1
	v_min_u32_e32 v5, s24, v77
	s_waitcnt lgkmcnt(0)
	v_min_u32_e32 v6, s24, v83
	v_min_u32_e32 v7, s24, v82
	;; [unrolled: 1-line block ×3, first 2 shown]
	v_dual_mov_b32 v10, v79 :: v_dual_mov_b32 v125, 0
	v_mul_lo_u32 v78, v5, s9
	v_mul_lo_u32 v5, v6, s9
	;; [unrolled: 1-line block ×4, first 2 shown]
	v_dual_mov_b32 v6, v79 :: v_dual_mov_b32 v123, 0
	v_dual_mov_b32 v8, v79 :: v_dual_mov_b32 v121, v100
	v_lshlrev_b64 v[84:85], 1, v[78:79]
	s_delay_alu instid0(VALU_DEP_3) | instskip(SKIP_1) | instid1(VALU_DEP_4)
	v_lshlrev_b64 v[86:87], 1, v[5:6]
	v_dual_mov_b32 v126, 0 :: v_dual_mov_b32 v117, 0
	v_lshlrev_b64 v[88:89], 1, v[7:8]
	v_lshlrev_b64 v[90:91], 1, v[9:10]
	v_dual_mov_b32 v124, 0 :: v_dual_mov_b32 v119, 0
	v_dual_mov_b32 v122, 0 :: v_dual_mov_b32 v113, 0
	;; [unrolled: 1-line block ×6, first 2 shown]
	v_mov_b32_e32 v112, 0
	v_mov_b32_e32 v110, 0
	;; [unrolled: 1-line block ×4, first 2 shown]
	s_mov_b32 s1, 0
	s_branch .LBB306_18
.LBB306_15:                             ;   in Loop: Header=BB306_18 Depth=2
	s_or_b32 exec_lo, exec_lo, s4
.LBB306_16:                             ;   in Loop: Header=BB306_18 Depth=2
	s_delay_alu instid0(SALU_CYCLE_1)
	s_or_b32 exec_lo, exec_lo, s3
.LBB306_17:                             ;   in Loop: Header=BB306_18 Depth=2
	s_delay_alu instid0(SALU_CYCLE_1)
	s_or_b32 exec_lo, exec_lo, s2
	s_waitcnt vmcnt(0) lgkmcnt(0)
	v_lshlrev_b32_e32 v132, 16, v70
	v_and_b32_e32 v131, 0xffff0000, v70
	v_and_b32_e32 v92, 0xffff0000, v62
	v_and_b32_e32 v129, 0xffff0000, v69
	v_and_b32_e32 v133, 0xffff0000, v71
	v_lshlrev_b32_e32 v135, 16, v72
	s_addk_i32 s1, 0x400
	v_mul_f32_e32 v94, v131, v92
	v_lshlrev_b32_e32 v134, 16, v71
	v_and_b32_e32 v70, 0xffff0000, v63
	v_and_b32_e32 v78, 0xffff0000, v61
	v_lshlrev_b32_e32 v71, 16, v57
	s_cmp_ge_u32 s1, s8
	s_delay_alu instid0(VALU_DEP_3) | instskip(NEXT) | instid1(VALU_DEP_3)
	v_dual_mul_f32 v95, v133, v70 :: v_dual_and_b32 v128, 0xffff0000, v49
	v_dual_mul_f32 v93, v129, v78 :: v_dual_lshlrev_b32 v130, 16, v69
	v_lshlrev_b32_e32 v69, 16, v61
	v_lshlrev_b32_e32 v61, 16, v62
	s_delay_alu instid0(VALU_DEP_4) | instskip(SKIP_1) | instid1(VALU_DEP_4)
	v_dual_mul_f32 v139, v129, v128 :: v_dual_lshlrev_b32 v62, 16, v63
	v_and_b32_e32 v140, 0xffff0000, v73
	v_dual_fmac_f32 v93, v130, v69 :: v_dual_and_b32 v146, 0xffff0000, v76
	v_lshlrev_b32_e32 v145, 16, v75
	v_and_b32_e32 v142, 0xffff0000, v74
	v_add_nc_u32_e32 v121, 0x800, v121
	s_delay_alu instid0(VALU_DEP_4) | instskip(SKIP_4) | instid1(VALU_DEP_1)
	v_add_f32_e32 v63, v123, v93
	v_and_b32_e32 v93, 0xffff0000, v57
	v_lshlrev_b32_e32 v57, 16, v64
	v_and_b32_e32 v123, 0xffff0000, v72
	v_and_b32_e32 v72, 0xffff0000, v64
	v_mul_f32_e32 v64, v123, v72
	v_fmac_f32_e32 v94, v132, v61
	s_delay_alu instid0(VALU_DEP_1) | instskip(SKIP_2) | instid1(VALU_DEP_2)
	v_add_f32_e32 v96, v63, v94
	v_and_b32_e32 v94, 0xffff0000, v58
	v_lshlrev_b32_e32 v58, 16, v58
	v_dual_mul_f32 v98, v131, v94 :: v_dual_and_b32 v63, 0xffff0000, v59
	s_delay_alu instid0(VALU_DEP_1) | instskip(SKIP_1) | instid1(VALU_DEP_1)
	v_dual_mul_f32 v99, v133, v63 :: v_dual_fmac_f32 v98, v132, v58
	v_mul_f32_e32 v97, v129, v93
	v_fmac_f32_e32 v97, v130, v71
	s_delay_alu instid0(VALU_DEP_1) | instskip(SKIP_1) | instid1(VALU_DEP_2)
	v_add_f32_e32 v97, v126, v97
	v_fmac_f32_e32 v95, v134, v62
	v_dual_add_f32 v97, v97, v98 :: v_dual_and_b32 v98, 0xffff0000, v55
	v_lshlrev_b32_e32 v59, 16, v59
	s_delay_alu instid0(VALU_DEP_3) | instskip(NEXT) | instid1(VALU_DEP_2)
	v_dual_add_f32 v95, v96, v95 :: v_dual_and_b32 v96, 0xffff0000, v53
	v_dual_mul_f32 v138, v133, v98 :: v_dual_fmac_f32 v99, v134, v59
	s_delay_alu instid0(VALU_DEP_2) | instskip(NEXT) | instid1(VALU_DEP_2)
	v_mul_f32_e32 v127, v129, v96
	v_add_f32_e32 v136, v97, v99
	v_dual_fmac_f32 v64, v135, v57 :: v_dual_lshlrev_b32 v99, 16, v55
	s_delay_alu instid0(VALU_DEP_1) | instskip(SKIP_3) | instid1(VALU_DEP_3)
	v_add_f32_e32 v126, v95, v64
	v_lshlrev_b32_e32 v64, 16, v53
	v_and_b32_e32 v95, 0xffff0000, v60
	v_lshlrev_b32_e32 v53, 16, v60
	v_dual_fmac_f32 v127, v130, v64 :: v_dual_lshlrev_b32 v60, 16, v54
	s_delay_alu instid0(VALU_DEP_1) | instskip(NEXT) | instid1(VALU_DEP_1)
	v_dual_add_f32 v124, v124, v127 :: v_dual_and_b32 v97, 0xffff0000, v54
	v_mul_f32_e32 v54, v131, v97
	s_delay_alu instid0(VALU_DEP_1) | instskip(NEXT) | instid1(VALU_DEP_1)
	v_fmac_f32_e32 v54, v132, v60
	v_dual_add_f32 v124, v124, v54 :: v_dual_mul_f32 v137, v123, v95
	v_and_b32_e32 v54, 0xffff0000, v56
	v_lshlrev_b32_e32 v127, 16, v49
	v_and_b32_e32 v55, 0xffff0000, v51
	v_and_b32_e32 v129, 0xffff0000, v50
	v_lshlrev_b32_e32 v50, 16, v50
	v_dual_mul_f32 v56, v123, v54 :: v_dual_lshlrev_b32 v49, 16, v56
	s_delay_alu instid0(VALU_DEP_3) | instskip(SKIP_1) | instid1(VALU_DEP_2)
	v_dual_fmac_f32 v139, v130, v127 :: v_dual_mul_f32 v130, v131, v129
	v_fmac_f32_e32 v138, v134, v99
	v_dual_fmac_f32 v130, v132, v50 :: v_dual_add_f32 v125, v125, v139
	s_delay_alu instid0(VALU_DEP_4) | instskip(NEXT) | instid1(VALU_DEP_3)
	v_fmac_f32_e32 v56, v135, v49
	v_add_f32_e32 v124, v124, v138
	v_dual_mul_f32 v132, v133, v55 :: v_dual_fmac_f32 v137, v135, v53
	v_lshlrev_b32_e32 v51, 16, v51
	v_add_f32_e32 v125, v125, v130
	s_delay_alu instid0(VALU_DEP_4) | instskip(NEXT) | instid1(VALU_DEP_4)
	v_dual_add_f32 v124, v124, v56 :: v_dual_and_b32 v131, 0xffff0000, v45
	v_add_f32_e32 v136, v136, v137
	s_delay_alu instid0(VALU_DEP_4) | instskip(NEXT) | instid1(VALU_DEP_3)
	v_fmac_f32_e32 v132, v134, v51
	v_dual_mul_f32 v45, v140, v131 :: v_dual_lshlrev_b32 v56, 16, v45
	v_and_b32_e32 v139, 0xffff0000, v25
	s_delay_alu instid0(VALU_DEP_3) | instskip(SKIP_3) | instid1(VALU_DEP_4)
	v_dual_add_f32 v125, v125, v132 :: v_dual_and_b32 v132, 0xffff0000, v46
	v_lshlrev_b32_e32 v141, 16, v73
	v_and_b32_e32 v73, 0xffff0000, v52
	v_lshlrev_b32_e32 v130, 16, v52
	v_mul_f32_e32 v52, v142, v132
	s_delay_alu instid0(VALU_DEP_4) | instskip(NEXT) | instid1(VALU_DEP_1)
	v_fmac_f32_e32 v45, v141, v56
	v_add_f32_e32 v126, v126, v45
	v_mul_f32_e32 v123, v123, v73
	v_lshlrev_b32_e32 v143, 16, v74
	v_and_b32_e32 v144, 0xffff0000, v75
	v_lshlrev_b32_e32 v45, 16, v47
	v_lshlrev_b32_e32 v74, 16, v46
	v_dual_fmac_f32 v123, v135, v130 :: v_dual_and_b32 v46, 0xffff0000, v47
	v_and_b32_e32 v75, 0xffff0000, v33
	v_lshlrev_b32_e32 v47, 16, v48
	s_delay_alu instid0(VALU_DEP_3) | instskip(NEXT) | instid1(VALU_DEP_4)
	v_mul_f32_e32 v133, v144, v46
	v_add_f32_e32 v125, v125, v123
	s_delay_alu instid0(VALU_DEP_2) | instskip(NEXT) | instid1(VALU_DEP_1)
	v_dual_fmac_f32 v133, v145, v45 :: v_dual_fmac_f32 v52, v143, v74
	v_add_f32_e32 v126, v126, v52
	v_and_b32_e32 v52, 0xffff0000, v48
	v_dual_mul_f32 v33, v140, v75 :: v_dual_lshlrev_b32 v48, 16, v33
	s_delay_alu instid0(VALU_DEP_3) | instskip(NEXT) | instid1(VALU_DEP_3)
	v_add_f32_e32 v126, v126, v133
	v_dual_mul_f32 v134, v146, v52 :: v_dual_and_b32 v133, 0xffff0000, v34
	v_lshlrev_b32_e32 v147, 16, v76
	s_delay_alu instid0(VALU_DEP_4) | instskip(NEXT) | instid1(VALU_DEP_3)
	v_dual_fmac_f32 v33, v141, v48 :: v_dual_lshlrev_b32 v76, 16, v34
	v_mul_f32_e32 v34, v142, v133
	s_delay_alu instid0(VALU_DEP_3) | instskip(NEXT) | instid1(VALU_DEP_1)
	v_fmac_f32_e32 v134, v147, v47
	v_dual_add_f32 v123, v126, v134 :: v_dual_and_b32 v134, 0xffff0000, v35
	s_delay_alu instid0(VALU_DEP_4) | instskip(NEXT) | instid1(VALU_DEP_2)
	v_dual_add_f32 v126, v136, v33 :: v_dual_lshlrev_b32 v137, 16, v35
	v_dual_mul_f32 v136, v144, v134 :: v_dual_and_b32 v35, 0xffff0000, v36
	s_delay_alu instid0(VALU_DEP_1) | instskip(SKIP_1) | instid1(VALU_DEP_3)
	v_mul_f32_e32 v149, v146, v35
	v_dual_fmac_f32 v34, v143, v76 :: v_dual_and_b32 v135, 0xffff0000, v29
	v_fmac_f32_e32 v136, v145, v137
	v_lshlrev_b32_e32 v33, 16, v29
	s_delay_alu instid0(VALU_DEP_3) | instskip(NEXT) | instid1(VALU_DEP_4)
	v_dual_mul_f32 v138, v140, v135 :: v_dual_lshlrev_b32 v29, 16, v36
	v_add_f32_e32 v126, v126, v34
	v_and_b32_e32 v34, 0xffff0000, v30
	s_delay_alu instid0(VALU_DEP_3) | instskip(NEXT) | instid1(VALU_DEP_4)
	v_dual_fmac_f32 v149, v147, v29 :: v_dual_and_b32 v36, 0xffff0000, v31
	v_dual_fmac_f32 v138, v141, v33 :: v_dual_lshlrev_b32 v31, 16, v31
	s_delay_alu instid0(VALU_DEP_3) | instskip(SKIP_1) | instid1(VALU_DEP_3)
	v_mul_f32_e32 v148, v142, v34
	v_mul_f32_e32 v140, v140, v139
	v_add_f32_e32 v124, v124, v138
	v_lshlrev_b32_e32 v138, 16, v25
	s_delay_alu instid0(VALU_DEP_1) | instskip(NEXT) | instid1(VALU_DEP_1)
	v_dual_fmac_f32 v140, v141, v138 :: v_dual_lshlrev_b32 v25, 16, v32
	v_add_f32_e32 v125, v125, v140
	v_add_f32_e32 v126, v126, v136
	v_and_b32_e32 v136, 0xffff0000, v32
	v_and_b32_e32 v32, 0xffff0000, v26
	s_delay_alu instid0(VALU_DEP_1) | instskip(NEXT) | instid1(VALU_DEP_1)
	v_dual_mul_f32 v141, v142, v32 :: v_dual_lshlrev_b32 v30, 16, v30
	v_fmac_f32_e32 v148, v143, v30
	v_and_b32_e32 v142, 0xffff0000, v37
	v_and_b32_e32 v140, 0xffff0000, v27
	v_lshlrev_b32_e32 v27, 16, v27
	s_delay_alu instid0(VALU_DEP_4) | instskip(SKIP_1) | instid1(VALU_DEP_1)
	v_dual_add_f32 v124, v124, v148 :: v_dual_lshlrev_b32 v37, 16, v37
	v_lshlrev_b32_e32 v26, 16, v26
	v_dual_mul_f32 v150, v144, v36 :: v_dual_fmac_f32 v141, v143, v26
	s_delay_alu instid0(VALU_DEP_1) | instskip(NEXT) | instid1(VALU_DEP_2)
	v_dual_fmac_f32 v150, v145, v31 :: v_dual_mul_f32 v143, v144, v140
	v_add_f32_e32 v125, v125, v141
	v_and_b32_e32 v141, 0xffff0000, v28
	s_delay_alu instid0(VALU_DEP_3) | instskip(SKIP_2) | instid1(VALU_DEP_3)
	v_dual_fmac_f32 v143, v145, v27 :: v_dual_mul_f32 v148, v146, v136
	v_and_b32_e32 v145, 0xffff0000, v38
	v_lshlrev_b32_e32 v28, 16, v28
	v_dual_mul_f32 v146, v146, v141 :: v_dual_add_f32 v125, v125, v143
	v_dual_add_f32 v124, v124, v150 :: v_dual_and_b32 v143, 0xffff0000, v39
	s_delay_alu instid0(VALU_DEP_2) | instskip(SKIP_2) | instid1(VALU_DEP_2)
	v_dual_fmac_f32 v146, v147, v28 :: v_dual_lshlrev_b32 v39, 16, v39
	v_fmac_f32_e32 v148, v147, v25
	v_mul_f32_e32 v147, v142, v93
	v_dual_add_f32 v125, v125, v146 :: v_dual_add_f32 v124, v124, v148
	s_delay_alu instid0(VALU_DEP_2) | instskip(SKIP_1) | instid1(VALU_DEP_2)
	v_dual_fmac_f32 v147, v37, v71 :: v_dual_add_f32 v126, v126, v149
	v_mul_f32_e32 v149, v142, v96
	v_add_f32_e32 v117, v117, v147
	v_mul_f32_e32 v147, v145, v97
	s_delay_alu instid0(VALU_DEP_3) | instskip(SKIP_1) | instid1(VALU_DEP_1)
	v_dual_fmac_f32 v149, v37, v64 :: v_dual_mul_f32 v144, v142, v78
	v_mul_f32_e32 v142, v142, v128
	v_fmac_f32_e32 v142, v37, v127
	s_delay_alu instid0(VALU_DEP_1)
	v_add_f32_e32 v118, v118, v142
	v_and_b32_e32 v142, 0xffff0000, v65
	v_and_b32_e32 v146, 0xffff0000, v40
	v_lshlrev_b32_e32 v40, 16, v40
	v_add_f32_e32 v120, v120, v149
	v_dual_mul_f32 v148, v145, v92 :: v_dual_lshlrev_b32 v65, 16, v65
	s_delay_alu instid0(VALU_DEP_4) | instskip(NEXT) | instid1(VALU_DEP_1)
	v_dual_mul_f32 v149, v146, v95 :: v_dual_lshlrev_b32 v38, 16, v38
	v_fmac_f32_e32 v149, v40, v53
	s_delay_alu instid0(VALU_DEP_2) | instskip(NEXT) | instid1(VALU_DEP_1)
	v_dual_fmac_f32 v144, v37, v69 :: v_dual_fmac_f32 v147, v38, v60
	v_add_f32_e32 v122, v122, v144
	s_delay_alu instid0(VALU_DEP_2) | instskip(SKIP_1) | instid1(VALU_DEP_2)
	v_dual_add_f32 v120, v120, v147 :: v_dual_mul_f32 v147, v146, v54
	v_fmac_f32_e32 v148, v38, v61
	v_dual_fmac_f32 v147, v40, v49 :: v_dual_mul_f32 v144, v143, v70
	s_delay_alu instid0(VALU_DEP_2) | instskip(SKIP_1) | instid1(VALU_DEP_3)
	v_add_f32_e32 v122, v122, v148
	v_mul_f32_e32 v148, v146, v72
	v_fmac_f32_e32 v144, v39, v62
	s_delay_alu instid0(VALU_DEP_2) | instskip(NEXT) | instid1(VALU_DEP_2)
	v_fmac_f32_e32 v148, v40, v57
	v_add_f32_e32 v122, v122, v144
	v_mul_f32_e32 v144, v145, v94
	s_delay_alu instid0(VALU_DEP_1) | instskip(NEXT) | instid1(VALU_DEP_1)
	v_fmac_f32_e32 v144, v38, v58
	v_dual_add_f32 v117, v117, v144 :: v_dual_mul_f32 v144, v143, v98
	s_delay_alu instid0(VALU_DEP_1) | instskip(NEXT) | instid1(VALU_DEP_1)
	v_fmac_f32_e32 v144, v39, v99
	v_dual_add_f32 v37, v120, v144 :: v_dual_mul_f32 v120, v145, v129
	v_mul_f32_e32 v145, v142, v135
	s_delay_alu instid0(VALU_DEP_2) | instskip(NEXT) | instid1(VALU_DEP_1)
	v_dual_add_f32 v37, v37, v147 :: v_dual_fmac_f32 v120, v38, v50
	v_dual_fmac_f32 v145, v65, v33 :: v_dual_add_f32 v118, v118, v120
	v_and_b32_e32 v120, 0xffff0000, v66
	v_mul_f32_e32 v38, v143, v55
	s_delay_alu instid0(VALU_DEP_3) | instskip(NEXT) | instid1(VALU_DEP_3)
	v_dual_add_f32 v37, v37, v145 :: v_dual_lshlrev_b32 v66, 16, v66
	v_mul_f32_e32 v144, v120, v132
	s_delay_alu instid0(VALU_DEP_3) | instskip(NEXT) | instid1(VALU_DEP_1)
	v_fmac_f32_e32 v38, v39, v51
	v_add_f32_e32 v38, v118, v38
	v_and_b32_e32 v118, 0xffff0000, v67
	v_dual_add_f32 v122, v122, v148 :: v_dual_lshlrev_b32 v67, 16, v67
	v_mul_f32_e32 v148, v143, v63
	v_mul_f32_e32 v143, v142, v131
	s_delay_alu instid0(VALU_DEP_2) | instskip(NEXT) | instid1(VALU_DEP_2)
	v_dual_fmac_f32 v148, v39, v59 :: v_dual_mul_f32 v39, v146, v73
	v_dual_fmac_f32 v143, v65, v56 :: v_dual_mul_f32 v146, v120, v133
	s_delay_alu instid0(VALU_DEP_2) | instskip(NEXT) | instid1(VALU_DEP_2)
	v_add_f32_e32 v117, v117, v148
	v_dual_fmac_f32 v39, v40, v130 :: v_dual_add_f32 v40, v122, v143
	v_mul_f32_e32 v122, v118, v46
	v_mul_f32_e32 v143, v142, v75
	s_delay_alu instid0(VALU_DEP_3) | instskip(SKIP_4) | instid1(VALU_DEP_2)
	v_dual_add_f32 v117, v117, v149 :: v_dual_add_f32 v38, v38, v39
	v_and_b32_e32 v39, 0xffff0000, v68
	v_lshlrev_b32_e32 v68, 16, v68
	v_fmac_f32_e32 v144, v66, v74
	v_dual_fmac_f32 v122, v67, v45 :: v_dual_fmac_f32 v143, v65, v48
	v_dual_mul_f32 v145, v39, v35 :: v_dual_add_f32 v40, v40, v144
	s_delay_alu instid0(VALU_DEP_2) | instskip(SKIP_1) | instid1(VALU_DEP_3)
	v_dual_mul_f32 v144, v39, v52 :: v_dual_add_f32 v117, v117, v143
	v_mul_f32_e32 v143, v120, v34
	v_add_f32_e32 v40, v40, v122
	s_delay_alu instid0(VALU_DEP_2) | instskip(NEXT) | instid1(VALU_DEP_1)
	v_dual_fmac_f32 v144, v68, v47 :: v_dual_fmac_f32 v143, v66, v30
	v_add_f32_e32 v122, v40, v144
	s_delay_alu instid0(VALU_DEP_2) | instskip(SKIP_2) | instid1(VALU_DEP_2)
	v_dual_mul_f32 v144, v118, v36 :: v_dual_add_f32 v37, v37, v143
	v_dual_mul_f32 v143, v39, v136 :: v_dual_mul_f32 v40, v118, v134
	v_mul_f32_e32 v39, v39, v141
	v_dual_fmac_f32 v144, v67, v31 :: v_dual_fmac_f32 v143, v68, v25
	s_delay_alu instid0(VALU_DEP_1) | instskip(SKIP_1) | instid1(VALU_DEP_1)
	v_dual_fmac_f32 v40, v67, v137 :: v_dual_add_f32 v37, v37, v144
	v_mul_f32_e32 v142, v142, v139
	v_dual_fmac_f32 v142, v65, v138 :: v_dual_mul_f32 v65, v120, v32
	s_delay_alu instid0(VALU_DEP_3) | instskip(NEXT) | instid1(VALU_DEP_1)
	v_dual_add_f32 v120, v37, v143 :: v_dual_mul_f32 v37, v118, v140
	v_dual_add_f32 v38, v38, v142 :: v_dual_fmac_f32 v37, v67, v27
	s_delay_alu instid0(VALU_DEP_3) | instskip(NEXT) | instid1(VALU_DEP_1)
	v_fmac_f32_e32 v65, v66, v26
	v_dual_add_f32 v38, v38, v65 :: v_dual_and_b32 v65, 0xffff0000, v18
	s_delay_alu instid0(VALU_DEP_1) | instskip(NEXT) | instid1(VALU_DEP_2)
	v_dual_add_f32 v37, v38, v37 :: v_dual_lshlrev_b32 v18, 16, v18
	v_mul_f32_e32 v67, v65, v92
	s_delay_alu instid0(VALU_DEP_1) | instskip(SKIP_1) | instid1(VALU_DEP_1)
	v_fmac_f32_e32 v67, v18, v61
	v_fmac_f32_e32 v39, v68, v28
	v_dual_fmac_f32 v145, v68, v29 :: v_dual_add_f32 v118, v37, v39
	v_and_b32_e32 v37, 0xffff0000, v20
	v_lshlrev_b32_e32 v20, 16, v20
	v_fmac_f32_e32 v146, v66, v76
	v_and_b32_e32 v38, 0xffff0000, v19
	v_lshlrev_b32_e32 v19, 16, v19
	s_delay_alu instid0(VALU_DEP_3) | instskip(NEXT) | instid1(VALU_DEP_3)
	v_add_f32_e32 v117, v117, v146
	v_mul_f32_e32 v68, v38, v70
	s_delay_alu instid0(VALU_DEP_2) | instskip(NEXT) | instid1(VALU_DEP_1)
	v_add_f32_e32 v40, v117, v40
	v_dual_fmac_f32 v68, v19, v62 :: v_dual_add_f32 v117, v40, v145
	v_and_b32_e32 v40, 0xffff0000, v17
	s_delay_alu instid0(VALU_DEP_1) | instskip(SKIP_1) | instid1(VALU_DEP_2)
	v_dual_mul_f32 v66, v40, v78 :: v_dual_lshlrev_b32 v17, 16, v17
	v_mul_f32_e32 v39, v40, v93
	v_fmac_f32_e32 v66, v17, v69
	s_delay_alu instid0(VALU_DEP_1) | instskip(NEXT) | instid1(VALU_DEP_1)
	v_dual_fmac_f32 v39, v17, v71 :: v_dual_add_f32 v66, v119, v66
	v_dual_add_f32 v39, v116, v39 :: v_dual_mul_f32 v116, v65, v97
	s_delay_alu instid0(VALU_DEP_2) | instskip(NEXT) | instid1(VALU_DEP_1)
	v_dual_add_f32 v66, v66, v67 :: v_dual_mul_f32 v67, v37, v72
	v_add_f32_e32 v66, v66, v68
	s_delay_alu instid0(VALU_DEP_2) | instskip(NEXT) | instid1(VALU_DEP_4)
	v_dual_mul_f32 v68, v65, v94 :: v_dual_fmac_f32 v67, v20, v57
	v_dual_mul_f32 v65, v65, v129 :: v_dual_fmac_f32 v116, v18, v60
	s_delay_alu instid0(VALU_DEP_2) | instskip(NEXT) | instid1(VALU_DEP_3)
	v_fmac_f32_e32 v68, v18, v58
	v_add_f32_e32 v66, v66, v67
	v_mul_f32_e32 v67, v38, v63
	s_delay_alu instid0(VALU_DEP_4) | instskip(NEXT) | instid1(VALU_DEP_4)
	v_fmac_f32_e32 v65, v18, v50
	v_dual_mul_f32 v18, v38, v55 :: v_dual_add_f32 v39, v39, v68
	s_delay_alu instid0(VALU_DEP_3) | instskip(SKIP_1) | instid1(VALU_DEP_3)
	v_dual_mul_f32 v68, v38, v98 :: v_dual_fmac_f32 v67, v19, v59
	v_lshlrev_b32_e32 v38, 16, v41
	v_fmac_f32_e32 v18, v19, v51
	s_delay_alu instid0(VALU_DEP_3) | instskip(NEXT) | instid1(VALU_DEP_4)
	v_fmac_f32_e32 v68, v19, v99
	v_add_f32_e32 v39, v39, v67
	v_mul_f32_e32 v67, v37, v54
	v_mul_f32_e32 v119, v40, v96
	v_dual_mul_f32 v40, v40, v128 :: v_dual_mul_f32 v19, v37, v73
	s_delay_alu instid0(VALU_DEP_2) | instskip(NEXT) | instid1(VALU_DEP_2)
	v_fmac_f32_e32 v119, v17, v64
	v_fmac_f32_e32 v40, v17, v127
	s_delay_alu instid0(VALU_DEP_2) | instskip(SKIP_2) | instid1(VALU_DEP_3)
	v_add_f32_e32 v113, v113, v119
	v_mul_f32_e32 v119, v37, v95
	v_lshlrev_b32_e32 v37, 16, v42
	v_add_f32_e32 v113, v113, v116
	s_delay_alu instid0(VALU_DEP_1) | instskip(NEXT) | instid1(VALU_DEP_1)
	v_dual_add_f32 v17, v113, v68 :: v_dual_and_b32 v68, 0xffff0000, v41
	v_mul_f32_e32 v41, v68, v131
	v_fmac_f32_e32 v67, v20, v49
	v_fmac_f32_e32 v119, v20, v53
	v_fmac_f32_e32 v19, v20, v130
	s_delay_alu instid0(VALU_DEP_4) | instskip(NEXT) | instid1(VALU_DEP_4)
	v_fmac_f32_e32 v41, v38, v56
	v_add_f32_e32 v17, v17, v67
	v_mul_f32_e32 v67, v68, v135
	s_delay_alu instid0(VALU_DEP_3) | instskip(SKIP_1) | instid1(VALU_DEP_3)
	v_dual_add_f32 v39, v39, v119 :: v_dual_add_f32 v20, v66, v41
	v_lshlrev_b32_e32 v41, 16, v43
	v_dual_fmac_f32 v67, v38, v33 :: v_dual_add_f32 v40, v111, v40
	v_mul_f32_e32 v66, v68, v75
	s_delay_alu instid0(VALU_DEP_2) | instskip(NEXT) | instid1(VALU_DEP_2)
	v_dual_add_f32 v17, v17, v67 :: v_dual_add_f32 v40, v40, v65
	v_dual_fmac_f32 v66, v38, v48 :: v_dual_and_b32 v65, 0xffff0000, v42
	s_delay_alu instid0(VALU_DEP_2) | instskip(NEXT) | instid1(VALU_DEP_2)
	v_add_f32_e32 v18, v40, v18
	v_mul_f32_e32 v42, v65, v132
	s_delay_alu instid0(VALU_DEP_3) | instskip(NEXT) | instid1(VALU_DEP_3)
	v_dual_add_f32 v39, v39, v66 :: v_dual_and_b32 v40, 0xffff0000, v43
	v_add_f32_e32 v18, v18, v19
	s_delay_alu instid0(VALU_DEP_3) | instskip(NEXT) | instid1(VALU_DEP_3)
	v_fmac_f32_e32 v42, v37, v74
	v_mul_f32_e32 v43, v40, v46
	s_delay_alu instid0(VALU_DEP_2) | instskip(NEXT) | instid1(VALU_DEP_2)
	v_dual_add_f32 v20, v20, v42 :: v_dual_and_b32 v19, 0xffff0000, v44
	v_dual_fmac_f32 v43, v41, v45 :: v_dual_lshlrev_b32 v42, 16, v44
	s_delay_alu instid0(VALU_DEP_2) | instskip(NEXT) | instid1(VALU_DEP_2)
	v_mul_f32_e32 v44, v19, v52
	v_dual_add_f32 v20, v20, v43 :: v_dual_mul_f32 v43, v65, v133
	s_delay_alu instid0(VALU_DEP_1) | instskip(NEXT) | instid1(VALU_DEP_1)
	v_dual_fmac_f32 v44, v42, v47 :: v_dual_fmac_f32 v43, v37, v76
	v_add_f32_e32 v119, v20, v44
	v_mul_f32_e32 v20, v40, v134
	v_mul_f32_e32 v44, v19, v35
	s_delay_alu instid0(VALU_DEP_2) | instskip(NEXT) | instid1(VALU_DEP_2)
	v_dual_add_f32 v39, v39, v43 :: v_dual_fmac_f32 v20, v41, v137
	v_fmac_f32_e32 v44, v42, v29
	s_delay_alu instid0(VALU_DEP_2) | instskip(SKIP_2) | instid1(VALU_DEP_3)
	v_add_f32_e32 v20, v39, v20
	v_mul_f32_e32 v39, v19, v136
	v_dual_mul_f32 v19, v19, v141 :: v_dual_mul_f32 v66, v65, v34
	v_add_f32_e32 v116, v20, v44
	v_and_b32_e32 v20, 0xffff0000, v9
	s_delay_alu instid0(VALU_DEP_3) | instskip(SKIP_1) | instid1(VALU_DEP_2)
	v_dual_fmac_f32 v66, v37, v30 :: v_dual_lshlrev_b32 v9, 16, v9
	v_fmac_f32_e32 v39, v42, v25
	v_dual_add_f32 v17, v17, v66 :: v_dual_mul_f32 v66, v68, v139
	s_delay_alu instid0(VALU_DEP_1) | instskip(SKIP_1) | instid1(VALU_DEP_2)
	v_fmac_f32_e32 v66, v38, v138
	v_mul_f32_e32 v38, v65, v32
	v_add_f32_e32 v18, v18, v66
	s_delay_alu instid0(VALU_DEP_2) | instskip(SKIP_1) | instid1(VALU_DEP_2)
	v_fmac_f32_e32 v38, v37, v26
	v_mul_f32_e32 v37, v20, v78
	v_dual_mul_f32 v43, v40, v36 :: v_dual_add_f32 v18, v18, v38
	s_delay_alu instid0(VALU_DEP_1) | instskip(NEXT) | instid1(VALU_DEP_3)
	v_dual_fmac_f32 v43, v41, v31 :: v_dual_and_b32 v38, 0xffff0000, v10
	v_dual_fmac_f32 v37, v9, v69 :: v_dual_lshlrev_b32 v10, 16, v10
	s_delay_alu instid0(VALU_DEP_2) | instskip(NEXT) | instid1(VALU_DEP_2)
	v_add_f32_e32 v17, v17, v43
	v_add_f32_e32 v37, v114, v37
	s_delay_alu instid0(VALU_DEP_2) | instskip(SKIP_2) | instid1(VALU_DEP_2)
	v_add_f32_e32 v113, v17, v39
	v_mul_f32_e32 v17, v40, v140
	v_mul_f32_e32 v39, v38, v92
	v_fmac_f32_e32 v17, v41, v27
	v_fmac_f32_e32 v19, v42, v28
	s_delay_alu instid0(VALU_DEP_3) | instskip(NEXT) | instid1(VALU_DEP_3)
	v_fmac_f32_e32 v39, v10, v61
	v_dual_add_f32 v17, v18, v17 :: v_dual_and_b32 v18, 0xffff0000, v11
	v_lshlrev_b32_e32 v11, 16, v11
	s_delay_alu instid0(VALU_DEP_3) | instskip(NEXT) | instid1(VALU_DEP_3)
	v_add_f32_e32 v37, v37, v39
	v_add_f32_e32 v111, v17, v19
	s_delay_alu instid0(VALU_DEP_4) | instskip(SKIP_1) | instid1(VALU_DEP_2)
	v_dual_mul_f32 v40, v18, v70 :: v_dual_and_b32 v17, 0xffff0000, v12
	v_dual_mul_f32 v19, v20, v93 :: v_dual_lshlrev_b32 v12, 16, v12
	v_dual_mul_f32 v39, v17, v72 :: v_dual_fmac_f32 v40, v11, v62
	s_delay_alu instid0(VALU_DEP_2) | instskip(NEXT) | instid1(VALU_DEP_2)
	v_fmac_f32_e32 v19, v9, v71
	v_fmac_f32_e32 v39, v12, v57
	s_delay_alu instid0(VALU_DEP_3) | instskip(NEXT) | instid1(VALU_DEP_3)
	v_add_f32_e32 v37, v37, v40
	v_add_f32_e32 v19, v112, v19
	v_mul_f32_e32 v40, v20, v96
	s_delay_alu instid0(VALU_DEP_3) | instskip(NEXT) | instid1(VALU_DEP_2)
	v_dual_mul_f32 v20, v20, v128 :: v_dual_add_f32 v37, v37, v39
	v_fmac_f32_e32 v40, v9, v64
	s_delay_alu instid0(VALU_DEP_1) | instskip(SKIP_2) | instid1(VALU_DEP_2)
	v_add_f32_e32 v39, v110, v40
	v_mul_f32_e32 v41, v38, v94
	v_mul_f32_e32 v43, v38, v97
	v_fmac_f32_e32 v41, v10, v58
	s_delay_alu instid0(VALU_DEP_2) | instskip(NEXT) | instid1(VALU_DEP_2)
	v_fmac_f32_e32 v43, v10, v60
	v_dual_mul_f32 v40, v18, v98 :: v_dual_add_f32 v19, v19, v41
	v_mul_f32_e32 v41, v17, v95
	v_mul_f32_e32 v42, v18, v63
	s_delay_alu instid0(VALU_DEP_4) | instskip(SKIP_3) | instid1(VALU_DEP_1)
	v_add_f32_e32 v39, v39, v43
	v_dual_fmac_f32 v20, v9, v127 :: v_dual_mul_f32 v9, v38, v129
	v_and_b32_e32 v38, 0xffff0000, v21
	v_mul_f32_e32 v18, v18, v55
	v_dual_fmac_f32 v9, v10, v50 :: v_dual_fmac_f32 v18, v11, v51
	s_delay_alu instid0(VALU_DEP_3) | instskip(NEXT) | instid1(VALU_DEP_1)
	v_dual_mul_f32 v21, v38, v131 :: v_dual_lshlrev_b32 v10, 16, v21
	v_dual_fmac_f32 v40, v11, v99 :: v_dual_fmac_f32 v21, v10, v56
	s_delay_alu instid0(VALU_DEP_1) | instskip(SKIP_4) | instid1(VALU_DEP_4)
	v_add_f32_e32 v39, v39, v40
	v_add_f32_e32 v20, v115, v20
	v_mul_f32_e32 v40, v17, v54
	v_dual_mul_f32 v17, v17, v73 :: v_dual_fmac_f32 v42, v11, v59
	v_and_b32_e32 v11, 0xffff0000, v23
	v_add_f32_e32 v9, v20, v9
	v_add_f32_e32 v21, v37, v21
	v_lshlrev_b32_e32 v23, 16, v23
	v_add_f32_e32 v19, v19, v42
	v_dual_fmac_f32 v41, v12, v53 :: v_dual_and_b32 v42, 0xffff0000, v22
	v_mul_f32_e32 v37, v11, v46
	v_lshlrev_b32_e32 v20, 16, v22
	v_add_f32_e32 v9, v9, v18
	s_delay_alu instid0(VALU_DEP_4) | instskip(NEXT) | instid1(VALU_DEP_4)
	v_dual_fmac_f32 v17, v12, v130 :: v_dual_mul_f32 v22, v42, v132
	v_fmac_f32_e32 v37, v23, v45
	v_dual_add_f32 v18, v19, v41 :: v_dual_mul_f32 v19, v38, v75
	s_delay_alu instid0(VALU_DEP_3) | instskip(SKIP_1) | instid1(VALU_DEP_2)
	v_dual_add_f32 v9, v9, v17 :: v_dual_fmac_f32 v22, v20, v74
	v_dual_fmac_f32 v40, v12, v49 :: v_dual_and_b32 v17, 0xffff0000, v24
	v_dual_fmac_f32 v19, v10, v48 :: v_dual_add_f32 v12, v21, v22
	s_delay_alu instid0(VALU_DEP_2) | instskip(NEXT) | instid1(VALU_DEP_2)
	v_add_f32_e32 v21, v39, v40
	v_dual_mul_f32 v39, v17, v52 :: v_dual_add_f32 v12, v12, v37
	v_dual_mul_f32 v37, v38, v135 :: v_dual_lshlrev_b32 v24, 16, v24
	s_delay_alu instid0(VALU_DEP_1) | instskip(NEXT) | instid1(VALU_DEP_2)
	v_fmac_f32_e32 v37, v10, v33
	v_dual_mul_f32 v22, v42, v133 :: v_dual_fmac_f32 v39, v24, v47
	v_add_f32_e32 v18, v18, v19
	v_mul_f32_e32 v19, v42, v34
	s_delay_alu instid0(VALU_DEP_3) | instskip(SKIP_1) | instid1(VALU_DEP_3)
	v_dual_add_f32 v21, v21, v37 :: v_dual_fmac_f32 v22, v20, v76
	v_mul_f32_e32 v37, v38, v139
	v_fmac_f32_e32 v19, v20, v30
	s_delay_alu instid0(VALU_DEP_3) | instskip(SKIP_1) | instid1(VALU_DEP_3)
	v_add_f32_e32 v18, v18, v22
	v_mul_f32_e32 v22, v11, v36
	v_dual_mul_f32 v40, v11, v134 :: v_dual_add_f32 v19, v21, v19
	v_mul_f32_e32 v21, v17, v136
	s_delay_alu instid0(VALU_DEP_3) | instskip(NEXT) | instid1(VALU_DEP_3)
	v_dual_fmac_f32 v37, v10, v138 :: v_dual_fmac_f32 v22, v23, v31
	v_fmac_f32_e32 v40, v23, v137
	v_add_f32_e32 v114, v12, v39
	s_delay_alu instid0(VALU_DEP_4) | instskip(NEXT) | instid1(VALU_DEP_3)
	v_dual_mul_f32 v12, v17, v35 :: v_dual_fmac_f32 v21, v24, v25
	v_dual_add_f32 v19, v19, v22 :: v_dual_add_f32 v18, v18, v40
	v_and_b32_e32 v22, 0xffff0000, v5
	s_delay_alu instid0(VALU_DEP_3) | instskip(SKIP_2) | instid1(VALU_DEP_3)
	v_dual_fmac_f32 v12, v24, v29 :: v_dual_mul_f32 v11, v11, v140
	v_lshlrev_b32_e32 v5, 16, v5
	v_add_f32_e32 v9, v9, v37
	v_dual_mul_f32 v17, v17, v141 :: v_dual_add_f32 v112, v18, v12
	s_delay_alu instid0(VALU_DEP_4) | instskip(SKIP_1) | instid1(VALU_DEP_3)
	v_dual_mul_f32 v18, v42, v32 :: v_dual_fmac_f32 v11, v23, v27
	v_and_b32_e32 v12, 0xffff0000, v6
	v_dual_fmac_f32 v17, v24, v28 :: v_dual_lshlrev_b32 v6, 16, v6
	s_delay_alu instid0(VALU_DEP_3) | instskip(SKIP_2) | instid1(VALU_DEP_3)
	v_fmac_f32_e32 v18, v20, v26
	v_and_b32_e32 v20, 0xffff0000, v7
	v_lshlrev_b32_e32 v7, 16, v7
	v_dual_add_f32 v9, v9, v18 :: v_dual_add_f32 v110, v19, v21
	s_delay_alu instid0(VALU_DEP_3) | instskip(SKIP_1) | instid1(VALU_DEP_3)
	v_mul_f32_e32 v21, v20, v70
	v_dual_mul_f32 v19, v12, v92 :: v_dual_mul_f32 v10, v22, v78
	v_dual_mul_f32 v18, v22, v93 :: v_dual_add_f32 v9, v9, v11
	s_delay_alu instid0(VALU_DEP_3) | instskip(NEXT) | instid1(VALU_DEP_3)
	v_fmac_f32_e32 v21, v7, v62
	v_fmac_f32_e32 v19, v6, v61
	s_delay_alu instid0(VALU_DEP_4) | instskip(SKIP_3) | instid1(VALU_DEP_4)
	v_dual_fmac_f32 v10, v5, v69 :: v_dual_and_b32 v11, 0xffff0000, v8
	v_mul_f32_e32 v23, v22, v96
	v_mul_f32_e32 v37, v12, v97
	v_mul_f32_e32 v24, v20, v63
	v_add_f32_e32 v10, v109, v10
	s_delay_alu instid0(VALU_DEP_4) | instskip(NEXT) | instid1(VALU_DEP_3)
	v_dual_mul_f32 v38, v20, v98 :: v_dual_fmac_f32 v23, v5, v64
	v_dual_fmac_f32 v37, v6, v60 :: v_dual_fmac_f32 v24, v7, v59
	s_delay_alu instid0(VALU_DEP_3) | instskip(SKIP_1) | instid1(VALU_DEP_4)
	v_dual_add_f32 v10, v10, v19 :: v_dual_mul_f32 v19, v12, v94
	v_fmac_f32_e32 v18, v5, v71
	v_dual_add_f32 v23, v107, v23 :: v_dual_lshlrev_b32 v8, 16, v8
	v_mul_f32_e32 v22, v22, v128
	s_delay_alu instid0(VALU_DEP_4) | instskip(NEXT) | instid1(VALU_DEP_4)
	v_dual_add_f32 v10, v10, v21 :: v_dual_mul_f32 v21, v11, v72
	v_add_f32_e32 v18, v108, v18
	v_fmac_f32_e32 v19, v6, v58
	s_delay_alu instid0(VALU_DEP_4) | instskip(NEXT) | instid1(VALU_DEP_4)
	v_dual_add_f32 v23, v23, v37 :: v_dual_fmac_f32 v22, v5, v127
	v_fmac_f32_e32 v21, v8, v57
	v_mul_f32_e32 v20, v20, v55
	s_delay_alu instid0(VALU_DEP_4) | instskip(SKIP_1) | instid1(VALU_DEP_4)
	v_add_f32_e32 v18, v18, v19
	v_mul_f32_e32 v19, v11, v95
	v_dual_fmac_f32 v38, v7, v99 :: v_dual_add_f32 v5, v10, v21
	v_mul_f32_e32 v10, v12, v129
	s_delay_alu instid0(VALU_DEP_3) | instskip(SKIP_2) | instid1(VALU_DEP_3)
	v_dual_add_f32 v18, v18, v24 :: v_dual_fmac_f32 v19, v8, v53
	v_and_b32_e32 v21, 0xffff0000, v13
	v_dual_fmac_f32 v20, v7, v51 :: v_dual_lshlrev_b32 v13, 16, v13
	v_dual_mul_f32 v7, v11, v73 :: v_dual_add_f32 v12, v18, v19
	v_add_f32_e32 v19, v106, v22
	v_fmac_f32_e32 v10, v6, v50
	v_add_f32_e32 v18, v23, v38
	s_delay_alu instid0(VALU_DEP_4) | instskip(NEXT) | instid1(VALU_DEP_3)
	v_dual_mul_f32 v22, v21, v131 :: v_dual_fmac_f32 v7, v8, v130
	v_dual_add_f32 v115, v9, v17 :: v_dual_add_f32 v10, v19, v10
	s_delay_alu instid0(VALU_DEP_1)
	v_dual_add_f32 v10, v10, v20 :: v_dual_and_b32 v19, 0xffff0000, v14
	v_mul_f32_e32 v6, v11, v54
	v_lshlrev_b32_e32 v11, 16, v14
	v_and_b32_e32 v20, 0xffff0000, v16
	v_fmac_f32_e32 v22, v13, v56
	v_dual_mul_f32 v14, v19, v132 :: v_dual_add_f32 v7, v10, v7
	v_and_b32_e32 v10, 0xffff0000, v15
	v_lshlrev_b32_e32 v15, 16, v15
	s_delay_alu instid0(VALU_DEP_4) | instskip(NEXT) | instid1(VALU_DEP_4)
	v_add_f32_e32 v5, v5, v22
	v_fmac_f32_e32 v14, v11, v74
	v_fmac_f32_e32 v6, v8, v49
	v_lshlrev_b32_e32 v16, 16, v16
	v_mul_f32_e32 v8, v21, v75
	s_delay_alu instid0(VALU_DEP_4) | instskip(NEXT) | instid1(VALU_DEP_4)
	v_dual_mul_f32 v22, v20, v52 :: v_dual_add_f32 v5, v5, v14
	v_add_f32_e32 v6, v18, v6
	v_mul_f32_e32 v18, v10, v46
	s_delay_alu instid0(VALU_DEP_4) | instskip(NEXT) | instid1(VALU_DEP_4)
	v_fmac_f32_e32 v8, v13, v48
	v_fmac_f32_e32 v22, v16, v47
	s_delay_alu instid0(VALU_DEP_3) | instskip(NEXT) | instid1(VALU_DEP_1)
	v_fmac_f32_e32 v18, v15, v45
	v_dual_add_f32 v8, v12, v8 :: v_dual_add_f32 v5, v5, v18
	v_mul_f32_e32 v14, v19, v133
	v_mul_f32_e32 v18, v21, v139
	s_delay_alu instid0(VALU_DEP_2) | instskip(NEXT) | instid1(VALU_DEP_2)
	v_dual_add_f32 v109, v5, v22 :: v_dual_fmac_f32 v14, v11, v76
	v_fmac_f32_e32 v18, v13, v138
	s_delay_alu instid0(VALU_DEP_2) | instskip(NEXT) | instid1(VALU_DEP_2)
	v_add_f32_e32 v8, v8, v14
	v_dual_mul_f32 v14, v21, v135 :: v_dual_add_f32 v7, v7, v18
	v_mul_f32_e32 v12, v10, v134
	s_delay_alu instid0(VALU_DEP_2) | instskip(NEXT) | instid1(VALU_DEP_2)
	v_dual_fmac_f32 v14, v13, v33 :: v_dual_mul_f32 v13, v19, v32
	v_fmac_f32_e32 v12, v15, v137
	s_delay_alu instid0(VALU_DEP_1) | instskip(SKIP_1) | instid1(VALU_DEP_2)
	v_dual_fmac_f32 v13, v11, v26 :: v_dual_add_f32 v8, v8, v12
	v_mul_f32_e32 v12, v19, v34
	v_dual_add_f32 v7, v7, v13 :: v_dual_add_f32 v6, v6, v14
	s_delay_alu instid0(VALU_DEP_2) | instskip(SKIP_3) | instid1(VALU_DEP_4)
	v_fmac_f32_e32 v12, v11, v30
	v_mul_f32_e32 v14, v10, v36
	v_mul_f32_e32 v10, v10, v140
	;; [unrolled: 1-line block ×3, first 2 shown]
	v_add_f32_e32 v6, v6, v12
	s_delay_alu instid0(VALU_DEP_4) | instskip(NEXT) | instid1(VALU_DEP_3)
	v_fmac_f32_e32 v14, v15, v31
	v_dual_fmac_f32 v10, v15, v27 :: v_dual_fmac_f32 v11, v16, v25
	v_mul_f32_e32 v21, v20, v35
	v_mul_f32_e32 v12, v20, v141
	s_delay_alu instid0(VALU_DEP_4) | instskip(NEXT) | instid1(VALU_DEP_4)
	v_add_f32_e32 v6, v6, v14
	v_add_f32_e32 v7, v7, v10
	s_delay_alu instid0(VALU_DEP_4) | instskip(NEXT) | instid1(VALU_DEP_3)
	v_fmac_f32_e32 v21, v16, v29
	v_dual_fmac_f32 v12, v16, v28 :: v_dual_add_f32 v107, v6, v11
	s_delay_alu instid0(VALU_DEP_2) | instskip(NEXT) | instid1(VALU_DEP_2)
	v_add_f32_e32 v108, v8, v21
	v_add_f32_e32 v106, v7, v12
	s_cbranch_scc1 .LBB306_60
.LBB306_18:                             ;   Parent Loop BB306_13 Depth=1
                                        ; =>  This Inner Loop Header: Depth=2
	v_dual_mov_b32 v24, 0 :: v_dual_add_nc_u32 v93, s1, v0
	v_dual_mov_b32 v23, 0 :: v_dual_mov_b32 v22, 0
	s_waitcnt vmcnt(0)
	v_mov_b32_e32 v21, 0
	s_delay_alu instid0(VALU_DEP_3) | instskip(SKIP_3) | instid1(VALU_DEP_4)
	v_min_u32_e32 v78, s23, v93
	v_add_nc_u32_e32 v92, 0x200, v93
	v_dual_mov_b32 v44, 0 :: v_dual_mov_b32 v43, 0
	v_dual_mov_b32 v42, 0 :: v_dual_mov_b32 v41, 0
	v_lshlrev_b64 v[5:6], 1, v[78:79]
	s_delay_alu instid0(VALU_DEP_4) | instskip(SKIP_3) | instid1(VALU_DEP_4)
	v_min_u32_e32 v78, s23, v92
	v_dual_mov_b32 v68, 0 :: v_dual_mov_b32 v67, 0
	v_dual_mov_b32 v66, 0 :: v_dual_mov_b32 v65, 0
	s_waitcnt lgkmcnt(0)
	v_add_co_u32 v13, vcc_lo, s14, v5
	v_add_co_ci_u32_e32 v14, vcc_lo, s15, v6, vcc_lo
	v_lshlrev_b64 v[5:6], 1, v[78:79]
	s_delay_alu instid0(VALU_DEP_3) | instskip(NEXT) | instid1(VALU_DEP_3)
	v_add_co_u32 v7, vcc_lo, v13, v84
	v_add_co_ci_u32_e32 v8, vcc_lo, v14, v85, vcc_lo
	v_add_co_u32 v9, vcc_lo, v13, v86
	v_add_co_ci_u32_e32 v10, vcc_lo, v14, v87, vcc_lo
	;; [unrolled: 2-line block ×5, first 2 shown]
	s_clause 0x1
	global_load_b128 v[61:64], v[7:8], off slc dlc
	global_load_b128 v[57:60], v[9:10], off slc dlc
	v_add_co_u32 v7, vcc_lo, v15, v84
	v_add_co_ci_u32_e32 v8, vcc_lo, v16, v85, vcc_lo
	v_add_co_u32 v9, vcc_lo, v15, v86
	v_add_co_ci_u32_e32 v10, vcc_lo, v16, v87, vcc_lo
	;; [unrolled: 2-line block ×4, first 2 shown]
	s_clause 0x5
	global_load_b128 v[53:56], v[11:12], off slc dlc
	global_load_b128 v[49:52], v[5:6], off slc dlc
	;; [unrolled: 1-line block ×6, first 2 shown]
	v_mov_b32_e32 v16, 0
	v_cmp_gt_u32_e32 vcc_lo, s8, v93
	v_dual_mov_b32 v15, 0 :: v_dual_mov_b32 v14, 0
	v_dual_mov_b32 v13, 0 :: v_dual_mov_b32 v76, 0
	;; [unrolled: 1-line block ×13, first 2 shown]
	v_mov_b32_e32 v69, 0
	s_and_saveexec_b32 s2, vcc_lo
	s_cbranch_execz .LBB306_17
; %bb.19:                               ;   in Loop: Header=BB306_18 Depth=2
	s_mov_b32 s3, exec_lo
                                        ; implicit-def: $vgpr72
	v_cmpx_lt_u32_e32 0x7fff, v93
	s_xor_b32 s3, exec_lo, s3
	s_cbranch_execz .LBB306_21
; %bb.20:                               ;   in Loop: Header=BB306_18 Depth=2
	v_mov_b32_e32 v94, v79
	s_delay_alu instid0(VALU_DEP_1) | instskip(NEXT) | instid1(VALU_DEP_1)
	v_lshlrev_b64 v[5:6], 1, v[93:94]
	v_add_co_u32 v5, vcc_lo, s12, v5
	s_delay_alu instid0(VALU_DEP_2)
	v_add_co_ci_u32_e32 v6, vcc_lo, s13, v6, vcc_lo
	global_load_b128 v[69:72], v[5:6], off
.LBB306_21:                             ;   in Loop: Header=BB306_18 Depth=2
	s_and_not1_saveexec_b32 s3, s3
	s_cbranch_execz .LBB306_23
; %bb.22:                               ;   in Loop: Header=BB306_18 Depth=2
	s_waitcnt vmcnt(0)
	ds_load_b128 v[69:72], v121
.LBB306_23:                             ;   in Loop: Header=BB306_18 Depth=2
	s_or_b32 exec_lo, exec_lo, s3
	v_add_nc_u32_e32 v78, s1, v101
	s_mov_b32 s3, exec_lo
                                        ; implicit-def: $vgpr40
	s_delay_alu instid0(VALU_DEP_1)
	v_cmpx_lt_u32_e32 0x7fff, v78
	s_xor_b32 s3, exec_lo, s3
	s_cbranch_execz .LBB306_25
; %bb.24:                               ;   in Loop: Header=BB306_18 Depth=2
	v_lshlrev_b64 v[5:6], 1, v[78:79]
	s_delay_alu instid0(VALU_DEP_1) | instskip(NEXT) | instid1(VALU_DEP_2)
	v_add_co_u32 v5, vcc_lo, s12, v5
	v_add_co_ci_u32_e32 v6, vcc_lo, s13, v6, vcc_lo
	global_load_b128 v[37:40], v[5:6], off
.LBB306_25:                             ;   in Loop: Header=BB306_18 Depth=2
	s_and_not1_saveexec_b32 s3, s3
	s_cbranch_execz .LBB306_27
; %bb.26:                               ;   in Loop: Header=BB306_18 Depth=2
	v_add_nc_u32_e32 v5, s26, v121
	s_waitcnt vmcnt(0)
	ds_load_b128 v[37:40], v5
.LBB306_27:                             ;   in Loop: Header=BB306_18 Depth=2
	s_or_b32 exec_lo, exec_lo, s3
	v_add_nc_u32_e32 v98, s1, v102
	s_mov_b32 s3, exec_lo
                                        ; implicit-def: $vgpr20
	s_delay_alu instid0(VALU_DEP_1)
	v_cmpx_lt_u32_e32 0x7fff, v98
	s_xor_b32 s3, exec_lo, s3
	s_cbranch_execz .LBB306_29
; %bb.28:                               ;   in Loop: Header=BB306_18 Depth=2
	v_mov_b32_e32 v99, v79
	s_delay_alu instid0(VALU_DEP_1) | instskip(NEXT) | instid1(VALU_DEP_1)
	v_lshlrev_b64 v[5:6], 1, v[98:99]
	v_add_co_u32 v5, vcc_lo, s12, v5
	s_delay_alu instid0(VALU_DEP_2)
	v_add_co_ci_u32_e32 v6, vcc_lo, s13, v6, vcc_lo
	global_load_b128 v[17:20], v[5:6], off
.LBB306_29:                             ;   in Loop: Header=BB306_18 Depth=2
	s_and_not1_saveexec_b32 s3, s3
	s_cbranch_execz .LBB306_31
; %bb.30:                               ;   in Loop: Header=BB306_18 Depth=2
	v_add_nc_u32_e32 v5, s29, v121
	s_waitcnt vmcnt(0)
	ds_load_2addr_b32 v[17:18], v5 offset1:1
	ds_load_2addr_b32 v[19:20], v5 offset0:2 offset1:3
.LBB306_31:                             ;   in Loop: Header=BB306_18 Depth=2
	s_or_b32 exec_lo, exec_lo, s3
	v_add_nc_u32_e32 v96, s1, v80
	s_mov_b32 s3, exec_lo
                                        ; implicit-def: $vgpr12
	s_delay_alu instid0(VALU_DEP_1)
	v_cmpx_lt_u32_e32 0x7fff, v96
	s_xor_b32 s3, exec_lo, s3
	s_cbranch_execz .LBB306_33
; %bb.32:                               ;   in Loop: Header=BB306_18 Depth=2
	v_mov_b32_e32 v97, v79
	s_delay_alu instid0(VALU_DEP_1) | instskip(NEXT) | instid1(VALU_DEP_1)
	v_lshlrev_b64 v[5:6], 1, v[96:97]
	v_add_co_u32 v5, vcc_lo, s12, v5
	s_delay_alu instid0(VALU_DEP_2)
	v_add_co_ci_u32_e32 v6, vcc_lo, s13, v6, vcc_lo
	global_load_b128 v[9:12], v[5:6], off
.LBB306_33:                             ;   in Loop: Header=BB306_18 Depth=2
	s_and_not1_saveexec_b32 s3, s3
	s_cbranch_execz .LBB306_35
; %bb.34:                               ;   in Loop: Header=BB306_18 Depth=2
	v_add_nc_u32_e32 v5, s33, v121
	s_waitcnt vmcnt(0)
	ds_load_b128 v[9:12], v5
.LBB306_35:                             ;   in Loop: Header=BB306_18 Depth=2
	s_or_b32 exec_lo, exec_lo, s3
	v_add_nc_u32_e32 v94, s1, v105
	s_mov_b32 s3, exec_lo
                                        ; implicit-def: $vgpr8
	s_delay_alu instid0(VALU_DEP_1)
	v_cmpx_lt_u32_e32 0x7fff, v94
	s_xor_b32 s3, exec_lo, s3
	s_cbranch_execz .LBB306_37
; %bb.36:                               ;   in Loop: Header=BB306_18 Depth=2
	v_mov_b32_e32 v95, v79
	s_delay_alu instid0(VALU_DEP_1) | instskip(NEXT) | instid1(VALU_DEP_1)
	v_lshlrev_b64 v[5:6], 1, v[94:95]
	v_add_co_u32 v5, vcc_lo, s12, v5
	s_delay_alu instid0(VALU_DEP_2)
	v_add_co_ci_u32_e32 v6, vcc_lo, s13, v6, vcc_lo
	global_load_b128 v[5:8], v[5:6], off
.LBB306_37:                             ;   in Loop: Header=BB306_18 Depth=2
	s_and_not1_saveexec_b32 s3, s3
	s_cbranch_execz .LBB306_39
; %bb.38:                               ;   in Loop: Header=BB306_18 Depth=2
	s_waitcnt vmcnt(0)
	v_add_nc_u32_e32 v5, s10, v121
	ds_load_2addr_b64 v[5:8], v5 offset1:1
.LBB306_39:                             ;   in Loop: Header=BB306_18 Depth=2
	s_or_b32 exec_lo, exec_lo, s3
	v_cmp_gt_u32_e32 vcc_lo, s8, v92
	v_dual_mov_b32 v16, 0 :: v_dual_mov_b32 v15, 0
	v_dual_mov_b32 v14, 0 :: v_dual_mov_b32 v13, 0
	;; [unrolled: 1-line block ×10, first 2 shown]
	s_and_saveexec_b32 s3, vcc_lo
	s_cbranch_execz .LBB306_16
; %bb.40:                               ;   in Loop: Header=BB306_18 Depth=2
	s_mov_b32 s4, exec_lo
                                        ; implicit-def: $vgpr76
	v_cmpx_lt_u32_e32 0x7fff, v92
	s_xor_b32 s4, exec_lo, s4
	s_cbranch_execz .LBB306_42
; %bb.41:                               ;   in Loop: Header=BB306_18 Depth=2
	v_mov_b32_e32 v93, v79
	s_delay_alu instid0(VALU_DEP_1) | instskip(NEXT) | instid1(VALU_DEP_1)
	v_lshlrev_b64 v[13:14], 1, v[92:93]
	v_add_co_u32 v13, vcc_lo, s12, v13
	s_delay_alu instid0(VALU_DEP_2)
	v_add_co_ci_u32_e32 v14, vcc_lo, s13, v14, vcc_lo
	global_load_b128 v[73:76], v[13:14], off
.LBB306_42:                             ;   in Loop: Header=BB306_18 Depth=2
	s_and_not1_saveexec_b32 s4, s4
	s_cbranch_execz .LBB306_44
; %bb.43:                               ;   in Loop: Header=BB306_18 Depth=2
	s_waitcnt vmcnt(0)
	ds_load_b128 v[73:76], v121 offset:1024
.LBB306_44:                             ;   in Loop: Header=BB306_18 Depth=2
	s_or_b32 exec_lo, exec_lo, s4
	v_add_nc_u32_e32 v78, 0x200, v78
	s_mov_b32 s4, exec_lo
                                        ; implicit-def: $vgpr68
	s_delay_alu instid0(VALU_DEP_1)
	v_cmpx_lt_u32_e32 0x7fff, v78
	s_xor_b32 s4, exec_lo, s4
	s_cbranch_execz .LBB306_46
; %bb.45:                               ;   in Loop: Header=BB306_18 Depth=2
	v_lshlrev_b64 v[13:14], 1, v[78:79]
	s_delay_alu instid0(VALU_DEP_1) | instskip(NEXT) | instid1(VALU_DEP_2)
	v_add_co_u32 v13, vcc_lo, s12, v13
	v_add_co_ci_u32_e32 v14, vcc_lo, s13, v14, vcc_lo
	global_load_b128 v[65:68], v[13:14], off
.LBB306_46:                             ;   in Loop: Header=BB306_18 Depth=2
	s_and_not1_saveexec_b32 s4, s4
	s_cbranch_execz .LBB306_48
; %bb.47:                               ;   in Loop: Header=BB306_18 Depth=2
	v_add_nc_u32_e32 v13, s26, v121
	s_waitcnt vmcnt(0)
	ds_load_b128 v[65:68], v13 offset:1024
.LBB306_48:                             ;   in Loop: Header=BB306_18 Depth=2
	s_or_b32 exec_lo, exec_lo, s4
	v_add_nc_u32_e32 v78, 0x200, v98
	s_mov_b32 s4, exec_lo
                                        ; implicit-def: $vgpr44
	s_delay_alu instid0(VALU_DEP_1)
	v_cmpx_lt_u32_e32 0x7fff, v78
	s_xor_b32 s4, exec_lo, s4
	s_cbranch_execz .LBB306_50
; %bb.49:                               ;   in Loop: Header=BB306_18 Depth=2
	v_lshlrev_b64 v[13:14], 1, v[78:79]
	s_delay_alu instid0(VALU_DEP_1) | instskip(NEXT) | instid1(VALU_DEP_2)
	v_add_co_u32 v13, vcc_lo, s12, v13
	v_add_co_ci_u32_e32 v14, vcc_lo, s13, v14, vcc_lo
	global_load_b128 v[41:44], v[13:14], off
.LBB306_50:                             ;   in Loop: Header=BB306_18 Depth=2
	s_and_not1_saveexec_b32 s4, s4
	s_cbranch_execz .LBB306_52
; %bb.51:                               ;   in Loop: Header=BB306_18 Depth=2
	v_add_nc_u32_e32 v13, s29, v121
	s_delay_alu instid0(VALU_DEP_1)
	v_add_nc_u32_e32 v14, 0x400, v13
	v_add_nc_u32_e32 v13, 0x408, v13
	s_waitcnt vmcnt(0)
	ds_load_2addr_b32 v[41:42], v14 offset1:1
	ds_load_2addr_b32 v[43:44], v13 offset1:1
.LBB306_52:                             ;   in Loop: Header=BB306_18 Depth=2
	s_or_b32 exec_lo, exec_lo, s4
	v_add_nc_u32_e32 v78, 0x200, v96
	s_mov_b32 s4, exec_lo
                                        ; implicit-def: $vgpr24
	s_delay_alu instid0(VALU_DEP_1)
	v_cmpx_lt_u32_e32 0x7fff, v78
	s_xor_b32 s4, exec_lo, s4
	s_cbranch_execz .LBB306_54
; %bb.53:                               ;   in Loop: Header=BB306_18 Depth=2
	v_lshlrev_b64 v[13:14], 1, v[78:79]
	s_delay_alu instid0(VALU_DEP_1) | instskip(NEXT) | instid1(VALU_DEP_2)
	v_add_co_u32 v13, vcc_lo, s12, v13
	v_add_co_ci_u32_e32 v14, vcc_lo, s13, v14, vcc_lo
	global_load_b128 v[21:24], v[13:14], off
.LBB306_54:                             ;   in Loop: Header=BB306_18 Depth=2
	s_and_not1_saveexec_b32 s4, s4
	s_cbranch_execz .LBB306_56
; %bb.55:                               ;   in Loop: Header=BB306_18 Depth=2
	v_add_nc_u32_e32 v13, s33, v121
	s_waitcnt vmcnt(0)
	ds_load_b128 v[21:24], v13 offset:1024
.LBB306_56:                             ;   in Loop: Header=BB306_18 Depth=2
	s_or_b32 exec_lo, exec_lo, s4
	v_add_nc_u32_e32 v78, 0x200, v94
	s_mov_b32 s4, exec_lo
                                        ; implicit-def: $vgpr16
	s_delay_alu instid0(VALU_DEP_1)
	v_cmpx_lt_u32_e32 0x7fff, v78
	s_xor_b32 s4, exec_lo, s4
	s_cbranch_execz .LBB306_58
; %bb.57:                               ;   in Loop: Header=BB306_18 Depth=2
	v_lshlrev_b64 v[13:14], 1, v[78:79]
	s_delay_alu instid0(VALU_DEP_1) | instskip(NEXT) | instid1(VALU_DEP_2)
	v_add_co_u32 v13, vcc_lo, s12, v13
	v_add_co_ci_u32_e32 v14, vcc_lo, s13, v14, vcc_lo
	global_load_b128 v[13:16], v[13:14], off
.LBB306_58:                             ;   in Loop: Header=BB306_18 Depth=2
	s_and_not1_saveexec_b32 s4, s4
	s_cbranch_execz .LBB306_15
; %bb.59:                               ;   in Loop: Header=BB306_18 Depth=2
	s_waitcnt vmcnt(0)
	v_add_nc_u32_e32 v13, s10, v121
	ds_load_2addr_b64 v[13:16], v13 offset0:128 offset1:129
	s_branch .LBB306_15
.LBB306_60:                             ;   in Loop: Header=BB306_13 Depth=1
	s_delay_alu instid0(VALU_DEP_1)
	v_cvt_i32_f32_e32 v5, v123
	s_waitcnt lgkmcnt(0)
	v_cvt_i32_f32_e32 v6, v126
	v_cvt_i32_f32_e32 v7, v124
	;; [unrolled: 1-line block ×4, first 2 shown]
	v_cvt_f32_i32_dpp v5, v5 row_shr:8 row_mask:0xf bank_mask:0xf bound_ctrl:1
	v_cvt_f32_i32_dpp v6, v6 row_shr:8 row_mask:0xf bank_mask:0xf bound_ctrl:1
	;; [unrolled: 1-line block ×5, first 2 shown]
	s_delay_alu instid0(VALU_DEP_4) | instskip(NEXT) | instid1(VALU_DEP_3)
	v_dual_add_f32 v5, v123, v5 :: v_dual_add_f32 v6, v126, v6
	v_dual_add_f32 v7, v124, v7 :: v_dual_add_f32 v8, v125, v8
	s_delay_alu instid0(VALU_DEP_2) | instskip(NEXT) | instid1(VALU_DEP_3)
	v_cvt_i32_f32_e32 v10, v5
	v_cvt_i32_f32_e32 v11, v6
	s_delay_alu instid0(VALU_DEP_3) | instskip(NEXT) | instid1(VALU_DEP_4)
	v_cvt_i32_f32_e32 v12, v7
	v_cvt_i32_f32_e32 v13, v8
	s_delay_alu instid0(VALU_DEP_4) | instskip(NEXT) | instid1(VALU_DEP_4)
	v_cvt_f32_i32_dpp v10, v10 row_shr:4 row_mask:0xf bank_mask:0xf bound_ctrl:1
	v_cvt_f32_i32_dpp v11, v11 row_shr:4 row_mask:0xf bank_mask:0xf bound_ctrl:1
	s_delay_alu instid0(VALU_DEP_4) | instskip(NEXT) | instid1(VALU_DEP_4)
	v_cvt_f32_i32_dpp v12, v12 row_shr:4 row_mask:0xf bank_mask:0xf bound_ctrl:1
	v_cvt_f32_i32_dpp v13, v13 row_shr:4 row_mask:0xf bank_mask:0xf bound_ctrl:1
	s_delay_alu instid0(VALU_DEP_3) | instskip(NEXT) | instid1(VALU_DEP_2)
	v_dual_add_f32 v5, v5, v10 :: v_dual_add_f32 v6, v6, v11
	v_dual_add_f32 v7, v7, v12 :: v_dual_add_f32 v8, v8, v13
	s_delay_alu instid0(VALU_DEP_2) | instskip(NEXT) | instid1(VALU_DEP_3)
	v_cvt_i32_f32_e32 v10, v5
	v_cvt_i32_f32_e32 v11, v6
	s_delay_alu instid0(VALU_DEP_3) | instskip(NEXT) | instid1(VALU_DEP_4)
	v_cvt_i32_f32_e32 v12, v7
	v_cvt_i32_f32_e32 v13, v8
	s_delay_alu instid0(VALU_DEP_4) | instskip(NEXT) | instid1(VALU_DEP_4)
	v_cvt_f32_i32_dpp v10, v10 row_shr:2 row_mask:0xf bank_mask:0xf bound_ctrl:1
	v_cvt_f32_i32_dpp v11, v11 row_shr:2 row_mask:0xf bank_mask:0xf bound_ctrl:1
	s_delay_alu instid0(VALU_DEP_4) | instskip(NEXT) | instid1(VALU_DEP_4)
	v_cvt_f32_i32_dpp v12, v12 row_shr:2 row_mask:0xf bank_mask:0xf bound_ctrl:1
	v_cvt_f32_i32_dpp v13, v13 row_shr:2 row_mask:0xf bank_mask:0xf bound_ctrl:1
	s_delay_alu instid0(VALU_DEP_3) | instskip(NEXT) | instid1(VALU_DEP_2)
	v_dual_add_f32 v5, v5, v10 :: v_dual_add_f32 v6, v6, v11
	v_add_f32_e32 v8, v8, v13
	s_delay_alu instid0(VALU_DEP_2) | instskip(NEXT) | instid1(VALU_DEP_3)
	v_cvt_i32_f32_e32 v10, v5
	v_cvt_i32_f32_e32 v11, v6
	s_delay_alu instid0(VALU_DEP_3) | instskip(NEXT) | instid1(VALU_DEP_3)
	v_cvt_i32_f32_e32 v13, v8
	v_cvt_f32_i32_dpp v10, v10 row_shr:1 row_mask:0xf bank_mask:0xf bound_ctrl:1
	s_delay_alu instid0(VALU_DEP_3) | instskip(SKIP_1) | instid1(VALU_DEP_4)
	v_cvt_f32_i32_dpp v11, v11 row_shr:1 row_mask:0xf bank_mask:0xf bound_ctrl:1
	v_add_f32_e32 v7, v7, v12
	v_cvt_f32_i32_dpp v13, v13 row_shr:1 row_mask:0xf bank_mask:0xf bound_ctrl:1
	s_delay_alu instid0(VALU_DEP_3) | instskip(SKIP_1) | instid1(VALU_DEP_4)
	v_add_f32_e32 v48, v6, v11
	v_cvt_i32_f32_e32 v6, v120
	v_cvt_i32_f32_e32 v12, v7
	s_delay_alu instid0(VALU_DEP_4)
	v_add_f32_e32 v42, v8, v13
	v_cvt_i32_f32_e32 v8, v119
	ds_bpermute_b32 v49, v103, v48
	v_cvt_f32_i32_dpp v6, v6 row_shr:8 row_mask:0xf bank_mask:0xf bound_ctrl:1
	v_add_f32_e32 v9, v122, v9
	v_cvt_f32_i32_dpp v12, v12 row_shr:1 row_mask:0xf bank_mask:0xf bound_ctrl:1
	v_cvt_f32_i32_dpp v8, v8 row_shr:8 row_mask:0xf bank_mask:0xf bound_ctrl:1
	v_add_f32_e32 v51, v5, v10
	v_add_f32_e32 v6, v120, v6
	v_cvt_i32_f32_e32 v14, v9
	v_cvt_i32_f32_e32 v5, v117
	v_add_f32_e32 v8, v119, v8
	ds_bpermute_b32 v52, v103, v51
	v_cvt_i32_f32_e32 v11, v6
	v_cvt_f32_i32_dpp v14, v14 row_shr:4 row_mask:0xf bank_mask:0xf bound_ctrl:1
	v_cvt_f32_i32_dpp v5, v5 row_shr:8 row_mask:0xf bank_mask:0xf bound_ctrl:1
	ds_bpermute_b32 v43, v103, v42
	v_cvt_i32_f32_e32 v13, v8
	v_cvt_f32_i32_dpp v11, v11 row_shr:4 row_mask:0xf bank_mask:0xf bound_ctrl:1
	v_add_f32_e32 v9, v9, v14
	v_add_f32_e32 v45, v7, v12
	v_cvt_i32_f32_e32 v7, v118
	v_cvt_f32_i32_dpp v13, v13 row_shr:4 row_mask:0xf bank_mask:0xf bound_ctrl:1
	v_add_f32_e32 v6, v6, v11
	v_cvt_i32_f32_e32 v14, v9
	ds_bpermute_b32 v46, v103, v45
	v_cvt_f32_i32_dpp v7, v7 row_shr:8 row_mask:0xf bank_mask:0xf bound_ctrl:1
	v_add_f32_e32 v8, v8, v13
	v_cvt_i32_f32_e32 v11, v6
	v_cvt_f32_i32_dpp v14, v14 row_shr:2 row_mask:0xf bank_mask:0xf bound_ctrl:1
	s_delay_alu instid0(VALU_DEP_3) | instskip(NEXT) | instid1(VALU_DEP_3)
	v_cvt_i32_f32_e32 v13, v8
	v_cvt_f32_i32_dpp v11, v11 row_shr:2 row_mask:0xf bank_mask:0xf bound_ctrl:1
	s_delay_alu instid0(VALU_DEP_3) | instskip(SKIP_1) | instid1(VALU_DEP_4)
	v_add_f32_e32 v9, v9, v14
	v_add_f32_e32 v5, v117, v5
	v_cvt_f32_i32_dpp v13, v13 row_shr:2 row_mask:0xf bank_mask:0xf bound_ctrl:1
	s_delay_alu instid0(VALU_DEP_4) | instskip(NEXT) | instid1(VALU_DEP_4)
	v_add_f32_e32 v6, v6, v11
	v_cvt_i32_f32_e32 v14, v9
	v_add_f32_e32 v7, v118, v7
	v_cvt_i32_f32_e32 v10, v5
	;; [unrolled: 2-line block ×3, first 2 shown]
	v_cvt_f32_i32_dpp v14, v14 row_shr:1 row_mask:0xf bank_mask:0xf bound_ctrl:1
	v_cvt_i32_f32_e32 v12, v7
	v_cvt_f32_i32_dpp v10, v10 row_shr:4 row_mask:0xf bank_mask:0xf bound_ctrl:1
	v_cvt_i32_f32_e32 v13, v8
	v_cvt_f32_i32_dpp v11, v11 row_shr:1 row_mask:0xf bank_mask:0xf bound_ctrl:1
	v_add_f32_e32 v37, v9, v14
	v_cvt_f32_i32_dpp v12, v12 row_shr:4 row_mask:0xf bank_mask:0xf bound_ctrl:1
	v_cvt_i32_f32_e32 v9, v116
	v_cvt_f32_i32_dpp v13, v13 row_shr:1 row_mask:0xf bank_mask:0xf bound_ctrl:1
	v_add_f32_e32 v35, v6, v11
	v_cvt_i32_f32_e32 v6, v111
	v_add_f32_e32 v7, v7, v12
	v_cvt_f32_i32_dpp v9, v9 row_shr:8 row_mask:0xf bank_mask:0xf bound_ctrl:1
	ds_bpermute_b32 v38, v103, v37
	v_add_f32_e32 v29, v8, v13
	v_cvt_f32_i32_dpp v6, v6 row_shr:8 row_mask:0xf bank_mask:0xf bound_ctrl:1
	v_cvt_i32_f32_e32 v12, v7
	v_cvt_i32_f32_e32 v8, v112
	s_delay_alu instid0(VALU_DEP_3) | instskip(SKIP_4) | instid1(VALU_DEP_3)
	v_add_f32_e32 v6, v111, v6
	ds_bpermute_b32 v36, v103, v35
	v_cvt_f32_i32_dpp v12, v12 row_shr:2 row_mask:0xf bank_mask:0xf bound_ctrl:1
	v_cvt_f32_i32_dpp v8, v8 row_shr:8 row_mask:0xf bank_mask:0xf bound_ctrl:1
	v_cvt_i32_f32_e32 v11, v6
	v_add_f32_e32 v7, v7, v12
	s_delay_alu instid0(VALU_DEP_3) | instskip(NEXT) | instid1(VALU_DEP_3)
	v_add_f32_e32 v8, v112, v8
	v_cvt_f32_i32_dpp v11, v11 row_shr:4 row_mask:0xf bank_mask:0xf bound_ctrl:1
	s_delay_alu instid0(VALU_DEP_3) | instskip(NEXT) | instid1(VALU_DEP_3)
	v_cvt_i32_f32_e32 v12, v7
	v_cvt_i32_f32_e32 v13, v8
	s_delay_alu instid0(VALU_DEP_3) | instskip(NEXT) | instid1(VALU_DEP_3)
	v_add_f32_e32 v6, v6, v11
	v_cvt_f32_i32_dpp v12, v12 row_shr:1 row_mask:0xf bank_mask:0xf bound_ctrl:1
	v_add_f32_e32 v5, v5, v10
	s_delay_alu instid0(VALU_DEP_4) | instskip(NEXT) | instid1(VALU_DEP_4)
	v_cvt_f32_i32_dpp v13, v13 row_shr:4 row_mask:0xf bank_mask:0xf bound_ctrl:1
	v_cvt_i32_f32_e32 v11, v6
	s_delay_alu instid0(VALU_DEP_4) | instskip(NEXT) | instid1(VALU_DEP_4)
	v_add_f32_e32 v32, v7, v12
	v_cvt_i32_f32_e32 v10, v5
	v_cvt_i32_f32_e32 v7, v114
	s_delay_alu instid0(VALU_DEP_4)
	v_cvt_f32_i32_dpp v11, v11 row_shr:2 row_mask:0xf bank_mask:0xf bound_ctrl:1
	v_add_f32_e32 v8, v8, v13
	ds_bpermute_b32 v33, v103, v32
	v_cvt_f32_i32_dpp v10, v10 row_shr:2 row_mask:0xf bank_mask:0xf bound_ctrl:1
	v_cvt_f32_i32_dpp v7, v7 row_shr:8 row_mask:0xf bank_mask:0xf bound_ctrl:1
	v_add_f32_e32 v6, v6, v11
	v_cvt_i32_f32_e32 v13, v8
	s_delay_alu instid0(VALU_DEP_4) | instskip(NEXT) | instid1(VALU_DEP_3)
	v_add_f32_e32 v5, v5, v10
	v_cvt_i32_f32_e32 v11, v6
	s_delay_alu instid0(VALU_DEP_3) | instskip(SKIP_1) | instid1(VALU_DEP_4)
	v_cvt_f32_i32_dpp v13, v13 row_shr:2 row_mask:0xf bank_mask:0xf bound_ctrl:1
	v_add_f32_e32 v7, v114, v7
	v_cvt_i32_f32_e32 v10, v5
	s_delay_alu instid0(VALU_DEP_4) | instskip(NEXT) | instid1(VALU_DEP_4)
	v_cvt_f32_i32_dpp v11, v11 row_shr:1 row_mask:0xf bank_mask:0xf bound_ctrl:1
	v_add_f32_e32 v8, v8, v13
	s_delay_alu instid0(VALU_DEP_4) | instskip(NEXT) | instid1(VALU_DEP_4)
	v_cvt_i32_f32_e32 v12, v7
	v_cvt_f32_i32_dpp v10, v10 row_shr:1 row_mask:0xf bank_mask:0xf bound_ctrl:1
	s_delay_alu instid0(VALU_DEP_4)
	v_dual_add_f32 v9, v116, v9 :: v_dual_add_f32 v22, v6, v11
	v_cvt_i32_f32_e32 v6, v109
	ds_bpermute_b32 v30, v103, v29
	v_add_f32_e32 v40, v5, v10
	v_cvt_i32_f32_e32 v14, v9
	v_cvt_i32_f32_e32 v5, v113
	;; [unrolled: 1-line block ×3, first 2 shown]
	v_cvt_f32_i32_dpp v6, v6 row_shr:8 row_mask:0xf bank_mask:0xf bound_ctrl:1
	v_cvt_f32_i32_dpp v12, v12 row_shr:4 row_mask:0xf bank_mask:0xf bound_ctrl:1
	v_cvt_f32_i32_dpp v14, v14 row_shr:4 row_mask:0xf bank_mask:0xf bound_ctrl:1
	v_cvt_f32_i32_dpp v5, v5 row_shr:8 row_mask:0xf bank_mask:0xf bound_ctrl:1
	ds_bpermute_b32 v41, v103, v40
	ds_bpermute_b32 v23, v103, v22
	v_cvt_f32_i32_dpp v13, v13 row_shr:1 row_mask:0xf bank_mask:0xf bound_ctrl:1
	v_add_f32_e32 v9, v9, v14
	s_delay_alu instid0(VALU_DEP_2) | instskip(NEXT) | instid1(VALU_DEP_2)
	v_dual_add_f32 v6, v109, v6 :: v_dual_add_f32 v17, v8, v13
	v_cvt_i32_f32_e32 v14, v9
	v_cvt_i32_f32_e32 v8, v107
	s_delay_alu instid0(VALU_DEP_3) | instskip(NEXT) | instid1(VALU_DEP_3)
	v_cvt_i32_f32_e32 v11, v6
	v_cvt_f32_i32_dpp v14, v14 row_shr:2 row_mask:0xf bank_mask:0xf bound_ctrl:1
	s_delay_alu instid0(VALU_DEP_3) | instskip(SKIP_1) | instid1(VALU_DEP_4)
	v_cvt_f32_i32_dpp v8, v8 row_shr:8 row_mask:0xf bank_mask:0xf bound_ctrl:1
	v_add_f32_e32 v5, v113, v5
	v_cvt_f32_i32_dpp v11, v11 row_shr:4 row_mask:0xf bank_mask:0xf bound_ctrl:1
	s_delay_alu instid0(VALU_DEP_3) | instskip(NEXT) | instid1(VALU_DEP_3)
	v_dual_add_f32 v9, v9, v14 :: v_dual_add_f32 v8, v107, v8
	v_cvt_i32_f32_e32 v10, v5
	s_delay_alu instid0(VALU_DEP_3) | instskip(NEXT) | instid1(VALU_DEP_3)
	v_add_f32_e32 v6, v6, v11
	v_cvt_i32_f32_e32 v14, v9
	s_delay_alu instid0(VALU_DEP_4) | instskip(NEXT) | instid1(VALU_DEP_4)
	v_cvt_i32_f32_e32 v15, v8
	v_cvt_f32_i32_dpp v10, v10 row_shr:4 row_mask:0xf bank_mask:0xf bound_ctrl:1
	s_delay_alu instid0(VALU_DEP_4) | instskip(NEXT) | instid1(VALU_DEP_4)
	v_cvt_i32_f32_e32 v11, v6
	v_cvt_f32_i32_dpp v14, v14 row_shr:1 row_mask:0xf bank_mask:0xf bound_ctrl:1
	s_delay_alu instid0(VALU_DEP_4) | instskip(NEXT) | instid1(VALU_DEP_4)
	v_cvt_f32_i32_dpp v15, v15 row_shr:4 row_mask:0xf bank_mask:0xf bound_ctrl:1
	v_add_f32_e32 v5, v5, v10
	v_add_f32_e32 v7, v7, v12
	v_cvt_f32_i32_dpp v11, v11 row_shr:2 row_mask:0xf bank_mask:0xf bound_ctrl:1
	v_add_f32_e32 v24, v9, v14
	v_add_f32_e32 v8, v8, v15
	v_cvt_i32_f32_e32 v9, v110
	v_cvt_i32_f32_e32 v10, v5
	;; [unrolled: 1-line block ×3, first 2 shown]
	ds_bpermute_b32 v25, v103, v24
	v_cvt_i32_f32_e32 v15, v8
	v_cvt_f32_i32_dpp v9, v9 row_shr:8 row_mask:0xf bank_mask:0xf bound_ctrl:1
	v_cvt_f32_i32_dpp v10, v10 row_shr:2 row_mask:0xf bank_mask:0xf bound_ctrl:1
	;; [unrolled: 1-line block ×3, first 2 shown]
	v_add_f32_e32 v6, v6, v11
	v_cvt_f32_i32_dpp v15, v15 row_shr:2 row_mask:0xf bank_mask:0xf bound_ctrl:1
	v_add_f32_e32 v9, v110, v9
	v_add_f32_e32 v5, v5, v10
	;; [unrolled: 1-line block ×3, first 2 shown]
	v_cvt_i32_f32_e32 v11, v6
	v_add_f32_e32 v8, v8, v15
	v_cvt_i32_f32_e32 v14, v9
	v_cvt_i32_f32_e32 v10, v5
	;; [unrolled: 1-line block ×3, first 2 shown]
	v_cvt_f32_i32_dpp v11, v11 row_shr:1 row_mask:0xf bank_mask:0xf bound_ctrl:1
	v_cvt_i32_f32_e32 v15, v8
	v_cvt_f32_i32_dpp v14, v14 row_shr:4 row_mask:0xf bank_mask:0xf bound_ctrl:1
	v_cvt_f32_i32_dpp v10, v10 row_shr:1 row_mask:0xf bank_mask:0xf bound_ctrl:1
	;; [unrolled: 1-line block ×3, first 2 shown]
	v_add_f32_e32 v11, v6, v11
	s_waitcnt vmcnt(0)
	v_cvt_f32_i32_dpp v21, v15 row_shr:1 row_mask:0xf bank_mask:0xf bound_ctrl:1
	v_add_f32_e32 v9, v9, v14
	v_add_f32_e32 v27, v5, v10
	;; [unrolled: 1-line block ×3, first 2 shown]
	v_cvt_i32_f32_e32 v5, v115
	v_cvt_i32_f32_e32 v7, v108
	;; [unrolled: 1-line block ×3, first 2 shown]
	ds_bpermute_b32 v28, v103, v27
	ds_bpermute_b32 v20, v103, v19
	v_cvt_f32_i32_dpp v5, v5 row_shr:8 row_mask:0xf bank_mask:0xf bound_ctrl:1
	v_cvt_f32_i32_dpp v7, v7 row_shr:8 row_mask:0xf bank_mask:0xf bound_ctrl:1
	;; [unrolled: 1-line block ×3, first 2 shown]
	s_delay_alu instid0(VALU_DEP_3) | instskip(NEXT) | instid1(VALU_DEP_3)
	v_add_f32_e32 v5, v115, v5
	v_add_f32_e32 v7, v108, v7
	s_delay_alu instid0(VALU_DEP_3) | instskip(NEXT) | instid1(VALU_DEP_3)
	v_add_f32_e32 v9, v9, v14
	v_cvt_i32_f32_e32 v10, v5
	s_delay_alu instid0(VALU_DEP_3) | instskip(NEXT) | instid1(VALU_DEP_3)
	v_cvt_i32_f32_e32 v12, v7
	v_cvt_i32_f32_e32 v14, v9
	s_delay_alu instid0(VALU_DEP_3) | instskip(NEXT) | instid1(VALU_DEP_3)
	v_cvt_f32_i32_dpp v10, v10 row_shr:4 row_mask:0xf bank_mask:0xf bound_ctrl:1
	v_cvt_f32_i32_dpp v12, v12 row_shr:4 row_mask:0xf bank_mask:0xf bound_ctrl:1
	s_delay_alu instid0(VALU_DEP_3) | instskip(NEXT) | instid1(VALU_DEP_3)
	v_cvt_f32_i32_dpp v14, v14 row_shr:1 row_mask:0xf bank_mask:0xf bound_ctrl:1
	v_add_f32_e32 v5, v5, v10
	s_delay_alu instid0(VALU_DEP_3) | instskip(NEXT) | instid1(VALU_DEP_3)
	v_add_f32_e32 v7, v7, v12
	v_add_f32_e32 v13, v9, v14
	v_cvt_i32_f32_e32 v9, v106
	s_delay_alu instid0(VALU_DEP_4) | instskip(NEXT) | instid1(VALU_DEP_4)
	v_cvt_i32_f32_e32 v10, v5
	v_cvt_i32_f32_e32 v12, v7
	ds_bpermute_b32 v14, v103, v13
	v_cvt_f32_i32_dpp v9, v9 row_shr:8 row_mask:0xf bank_mask:0xf bound_ctrl:1
	v_cvt_f32_i32_dpp v10, v10 row_shr:2 row_mask:0xf bank_mask:0xf bound_ctrl:1
	;; [unrolled: 1-line block ×3, first 2 shown]
	s_delay_alu instid0(VALU_DEP_3) | instskip(NEXT) | instid1(VALU_DEP_3)
	v_add_f32_e32 v9, v106, v9
	v_add_f32_e32 v5, v5, v10
	s_delay_alu instid0(VALU_DEP_3) | instskip(NEXT) | instid1(VALU_DEP_3)
	v_add_f32_e32 v7, v7, v12
	v_cvt_i32_f32_e32 v16, v9
	s_delay_alu instid0(VALU_DEP_2) | instskip(NEXT) | instid1(VALU_DEP_2)
	v_cvt_i32_f32_e32 v12, v7
	v_cvt_f32_i32_dpp v16, v16 row_shr:4 row_mask:0xf bank_mask:0xf bound_ctrl:1
	s_delay_alu instid0(VALU_DEP_2) | instskip(NEXT) | instid1(VALU_DEP_2)
	v_cvt_f32_i32_dpp v12, v12 row_shr:1 row_mask:0xf bank_mask:0xf bound_ctrl:1
	v_add_f32_e32 v9, v9, v16
	s_delay_alu instid0(VALU_DEP_1) | instskip(NEXT) | instid1(VALU_DEP_1)
	v_cvt_i32_f32_e32 v16, v9
	v_cvt_f32_i32_dpp v16, v16 row_shr:2 row_mask:0xf bank_mask:0xf bound_ctrl:1
	s_delay_alu instid0(VALU_DEP_1) | instskip(SKIP_4) | instid1(VALU_DEP_2)
	v_add_f32_e32 v10, v9, v16
	v_cvt_i32_f32_e32 v9, v5
	ds_bpermute_b32 v18, v103, v17
	v_cvt_i32_f32_e32 v16, v10
	v_cvt_f32_i32_dpp v9, v9 row_shr:1 row_mask:0xf bank_mask:0xf bound_ctrl:1
	v_cvt_f32_i32_dpp v16, v16 row_shr:1 row_mask:0xf bank_mask:0xf bound_ctrl:1
	s_delay_alu instid0(VALU_DEP_2)
	v_add_f32_e32 v15, v5, v9
	v_add_f32_e32 v9, v7, v12
	;; [unrolled: 1-line block ×3, first 2 shown]
	ds_bpermute_b32 v12, v103, v11
	v_add_f32_e32 v5, v10, v16
	ds_bpermute_b32 v16, v103, v15
	ds_bpermute_b32 v10, v103, v9
	;; [unrolled: 1-line block ×4, first 2 shown]
	s_and_saveexec_b32 s5, s0
	s_cbranch_execz .LBB306_183
; %bb.61:                               ;   in Loop: Header=BB306_13 Depth=1
	v_dual_mov_b32 v64, 0 :: v_dual_mov_b32 v63, 0
	v_dual_mov_b32 v62, 0 :: v_dual_mov_b32 v61, 0
	;; [unrolled: 1-line block ×10, first 2 shown]
	s_and_not1_b32 vcc_lo, exec_lo, s25
	s_cbranch_vccnz .LBB306_63
; %bb.62:                               ;   in Loop: Header=BB306_13 Depth=1
	v_mul_hi_u32 v21, v77, v104
	v_mul_hi_u32 v26, v83, v104
	;; [unrolled: 1-line block ×4, first 2 shown]
	v_mov_b32_e32 v67, v79
	v_mov_b32_e32 v89, v79
	;; [unrolled: 1-line block ×3, first 2 shown]
	v_mul_lo_u32 v21, v21, s16
	v_mul_lo_u32 v26, v26, s16
	;; [unrolled: 1-line block ×4, first 2 shown]
	s_delay_alu instid0(VALU_DEP_4) | instskip(NEXT) | instid1(VALU_DEP_4)
	v_sub_nc_u32_e32 v21, v77, v21
	v_sub_nc_u32_e32 v26, v83, v26
	s_delay_alu instid0(VALU_DEP_4) | instskip(NEXT) | instid1(VALU_DEP_4)
	v_sub_nc_u32_e32 v31, v82, v31
	v_sub_nc_u32_e32 v34, v81, v34
	s_delay_alu instid0(VALU_DEP_4)
	v_subrev_nc_u32_e32 v39, s16, v21
	v_cmp_le_u32_e32 vcc_lo, s16, v21
	v_mov_b32_e32 v54, v79
	v_subrev_nc_u32_e32 v44, s16, v26
	v_subrev_nc_u32_e32 v47, s16, v31
	;; [unrolled: 1-line block ×3, first 2 shown]
	v_cndmask_b32_e32 v21, v21, v39, vcc_lo
	v_cmp_le_u32_e32 vcc_lo, s16, v26
	v_mov_b32_e32 v57, v79
	s_delay_alu instid0(VALU_DEP_3) | instskip(SKIP_2) | instid1(VALU_DEP_2)
	v_subrev_nc_u32_e32 v39, s16, v21
	v_cndmask_b32_e32 v26, v26, v44, vcc_lo
	v_cmp_le_u32_e32 vcc_lo, s16, v31
	v_subrev_nc_u32_e32 v44, s16, v26
	v_cndmask_b32_e32 v31, v31, v47, vcc_lo
	v_cmp_le_u32_e32 vcc_lo, s16, v34
	v_cndmask_b32_e32 v34, v34, v50, vcc_lo
	v_cmp_le_u32_e32 vcc_lo, s16, v21
	v_mov_b32_e32 v59, v79
	v_subrev_nc_u32_e32 v47, s16, v31
	s_delay_alu instid0(VALU_DEP_4) | instskip(SKIP_2) | instid1(VALU_DEP_2)
	v_subrev_nc_u32_e32 v50, s16, v34
	v_cndmask_b32_e32 v78, v21, v39, vcc_lo
	v_cmp_le_u32_e32 vcc_lo, s16, v26
	v_lshlrev_b64 v[60:61], 1, v[78:79]
	v_cndmask_b32_e32 v53, v26, v44, vcc_lo
	v_cmp_le_u32_e32 vcc_lo, s16, v31
	v_add_nc_u32_e32 v66, s27, v78
	v_cndmask_b32_e32 v56, v31, v47, vcc_lo
	v_cmp_le_u32_e32 vcc_lo, s16, v34
	v_lshlrev_b64 v[54:55], 1, v[53:54]
	v_add_nc_u32_e32 v88, s28, v53
	s_delay_alu instid0(VALU_DEP_4)
	v_lshlrev_b64 v[62:63], 1, v[56:57]
	v_cndmask_b32_e32 v58, v34, v50, vcc_lo
	v_add_co_u32 v60, vcc_lo, s6, v60
	v_add_co_ci_u32_e32 v61, vcc_lo, s7, v61, vcc_lo
	v_add_co_u32 v54, vcc_lo, s6, v54
	v_add_co_ci_u32_e32 v55, vcc_lo, s7, v55, vcc_lo
	v_lshlrev_b64 v[64:65], 1, v[58:59]
	v_add_co_u32 v68, vcc_lo, s6, v62
	v_add_co_ci_u32_e32 v69, vcc_lo, s7, v63, vcc_lo
	v_lshlrev_b64 v[62:63], 1, v[66:67]
	v_add_nc_u32_e32 v66, s27, v53
	v_add_co_u32 v70, vcc_lo, s6, v64
	v_add_co_ci_u32_e32 v71, vcc_lo, s7, v65, vcc_lo
	s_delay_alu instid0(VALU_DEP_3) | instskip(SKIP_3) | instid1(VALU_DEP_3)
	v_lshlrev_b64 v[64:65], 1, v[66:67]
	v_add_nc_u32_e32 v66, s27, v56
	v_add_co_u32 v72, vcc_lo, s6, v62
	v_add_co_ci_u32_e32 v73, vcc_lo, s7, v63, vcc_lo
	v_lshlrev_b64 v[62:63], 1, v[66:67]
	v_add_nc_u32_e32 v66, s27, v58
	v_add_co_u32 v74, vcc_lo, s6, v64
	v_add_co_ci_u32_e32 v75, vcc_lo, s7, v65, vcc_lo
	s_delay_alu instid0(VALU_DEP_3) | instskip(SKIP_3) | instid1(VALU_DEP_4)
	v_lshlrev_b64 v[64:65], 1, v[66:67]
	v_add_co_u32 v66, vcc_lo, s6, v62
	v_add_co_ci_u32_e32 v67, vcc_lo, s7, v63, vcc_lo
	v_dual_mov_b32 v63, v79 :: v_dual_add_nc_u32 v62, s28, v78
	v_add_co_u32 v84, vcc_lo, s6, v64
	v_add_co_ci_u32_e32 v85, vcc_lo, s7, v65, vcc_lo
	s_delay_alu instid0(VALU_DEP_3)
	v_lshlrev_b64 v[86:87], 1, v[62:63]
	s_clause 0x7
	global_load_u16 v64, v[60:61], off
	global_load_u16 v63, v[54:55], off
	;; [unrolled: 1-line block ×8, first 2 shown]
	v_dual_mov_b32 v68, v79 :: v_dual_add_nc_u32 v67, s28, v56
	v_lshlrev_b64 v[65:66], 1, v[88:89]
	v_dual_mov_b32 v72, v79 :: v_dual_add_nc_u32 v71, s28, v58
	v_add_co_u32 v69, vcc_lo, s6, v86
	s_delay_alu instid0(VALU_DEP_4)
	v_lshlrev_b64 v[67:68], 1, v[67:68]
	v_dual_mov_b32 v74, v79 :: v_dual_add_nc_u32 v73, s30, v78
	v_add_co_ci_u32_e32 v70, vcc_lo, s7, v87, vcc_lo
	v_add_co_u32 v65, vcc_lo, s6, v65
	v_lshlrev_b64 v[71:72], 1, v[71:72]
	v_add_nc_u32_e32 v75, s30, v53
	v_add_co_ci_u32_e32 v66, vcc_lo, s7, v66, vcc_lo
	v_add_co_u32 v67, vcc_lo, s6, v67
	v_lshlrev_b64 v[73:74], 1, v[73:74]
	v_dual_mov_b32 v85, v79 :: v_dual_add_nc_u32 v84, s30, v56
	v_add_co_ci_u32_e32 v68, vcc_lo, s7, v68, vcc_lo
	v_add_co_u32 v71, vcc_lo, s6, v71
	v_lshlrev_b64 v[75:76], 1, v[75:76]
	v_add_nc_u32_e32 v78, s31, v78
	v_dual_mov_b32 v87, v79 :: v_dual_add_nc_u32 v86, s30, v58
	v_add_co_ci_u32_e32 v72, vcc_lo, s7, v72, vcc_lo
	v_add_co_u32 v73, vcc_lo, s6, v73
	v_lshlrev_b64 v[84:85], 1, v[84:85]
	v_add_co_ci_u32_e32 v74, vcc_lo, s7, v74, vcc_lo
	v_lshlrev_b64 v[88:89], 1, v[78:79]
	v_add_nc_u32_e32 v78, s31, v53
	v_add_co_u32 v75, vcc_lo, s6, v75
	v_lshlrev_b64 v[86:87], 1, v[86:87]
	v_add_co_ci_u32_e32 v76, vcc_lo, s7, v76, vcc_lo
	v_add_co_u32 v84, vcc_lo, s6, v84
	v_lshlrev_b64 v[53:54], 1, v[78:79]
	v_add_nc_u32_e32 v78, s31, v56
	v_add_co_ci_u32_e32 v85, vcc_lo, s7, v85, vcc_lo
	v_add_co_u32 v86, vcc_lo, s6, v86
	v_add_co_ci_u32_e32 v87, vcc_lo, s7, v87, vcc_lo
	v_add_co_u32 v88, vcc_lo, s6, v88
	v_lshlrev_b64 v[90:91], 1, v[78:79]
	v_add_nc_u32_e32 v78, s31, v58
	v_add_co_ci_u32_e32 v89, vcc_lo, s7, v89, vcc_lo
	v_add_co_u32 v92, vcc_lo, s6, v53
	v_add_co_ci_u32_e32 v93, vcc_lo, s7, v54, vcc_lo
	s_delay_alu instid0(VALU_DEP_4) | instskip(SKIP_2) | instid1(VALU_DEP_3)
	v_lshlrev_b64 v[53:54], 1, v[78:79]
	v_add_co_u32 v90, vcc_lo, s6, v90
	v_add_co_ci_u32_e32 v91, vcc_lo, s7, v91, vcc_lo
	v_add_co_u32 v94, vcc_lo, s6, v53
	s_delay_alu instid0(VALU_DEP_4)
	v_add_co_ci_u32_e32 v95, vcc_lo, s7, v54, vcc_lo
	s_clause 0xb
	global_load_u16 v58, v[69:70], off
	global_load_u16 v56, v[65:66], off
	;; [unrolled: 1-line block ×12, first 2 shown]
.LBB306_63:                             ;   in Loop: Header=BB306_13 Depth=1
	v_cmp_ne_u32_e32 vcc_lo, 0, v1
	s_and_saveexec_b32 s2, vcc_lo
	s_cbranch_execnz .LBB306_83
; %bb.64:                               ;   in Loop: Header=BB306_13 Depth=1
	s_or_b32 exec_lo, exec_lo, s2
	v_cmp_ne_u32_e64 s1, 0, v2
	s_delay_alu instid0(VALU_DEP_1)
	s_and_saveexec_b32 s3, s1
	s_cbranch_execnz .LBB306_88
.LBB306_65:                             ;   in Loop: Header=BB306_13 Depth=1
	s_or_b32 exec_lo, exec_lo, s3
	v_cmp_ne_u32_e64 s2, 0, v3
	s_delay_alu instid0(VALU_DEP_1)
	s_and_saveexec_b32 s4, s2
	s_cbranch_execnz .LBB306_93
.LBB306_66:                             ;   in Loop: Header=BB306_13 Depth=1
	s_or_b32 exec_lo, exec_lo, s4
	v_cmp_ne_u32_e64 s3, 0, v4
	s_delay_alu instid0(VALU_DEP_1)
	s_and_saveexec_b32 s34, s3
	s_cbranch_execnz .LBB306_98
.LBB306_67:                             ;   in Loop: Header=BB306_13 Depth=1
	s_or_b32 exec_lo, exec_lo, s34
	v_add_nc_u32_e32 v78, s11, v77
	s_and_saveexec_b32 s34, vcc_lo
	s_cbranch_execnz .LBB306_103
.LBB306_68:                             ;   in Loop: Header=BB306_13 Depth=1
	s_or_b32 exec_lo, exec_lo, s34
	s_and_saveexec_b32 s34, s1
	s_cbranch_execnz .LBB306_108
.LBB306_69:                             ;   in Loop: Header=BB306_13 Depth=1
	s_or_b32 exec_lo, exec_lo, s34
	s_and_saveexec_b32 s34, s2
	s_cbranch_execnz .LBB306_113
.LBB306_70:                             ;   in Loop: Header=BB306_13 Depth=1
	s_or_b32 exec_lo, exec_lo, s34
	s_and_saveexec_b32 s34, s3
	s_cbranch_execnz .LBB306_118
.LBB306_71:                             ;   in Loop: Header=BB306_13 Depth=1
	s_or_b32 exec_lo, exec_lo, s34
	v_add_nc_u32_e32 v78, s11, v78
	s_and_saveexec_b32 s34, vcc_lo
	s_cbranch_execnz .LBB306_123
.LBB306_72:                             ;   in Loop: Header=BB306_13 Depth=1
	s_or_b32 exec_lo, exec_lo, s34
	s_and_saveexec_b32 s34, s1
	s_cbranch_execnz .LBB306_128
.LBB306_73:                             ;   in Loop: Header=BB306_13 Depth=1
	s_or_b32 exec_lo, exec_lo, s34
	s_and_saveexec_b32 s34, s2
	s_cbranch_execnz .LBB306_133
.LBB306_74:                             ;   in Loop: Header=BB306_13 Depth=1
	s_or_b32 exec_lo, exec_lo, s34
	s_and_saveexec_b32 s34, s3
	s_cbranch_execnz .LBB306_138
.LBB306_75:                             ;   in Loop: Header=BB306_13 Depth=1
	s_or_b32 exec_lo, exec_lo, s34
	v_add_nc_u32_e32 v78, s11, v78
	s_and_saveexec_b32 s34, vcc_lo
	s_cbranch_execnz .LBB306_143
.LBB306_76:                             ;   in Loop: Header=BB306_13 Depth=1
	s_or_b32 exec_lo, exec_lo, s34
	s_and_saveexec_b32 s34, s1
	s_cbranch_execnz .LBB306_148
.LBB306_77:                             ;   in Loop: Header=BB306_13 Depth=1
	s_or_b32 exec_lo, exec_lo, s34
	s_and_saveexec_b32 s34, s2
	s_cbranch_execnz .LBB306_153
.LBB306_78:                             ;   in Loop: Header=BB306_13 Depth=1
	s_or_b32 exec_lo, exec_lo, s34
	s_and_saveexec_b32 s34, s3
	s_cbranch_execnz .LBB306_158
.LBB306_79:                             ;   in Loop: Header=BB306_13 Depth=1
	s_or_b32 exec_lo, exec_lo, s34
	v_add_nc_u32_e32 v78, s11, v78
	s_and_saveexec_b32 s4, vcc_lo
	s_cbranch_execnz .LBB306_163
.LBB306_80:                             ;   in Loop: Header=BB306_13 Depth=1
	s_or_b32 exec_lo, exec_lo, s4
	s_and_saveexec_b32 s4, s1
	s_cbranch_execnz .LBB306_168
.LBB306_81:                             ;   in Loop: Header=BB306_13 Depth=1
	s_or_b32 exec_lo, exec_lo, s4
	s_and_saveexec_b32 s1, s2
	s_cbranch_execnz .LBB306_173
.LBB306_82:                             ;   in Loop: Header=BB306_13 Depth=1
	s_or_b32 exec_lo, exec_lo, s1
	s_delay_alu instid0(SALU_CYCLE_1)
	s_and_b32 exec_lo, exec_lo, s3
	s_cbranch_execnz .LBB306_178
	s_branch .LBB306_183
.LBB306_83:                             ;   in Loop: Header=BB306_13 Depth=1
	s_waitcnt lgkmcnt(0)
	v_add_f32_e32 v51, v51, v52
	s_waitcnt vmcnt(19)
	v_lshlrev_b32_e32 v52, 16, v64
	s_delay_alu instid0(VALU_DEP_1) | instskip(NEXT) | instid1(VALU_DEP_1)
	v_add_f32_e32 v52, v51, v52
	v_and_b32_e32 v51, 0x7f800000, v52
	s_delay_alu instid0(VALU_DEP_1) | instskip(NEXT) | instid1(VALU_DEP_1)
	v_cmp_ne_u32_e64 s1, 0x7f800000, v51
                                        ; implicit-def: $vgpr51
	s_and_saveexec_b32 s3, s1
	s_delay_alu instid0(SALU_CYCLE_1)
	s_xor_b32 s1, exec_lo, s3
; %bb.84:                               ;   in Loop: Header=BB306_13 Depth=1
	v_bfe_u32 v51, v52, 16, 1
	s_delay_alu instid0(VALU_DEP_1)
	v_add3_u32 v51, v52, v51, 0x7fff
                                        ; implicit-def: $vgpr52
; %bb.85:                               ;   in Loop: Header=BB306_13 Depth=1
	s_and_not1_saveexec_b32 s3, s1
; %bb.86:                               ;   in Loop: Header=BB306_13 Depth=1
	v_and_b32_e32 v51, 0xffff, v52
	v_or_b32_e32 v64, 0x10000, v52
	s_delay_alu instid0(VALU_DEP_2) | instskip(NEXT) | instid1(VALU_DEP_1)
	v_cmp_eq_u32_e64 s1, 0, v51
	v_cndmask_b32_e64 v51, v64, v52, s1
; %bb.87:                               ;   in Loop: Header=BB306_13 Depth=1
	s_or_b32 exec_lo, exec_lo, s3
	v_mov_b32_e32 v78, v79
	s_delay_alu instid0(VALU_DEP_1) | instskip(NEXT) | instid1(VALU_DEP_1)
	v_lshlrev_b64 v[64:65], 1, v[77:78]
	v_add_co_u32 v64, s1, s18, v64
	s_delay_alu instid0(VALU_DEP_1) | instskip(SKIP_3) | instid1(VALU_DEP_1)
	v_add_co_ci_u32_e64 v65, s1, s19, v65, s1
	global_store_d16_hi_b16 v[64:65], v51, off
	s_or_b32 exec_lo, exec_lo, s2
	v_cmp_ne_u32_e64 s1, 0, v2
	s_and_saveexec_b32 s3, s1
	s_cbranch_execz .LBB306_65
.LBB306_88:                             ;   in Loop: Header=BB306_13 Depth=1
	s_waitcnt vmcnt(18) lgkmcnt(0)
	v_dual_add_f32 v48, v48, v49 :: v_dual_lshlrev_b32 v49, 16, v63
	s_delay_alu instid0(VALU_DEP_1) | instskip(NEXT) | instid1(VALU_DEP_1)
	v_add_f32_e32 v49, v48, v49
	v_and_b32_e32 v48, 0x7f800000, v49
	s_delay_alu instid0(VALU_DEP_1) | instskip(NEXT) | instid1(VALU_DEP_1)
	v_cmp_ne_u32_e64 s2, 0x7f800000, v48
                                        ; implicit-def: $vgpr48
	s_and_saveexec_b32 s4, s2
	s_delay_alu instid0(SALU_CYCLE_1)
	s_xor_b32 s2, exec_lo, s4
; %bb.89:                               ;   in Loop: Header=BB306_13 Depth=1
	v_bfe_u32 v48, v49, 16, 1
	s_delay_alu instid0(VALU_DEP_1)
	v_add3_u32 v48, v49, v48, 0x7fff
                                        ; implicit-def: $vgpr49
; %bb.90:                               ;   in Loop: Header=BB306_13 Depth=1
	s_and_not1_saveexec_b32 s4, s2
; %bb.91:                               ;   in Loop: Header=BB306_13 Depth=1
	v_and_b32_e32 v48, 0xffff, v49
	v_or_b32_e32 v51, 0x10000, v49
	s_delay_alu instid0(VALU_DEP_2) | instskip(NEXT) | instid1(VALU_DEP_1)
	v_cmp_eq_u32_e64 s2, 0, v48
	v_cndmask_b32_e64 v48, v51, v49, s2
; %bb.92:                               ;   in Loop: Header=BB306_13 Depth=1
	s_or_b32 exec_lo, exec_lo, s4
	v_mov_b32_e32 v84, v79
	s_delay_alu instid0(VALU_DEP_1) | instskip(NEXT) | instid1(VALU_DEP_1)
	v_lshlrev_b64 v[51:52], 1, v[83:84]
	v_add_co_u32 v51, s2, s18, v51
	s_delay_alu instid0(VALU_DEP_1) | instskip(SKIP_3) | instid1(VALU_DEP_1)
	v_add_co_ci_u32_e64 v52, s2, s19, v52, s2
	global_store_d16_hi_b16 v[51:52], v48, off
	s_or_b32 exec_lo, exec_lo, s3
	v_cmp_ne_u32_e64 s2, 0, v3
	s_and_saveexec_b32 s4, s2
	s_cbranch_execz .LBB306_66
.LBB306_93:                             ;   in Loop: Header=BB306_13 Depth=1
	s_waitcnt lgkmcnt(0)
	v_add_f32_e32 v45, v45, v46
	s_waitcnt vmcnt(17)
	v_lshlrev_b32_e32 v46, 16, v62
	s_delay_alu instid0(VALU_DEP_1) | instskip(NEXT) | instid1(VALU_DEP_1)
	v_add_f32_e32 v46, v45, v46
	v_and_b32_e32 v45, 0x7f800000, v46
	s_delay_alu instid0(VALU_DEP_1) | instskip(NEXT) | instid1(VALU_DEP_1)
	v_cmp_ne_u32_e64 s3, 0x7f800000, v45
                                        ; implicit-def: $vgpr45
	s_and_saveexec_b32 s34, s3
	s_delay_alu instid0(SALU_CYCLE_1)
	s_xor_b32 s3, exec_lo, s34
; %bb.94:                               ;   in Loop: Header=BB306_13 Depth=1
	v_bfe_u32 v45, v46, 16, 1
	s_delay_alu instid0(VALU_DEP_1)
	v_add3_u32 v45, v46, v45, 0x7fff
                                        ; implicit-def: $vgpr46
; %bb.95:                               ;   in Loop: Header=BB306_13 Depth=1
	s_and_not1_saveexec_b32 s34, s3
; %bb.96:                               ;   in Loop: Header=BB306_13 Depth=1
	v_and_b32_e32 v45, 0xffff, v46
	v_or_b32_e32 v48, 0x10000, v46
	s_delay_alu instid0(VALU_DEP_2) | instskip(NEXT) | instid1(VALU_DEP_1)
	v_cmp_eq_u32_e64 s3, 0, v45
	v_cndmask_b32_e64 v45, v48, v46, s3
; %bb.97:                               ;   in Loop: Header=BB306_13 Depth=1
	s_or_b32 exec_lo, exec_lo, s34
	v_mov_b32_e32 v83, v79
	s_delay_alu instid0(VALU_DEP_1) | instskip(NEXT) | instid1(VALU_DEP_1)
	v_lshlrev_b64 v[48:49], 1, v[82:83]
	v_add_co_u32 v48, s3, s18, v48
	s_delay_alu instid0(VALU_DEP_1) | instskip(SKIP_3) | instid1(VALU_DEP_1)
	v_add_co_ci_u32_e64 v49, s3, s19, v49, s3
	global_store_d16_hi_b16 v[48:49], v45, off
	s_or_b32 exec_lo, exec_lo, s4
	v_cmp_ne_u32_e64 s3, 0, v4
	s_and_saveexec_b32 s34, s3
	s_cbranch_execz .LBB306_67
.LBB306_98:                             ;   in Loop: Header=BB306_13 Depth=1
	s_waitcnt vmcnt(16) lgkmcnt(0)
	v_dual_add_f32 v42, v42, v43 :: v_dual_lshlrev_b32 v43, 16, v61
	s_delay_alu instid0(VALU_DEP_1) | instskip(NEXT) | instid1(VALU_DEP_1)
	v_add_f32_e32 v43, v42, v43
	v_and_b32_e32 v42, 0x7f800000, v43
	s_delay_alu instid0(VALU_DEP_1) | instskip(NEXT) | instid1(VALU_DEP_1)
	v_cmp_ne_u32_e64 s4, 0x7f800000, v42
                                        ; implicit-def: $vgpr42
	s_and_saveexec_b32 s35, s4
	s_delay_alu instid0(SALU_CYCLE_1)
	s_xor_b32 s4, exec_lo, s35
; %bb.99:                               ;   in Loop: Header=BB306_13 Depth=1
	v_bfe_u32 v42, v43, 16, 1
	s_delay_alu instid0(VALU_DEP_1)
	v_add3_u32 v42, v43, v42, 0x7fff
                                        ; implicit-def: $vgpr43
; %bb.100:                              ;   in Loop: Header=BB306_13 Depth=1
	s_and_not1_saveexec_b32 s35, s4
; %bb.101:                              ;   in Loop: Header=BB306_13 Depth=1
	v_and_b32_e32 v42, 0xffff, v43
	v_or_b32_e32 v45, 0x10000, v43
	s_delay_alu instid0(VALU_DEP_2) | instskip(NEXT) | instid1(VALU_DEP_1)
	v_cmp_eq_u32_e64 s4, 0, v42
	v_cndmask_b32_e64 v42, v45, v43, s4
; %bb.102:                              ;   in Loop: Header=BB306_13 Depth=1
	s_or_b32 exec_lo, exec_lo, s35
	v_mov_b32_e32 v82, v79
	s_delay_alu instid0(VALU_DEP_1) | instskip(NEXT) | instid1(VALU_DEP_1)
	v_lshlrev_b64 v[45:46], 1, v[81:82]
	v_add_co_u32 v45, s4, s18, v45
	s_delay_alu instid0(VALU_DEP_1)
	v_add_co_ci_u32_e64 v46, s4, s19, v46, s4
	global_store_d16_hi_b16 v[45:46], v42, off
	s_or_b32 exec_lo, exec_lo, s34
	v_add_nc_u32_e32 v78, s11, v77
	s_and_saveexec_b32 s34, vcc_lo
	s_cbranch_execz .LBB306_68
.LBB306_103:                            ;   in Loop: Header=BB306_13 Depth=1
	s_waitcnt vmcnt(15) lgkmcnt(0)
	v_dual_add_f32 v37, v37, v38 :: v_dual_lshlrev_b32 v38, 16, v60
	s_delay_alu instid0(VALU_DEP_1) | instskip(NEXT) | instid1(VALU_DEP_1)
	v_add_f32_e32 v38, v37, v38
	v_and_b32_e32 v37, 0x7f800000, v38
	s_delay_alu instid0(VALU_DEP_1) | instskip(NEXT) | instid1(VALU_DEP_1)
	v_cmp_ne_u32_e64 s4, 0x7f800000, v37
                                        ; implicit-def: $vgpr37
	s_and_saveexec_b32 s35, s4
	s_delay_alu instid0(SALU_CYCLE_1)
	s_xor_b32 s4, exec_lo, s35
; %bb.104:                              ;   in Loop: Header=BB306_13 Depth=1
	v_bfe_u32 v37, v38, 16, 1
	s_delay_alu instid0(VALU_DEP_1)
	v_add3_u32 v37, v38, v37, 0x7fff
                                        ; implicit-def: $vgpr38
; %bb.105:                              ;   in Loop: Header=BB306_13 Depth=1
	s_and_not1_saveexec_b32 s35, s4
; %bb.106:                              ;   in Loop: Header=BB306_13 Depth=1
	v_and_b32_e32 v37, 0xffff, v38
	v_or_b32_e32 v42, 0x10000, v38
	s_delay_alu instid0(VALU_DEP_2) | instskip(NEXT) | instid1(VALU_DEP_1)
	v_cmp_eq_u32_e64 s4, 0, v37
	v_cndmask_b32_e64 v37, v42, v38, s4
; %bb.107:                              ;   in Loop: Header=BB306_13 Depth=1
	s_or_b32 exec_lo, exec_lo, s35
	v_lshlrev_b64 v[42:43], 1, v[78:79]
	s_delay_alu instid0(VALU_DEP_1) | instskip(NEXT) | instid1(VALU_DEP_1)
	v_add_co_u32 v42, s4, s18, v42
	v_add_co_ci_u32_e64 v43, s4, s19, v43, s4
	global_store_d16_hi_b16 v[42:43], v37, off
	s_or_b32 exec_lo, exec_lo, s34
	s_and_saveexec_b32 s34, s1
	s_cbranch_execz .LBB306_69
.LBB306_108:                            ;   in Loop: Header=BB306_13 Depth=1
	s_waitcnt vmcnt(14) lgkmcnt(0)
	v_dual_add_f32 v37, v40, v41 :: v_dual_lshlrev_b32 v38, 16, v59
	s_delay_alu instid0(VALU_DEP_1) | instskip(NEXT) | instid1(VALU_DEP_1)
	v_add_f32_e32 v38, v37, v38
	v_and_b32_e32 v37, 0x7f800000, v38
	s_delay_alu instid0(VALU_DEP_1) | instskip(NEXT) | instid1(VALU_DEP_1)
	v_cmp_ne_u32_e64 s4, 0x7f800000, v37
                                        ; implicit-def: $vgpr37
	s_and_saveexec_b32 s35, s4
	s_delay_alu instid0(SALU_CYCLE_1)
	s_xor_b32 s4, exec_lo, s35
; %bb.109:                              ;   in Loop: Header=BB306_13 Depth=1
	v_bfe_u32 v37, v38, 16, 1
	s_delay_alu instid0(VALU_DEP_1)
	v_add3_u32 v37, v38, v37, 0x7fff
                                        ; implicit-def: $vgpr38
; %bb.110:                              ;   in Loop: Header=BB306_13 Depth=1
	s_and_not1_saveexec_b32 s35, s4
; %bb.111:                              ;   in Loop: Header=BB306_13 Depth=1
	v_and_b32_e32 v37, 0xffff, v38
	v_or_b32_e32 v40, 0x10000, v38
	s_delay_alu instid0(VALU_DEP_2) | instskip(NEXT) | instid1(VALU_DEP_1)
	v_cmp_eq_u32_e64 s4, 0, v37
	v_cndmask_b32_e64 v37, v40, v38, s4
; %bb.112:                              ;   in Loop: Header=BB306_13 Depth=1
	s_or_b32 exec_lo, exec_lo, s35
	v_dual_mov_b32 v41, v79 :: v_dual_add_nc_u32 v40, 1, v78
	s_delay_alu instid0(VALU_DEP_1) | instskip(NEXT) | instid1(VALU_DEP_1)
	v_lshlrev_b64 v[40:41], 1, v[40:41]
	v_add_co_u32 v40, s4, s18, v40
	s_delay_alu instid0(VALU_DEP_1)
	v_add_co_ci_u32_e64 v41, s4, s19, v41, s4
	global_store_d16_hi_b16 v[40:41], v37, off
	s_or_b32 exec_lo, exec_lo, s34
	s_and_saveexec_b32 s34, s2
	s_cbranch_execz .LBB306_70
.LBB306_113:                            ;   in Loop: Header=BB306_13 Depth=1
	s_waitcnt vmcnt(13) lgkmcnt(0)
	v_dual_add_f32 v35, v35, v36 :: v_dual_lshlrev_b32 v36, 16, v57
	s_delay_alu instid0(VALU_DEP_1) | instskip(NEXT) | instid1(VALU_DEP_1)
	v_add_f32_e32 v36, v35, v36
	v_and_b32_e32 v35, 0x7f800000, v36
	s_delay_alu instid0(VALU_DEP_1) | instskip(NEXT) | instid1(VALU_DEP_1)
	v_cmp_ne_u32_e64 s4, 0x7f800000, v35
                                        ; implicit-def: $vgpr35
	s_and_saveexec_b32 s35, s4
	s_delay_alu instid0(SALU_CYCLE_1)
	s_xor_b32 s4, exec_lo, s35
; %bb.114:                              ;   in Loop: Header=BB306_13 Depth=1
	v_bfe_u32 v35, v36, 16, 1
	s_delay_alu instid0(VALU_DEP_1)
	v_add3_u32 v35, v36, v35, 0x7fff
                                        ; implicit-def: $vgpr36
; %bb.115:                              ;   in Loop: Header=BB306_13 Depth=1
	s_and_not1_saveexec_b32 s35, s4
; %bb.116:                              ;   in Loop: Header=BB306_13 Depth=1
	v_and_b32_e32 v35, 0xffff, v36
	v_or_b32_e32 v37, 0x10000, v36
	s_delay_alu instid0(VALU_DEP_2) | instskip(NEXT) | instid1(VALU_DEP_1)
	v_cmp_eq_u32_e64 s4, 0, v35
	v_cndmask_b32_e64 v35, v37, v36, s4
; %bb.117:                              ;   in Loop: Header=BB306_13 Depth=1
	s_or_b32 exec_lo, exec_lo, s35
	v_dual_mov_b32 v37, v79 :: v_dual_add_nc_u32 v36, 2, v78
	s_delay_alu instid0(VALU_DEP_1) | instskip(NEXT) | instid1(VALU_DEP_1)
	v_lshlrev_b64 v[36:37], 1, v[36:37]
	v_add_co_u32 v36, s4, s18, v36
	s_delay_alu instid0(VALU_DEP_1)
	v_add_co_ci_u32_e64 v37, s4, s19, v37, s4
	global_store_d16_hi_b16 v[36:37], v35, off
	s_or_b32 exec_lo, exec_lo, s34
	s_and_saveexec_b32 s34, s3
	s_cbranch_execz .LBB306_71
.LBB306_118:                            ;   in Loop: Header=BB306_13 Depth=1
	s_waitcnt vmcnt(12) lgkmcnt(0)
	v_dual_add_f32 v32, v32, v33 :: v_dual_lshlrev_b32 v33, 16, v55
	s_delay_alu instid0(VALU_DEP_1) | instskip(NEXT) | instid1(VALU_DEP_1)
	v_add_f32_e32 v33, v32, v33
	v_and_b32_e32 v32, 0x7f800000, v33
	s_delay_alu instid0(VALU_DEP_1) | instskip(NEXT) | instid1(VALU_DEP_1)
	v_cmp_ne_u32_e64 s4, 0x7f800000, v32
                                        ; implicit-def: $vgpr32
	s_and_saveexec_b32 s35, s4
	s_delay_alu instid0(SALU_CYCLE_1)
	s_xor_b32 s4, exec_lo, s35
; %bb.119:                              ;   in Loop: Header=BB306_13 Depth=1
	v_bfe_u32 v32, v33, 16, 1
	s_delay_alu instid0(VALU_DEP_1)
	v_add3_u32 v32, v33, v32, 0x7fff
                                        ; implicit-def: $vgpr33
; %bb.120:                              ;   in Loop: Header=BB306_13 Depth=1
	s_and_not1_saveexec_b32 s35, s4
; %bb.121:                              ;   in Loop: Header=BB306_13 Depth=1
	v_and_b32_e32 v32, 0xffff, v33
	v_or_b32_e32 v35, 0x10000, v33
	s_delay_alu instid0(VALU_DEP_2) | instskip(NEXT) | instid1(VALU_DEP_1)
	v_cmp_eq_u32_e64 s4, 0, v32
	v_cndmask_b32_e64 v32, v35, v33, s4
; %bb.122:                              ;   in Loop: Header=BB306_13 Depth=1
	s_or_b32 exec_lo, exec_lo, s35
	v_dual_mov_b32 v36, v79 :: v_dual_add_nc_u32 v35, 3, v78
	s_delay_alu instid0(VALU_DEP_1) | instskip(NEXT) | instid1(VALU_DEP_1)
	v_lshlrev_b64 v[35:36], 1, v[35:36]
	v_add_co_u32 v35, s4, s18, v35
	s_delay_alu instid0(VALU_DEP_1)
	v_add_co_ci_u32_e64 v36, s4, s19, v36, s4
	global_store_d16_hi_b16 v[35:36], v32, off
	s_or_b32 exec_lo, exec_lo, s34
	v_add_nc_u32_e32 v78, s11, v78
	s_and_saveexec_b32 s34, vcc_lo
	s_cbranch_execz .LBB306_72
.LBB306_123:                            ;   in Loop: Header=BB306_13 Depth=1
	s_waitcnt lgkmcnt(0)
	v_add_f32_e32 v29, v29, v30
	s_waitcnt vmcnt(11)
	v_lshlrev_b32_e32 v30, 16, v58
	s_delay_alu instid0(VALU_DEP_1) | instskip(NEXT) | instid1(VALU_DEP_1)
	v_add_f32_e32 v30, v29, v30
	v_and_b32_e32 v29, 0x7f800000, v30
	s_delay_alu instid0(VALU_DEP_1) | instskip(NEXT) | instid1(VALU_DEP_1)
	v_cmp_ne_u32_e64 s4, 0x7f800000, v29
                                        ; implicit-def: $vgpr29
	s_and_saveexec_b32 s35, s4
	s_delay_alu instid0(SALU_CYCLE_1)
	s_xor_b32 s4, exec_lo, s35
; %bb.124:                              ;   in Loop: Header=BB306_13 Depth=1
	v_bfe_u32 v29, v30, 16, 1
	s_delay_alu instid0(VALU_DEP_1)
	v_add3_u32 v29, v30, v29, 0x7fff
                                        ; implicit-def: $vgpr30
; %bb.125:                              ;   in Loop: Header=BB306_13 Depth=1
	s_and_not1_saveexec_b32 s35, s4
; %bb.126:                              ;   in Loop: Header=BB306_13 Depth=1
	v_and_b32_e32 v29, 0xffff, v30
	v_or_b32_e32 v32, 0x10000, v30
	s_delay_alu instid0(VALU_DEP_2) | instskip(NEXT) | instid1(VALU_DEP_1)
	v_cmp_eq_u32_e64 s4, 0, v29
	v_cndmask_b32_e64 v29, v32, v30, s4
; %bb.127:                              ;   in Loop: Header=BB306_13 Depth=1
	s_or_b32 exec_lo, exec_lo, s35
	v_lshlrev_b64 v[32:33], 1, v[78:79]
	s_delay_alu instid0(VALU_DEP_1) | instskip(NEXT) | instid1(VALU_DEP_1)
	v_add_co_u32 v32, s4, s18, v32
	v_add_co_ci_u32_e64 v33, s4, s19, v33, s4
	global_store_d16_hi_b16 v[32:33], v29, off
	s_or_b32 exec_lo, exec_lo, s34
	s_and_saveexec_b32 s34, s1
	s_cbranch_execz .LBB306_73
.LBB306_128:                            ;   in Loop: Header=BB306_13 Depth=1
	s_waitcnt vmcnt(10) lgkmcnt(0)
	v_dual_add_f32 v24, v24, v25 :: v_dual_lshlrev_b32 v25, 16, v56
	s_delay_alu instid0(VALU_DEP_1) | instskip(NEXT) | instid1(VALU_DEP_1)
	v_add_f32_e32 v25, v24, v25
	v_and_b32_e32 v24, 0x7f800000, v25
	s_delay_alu instid0(VALU_DEP_1) | instskip(NEXT) | instid1(VALU_DEP_1)
	v_cmp_ne_u32_e64 s4, 0x7f800000, v24
                                        ; implicit-def: $vgpr24
	s_and_saveexec_b32 s35, s4
	s_delay_alu instid0(SALU_CYCLE_1)
	s_xor_b32 s4, exec_lo, s35
; %bb.129:                              ;   in Loop: Header=BB306_13 Depth=1
	v_bfe_u32 v24, v25, 16, 1
	s_delay_alu instid0(VALU_DEP_1)
	v_add3_u32 v24, v25, v24, 0x7fff
                                        ; implicit-def: $vgpr25
; %bb.130:                              ;   in Loop: Header=BB306_13 Depth=1
	s_and_not1_saveexec_b32 s35, s4
; %bb.131:                              ;   in Loop: Header=BB306_13 Depth=1
	v_and_b32_e32 v24, 0xffff, v25
	v_or_b32_e32 v29, 0x10000, v25
	s_delay_alu instid0(VALU_DEP_2) | instskip(NEXT) | instid1(VALU_DEP_1)
	v_cmp_eq_u32_e64 s4, 0, v24
	v_cndmask_b32_e64 v24, v29, v25, s4
; %bb.132:                              ;   in Loop: Header=BB306_13 Depth=1
	s_or_b32 exec_lo, exec_lo, s35
	v_dual_mov_b32 v30, v79 :: v_dual_add_nc_u32 v29, 1, v78
	s_delay_alu instid0(VALU_DEP_1) | instskip(NEXT) | instid1(VALU_DEP_1)
	v_lshlrev_b64 v[29:30], 1, v[29:30]
	v_add_co_u32 v29, s4, s18, v29
	s_delay_alu instid0(VALU_DEP_1)
	v_add_co_ci_u32_e64 v30, s4, s19, v30, s4
	global_store_d16_hi_b16 v[29:30], v24, off
	s_or_b32 exec_lo, exec_lo, s34
	s_and_saveexec_b32 s34, s2
	s_cbranch_execz .LBB306_74
.LBB306_133:                            ;   in Loop: Header=BB306_13 Depth=1
	s_waitcnt vmcnt(9) lgkmcnt(0)
	v_dual_add_f32 v24, v27, v28 :: v_dual_lshlrev_b32 v25, 16, v54
	s_delay_alu instid0(VALU_DEP_1) | instskip(NEXT) | instid1(VALU_DEP_1)
	v_add_f32_e32 v25, v24, v25
	v_and_b32_e32 v24, 0x7f800000, v25
	s_delay_alu instid0(VALU_DEP_1) | instskip(NEXT) | instid1(VALU_DEP_1)
	v_cmp_ne_u32_e64 s4, 0x7f800000, v24
                                        ; implicit-def: $vgpr24
	s_and_saveexec_b32 s35, s4
	s_delay_alu instid0(SALU_CYCLE_1)
	s_xor_b32 s4, exec_lo, s35
; %bb.134:                              ;   in Loop: Header=BB306_13 Depth=1
	v_bfe_u32 v24, v25, 16, 1
	s_delay_alu instid0(VALU_DEP_1)
	v_add3_u32 v24, v25, v24, 0x7fff
                                        ; implicit-def: $vgpr25
; %bb.135:                              ;   in Loop: Header=BB306_13 Depth=1
	s_and_not1_saveexec_b32 s35, s4
; %bb.136:                              ;   in Loop: Header=BB306_13 Depth=1
	v_and_b32_e32 v24, 0xffff, v25
	v_or_b32_e32 v27, 0x10000, v25
	s_delay_alu instid0(VALU_DEP_2) | instskip(NEXT) | instid1(VALU_DEP_1)
	v_cmp_eq_u32_e64 s4, 0, v24
	v_cndmask_b32_e64 v24, v27, v25, s4
; %bb.137:                              ;   in Loop: Header=BB306_13 Depth=1
	s_or_b32 exec_lo, exec_lo, s35
	v_dual_mov_b32 v28, v79 :: v_dual_add_nc_u32 v27, 2, v78
	s_delay_alu instid0(VALU_DEP_1) | instskip(NEXT) | instid1(VALU_DEP_1)
	v_lshlrev_b64 v[27:28], 1, v[27:28]
	v_add_co_u32 v27, s4, s18, v27
	s_delay_alu instid0(VALU_DEP_1)
	v_add_co_ci_u32_e64 v28, s4, s19, v28, s4
	global_store_d16_hi_b16 v[27:28], v24, off
	s_or_b32 exec_lo, exec_lo, s34
	s_and_saveexec_b32 s34, s3
	s_cbranch_execz .LBB306_75
.LBB306_138:                            ;   in Loop: Header=BB306_13 Depth=1
	s_waitcnt vmcnt(8) lgkmcnt(0)
	v_dual_add_f32 v22, v22, v23 :: v_dual_lshlrev_b32 v23, 16, v53
	s_delay_alu instid0(VALU_DEP_1) | instskip(NEXT) | instid1(VALU_DEP_1)
	v_add_f32_e32 v23, v22, v23
	v_and_b32_e32 v22, 0x7f800000, v23
	s_delay_alu instid0(VALU_DEP_1) | instskip(NEXT) | instid1(VALU_DEP_1)
	v_cmp_ne_u32_e64 s4, 0x7f800000, v22
                                        ; implicit-def: $vgpr22
	s_and_saveexec_b32 s35, s4
	s_delay_alu instid0(SALU_CYCLE_1)
	s_xor_b32 s4, exec_lo, s35
; %bb.139:                              ;   in Loop: Header=BB306_13 Depth=1
	v_bfe_u32 v22, v23, 16, 1
	s_delay_alu instid0(VALU_DEP_1)
	v_add3_u32 v22, v23, v22, 0x7fff
                                        ; implicit-def: $vgpr23
; %bb.140:                              ;   in Loop: Header=BB306_13 Depth=1
	s_and_not1_saveexec_b32 s35, s4
; %bb.141:                              ;   in Loop: Header=BB306_13 Depth=1
	v_and_b32_e32 v22, 0xffff, v23
	v_or_b32_e32 v24, 0x10000, v23
	s_delay_alu instid0(VALU_DEP_2) | instskip(NEXT) | instid1(VALU_DEP_1)
	v_cmp_eq_u32_e64 s4, 0, v22
	v_cndmask_b32_e64 v22, v24, v23, s4
; %bb.142:                              ;   in Loop: Header=BB306_13 Depth=1
	s_or_b32 exec_lo, exec_lo, s35
	v_dual_mov_b32 v24, v79 :: v_dual_add_nc_u32 v23, 3, v78
	s_delay_alu instid0(VALU_DEP_1) | instskip(NEXT) | instid1(VALU_DEP_1)
	v_lshlrev_b64 v[23:24], 1, v[23:24]
	v_add_co_u32 v23, s4, s18, v23
	s_delay_alu instid0(VALU_DEP_1)
	v_add_co_ci_u32_e64 v24, s4, s19, v24, s4
	global_store_d16_hi_b16 v[23:24], v22, off
	s_or_b32 exec_lo, exec_lo, s34
	v_add_nc_u32_e32 v78, s11, v78
	s_and_saveexec_b32 s34, vcc_lo
	s_cbranch_execz .LBB306_76
.LBB306_143:                            ;   in Loop: Header=BB306_13 Depth=1
	s_waitcnt vmcnt(7) lgkmcnt(0)
	v_dual_add_f32 v19, v19, v20 :: v_dual_lshlrev_b32 v20, 16, v50
	s_delay_alu instid0(VALU_DEP_1) | instskip(NEXT) | instid1(VALU_DEP_1)
	v_add_f32_e32 v20, v19, v20
	v_and_b32_e32 v19, 0x7f800000, v20
	s_delay_alu instid0(VALU_DEP_1) | instskip(NEXT) | instid1(VALU_DEP_1)
	v_cmp_ne_u32_e64 s4, 0x7f800000, v19
                                        ; implicit-def: $vgpr19
	s_and_saveexec_b32 s35, s4
	s_delay_alu instid0(SALU_CYCLE_1)
	s_xor_b32 s4, exec_lo, s35
; %bb.144:                              ;   in Loop: Header=BB306_13 Depth=1
	v_bfe_u32 v19, v20, 16, 1
	s_delay_alu instid0(VALU_DEP_1)
	v_add3_u32 v19, v20, v19, 0x7fff
                                        ; implicit-def: $vgpr20
; %bb.145:                              ;   in Loop: Header=BB306_13 Depth=1
	s_and_not1_saveexec_b32 s35, s4
; %bb.146:                              ;   in Loop: Header=BB306_13 Depth=1
	v_and_b32_e32 v19, 0xffff, v20
	v_or_b32_e32 v22, 0x10000, v20
	s_delay_alu instid0(VALU_DEP_2) | instskip(NEXT) | instid1(VALU_DEP_1)
	v_cmp_eq_u32_e64 s4, 0, v19
	v_cndmask_b32_e64 v19, v22, v20, s4
; %bb.147:                              ;   in Loop: Header=BB306_13 Depth=1
	s_or_b32 exec_lo, exec_lo, s35
	v_lshlrev_b64 v[22:23], 1, v[78:79]
	s_delay_alu instid0(VALU_DEP_1) | instskip(NEXT) | instid1(VALU_DEP_1)
	v_add_co_u32 v22, s4, s18, v22
	v_add_co_ci_u32_e64 v23, s4, s19, v23, s4
	global_store_d16_hi_b16 v[22:23], v19, off
	s_or_b32 exec_lo, exec_lo, s34
	s_and_saveexec_b32 s34, s1
	s_cbranch_execz .LBB306_77
.LBB306_148:                            ;   in Loop: Header=BB306_13 Depth=1
	s_waitcnt vmcnt(6) lgkmcnt(0)
	v_dual_add_f32 v17, v17, v18 :: v_dual_lshlrev_b32 v18, 16, v47
	s_delay_alu instid0(VALU_DEP_1) | instskip(NEXT) | instid1(VALU_DEP_1)
	v_add_f32_e32 v18, v17, v18
	v_and_b32_e32 v17, 0x7f800000, v18
	s_delay_alu instid0(VALU_DEP_1) | instskip(NEXT) | instid1(VALU_DEP_1)
	v_cmp_ne_u32_e64 s4, 0x7f800000, v17
                                        ; implicit-def: $vgpr17
	s_and_saveexec_b32 s35, s4
	s_delay_alu instid0(SALU_CYCLE_1)
	s_xor_b32 s4, exec_lo, s35
; %bb.149:                              ;   in Loop: Header=BB306_13 Depth=1
	v_bfe_u32 v17, v18, 16, 1
	s_delay_alu instid0(VALU_DEP_1)
	v_add3_u32 v17, v18, v17, 0x7fff
                                        ; implicit-def: $vgpr18
; %bb.150:                              ;   in Loop: Header=BB306_13 Depth=1
	s_and_not1_saveexec_b32 s35, s4
; %bb.151:                              ;   in Loop: Header=BB306_13 Depth=1
	v_and_b32_e32 v17, 0xffff, v18
	v_or_b32_e32 v19, 0x10000, v18
	s_delay_alu instid0(VALU_DEP_2) | instskip(NEXT) | instid1(VALU_DEP_1)
	v_cmp_eq_u32_e64 s4, 0, v17
	v_cndmask_b32_e64 v17, v19, v18, s4
; %bb.152:                              ;   in Loop: Header=BB306_13 Depth=1
	s_or_b32 exec_lo, exec_lo, s35
	v_dual_mov_b32 v19, v79 :: v_dual_add_nc_u32 v18, 1, v78
	s_delay_alu instid0(VALU_DEP_1) | instskip(NEXT) | instid1(VALU_DEP_1)
	v_lshlrev_b64 v[18:19], 1, v[18:19]
	v_add_co_u32 v18, s4, s18, v18
	s_delay_alu instid0(VALU_DEP_1)
	v_add_co_ci_u32_e64 v19, s4, s19, v19, s4
	global_store_d16_hi_b16 v[18:19], v17, off
	s_or_b32 exec_lo, exec_lo, s34
	s_and_saveexec_b32 s34, s2
	s_cbranch_execz .LBB306_78
.LBB306_153:                            ;   in Loop: Header=BB306_13 Depth=1
	s_waitcnt vmcnt(5) lgkmcnt(0)
	v_dual_add_f32 v13, v13, v14 :: v_dual_lshlrev_b32 v14, 16, v44
	s_delay_alu instid0(VALU_DEP_1) | instskip(NEXT) | instid1(VALU_DEP_1)
	v_add_f32_e32 v14, v13, v14
	v_and_b32_e32 v13, 0x7f800000, v14
	s_delay_alu instid0(VALU_DEP_1) | instskip(NEXT) | instid1(VALU_DEP_1)
	v_cmp_ne_u32_e64 s4, 0x7f800000, v13
                                        ; implicit-def: $vgpr13
	s_and_saveexec_b32 s35, s4
	s_delay_alu instid0(SALU_CYCLE_1)
	s_xor_b32 s4, exec_lo, s35
; %bb.154:                              ;   in Loop: Header=BB306_13 Depth=1
	v_bfe_u32 v13, v14, 16, 1
	s_delay_alu instid0(VALU_DEP_1)
	v_add3_u32 v13, v14, v13, 0x7fff
                                        ; implicit-def: $vgpr14
; %bb.155:                              ;   in Loop: Header=BB306_13 Depth=1
	s_and_not1_saveexec_b32 s35, s4
; %bb.156:                              ;   in Loop: Header=BB306_13 Depth=1
	v_and_b32_e32 v13, 0xffff, v14
	v_or_b32_e32 v17, 0x10000, v14
	s_delay_alu instid0(VALU_DEP_2) | instskip(NEXT) | instid1(VALU_DEP_1)
	v_cmp_eq_u32_e64 s4, 0, v13
	v_cndmask_b32_e64 v13, v17, v14, s4
; %bb.157:                              ;   in Loop: Header=BB306_13 Depth=1
	s_or_b32 exec_lo, exec_lo, s35
	v_dual_mov_b32 v18, v79 :: v_dual_add_nc_u32 v17, 2, v78
	s_delay_alu instid0(VALU_DEP_1) | instskip(NEXT) | instid1(VALU_DEP_1)
	v_lshlrev_b64 v[17:18], 1, v[17:18]
	v_add_co_u32 v17, s4, s18, v17
	s_delay_alu instid0(VALU_DEP_1)
	v_add_co_ci_u32_e64 v18, s4, s19, v18, s4
	global_store_d16_hi_b16 v[17:18], v13, off
	s_or_b32 exec_lo, exec_lo, s34
	s_and_saveexec_b32 s34, s3
	s_cbranch_execz .LBB306_79
.LBB306_158:                            ;   in Loop: Header=BB306_13 Depth=1
	s_waitcnt vmcnt(4) lgkmcnt(0)
	v_dual_add_f32 v13, v15, v16 :: v_dual_lshlrev_b32 v14, 16, v39
	s_delay_alu instid0(VALU_DEP_1) | instskip(NEXT) | instid1(VALU_DEP_1)
	v_add_f32_e32 v14, v13, v14
	v_and_b32_e32 v13, 0x7f800000, v14
	s_delay_alu instid0(VALU_DEP_1) | instskip(NEXT) | instid1(VALU_DEP_1)
	v_cmp_ne_u32_e64 s4, 0x7f800000, v13
                                        ; implicit-def: $vgpr13
	s_and_saveexec_b32 s35, s4
	s_delay_alu instid0(SALU_CYCLE_1)
	s_xor_b32 s4, exec_lo, s35
; %bb.159:                              ;   in Loop: Header=BB306_13 Depth=1
	v_bfe_u32 v13, v14, 16, 1
	s_delay_alu instid0(VALU_DEP_1)
	v_add3_u32 v13, v14, v13, 0x7fff
                                        ; implicit-def: $vgpr14
; %bb.160:                              ;   in Loop: Header=BB306_13 Depth=1
	s_and_not1_saveexec_b32 s35, s4
; %bb.161:                              ;   in Loop: Header=BB306_13 Depth=1
	v_and_b32_e32 v13, 0xffff, v14
	v_or_b32_e32 v15, 0x10000, v14
	s_delay_alu instid0(VALU_DEP_2) | instskip(NEXT) | instid1(VALU_DEP_1)
	v_cmp_eq_u32_e64 s4, 0, v13
	v_cndmask_b32_e64 v13, v15, v14, s4
; %bb.162:                              ;   in Loop: Header=BB306_13 Depth=1
	s_or_b32 exec_lo, exec_lo, s35
	v_dual_mov_b32 v15, v79 :: v_dual_add_nc_u32 v14, 3, v78
	s_delay_alu instid0(VALU_DEP_1) | instskip(NEXT) | instid1(VALU_DEP_1)
	v_lshlrev_b64 v[14:15], 1, v[14:15]
	v_add_co_u32 v14, s4, s18, v14
	s_delay_alu instid0(VALU_DEP_1)
	v_add_co_ci_u32_e64 v15, s4, s19, v15, s4
	global_store_d16_hi_b16 v[14:15], v13, off
	s_or_b32 exec_lo, exec_lo, s34
	v_add_nc_u32_e32 v78, s11, v78
	s_and_saveexec_b32 s4, vcc_lo
	s_cbranch_execz .LBB306_80
.LBB306_163:                            ;   in Loop: Header=BB306_13 Depth=1
	s_waitcnt vmcnt(3) lgkmcnt(0)
	v_dual_add_f32 v11, v11, v12 :: v_dual_lshlrev_b32 v12, 16, v34
	s_delay_alu instid0(VALU_DEP_1) | instskip(NEXT) | instid1(VALU_DEP_1)
	v_add_f32_e32 v12, v11, v12
	v_and_b32_e32 v11, 0x7f800000, v12
	s_delay_alu instid0(VALU_DEP_1) | instskip(SKIP_1) | instid1(SALU_CYCLE_1)
	v_cmp_ne_u32_e32 vcc_lo, 0x7f800000, v11
                                        ; implicit-def: $vgpr11
	s_and_saveexec_b32 s34, vcc_lo
	s_xor_b32 s34, exec_lo, s34
; %bb.164:                              ;   in Loop: Header=BB306_13 Depth=1
	v_bfe_u32 v11, v12, 16, 1
	s_delay_alu instid0(VALU_DEP_1)
	v_add3_u32 v11, v12, v11, 0x7fff
                                        ; implicit-def: $vgpr12
; %bb.165:                              ;   in Loop: Header=BB306_13 Depth=1
	s_and_not1_saveexec_b32 s34, s34
; %bb.166:                              ;   in Loop: Header=BB306_13 Depth=1
	v_and_b32_e32 v11, 0xffff, v12
	v_or_b32_e32 v13, 0x10000, v12
	s_delay_alu instid0(VALU_DEP_2) | instskip(NEXT) | instid1(VALU_DEP_2)
	v_cmp_eq_u32_e32 vcc_lo, 0, v11
	v_cndmask_b32_e32 v11, v13, v12, vcc_lo
; %bb.167:                              ;   in Loop: Header=BB306_13 Depth=1
	s_or_b32 exec_lo, exec_lo, s34
	v_lshlrev_b64 v[12:13], 1, v[78:79]
	s_delay_alu instid0(VALU_DEP_1) | instskip(NEXT) | instid1(VALU_DEP_2)
	v_add_co_u32 v12, vcc_lo, s18, v12
	v_add_co_ci_u32_e32 v13, vcc_lo, s19, v13, vcc_lo
	global_store_d16_hi_b16 v[12:13], v11, off
	s_or_b32 exec_lo, exec_lo, s4
	s_and_saveexec_b32 s4, s1
	s_cbranch_execz .LBB306_81
.LBB306_168:                            ;   in Loop: Header=BB306_13 Depth=1
	s_waitcnt vmcnt(2) lgkmcnt(0)
	v_dual_add_f32 v9, v9, v10 :: v_dual_lshlrev_b32 v10, 16, v31
	s_delay_alu instid0(VALU_DEP_1) | instskip(NEXT) | instid1(VALU_DEP_1)
	v_add_f32_e32 v10, v9, v10
	v_and_b32_e32 v9, 0x7f800000, v10
	s_delay_alu instid0(VALU_DEP_1) | instskip(SKIP_1) | instid1(SALU_CYCLE_1)
	v_cmp_ne_u32_e32 vcc_lo, 0x7f800000, v9
                                        ; implicit-def: $vgpr9
	s_and_saveexec_b32 s1, vcc_lo
	s_xor_b32 s1, exec_lo, s1
; %bb.169:                              ;   in Loop: Header=BB306_13 Depth=1
	v_bfe_u32 v9, v10, 16, 1
	s_delay_alu instid0(VALU_DEP_1)
	v_add3_u32 v9, v10, v9, 0x7fff
                                        ; implicit-def: $vgpr10
; %bb.170:                              ;   in Loop: Header=BB306_13 Depth=1
	s_and_not1_saveexec_b32 s1, s1
; %bb.171:                              ;   in Loop: Header=BB306_13 Depth=1
	v_and_b32_e32 v9, 0xffff, v10
	v_or_b32_e32 v11, 0x10000, v10
	s_delay_alu instid0(VALU_DEP_2) | instskip(NEXT) | instid1(VALU_DEP_2)
	v_cmp_eq_u32_e32 vcc_lo, 0, v9
	v_cndmask_b32_e32 v9, v11, v10, vcc_lo
; %bb.172:                              ;   in Loop: Header=BB306_13 Depth=1
	s_or_b32 exec_lo, exec_lo, s1
	v_dual_mov_b32 v11, v79 :: v_dual_add_nc_u32 v10, 1, v78
	s_delay_alu instid0(VALU_DEP_1) | instskip(NEXT) | instid1(VALU_DEP_1)
	v_lshlrev_b64 v[10:11], 1, v[10:11]
	v_add_co_u32 v10, vcc_lo, s18, v10
	s_delay_alu instid0(VALU_DEP_2)
	v_add_co_ci_u32_e32 v11, vcc_lo, s19, v11, vcc_lo
	global_store_d16_hi_b16 v[10:11], v9, off
	s_or_b32 exec_lo, exec_lo, s4
	s_and_saveexec_b32 s1, s2
	s_cbranch_execz .LBB306_82
.LBB306_173:                            ;   in Loop: Header=BB306_13 Depth=1
	s_waitcnt vmcnt(1) lgkmcnt(0)
	v_dual_add_f32 v7, v7, v8 :: v_dual_lshlrev_b32 v8, 16, v26
	s_delay_alu instid0(VALU_DEP_1) | instskip(NEXT) | instid1(VALU_DEP_1)
	v_add_f32_e32 v8, v7, v8
	v_and_b32_e32 v7, 0x7f800000, v8
	s_delay_alu instid0(VALU_DEP_1) | instskip(SKIP_1) | instid1(SALU_CYCLE_1)
	v_cmp_ne_u32_e32 vcc_lo, 0x7f800000, v7
                                        ; implicit-def: $vgpr7
	s_and_saveexec_b32 s2, vcc_lo
	s_xor_b32 s2, exec_lo, s2
; %bb.174:                              ;   in Loop: Header=BB306_13 Depth=1
	v_bfe_u32 v7, v8, 16, 1
	s_delay_alu instid0(VALU_DEP_1)
	v_add3_u32 v7, v8, v7, 0x7fff
                                        ; implicit-def: $vgpr8
; %bb.175:                              ;   in Loop: Header=BB306_13 Depth=1
	s_and_not1_saveexec_b32 s2, s2
; %bb.176:                              ;   in Loop: Header=BB306_13 Depth=1
	v_and_b32_e32 v7, 0xffff, v8
	v_or_b32_e32 v9, 0x10000, v8
	s_delay_alu instid0(VALU_DEP_2) | instskip(NEXT) | instid1(VALU_DEP_2)
	v_cmp_eq_u32_e32 vcc_lo, 0, v7
	v_cndmask_b32_e32 v7, v9, v8, vcc_lo
; %bb.177:                              ;   in Loop: Header=BB306_13 Depth=1
	s_or_b32 exec_lo, exec_lo, s2
	v_dual_mov_b32 v9, v79 :: v_dual_add_nc_u32 v8, 2, v78
	s_delay_alu instid0(VALU_DEP_1) | instskip(NEXT) | instid1(VALU_DEP_1)
	v_lshlrev_b64 v[8:9], 1, v[8:9]
	v_add_co_u32 v8, vcc_lo, s18, v8
	s_delay_alu instid0(VALU_DEP_2) | instskip(SKIP_2) | instid1(SALU_CYCLE_1)
	v_add_co_ci_u32_e32 v9, vcc_lo, s19, v9, vcc_lo
	global_store_d16_hi_b16 v[8:9], v7, off
	s_or_b32 exec_lo, exec_lo, s1
	s_and_b32 exec_lo, exec_lo, s3
	s_cbranch_execz .LBB306_183
.LBB306_178:                            ;   in Loop: Header=BB306_13 Depth=1
	s_waitcnt vmcnt(0) lgkmcnt(0)
	v_dual_add_f32 v5, v5, v6 :: v_dual_lshlrev_b32 v6, 16, v21
	s_delay_alu instid0(VALU_DEP_1) | instskip(NEXT) | instid1(VALU_DEP_1)
	v_add_f32_e32 v6, v5, v6
	v_and_b32_e32 v5, 0x7f800000, v6
	s_delay_alu instid0(VALU_DEP_1) | instskip(SKIP_1) | instid1(SALU_CYCLE_1)
	v_cmp_ne_u32_e32 vcc_lo, 0x7f800000, v5
                                        ; implicit-def: $vgpr5
	s_and_saveexec_b32 s1, vcc_lo
	s_xor_b32 s1, exec_lo, s1
; %bb.179:                              ;   in Loop: Header=BB306_13 Depth=1
	v_bfe_u32 v5, v6, 16, 1
	s_delay_alu instid0(VALU_DEP_1)
	v_add3_u32 v5, v6, v5, 0x7fff
                                        ; implicit-def: $vgpr6
; %bb.180:                              ;   in Loop: Header=BB306_13 Depth=1
	s_and_not1_saveexec_b32 s1, s1
; %bb.181:                              ;   in Loop: Header=BB306_13 Depth=1
	v_and_b32_e32 v5, 0xffff, v6
	v_or_b32_e32 v7, 0x10000, v6
	s_delay_alu instid0(VALU_DEP_2) | instskip(NEXT) | instid1(VALU_DEP_2)
	v_cmp_eq_u32_e32 vcc_lo, 0, v5
	v_cndmask_b32_e32 v5, v7, v6, vcc_lo
; %bb.182:                              ;   in Loop: Header=BB306_13 Depth=1
	s_or_b32 exec_lo, exec_lo, s1
	v_add_nc_u32_e32 v78, 3, v78
	s_delay_alu instid0(VALU_DEP_1) | instskip(NEXT) | instid1(VALU_DEP_1)
	v_lshlrev_b64 v[6:7], 1, v[78:79]
	v_add_co_u32 v6, vcc_lo, s18, v6
	s_delay_alu instid0(VALU_DEP_2)
	v_add_co_ci_u32_e32 v7, vcc_lo, s19, v7, vcc_lo
	global_store_d16_hi_b16 v[6:7], v5, off
.LBB306_183:                            ;   in Loop: Header=BB306_13 Depth=1
	s_or_b32 exec_lo, exec_lo, s5
	v_add_nc_u32_e32 v77, s20, v77
	s_delay_alu instid0(VALU_DEP_1) | instskip(SKIP_1) | instid1(VALU_DEP_2)
	v_add_nc_u32_e32 v5, 4, v77
	v_cmp_gt_u32_e32 vcc_lo, s11, v77
	v_cmp_le_u32_e64 s1, s11, v5
	s_delay_alu instid0(VALU_DEP_1) | instskip(NEXT) | instid1(SALU_CYCLE_1)
	s_and_b32 s1, vcc_lo, s1
	s_and_saveexec_b32 s34, s1
	s_cbranch_execz .LBB306_12
; %bb.184:                              ;   in Loop: Header=BB306_13 Depth=1
	s_mov_b32 s35, exec_lo
	v_cmpx_ne_u32_e64 s21, v77
	s_cbranch_execz .LBB306_11
; %bb.185:                              ;   in Loop: Header=BB306_13 Depth=1
	v_subrev_nc_u32_e32 v5, s21, v77
	s_mov_b32 s36, 0
	s_mov_b64 s[4:5], 0
	s_delay_alu instid0(VALU_DEP_1)
	v_cmp_lt_u32_e32 vcc_lo, 1, v5
	v_cndmask_b32_e32 v5, 1, v5, vcc_lo
	.p2align	6
.LBB306_186:                            ;   Parent Loop BB306_13 Depth=1
                                        ; =>  This Inner Loop Header: Depth=2
	s_cmp_lg_u32 s4, 3
	s_cselect_b32 vcc_lo, -1, 0
	s_cmp_lg_u32 s4, 2
	v_cndmask_b32_e32 v4, 0, v4, vcc_lo
	s_cselect_b32 s1, -1, 0
	s_cmp_lg_u32 s4, 1
	v_cndmask_b32_e64 v3, 0, v3, s1
	s_cselect_b32 s2, -1, 0
	s_cmp_lg_u32 s4, 0
	v_cndmask_b32_e64 v2, 0, v2, s2
	s_cselect_b32 s3, -1, 0
	s_add_u32 s4, s4, 1
	v_cndmask_b32_e64 v1, 0, v1, s3
	v_cmp_eq_u32_e32 vcc_lo, s4, v5
	s_addc_u32 s5, s5, 0
	s_or_b32 s36, vcc_lo, s36
	s_delay_alu instid0(SALU_CYCLE_1)
	s_and_not1_b32 exec_lo, exec_lo, s36
	s_cbranch_execnz .LBB306_186
; %bb.187:                              ;   in Loop: Header=BB306_13 Depth=1
	s_or_b32 exec_lo, exec_lo, s36
	s_branch .LBB306_11
.LBB306_188:
	s_nop 0
	s_sendmsg sendmsg(MSG_DEALLOC_VGPRS)
	s_endpgm
	.section	.rodata,"a",@progbits
	.p2align	6, 0x0
	.amdhsa_kernel _Z12wvSplitK_hf_I14__hip_bfloat16Li64ELi4ELi16ELi8ELi2ELi5EEviiiiiiPKT_S3_S3_PS1_ii
		.amdhsa_group_segment_fixed_size 65536
		.amdhsa_private_segment_fixed_size 0
		.amdhsa_kernarg_size 64
		.amdhsa_user_sgpr_count 15
		.amdhsa_user_sgpr_dispatch_ptr 0
		.amdhsa_user_sgpr_queue_ptr 0
		.amdhsa_user_sgpr_kernarg_segment_ptr 1
		.amdhsa_user_sgpr_dispatch_id 0
		.amdhsa_user_sgpr_private_segment_size 0
		.amdhsa_wavefront_size32 1
		.amdhsa_uses_dynamic_stack 0
		.amdhsa_enable_private_segment 0
		.amdhsa_system_sgpr_workgroup_id_x 1
		.amdhsa_system_sgpr_workgroup_id_y 0
		.amdhsa_system_sgpr_workgroup_id_z 0
		.amdhsa_system_sgpr_workgroup_info 0
		.amdhsa_system_vgpr_workitem_id 1
		.amdhsa_next_free_vgpr 151
		.amdhsa_next_free_sgpr 37
		.amdhsa_reserve_vcc 1
		.amdhsa_float_round_mode_32 0
		.amdhsa_float_round_mode_16_64 0
		.amdhsa_float_denorm_mode_32 3
		.amdhsa_float_denorm_mode_16_64 3
		.amdhsa_dx10_clamp 1
		.amdhsa_ieee_mode 1
		.amdhsa_fp16_overflow 0
		.amdhsa_workgroup_processor_mode 1
		.amdhsa_memory_ordered 1
		.amdhsa_forward_progress 0
		.amdhsa_shared_vgpr_count 0
		.amdhsa_exception_fp_ieee_invalid_op 0
		.amdhsa_exception_fp_denorm_src 0
		.amdhsa_exception_fp_ieee_div_zero 0
		.amdhsa_exception_fp_ieee_overflow 0
		.amdhsa_exception_fp_ieee_underflow 0
		.amdhsa_exception_fp_ieee_inexact 0
		.amdhsa_exception_int_div_zero 0
	.end_amdhsa_kernel
	.section	.text._Z12wvSplitK_hf_I14__hip_bfloat16Li64ELi4ELi16ELi8ELi2ELi5EEviiiiiiPKT_S3_S3_PS1_ii,"axG",@progbits,_Z12wvSplitK_hf_I14__hip_bfloat16Li64ELi4ELi16ELi8ELi2ELi5EEviiiiiiPKT_S3_S3_PS1_ii,comdat
.Lfunc_end306:
	.size	_Z12wvSplitK_hf_I14__hip_bfloat16Li64ELi4ELi16ELi8ELi2ELi5EEviiiiiiPKT_S3_S3_PS1_ii, .Lfunc_end306-_Z12wvSplitK_hf_I14__hip_bfloat16Li64ELi4ELi16ELi8ELi2ELi5EEviiiiiiPKT_S3_S3_PS1_ii
                                        ; -- End function
	.section	.AMDGPU.csdata,"",@progbits
; Kernel info:
; codeLenInByte = 12820
; NumSgprs: 39
; NumVgprs: 151
; ScratchSize: 0
; MemoryBound: 0
; FloatMode: 240
; IeeeMode: 1
; LDSByteSize: 65536 bytes/workgroup (compile time only)
; SGPRBlocks: 4
; VGPRBlocks: 18
; NumSGPRsForWavesPerEU: 39
; NumVGPRsForWavesPerEU: 151
; Occupancy: 9
; WaveLimiterHint : 0
; COMPUTE_PGM_RSRC2:SCRATCH_EN: 0
; COMPUTE_PGM_RSRC2:USER_SGPR: 15
; COMPUTE_PGM_RSRC2:TRAP_HANDLER: 0
; COMPUTE_PGM_RSRC2:TGID_X_EN: 1
; COMPUTE_PGM_RSRC2:TGID_Y_EN: 0
; COMPUTE_PGM_RSRC2:TGID_Z_EN: 0
; COMPUTE_PGM_RSRC2:TIDIG_COMP_CNT: 1
	.section	.text._Z16wvSplitK_hf_big_I14__hip_bfloat16Li64ELi4ELi16ELi8ELi2ELi5EEviiiiiiPKT_S3_S3_PS1_ii,"axG",@progbits,_Z16wvSplitK_hf_big_I14__hip_bfloat16Li64ELi4ELi16ELi8ELi2ELi5EEviiiiiiPKT_S3_S3_PS1_ii,comdat
	.protected	_Z16wvSplitK_hf_big_I14__hip_bfloat16Li64ELi4ELi16ELi8ELi2ELi5EEviiiiiiPKT_S3_S3_PS1_ii ; -- Begin function _Z16wvSplitK_hf_big_I14__hip_bfloat16Li64ELi4ELi16ELi8ELi2ELi5EEviiiiiiPKT_S3_S3_PS1_ii
	.globl	_Z16wvSplitK_hf_big_I14__hip_bfloat16Li64ELi4ELi16ELi8ELi2ELi5EEviiiiiiPKT_S3_S3_PS1_ii
	.p2align	8
	.type	_Z16wvSplitK_hf_big_I14__hip_bfloat16Li64ELi4ELi16ELi8ELi2ELi5EEviiiiiiPKT_S3_S3_PS1_ii,@function
_Z16wvSplitK_hf_big_I14__hip_bfloat16Li64ELi4ELi16ELi8ELi2ELi5EEviiiiiiPKT_S3_S3_PS1_ii: ; @_Z16wvSplitK_hf_big_I14__hip_bfloat16Li64ELi4ELi16ELi8ELi2ELi5EEviiiiiiPKT_S3_S3_PS1_ii
; %bb.0:
	s_load_b64 s[20:21], s[0:1], 0x38
	v_bfe_u32 v5, v0, 10, 10
	s_mov_b32 s2, exec_lo
	s_waitcnt lgkmcnt(0)
	s_delay_alu instid0(VALU_DEP_1)
	v_cmpx_gt_u32_e64 s20, v5
	s_cbranch_execz .LBB307_160
; %bb.1:
	s_load_b128 s[16:19], s[0:1], 0x0
	s_mul_i32 s15, s15, s20
	s_mov_b32 s4, 1
	v_add_lshl_u32 v76, s15, v5, 2
	s_mov_b32 s5, s4
	s_mov_b32 s6, s4
	;; [unrolled: 1-line block ×3, first 2 shown]
	s_delay_alu instid0(VALU_DEP_1) | instskip(SKIP_2) | instid1(VALU_DEP_2)
	v_add_nc_u32_e32 v1, 4, v76
	s_waitcnt lgkmcnt(0)
	v_cmp_gt_u32_e32 vcc_lo, s19, v76
	v_cmp_le_u32_e64 s2, s19, v1
	v_dual_mov_b32 v1, s4 :: v_dual_mov_b32 v4, s7
	v_dual_mov_b32 v2, s5 :: v_dual_mov_b32 v3, s6
	s_delay_alu instid0(VALU_DEP_3) | instskip(NEXT) | instid1(SALU_CYCLE_1)
	s_and_b32 s2, vcc_lo, s2
	s_and_saveexec_b32 s8, s2
	s_cbranch_execz .LBB307_7
; %bb.2:
	v_dual_mov_b32 v1, s4 :: v_dual_mov_b32 v2, s5
	v_dual_mov_b32 v3, s6 :: v_dual_mov_b32 v4, s7
	s_add_i32 s9, s19, -4
	s_mov_b32 s10, exec_lo
	v_cmpx_ne_u32_e64 s9, v76
	s_cbranch_execz .LBB307_6
; %bb.3:
	v_subrev_nc_u32_e32 v1, s9, v76
	s_mov_b32 s11, 0
	s_mov_b64 s[2:3], 0
	s_mov_b32 s5, s4
	s_mov_b32 s6, s4
	v_cmp_lt_u32_e32 vcc_lo, 1, v1
	s_mov_b32 s7, s4
	v_cndmask_b32_e32 v6, 1, v1, vcc_lo
	.p2align	6
.LBB307_4:                              ; =>This Inner Loop Header: Depth=1
	s_cmp_lg_u32 s2, 3
	s_cselect_b32 s7, s7, 0
	s_cmp_lg_u32 s2, 2
	s_cselect_b32 s6, s6, 0
	;; [unrolled: 2-line block ×4, first 2 shown]
	s_add_u32 s2, s2, 1
	v_dual_mov_b32 v1, s4 :: v_dual_mov_b32 v2, s5
	v_cmp_eq_u32_e32 vcc_lo, s2, v6
	v_dual_mov_b32 v3, s6 :: v_dual_mov_b32 v4, s7
	s_addc_u32 s3, s3, 0
	s_or_b32 s11, vcc_lo, s11
	s_delay_alu instid0(SALU_CYCLE_1)
	s_and_not1_b32 exec_lo, exec_lo, s11
	s_cbranch_execnz .LBB307_4
; %bb.5:
	s_or_b32 exec_lo, exec_lo, s11
	v_mov_b32_e32 v76, s9
.LBB307_6:
	s_or_b32 exec_lo, exec_lo, s10
.LBB307_7:
	s_delay_alu instid0(SALU_CYCLE_1)
	s_or_b32 exec_lo, exec_lo, s8
	s_lshl_b32 s2, s20, 2
	s_abs_i32 s6, s19
	s_abs_i32 s3, s2
	s_mov_b32 s23, 0
	v_cvt_f32_u32_e32 v6, s3
	s_sub_i32 s5, 0, s3
	s_delay_alu instid0(VALU_DEP_1) | instskip(SKIP_2) | instid1(VALU_DEP_1)
	v_rcp_iflag_f32_e32 v6, v6
	s_waitcnt_depctr 0xfff
	v_mul_f32_e32 v6, 0x4f7ffffe, v6
	v_cvt_u32_f32_e32 v6, v6
	s_delay_alu instid0(VALU_DEP_1) | instskip(NEXT) | instid1(VALU_DEP_1)
	v_readfirstlane_b32 s4, v6
	s_mul_i32 s5, s5, s4
	s_delay_alu instid0(SALU_CYCLE_1) | instskip(NEXT) | instid1(SALU_CYCLE_1)
	s_mul_hi_u32 s5, s4, s5
	s_add_i32 s4, s4, s5
	s_ashr_i32 s5, s19, 31
	s_mul_hi_u32 s4, s6, s4
	s_delay_alu instid0(SALU_CYCLE_1) | instskip(NEXT) | instid1(SALU_CYCLE_1)
	s_mul_i32 s4, s4, s3
	s_sub_i32 s4, s6, s4
	s_delay_alu instid0(SALU_CYCLE_1) | instskip(SKIP_2) | instid1(SALU_CYCLE_1)
	s_sub_i32 s6, s4, s3
	s_cmp_ge_u32 s4, s3
	s_cselect_b32 s4, s6, s4
	s_sub_i32 s6, s4, s3
	s_cmp_ge_u32 s4, s3
	s_cselect_b32 s3, s6, s4
	s_add_i32 s2, s2, s19
	s_xor_b32 s3, s3, s5
	s_delay_alu instid0(SALU_CYCLE_1) | instskip(NEXT) | instid1(SALU_CYCLE_1)
	s_sub_i32 s3, s3, s5
	s_sub_i32 s2, s2, s3
	s_cmp_eq_u32 s3, 0
	s_cselect_b32 s22, s19, s2
	s_delay_alu instid0(SALU_CYCLE_1)
	v_cmp_gt_u32_e32 vcc_lo, s22, v76
	s_and_b32 exec_lo, exec_lo, vcc_lo
	s_cbranch_execz .LBB307_160
; %bb.8:
	s_load_b256 s[8:15], s[0:1], 0x10
	s_min_u32 s24, s18, 0x1800
	s_cmp_lg_u32 s16, 0
	s_mul_i32 s2, s21, s20
	s_cselect_b32 s25, -1, 0
	s_cmp_lg_u32 s18, 0
	s_load_b64 s[6:7], s[0:1], 0x30
	s_cselect_b32 s21, -1, 0
	s_lshl_b32 s26, s20, 9
	s_add_i32 s27, s16, -8
	s_add_i32 s28, s19, -1
	s_lshl_b32 s29, s2, 2
	v_and_b32_e32 v0, 0x3ff, v0
	v_mbcnt_lo_u32_b32 v89, -1, 0
	s_delay_alu instid0(VALU_DEP_2)
	v_dual_mov_b32 v79, 0 :: v_dual_lshlrev_b32 v90, 3, v0
	s_waitcnt lgkmcnt(0)
	s_cmp_lg_u64 s[14:15], 0
	s_cselect_b32 s30, -1, 0
	s_abs_i32 s2, s9
	s_add_i32 s31, s19, -4
	v_cvt_f32_u32_e32 v6, s2
	s_sub_i32 s1, 0, s2
	s_sub_i32 s3, 0, s8
	;; [unrolled: 1-line block ×3, first 2 shown]
	s_mul_i32 s9, s24, 6
	v_rcp_iflag_f32_e32 v6, v6
	s_waitcnt_depctr 0xfff
	v_mul_f32_e32 v6, 0x4f7ffffe, v6
	s_delay_alu instid0(VALU_DEP_1) | instskip(NEXT) | instid1(VALU_DEP_1)
	v_cvt_u32_f32_e32 v6, v6
	v_readfirstlane_b32 s0, v6
	v_cvt_f32_u32_e32 v6, s8
	s_delay_alu instid0(VALU_DEP_2) | instskip(NEXT) | instid1(VALU_DEP_1)
	s_mul_i32 s1, s1, s0
	v_rcp_iflag_f32_e32 v6, v6
	s_mul_hi_u32 s1, s0, s1
	v_lshlrev_b32_e32 v7, 4, v0
	s_add_i32 s1, s0, s1
	s_cmp_lt_u32 s2, 2
	v_cmp_eq_u32_e64 s0, 63, v0
	s_cselect_b32 s4, s4, 1
	s_delay_alu instid0(SALU_CYCLE_1)
	s_sub_i32 s5, s4, s2
	s_cmp_ge_u32 s4, s2
	s_waitcnt_depctr 0xfff
	v_mul_f32_e32 v0, 0x4f7ffffe, v6
	s_cselect_b32 s33, s5, s4
	s_lshr_b32 s4, s1, 31
	v_lshl_add_u32 v91, v5, 10, v7
	s_mul_i32 s4, s4, s2
	v_cvt_u32_f32_e32 v6, v0
	s_sub_i32 s4, 2, s4
	v_lshl_add_u32 v0, v5, 9, v90
	s_sub_i32 s5, s4, s2
	s_cmp_ge_u32 s4, s2
	v_mul_lo_u32 v8, s3, v6
	s_cselect_b32 s3, s5, s4
	s_mul_hi_u32 s4, s1, 3
	s_sub_i32 s5, s3, s2
	s_cmp_ge_u32 s3, s2
	s_mul_i32 s4, s4, s2
	s_cselect_b32 s34, s5, s3
	s_sub_i32 s3, 3, s4
	v_mul_hi_u32 v5, v6, v8
	s_sub_i32 s4, s3, s2
	s_cmp_ge_u32 s3, s2
	v_mad_u64_u32 v[80:81], null, s18, 3, v[0:1]
	s_cselect_b32 s3, s4, s3
	v_lshl_add_u32 v92, s18, 1, v0
	s_sub_i32 s4, s3, s2
	s_cmp_ge_u32 s3, s2
	v_lshl_add_u32 v93, s18, 2, v0
	s_cselect_b32 s35, s4, s3
	s_lshr_b32 s1, s1, 30
	v_add_nc_u32_e32 v94, s18, v0
	s_mul_i32 s1, s1, s2
	v_add_nc_u32_e32 v95, v6, v5
	s_sub_i32 s1, 4, s1
	s_mul_i32 s33, s33, s8
	s_sub_i32 s3, s1, s2
	s_cmp_ge_u32 s1, s2
	s_mul_i32 s34, s34, s8
	s_cselect_b32 s1, s3, s1
	s_mul_i32 s35, s35, s8
	s_sub_i32 s3, s1, s2
	s_cmp_ge_u32 s1, s2
	s_cselect_b32 s40, s3, s1
	s_add_u32 s36, s6, 2
	s_addc_u32 s37, s7, 0
	s_lshl_b32 s38, s24, 3
	s_lshl_b32 s20, s20, 10
	;; [unrolled: 1-line block ×3, first 2 shown]
	s_mul_i32 s40, s40, s8
	s_lshl_b32 s41, s24, 1
	s_branch .LBB307_12
.LBB307_9:                              ;   in Loop: Header=BB307_12 Depth=1
	s_or_b32 exec_lo, exec_lo, s44
	v_mov_b32_e32 v76, s31
.LBB307_10:                             ;   in Loop: Header=BB307_12 Depth=1
	s_or_b32 exec_lo, exec_lo, s43
.LBB307_11:                             ;   in Loop: Header=BB307_12 Depth=1
	s_delay_alu instid0(SALU_CYCLE_1) | instskip(NEXT) | instid1(VALU_DEP_1)
	s_or_b32 exec_lo, exec_lo, s42
	v_cmp_le_u32_e32 vcc_lo, s22, v76
	s_or_b32 s23, vcc_lo, s23
	s_delay_alu instid0(SALU_CYCLE_1)
	s_and_not1_b32 exec_lo, exec_lo, s23
	s_cbranch_execz .LBB307_160
.LBB307_12:                             ; =>This Loop Header: Depth=1
                                        ;     Child Loop BB307_17 Depth 2
                                        ;       Child Loop BB307_22 Depth 3
                                        ;     Child Loop BB307_158 Depth 2
	v_mov_b32_e32 v77, v79
	v_mov_b32_e32 v96, v79
	;; [unrolled: 1-line block ×20, first 2 shown]
	s_and_not1_b32 vcc_lo, exec_lo, s25
	s_mov_b32 s3, 0
	s_cbranch_vccnz .LBB307_29
; %bb.13:                               ;   in Loop: Header=BB307_12 Depth=1
	v_dual_mov_b32 v111, 0 :: v_dual_add_nc_u32 v6, 2, v76
	v_add_nc_u32_e32 v5, 1, v76
	v_add_nc_u32_e32 v7, 3, v76
	s_waitcnt lgkmcnt(3)
	v_min_u32_e32 v8, s28, v76
	v_min_u32_e32 v6, s28, v6
	s_waitcnt lgkmcnt(0)
	v_dual_mov_b32 v10, v79 :: v_dual_mov_b32 v113, 0
	v_cmp_gt_u32_e64 s1, s19, v76
	v_mul_lo_u32 v78, v8, s17
	v_mov_b32_e32 v8, v79
	v_min_u32_e32 v9, s28, v7
	v_mul_lo_u32 v7, v6, s17
	v_mov_b32_e32 v6, v79
	v_min_u32_e32 v5, s28, v5
	v_dual_mov_b32 v110, 0 :: v_dual_mov_b32 v105, 0
	v_mul_lo_u32 v9, v9, s17
	v_lshlrev_b64 v[81:82], 1, v[78:79]
	s_delay_alu instid0(VALU_DEP_4)
	v_mul_lo_u32 v5, v5, s17
	v_lshlrev_b64 v[85:86], 1, v[7:8]
	v_dual_mov_b32 v114, 0 :: v_dual_mov_b32 v107, 0
	v_dual_mov_b32 v112, 0 :: v_dual_mov_b32 v109, 0
	v_lshlrev_b64 v[87:88], 1, v[9:10]
	v_dual_mov_b32 v108, 0 :: v_dual_mov_b32 v103, 0
	v_lshlrev_b64 v[83:84], 1, v[5:6]
	v_dual_mov_b32 v106, 0 :: v_dual_mov_b32 v101, 0
	v_dual_mov_b32 v102, 0 :: v_dual_mov_b32 v99, 0
	;; [unrolled: 1-line block ×4, first 2 shown]
	v_mov_b32_e32 v98, 0
	v_mov_b32_e32 v96, 0
	s_mov_b32 s4, 0
	s_branch .LBB307_17
.LBB307_14:                             ;   in Loop: Header=BB307_17 Depth=2
	s_or_b32 exec_lo, exec_lo, s42
.LBB307_15:                             ;   in Loop: Header=BB307_17 Depth=2
	s_delay_alu instid0(SALU_CYCLE_1)
	s_or_b32 exec_lo, exec_lo, s5
	s_waitcnt lgkmcnt(4)
	v_and_b32_e32 v126, 0xffff0000, v70
	s_waitcnt vmcnt(7)
	v_and_b32_e32 v116, 0xffff0000, v66
	v_and_b32_e32 v115, 0xffff0000, v65
	v_lshlrev_b32_e32 v129, 16, v70
	v_lshlrev_b32_e32 v66, 16, v66
	v_and_b32_e32 v70, 0xffff0000, v67
	v_dual_mul_f32 v118, v126, v116 :: v_dual_lshlrev_b32 v131, 16, v71
	v_and_b32_e32 v130, 0xffff0000, v71
	v_and_b32_e32 v122, 0xffff0000, v69
	s_delay_alu instid0(VALU_DEP_3) | instskip(SKIP_1) | instid1(VALU_DEP_4)
	v_dual_fmac_f32 v118, v129, v66 :: v_dual_lshlrev_b32 v125, 16, v69
	v_lshlrev_b32_e32 v69, 16, v65
	v_mul_f32_e32 v119, v130, v70
	s_delay_alu instid0(VALU_DEP_4) | instskip(SKIP_2) | instid1(VALU_DEP_3)
	v_mul_f32_e32 v117, v122, v115
	v_lshlrev_b32_e32 v65, 16, v67
	v_lshlrev_b32_e32 v133, 16, v72
	v_fmac_f32_e32 v117, v125, v69
	s_delay_alu instid0(VALU_DEP_1) | instskip(SKIP_1) | instid1(VALU_DEP_1)
	v_add_f32_e32 v67, v110, v117
	s_waitcnt vmcnt(6)
	v_dual_add_f32 v120, v67, v118 :: v_dual_lshlrev_b32 v71, 16, v61
	v_and_b32_e32 v110, 0xffff0000, v61
	v_and_b32_e32 v67, 0xffff0000, v63
	;; [unrolled: 1-line block ×4, first 2 shown]
	v_lshlrev_b32_e32 v61, 16, v62
	v_dual_mul_f32 v121, v122, v110 :: v_dual_lshlrev_b32 v62, 16, v63
	s_delay_alu instid0(VALU_DEP_1) | instskip(NEXT) | instid1(VALU_DEP_1)
	v_dual_mul_f32 v72, v126, v117 :: v_dual_fmac_f32 v121, v125, v71
	v_fmac_f32_e32 v72, v129, v61
	s_delay_alu instid0(VALU_DEP_2) | instskip(SKIP_3) | instid1(VALU_DEP_3)
	v_add_f32_e32 v114, v114, v121
	v_fmac_f32_e32 v119, v131, v65
	v_lshlrev_b32_e32 v63, 16, v64
	s_waitcnt vmcnt(5)
	v_dual_add_f32 v127, v114, v72 :: v_dual_lshlrev_b32 v114, 16, v57
	s_delay_alu instid0(VALU_DEP_3) | instskip(NEXT) | instid1(VALU_DEP_1)
	v_dual_add_f32 v124, v120, v119 :: v_dual_and_b32 v119, 0xffff0000, v57
	v_dual_mul_f32 v57, v122, v119 :: v_dual_and_b32 v72, 0xffff0000, v64
	s_delay_alu instid0(VALU_DEP_1) | instskip(NEXT) | instid1(VALU_DEP_1)
	v_fmac_f32_e32 v57, v125, v114
	v_dual_add_f32 v112, v112, v57 :: v_dual_mul_f32 v121, v130, v67
	v_and_b32_e32 v118, 0xffff0000, v68
	s_delay_alu instid0(VALU_DEP_2) | instskip(NEXT) | instid1(VALU_DEP_2)
	v_dual_mul_f32 v128, v132, v72 :: v_dual_fmac_f32 v121, v131, v62
	v_dual_mul_f32 v123, v132, v118 :: v_dual_lshlrev_b32 v68, 16, v68
	s_delay_alu instid0(VALU_DEP_2) | instskip(NEXT) | instid1(VALU_DEP_2)
	v_dual_add_f32 v127, v127, v121 :: v_dual_and_b32 v120, 0xffff0000, v58
	v_dual_fmac_f32 v123, v133, v68 :: v_dual_lshlrev_b32 v64, 16, v58
	s_delay_alu instid0(VALU_DEP_2) | instskip(NEXT) | instid1(VALU_DEP_2)
	v_mul_f32_e32 v134, v126, v120
	v_add_f32_e32 v58, v124, v123
	v_fmac_f32_e32 v128, v133, v63
	s_waitcnt vmcnt(4)
	s_delay_alu instid0(VALU_DEP_1) | instskip(SKIP_1) | instid1(VALU_DEP_1)
	v_dual_add_f32 v57, v127, v128 :: v_dual_and_b32 v124, 0xffff0000, v49
	v_dual_fmac_f32 v134, v129, v64 :: v_dual_and_b32 v121, 0xffff0000, v59
	v_dual_mul_f32 v128, v130, v121 :: v_dual_lshlrev_b32 v59, 16, v59
	s_delay_alu instid0(VALU_DEP_2) | instskip(NEXT) | instid1(VALU_DEP_2)
	v_dual_add_f32 v134, v112, v134 :: v_dual_lshlrev_b32 v123, 16, v49
	v_dual_mul_f32 v49, v122, v124 :: v_dual_fmac_f32 v128, v131, v59
	s_delay_alu instid0(VALU_DEP_1) | instskip(SKIP_2) | instid1(VALU_DEP_3)
	v_dual_fmac_f32 v49, v125, v123 :: v_dual_and_b32 v112, 0xffff0000, v60
	v_and_b32_e32 v127, 0xffff0000, v50
	v_lshlrev_b32_e32 v122, 16, v60
	v_dual_mul_f32 v60, v132, v112 :: v_dual_lshlrev_b32 v125, 16, v50
	s_delay_alu instid0(VALU_DEP_3) | instskip(SKIP_1) | instid1(VALU_DEP_3)
	v_dual_add_f32 v49, v111, v49 :: v_dual_mul_f32 v50, v126, v127
	v_dual_add_f32 v126, v134, v128 :: v_dual_lshlrev_b32 v111, 16, v51
	v_fmac_f32_e32 v60, v133, v122
	v_and_b32_e32 v128, 0xffff0000, v51
	s_delay_alu instid0(VALU_DEP_4) | instskip(SKIP_1) | instid1(VALU_DEP_3)
	v_fmac_f32_e32 v50, v129, v125
	s_waitcnt lgkmcnt(3)
	v_dual_add_f32 v51, v126, v60 :: v_dual_lshlrev_b32 v134, 16, v53
	s_delay_alu instid0(VALU_DEP_3) | instskip(SKIP_3) | instid1(VALU_DEP_4)
	v_dual_mul_f32 v130, v130, v128 :: v_dual_and_b32 v129, 0xffff0000, v53
	v_and_b32_e32 v126, 0xffff0000, v52
	v_lshlrev_b32_e32 v60, 16, v52
	v_lshlrev_b32_e32 v52, 16, v54
	v_dual_fmac_f32 v130, v131, v111 :: v_dual_and_b32 v131, 0xffff0000, v54
	v_add_f32_e32 v49, v49, v50
	s_delay_alu instid0(VALU_DEP_2) | instskip(NEXT) | instid1(VALU_DEP_1)
	v_dual_mul_f32 v50, v129, v115 :: v_dual_mul_f32 v53, v131, v116
	v_dual_fmac_f32 v50, v134, v69 :: v_dual_fmac_f32 v53, v52, v66
	s_delay_alu instid0(VALU_DEP_3) | instskip(SKIP_1) | instid1(VALU_DEP_3)
	v_add_f32_e32 v49, v49, v130
	v_mul_f32_e32 v54, v132, v126
	v_dual_add_f32 v50, v113, v50 :: v_dual_and_b32 v113, 0xffff0000, v55
	v_dual_mul_f32 v130, v129, v110 :: v_dual_lshlrev_b32 v55, 16, v55
	s_delay_alu instid0(VALU_DEP_2) | instskip(NEXT) | instid1(VALU_DEP_4)
	v_add_f32_e32 v50, v50, v53
	v_dual_mul_f32 v53, v131, v117 :: v_dual_fmac_f32 v54, v133, v60
	s_delay_alu instid0(VALU_DEP_3) | instskip(NEXT) | instid1(VALU_DEP_1)
	v_dual_fmac_f32 v130, v134, v71 :: v_dual_and_b32 v133, 0xffff0000, v56
	v_dual_mul_f32 v135, v133, v118 :: v_dual_lshlrev_b32 v56, 16, v56
	s_delay_alu instid0(VALU_DEP_2) | instskip(NEXT) | instid1(VALU_DEP_2)
	v_add_f32_e32 v108, v108, v130
	v_dual_mul_f32 v130, v113, v67 :: v_dual_fmac_f32 v135, v56, v68
	v_fmac_f32_e32 v53, v52, v61
	s_delay_alu instid0(VALU_DEP_1) | instskip(SKIP_2) | instid1(VALU_DEP_2)
	v_dual_add_f32 v108, v108, v53 :: v_dual_add_f32 v53, v49, v54
	v_dual_mul_f32 v49, v131, v120 :: v_dual_mul_f32 v132, v113, v70
	v_mul_f32_e32 v131, v131, v127
	v_dual_fmac_f32 v49, v52, v64 :: v_dual_fmac_f32 v132, v55, v65
	s_delay_alu instid0(VALU_DEP_2) | instskip(NEXT) | instid1(VALU_DEP_2)
	v_dual_fmac_f32 v131, v52, v125 :: v_dual_mul_f32 v52, v113, v128
	v_add_f32_e32 v50, v50, v132
	v_mul_f32_e32 v132, v129, v119
	s_delay_alu instid0(VALU_DEP_3) | instskip(NEXT) | instid1(VALU_DEP_3)
	v_dual_mul_f32 v129, v129, v124 :: v_dual_fmac_f32 v52, v55, v111
	v_add_f32_e32 v50, v50, v135
	s_delay_alu instid0(VALU_DEP_3) | instskip(NEXT) | instid1(VALU_DEP_3)
	v_fmac_f32_e32 v132, v134, v114
	v_fmac_f32_e32 v129, v134, v123
	s_delay_alu instid0(VALU_DEP_2) | instskip(NEXT) | instid1(VALU_DEP_1)
	v_dual_add_f32 v105, v105, v132 :: v_dual_fmac_f32 v130, v55, v62
	v_dual_add_f32 v105, v105, v49 :: v_dual_add_f32 v54, v108, v130
	v_mul_f32_e32 v108, v133, v72
	s_waitcnt lgkmcnt(2)
	v_dual_mul_f32 v130, v113, v121 :: v_dual_and_b32 v113, 0xffff0000, v46
	s_delay_alu instid0(VALU_DEP_2) | instskip(NEXT) | instid1(VALU_DEP_1)
	v_fmac_f32_e32 v108, v56, v63
	v_add_f32_e32 v49, v54, v108
	v_dual_add_f32 v54, v106, v129 :: v_dual_mul_f32 v129, v133, v126
	v_mul_f32_e32 v108, v133, v112
	s_delay_alu instid0(VALU_DEP_2) | instskip(SKIP_2) | instid1(VALU_DEP_2)
	v_dual_add_f32 v54, v54, v131 :: v_dual_fmac_f32 v129, v56, v60
	v_dual_fmac_f32 v130, v55, v59 :: v_dual_mul_f32 v131, v113, v116
	v_lshlrev_b32_e32 v55, 16, v45
	v_add_f32_e32 v105, v105, v130
	v_lshlrev_b32_e32 v130, 16, v46
	s_delay_alu instid0(VALU_DEP_1) | instskip(NEXT) | instid1(VALU_DEP_1)
	v_dual_fmac_f32 v131, v130, v66 :: v_dual_and_b32 v106, 0xffff0000, v45
	v_mul_f32_e32 v45, v106, v115
	s_delay_alu instid0(VALU_DEP_1) | instskip(NEXT) | instid1(VALU_DEP_1)
	v_fmac_f32_e32 v45, v55, v69
	v_dual_add_f32 v45, v107, v45 :: v_dual_fmac_f32 v108, v56, v122
	v_and_b32_e32 v56, 0xffff0000, v47
	v_and_b32_e32 v107, 0xffff0000, v48
	s_delay_alu instid0(VALU_DEP_3) | instskip(NEXT) | instid1(VALU_DEP_4)
	v_dual_add_f32 v54, v54, v52 :: v_dual_add_f32 v45, v45, v131
	v_dual_add_f32 v52, v105, v108 :: v_dual_mul_f32 v131, v106, v119
	s_delay_alu instid0(VALU_DEP_2) | instskip(NEXT) | instid1(VALU_DEP_4)
	v_dual_add_f32 v46, v54, v129 :: v_dual_lshlrev_b32 v105, 16, v47
	v_dual_mul_f32 v48, v107, v118 :: v_dual_lshlrev_b32 v129, 16, v48
	s_delay_alu instid0(VALU_DEP_3) | instskip(NEXT) | instid1(VALU_DEP_2)
	v_dual_mul_f32 v108, v113, v117 :: v_dual_fmac_f32 v131, v55, v114
	v_fmac_f32_e32 v48, v129, v68
	s_delay_alu instid0(VALU_DEP_2) | instskip(NEXT) | instid1(VALU_DEP_1)
	v_dual_mul_f32 v54, v106, v110 :: v_dual_add_f32 v103, v103, v131
	v_fmac_f32_e32 v54, v55, v71
	s_delay_alu instid0(VALU_DEP_1) | instskip(NEXT) | instid1(VALU_DEP_1)
	v_dual_add_f32 v54, v109, v54 :: v_dual_mul_f32 v109, v56, v67
	v_fmac_f32_e32 v109, v105, v62
	v_mul_f32_e32 v47, v56, v70
	s_delay_alu instid0(VALU_DEP_1) | instskip(NEXT) | instid1(VALU_DEP_1)
	v_fmac_f32_e32 v47, v105, v65
	v_dual_add_f32 v45, v45, v47 :: v_dual_fmac_f32 v108, v130, v61
	s_delay_alu instid0(VALU_DEP_1) | instskip(SKIP_1) | instid1(VALU_DEP_1)
	v_add_f32_e32 v47, v45, v48
	v_mul_f32_e32 v48, v113, v120
	v_fmac_f32_e32 v48, v130, v64
	s_delay_alu instid0(VALU_DEP_1) | instskip(SKIP_2) | instid1(VALU_DEP_2)
	v_add_f32_e32 v48, v103, v48
	v_mul_f32_e32 v103, v107, v112
	v_add_f32_e32 v54, v54, v108
	v_dual_mul_f32 v108, v107, v72 :: v_dual_fmac_f32 v103, v129, v122
	s_delay_alu instid0(VALU_DEP_2) | instskip(SKIP_3) | instid1(VALU_DEP_2)
	v_add_f32_e32 v45, v54, v109
	v_mul_f32_e32 v54, v106, v124
	v_mul_f32_e32 v106, v56, v121
	v_mul_f32_e32 v56, v56, v128
	v_fmac_f32_e32 v106, v105, v59
	s_delay_alu instid0(VALU_DEP_2)
	v_dual_fmac_f32 v56, v105, v111 :: v_dual_mul_f32 v105, v107, v126
	v_fmac_f32_e32 v54, v55, v123
	v_mul_f32_e32 v55, v113, v127
	s_waitcnt lgkmcnt(1)
	v_and_b32_e32 v107, 0xffff0000, v43
	v_lshlrev_b32_e32 v43, 16, v43
	v_dual_fmac_f32 v105, v129, v60 :: v_dual_add_f32 v54, v102, v54
	v_fmac_f32_e32 v55, v130, v125
	v_and_b32_e32 v102, 0xffff0000, v41
	v_dual_fmac_f32 v108, v129, v63 :: v_dual_lshlrev_b32 v41, 16, v41
	s_delay_alu instid0(VALU_DEP_3) | instskip(NEXT) | instid1(VALU_DEP_3)
	v_add_f32_e32 v54, v54, v55
	v_mul_f32_e32 v55, v102, v115
	s_delay_alu instid0(VALU_DEP_1) | instskip(NEXT) | instid1(VALU_DEP_1)
	v_dual_add_f32 v54, v54, v56 :: v_dual_fmac_f32 v55, v41, v69
	v_dual_add_f32 v55, v104, v55 :: v_dual_lshlrev_b32 v56, 16, v42
	v_mul_f32_e32 v104, v102, v110
	s_delay_alu instid0(VALU_DEP_1) | instskip(NEXT) | instid1(VALU_DEP_1)
	v_fmac_f32_e32 v104, v41, v71
	v_dual_add_f32 v48, v48, v106 :: v_dual_add_f32 v101, v101, v104
	s_delay_alu instid0(VALU_DEP_1) | instskip(SKIP_1) | instid1(VALU_DEP_2)
	v_dual_add_f32 v48, v48, v103 :: v_dual_and_b32 v103, 0xffff0000, v42
	v_dual_add_f32 v45, v45, v108 :: v_dual_mul_f32 v108, v107, v70
	v_mul_f32_e32 v106, v103, v116
	s_delay_alu instid0(VALU_DEP_2) | instskip(NEXT) | instid1(VALU_DEP_2)
	v_fmac_f32_e32 v108, v43, v65
	v_fmac_f32_e32 v106, v56, v66
	s_delay_alu instid0(VALU_DEP_1) | instskip(NEXT) | instid1(VALU_DEP_1)
	v_add_f32_e32 v55, v55, v106
	v_add_f32_e32 v55, v55, v108
	v_mul_f32_e32 v108, v107, v121
	s_delay_alu instid0(VALU_DEP_1) | instskip(SKIP_4) | instid1(VALU_DEP_4)
	v_fmac_f32_e32 v108, v43, v59
	v_dual_add_f32 v42, v54, v105 :: v_dual_and_b32 v105, 0xffff0000, v44
	v_mul_f32_e32 v54, v103, v117
	v_lshlrev_b32_e32 v106, 16, v44
	v_mul_f32_e32 v44, v102, v119
	v_dual_mul_f32 v102, v102, v124 :: v_dual_mul_f32 v109, v105, v118
	s_delay_alu instid0(VALU_DEP_2) | instskip(NEXT) | instid1(VALU_DEP_2)
	v_fmac_f32_e32 v44, v41, v114
	v_dual_fmac_f32 v102, v41, v123 :: v_dual_fmac_f32 v109, v106, v68
	s_delay_alu instid0(VALU_DEP_1) | instskip(SKIP_2) | instid1(VALU_DEP_2)
	v_dual_fmac_f32 v54, v56, v61 :: v_dual_add_f32 v99, v99, v102
	s_waitcnt lgkmcnt(0)
	v_lshlrev_b32_e32 v102, 16, v37
	v_dual_add_f32 v54, v101, v54 :: v_dual_mul_f32 v101, v103, v120
	v_add_f32_e32 v100, v100, v44
	s_delay_alu instid0(VALU_DEP_2) | instskip(NEXT) | instid1(VALU_DEP_1)
	v_dual_add_f32 v44, v55, v109 :: v_dual_fmac_f32 v101, v56, v64
	v_add_f32_e32 v55, v100, v101
	v_dual_mul_f32 v100, v105, v112 :: v_dual_and_b32 v101, 0xffff0000, v37
	s_delay_alu instid0(VALU_DEP_2) | instskip(NEXT) | instid1(VALU_DEP_2)
	v_add_f32_e32 v55, v55, v108
	v_mul_f32_e32 v37, v101, v115
	s_delay_alu instid0(VALU_DEP_1) | instskip(SKIP_1) | instid1(VALU_DEP_2)
	v_dual_mul_f32 v104, v107, v67 :: v_dual_fmac_f32 v37, v102, v69
	v_mul_f32_e32 v69, v105, v126
	v_dual_fmac_f32 v104, v43, v62 :: v_dual_add_f32 v37, v98, v37
	s_delay_alu instid0(VALU_DEP_2) | instskip(NEXT) | instid1(VALU_DEP_2)
	v_fmac_f32_e32 v69, v106, v60
	v_add_f32_e32 v54, v54, v104
	v_mul_f32_e32 v104, v105, v72
	v_mul_f32_e32 v98, v101, v110
	s_delay_alu instid0(VALU_DEP_2) | instskip(NEXT) | instid1(VALU_DEP_2)
	v_fmac_f32_e32 v104, v106, v63
	v_dual_fmac_f32 v98, v102, v71 :: v_dual_lshlrev_b32 v71, 16, v36
	s_delay_alu instid0(VALU_DEP_2) | instskip(NEXT) | instid1(VALU_DEP_1)
	v_dual_add_f32 v41, v54, v104 :: v_dual_mul_f32 v54, v103, v127
	v_fmac_f32_e32 v54, v56, v125
	v_mul_f32_e32 v56, v107, v128
	s_delay_alu instid0(VALU_DEP_2) | instskip(SKIP_2) | instid1(VALU_DEP_4)
	v_add_f32_e32 v54, v99, v54
	v_and_b32_e32 v99, 0xffff0000, v38
	v_fmac_f32_e32 v100, v106, v122
	v_fmac_f32_e32 v56, v43, v111
	s_delay_alu instid0(VALU_DEP_2) | instskip(NEXT) | instid1(VALU_DEP_4)
	v_add_f32_e32 v43, v55, v100
	v_dual_mul_f32 v38, v99, v116 :: v_dual_lshlrev_b32 v55, 16, v38
	s_delay_alu instid0(VALU_DEP_3) | instskip(SKIP_1) | instid1(VALU_DEP_3)
	v_add_f32_e32 v54, v54, v56
	v_and_b32_e32 v56, 0xffff0000, v39
	v_fmac_f32_e32 v38, v55, v66
	s_delay_alu instid0(VALU_DEP_2) | instskip(SKIP_1) | instid1(VALU_DEP_2)
	v_dual_mul_f32 v39, v56, v70 :: v_dual_lshlrev_b32 v66, 16, v39
	v_and_b32_e32 v70, 0xffff0000, v40
	v_dual_add_f32 v38, v37, v38 :: v_dual_fmac_f32 v39, v66, v65
	s_delay_alu instid0(VALU_DEP_2) | instskip(NEXT) | instid1(VALU_DEP_2)
	v_dual_mul_f32 v40, v70, v118 :: v_dual_lshlrev_b32 v65, 16, v40
	v_add_f32_e32 v38, v38, v39
	v_mul_f32_e32 v39, v101, v119
	s_delay_alu instid0(VALU_DEP_3) | instskip(SKIP_1) | instid1(VALU_DEP_3)
	v_fmac_f32_e32 v40, v65, v68
	v_add_f32_e32 v68, v97, v98
	v_fmac_f32_e32 v39, v102, v114
	s_delay_alu instid0(VALU_DEP_3) | instskip(NEXT) | instid1(VALU_DEP_2)
	v_add_f32_e32 v38, v38, v40
	v_dual_mul_f32 v40, v99, v120 :: v_dual_add_f32 v39, v96, v39
	s_delay_alu instid0(VALU_DEP_1) | instskip(SKIP_1) | instid1(VALU_DEP_1)
	v_fmac_f32_e32 v40, v55, v64
	v_mul_f32_e32 v64, v56, v121
	v_fmac_f32_e32 v64, v66, v59
	v_mul_f32_e32 v59, v99, v127
	s_delay_alu instid0(VALU_DEP_1) | instskip(SKIP_2) | instid1(VALU_DEP_1)
	v_fmac_f32_e32 v59, v55, v125
	v_add_f32_e32 v37, v54, v69
	v_dual_mul_f32 v54, v99, v117 :: v_dual_and_b32 v69, 0xffff0000, v35
	v_dual_fmac_f32 v54, v55, v61 :: v_dual_mul_f32 v61, v56, v67
	v_mul_f32_e32 v55, v56, v128
	s_waitcnt vmcnt(3)
	v_dual_mul_f32 v67, v101, v124 :: v_dual_and_b32 v56, 0xffff0000, v30
	s_delay_alu instid0(VALU_DEP_3) | instskip(SKIP_2) | instid1(VALU_DEP_4)
	v_fmac_f32_e32 v61, v66, v62
	v_mul_f32_e32 v62, v70, v72
	v_dual_fmac_f32 v55, v66, v111 :: v_dual_lshlrev_b32 v66, 16, v33
	v_dual_add_f32 v54, v68, v54 :: v_dual_fmac_f32 v67, v102, v123
	s_delay_alu instid0(VALU_DEP_3) | instskip(SKIP_2) | instid1(VALU_DEP_4)
	v_fmac_f32_e32 v62, v65, v63
	v_lshlrev_b32_e32 v68, 16, v34
	v_add_f32_e32 v40, v39, v40
	v_add_f32_e32 v54, v54, v61
	v_mul_f32_e32 v61, v70, v112
	s_delay_alu instid0(VALU_DEP_2) | instskip(SKIP_2) | instid1(VALU_DEP_4)
	v_dual_add_f32 v39, v54, v62 :: v_dual_add_f32 v62, v40, v64
	v_add_f32_e32 v40, v77, v67
	v_and_b32_e32 v64, 0xffff0000, v33
	v_dual_fmac_f32 v61, v65, v122 :: v_dual_and_b32 v54, 0xffff0000, v29
	v_and_b32_e32 v67, 0xffff0000, v34
	s_delay_alu instid0(VALU_DEP_4) | instskip(NEXT) | instid1(VALU_DEP_3)
	v_dual_add_f32 v59, v40, v59 :: v_dual_lshlrev_b32 v40, 16, v29
	v_mul_f32_e32 v63, v64, v54
	s_delay_alu instid0(VALU_DEP_3) | instskip(NEXT) | instid1(VALU_DEP_3)
	v_dual_add_f32 v29, v62, v61 :: v_dual_mul_f32 v34, v67, v56
	v_add_f32_e32 v61, v59, v55
	v_lshlrev_b32_e32 v55, 16, v30
	s_delay_alu instid0(VALU_DEP_4) | instskip(SKIP_2) | instid1(VALU_DEP_4)
	v_fmac_f32_e32 v63, v66, v40
	v_dual_mul_f32 v62, v70, v126 :: v_dual_and_b32 v33, 0xffff0000, v31
	v_lshlrev_b32_e32 v70, 16, v35
	v_fmac_f32_e32 v34, v68, v55
	s_delay_alu instid0(VALU_DEP_4) | instskip(NEXT) | instid1(VALU_DEP_4)
	v_add_f32_e32 v58, v58, v63
	v_dual_mul_f32 v59, v69, v33 :: v_dual_lshlrev_b32 v30, 16, v31
	v_fmac_f32_e32 v62, v65, v60
	s_delay_alu instid0(VALU_DEP_3) | instskip(NEXT) | instid1(VALU_DEP_3)
	v_dual_add_f32 v60, v58, v34 :: v_dual_and_b32 v65, 0xffff0000, v36
	v_dual_fmac_f32 v59, v70, v30 :: v_dual_and_b32 v34, 0xffff0000, v32
	s_waitcnt vmcnt(2)
	v_and_b32_e32 v58, 0xffff0000, v25
	v_lshlrev_b32_e32 v31, 16, v32
	s_delay_alu instid0(VALU_DEP_3) | instskip(SKIP_1) | instid1(VALU_DEP_4)
	v_dual_mul_f32 v32, v65, v34 :: v_dual_lshlrev_b32 v35, 16, v25
	v_add_f32_e32 v60, v60, v59
	v_mul_f32_e32 v63, v64, v58
	v_and_b32_e32 v59, 0xffff0000, v26
	s_delay_alu instid0(VALU_DEP_4) | instskip(NEXT) | instid1(VALU_DEP_3)
	v_dual_add_f32 v25, v61, v62 :: v_dual_fmac_f32 v32, v71, v31
	v_dual_fmac_f32 v63, v66, v35 :: v_dual_lshlrev_b32 v36, 16, v26
	s_delay_alu instid0(VALU_DEP_3) | instskip(NEXT) | instid1(VALU_DEP_3)
	v_mul_f32_e32 v62, v67, v59
	v_dual_add_f32 v110, v60, v32 :: v_dual_lshlrev_b32 v61, 16, v27
	v_and_b32_e32 v60, 0xffff0000, v27
	s_delay_alu instid0(VALU_DEP_4) | instskip(SKIP_2) | instid1(VALU_DEP_3)
	v_add_f32_e32 v32, v57, v63
	s_waitcnt vmcnt(1)
	v_dual_fmac_f32 v62, v68, v36 :: v_dual_and_b32 v57, 0xffff0000, v21
	v_dual_mul_f32 v63, v69, v60 :: v_dual_lshlrev_b32 v26, 16, v21
	v_and_b32_e32 v27, 0xffff0000, v22
	s_delay_alu instid0(VALU_DEP_3) | instskip(SKIP_1) | instid1(VALU_DEP_4)
	v_add_f32_e32 v62, v32, v62
	v_and_b32_e32 v32, 0xffff0000, v28
	v_dual_fmac_f32 v63, v70, v61 :: v_dual_lshlrev_b32 v22, 16, v22
	s_delay_alu instid0(VALU_DEP_4) | instskip(SKIP_2) | instid1(VALU_DEP_4)
	v_mul_f32_e32 v77, v67, v27
	v_lshlrev_b32_e32 v21, 16, v28
	v_and_b32_e32 v28, 0xffff0000, v23
	v_dual_mul_f32 v96, v65, v32 :: v_dual_add_f32 v97, v62, v63
	v_mul_f32_e32 v72, v64, v57
	s_waitcnt vmcnt(0)
	v_and_b32_e32 v63, 0xffff0000, v13
	v_dual_fmac_f32 v77, v68, v22 :: v_dual_lshlrev_b32 v62, 16, v13
	s_delay_alu instid0(VALU_DEP_3) | instskip(NEXT) | instid1(VALU_DEP_3)
	v_dual_fmac_f32 v72, v66, v26 :: v_dual_lshlrev_b32 v13, 16, v24
	v_mul_f32_e32 v64, v64, v63
	v_dual_fmac_f32 v96, v71, v21 :: v_dual_lshlrev_b32 v23, 16, v23
	s_delay_alu instid0(VALU_DEP_2) | instskip(NEXT) | instid1(VALU_DEP_1)
	v_dual_add_f32 v51, v51, v72 :: v_dual_fmac_f32 v64, v66, v62
	v_add_f32_e32 v77, v51, v77
	v_and_b32_e32 v51, 0xffff0000, v24
	v_and_b32_e32 v24, 0xffff0000, v14
	v_lshlrev_b32_e32 v14, 16, v14
	v_dual_add_f32 v64, v53, v64 :: v_dual_and_b32 v53, 0xffff0000, v15
	s_delay_alu instid0(VALU_DEP_3) | instskip(SKIP_1) | instid1(VALU_DEP_2)
	v_dual_mul_f32 v66, v67, v24 :: v_dual_lshlrev_b32 v15, 16, v15
	v_and_b32_e32 v67, 0xffff0000, v17
	v_dual_fmac_f32 v66, v68, v14 :: v_dual_lshlrev_b32 v17, 16, v17
	s_delay_alu instid0(VALU_DEP_4) | instskip(NEXT) | instid1(VALU_DEP_2)
	v_mul_f32_e32 v68, v69, v53
	v_add_f32_e32 v66, v64, v66
	v_and_b32_e32 v64, 0xffff0000, v16
	s_delay_alu instid0(VALU_DEP_3) | instskip(SKIP_2) | instid1(VALU_DEP_4)
	v_fmac_f32_e32 v68, v70, v15
	v_lshlrev_b32_e32 v16, 16, v16
	v_mul_f32_e32 v98, v65, v51
	v_mul_f32_e32 v65, v65, v64
	s_delay_alu instid0(VALU_DEP_4) | instskip(SKIP_2) | instid1(VALU_DEP_4)
	v_add_f32_e32 v66, v66, v68
	v_and_b32_e32 v68, 0xffff0000, v19
	v_dual_mul_f32 v72, v69, v28 :: v_dual_mul_f32 v69, v67, v54
	v_fmac_f32_e32 v65, v71, v16
	v_lshlrev_b32_e32 v19, 16, v19
	s_delay_alu instid0(VALU_DEP_3) | instskip(NEXT) | instid1(VALU_DEP_3)
	v_fmac_f32_e32 v69, v17, v40
	v_add_f32_e32 v111, v66, v65
	v_and_b32_e32 v65, 0xffff0000, v20
	v_lshlrev_b32_e32 v20, 16, v20
	s_delay_alu instid0(VALU_DEP_4) | instskip(SKIP_3) | instid1(VALU_DEP_3)
	v_add_f32_e32 v50, v50, v69
	v_dual_mul_f32 v69, v68, v33 :: v_dual_fmac_f32 v72, v70, v23
	v_and_b32_e32 v70, 0xffff0000, v18
	v_lshlrev_b32_e32 v18, 16, v18
	v_dual_fmac_f32 v69, v19, v30 :: v_dual_add_f32 v72, v77, v72
	v_dual_fmac_f32 v98, v71, v13 :: v_dual_mul_f32 v71, v65, v34
	v_mul_f32_e32 v66, v67, v58
	s_delay_alu instid0(VALU_DEP_2) | instskip(SKIP_1) | instid1(VALU_DEP_3)
	v_add_f32_e32 v112, v72, v98
	v_mul_f32_e32 v72, v70, v56
	v_fmac_f32_e32 v66, v17, v35
	v_fmac_f32_e32 v71, v20, v31
	s_delay_alu instid0(VALU_DEP_2) | instskip(SKIP_1) | instid1(VALU_DEP_2)
	v_dual_fmac_f32 v72, v18, v55 :: v_dual_add_f32 v49, v49, v66
	v_mul_f32_e32 v66, v70, v27
	v_add_f32_e32 v50, v50, v72
	v_mul_f32_e32 v72, v67, v57
	s_delay_alu instid0(VALU_DEP_3) | instskip(NEXT) | instid1(VALU_DEP_3)
	v_fmac_f32_e32 v66, v18, v22
	v_add_f32_e32 v50, v50, v69
	s_delay_alu instid0(VALU_DEP_3) | instskip(NEXT) | instid1(VALU_DEP_2)
	v_dual_mul_f32 v69, v70, v59 :: v_dual_fmac_f32 v72, v17, v26
	v_add_f32_e32 v113, v50, v71
	s_delay_alu instid0(VALU_DEP_2) | instskip(SKIP_1) | instid1(VALU_DEP_2)
	v_fmac_f32_e32 v69, v18, v36
	v_mul_f32_e32 v50, v68, v60
	v_dual_add_f32 v52, v52, v72 :: v_dual_add_f32 v49, v49, v69
	s_delay_alu instid0(VALU_DEP_2) | instskip(NEXT) | instid1(VALU_DEP_2)
	v_fmac_f32_e32 v50, v19, v61
	v_add_f32_e32 v52, v52, v66
	s_delay_alu instid0(VALU_DEP_2) | instskip(SKIP_1) | instid1(VALU_DEP_1)
	v_dual_mul_f32 v66, v67, v63 :: v_dual_add_f32 v49, v49, v50
	v_dual_mul_f32 v69, v68, v28 :: v_dual_mul_f32 v50, v65, v51
	v_dual_fmac_f32 v66, v17, v62 :: v_dual_fmac_f32 v69, v19, v23
	s_delay_alu instid0(VALU_DEP_2) | instskip(NEXT) | instid1(VALU_DEP_2)
	v_dual_fmac_f32 v50, v20, v13 :: v_dual_mul_f32 v71, v65, v32
	v_dual_add_f32 v46, v46, v66 :: v_dual_add_f32 v17, v52, v69
	s_delay_alu instid0(VALU_DEP_2) | instskip(NEXT) | instid1(VALU_DEP_2)
	v_fmac_f32_e32 v71, v20, v21
	v_add_f32_e32 v105, v17, v50
	s_delay_alu instid0(VALU_DEP_2) | instskip(SKIP_2) | instid1(VALU_DEP_3)
	v_dual_mul_f32 v17, v68, v53 :: v_dual_add_f32 v108, v49, v71
	v_and_b32_e32 v49, 0xffff0000, v9
	v_lshlrev_b32_e32 v9, 16, v9
	v_dual_fmac_f32 v17, v19, v15 :: v_dual_and_b32 v50, 0xffff0000, v10
	v_mul_f32_e32 v19, v65, v64
	v_mul_f32_e32 v52, v70, v24
	s_delay_alu instid0(VALU_DEP_3) | instskip(NEXT) | instid1(VALU_DEP_2)
	v_dual_mul_f32 v65, v50, v27 :: v_dual_lshlrev_b32 v10, 16, v10
	v_dual_fmac_f32 v19, v20, v16 :: v_dual_fmac_f32 v52, v18, v14
	v_mul_f32_e32 v18, v49, v54
	s_delay_alu instid0(VALU_DEP_3) | instskip(NEXT) | instid1(VALU_DEP_3)
	v_fmac_f32_e32 v65, v10, v22
	v_add_f32_e32 v46, v46, v52
	s_delay_alu instid0(VALU_DEP_3) | instskip(SKIP_1) | instid1(VALU_DEP_3)
	v_fmac_f32_e32 v18, v9, v40
	v_mul_f32_e32 v52, v50, v56
	v_dual_add_f32 v17, v46, v17 :: v_dual_and_b32 v46, 0xffff0000, v11
	s_delay_alu instid0(VALU_DEP_3) | instskip(NEXT) | instid1(VALU_DEP_3)
	v_add_f32_e32 v18, v47, v18
	v_fmac_f32_e32 v52, v10, v55
	v_lshlrev_b32_e32 v11, 16, v11
	s_delay_alu instid0(VALU_DEP_4) | instskip(SKIP_1) | instid1(VALU_DEP_4)
	v_add_f32_e32 v106, v17, v19
	v_dual_mul_f32 v20, v46, v33 :: v_dual_and_b32 v17, 0xffff0000, v12
	v_dual_mul_f32 v19, v49, v58 :: v_dual_add_f32 v18, v18, v52
	v_lshlrev_b32_e32 v12, 16, v12
	s_delay_alu instid0(VALU_DEP_3) | instskip(NEXT) | instid1(VALU_DEP_4)
	v_fmac_f32_e32 v20, v11, v30
	v_mul_f32_e32 v47, v17, v34
	s_delay_alu instid0(VALU_DEP_4) | instskip(SKIP_4) | instid1(VALU_DEP_4)
	v_fmac_f32_e32 v19, v9, v35
	v_mul_f32_e32 v52, v50, v59
	v_add_f32_e32 v114, v97, v96
	v_add_f32_e32 v18, v18, v20
	v_dual_mul_f32 v20, v49, v57 :: v_dual_fmac_f32 v47, v12, v31
	v_dual_add_f32 v19, v45, v19 :: v_dual_fmac_f32 v52, v10, v36
	s_delay_alu instid0(VALU_DEP_2) | instskip(NEXT) | instid1(VALU_DEP_3)
	v_dual_mul_f32 v45, v46, v60 :: v_dual_fmac_f32 v20, v9, v26
	v_add_f32_e32 v107, v18, v47
	s_delay_alu instid0(VALU_DEP_3) | instskip(NEXT) | instid1(VALU_DEP_3)
	v_dual_mul_f32 v47, v49, v63 :: v_dual_add_f32 v18, v19, v52
	v_fmac_f32_e32 v45, v11, v61
	s_delay_alu instid0(VALU_DEP_4) | instskip(NEXT) | instid1(VALU_DEP_3)
	v_add_f32_e32 v19, v48, v20
	v_dual_mul_f32 v20, v46, v28 :: v_dual_fmac_f32 v47, v9, v62
	v_mul_f32_e32 v9, v50, v24
	v_mul_f32_e32 v46, v46, v53
	s_delay_alu instid0(VALU_DEP_4) | instskip(NEXT) | instid1(VALU_DEP_4)
	v_add_f32_e32 v19, v19, v65
	v_fmac_f32_e32 v20, v11, v23
	v_add_f32_e32 v18, v18, v45
	v_fmac_f32_e32 v9, v10, v14
	v_dual_mul_f32 v45, v17, v32 :: v_dual_fmac_f32 v46, v11, v15
	s_delay_alu instid0(VALU_DEP_4) | instskip(SKIP_2) | instid1(VALU_DEP_4)
	v_dual_add_f32 v19, v19, v20 :: v_dual_add_f32 v20, v42, v47
	v_mul_f32_e32 v42, v17, v51
	v_dual_mul_f32 v17, v17, v64 :: v_dual_and_b32 v48, 0xffff0000, v5
	v_fmac_f32_e32 v45, v12, v21
	s_delay_alu instid0(VALU_DEP_4) | instskip(SKIP_1) | instid1(VALU_DEP_4)
	v_add_f32_e32 v9, v20, v9
	v_lshlrev_b32_e32 v5, 16, v5
	v_fmac_f32_e32 v17, v12, v16
	v_and_b32_e32 v47, 0xffff0000, v6
	v_lshlrev_b32_e32 v6, 16, v6
	v_add_f32_e32 v9, v9, v46
	v_and_b32_e32 v11, 0xffff0000, v7
	s_delay_alu instid0(VALU_DEP_4) | instskip(SKIP_1) | instid1(VALU_DEP_4)
	v_dual_add_f32 v109, v18, v45 :: v_dual_mul_f32 v18, v47, v59
	v_mul_f32_e32 v10, v48, v54
	v_dual_add_f32 v102, v9, v17 :: v_dual_mul_f32 v9, v48, v58
	s_delay_alu instid0(VALU_DEP_3) | instskip(NEXT) | instid1(VALU_DEP_3)
	v_dual_fmac_f32 v18, v6, v36 :: v_dual_lshlrev_b32 v7, 16, v7
	v_fmac_f32_e32 v10, v5, v40
	s_delay_alu instid0(VALU_DEP_3) | instskip(SKIP_2) | instid1(VALU_DEP_4)
	v_dual_mul_f32 v20, v47, v56 :: v_dual_fmac_f32 v9, v5, v35
	v_fmac_f32_e32 v42, v12, v13
	v_and_b32_e32 v12, 0xffff0000, v8
	v_add_f32_e32 v10, v44, v10
	s_delay_alu instid0(VALU_DEP_4) | instskip(SKIP_2) | instid1(VALU_DEP_3)
	v_dual_fmac_f32 v20, v6, v55 :: v_dual_add_f32 v9, v41, v9
	v_mul_f32_e32 v41, v11, v60
	v_dual_mul_f32 v17, v48, v57 :: v_dual_lshlrev_b32 v8, 16, v8
	v_dual_add_f32 v10, v10, v20 :: v_dual_add_f32 v9, v9, v18
	s_delay_alu instid0(VALU_DEP_3) | instskip(NEXT) | instid1(VALU_DEP_3)
	v_dual_fmac_f32 v41, v7, v61 :: v_dual_mul_f32 v18, v12, v32
	v_dual_fmac_f32 v17, v5, v26 :: v_dual_mul_f32 v20, v47, v27
	v_add_f32_e32 v103, v19, v42
	s_delay_alu instid0(VALU_DEP_3) | instskip(SKIP_3) | instid1(VALU_DEP_3)
	v_add_f32_e32 v9, v9, v41
	v_mul_f32_e32 v41, v48, v63
	v_fmac_f32_e32 v18, v8, v21
	v_dual_fmac_f32 v20, v6, v22 :: v_dual_add_f32 v17, v43, v17
	v_dual_mul_f32 v42, v11, v28 :: v_dual_fmac_f32 v41, v5, v62
	v_mul_f32_e32 v5, v47, v24
	s_delay_alu instid0(VALU_DEP_4) | instskip(SKIP_2) | instid1(VALU_DEP_4)
	v_add_f32_e32 v101, v9, v18
	v_mul_f32_e32 v19, v12, v34
	v_add_f32_e32 v17, v17, v20
	v_dual_add_f32 v18, v37, v41 :: v_dual_fmac_f32 v5, v6, v14
	v_mul_f32_e32 v6, v11, v53
	v_fmac_f32_e32 v42, v7, v23
	v_mul_f32_e32 v20, v12, v51
	v_fmac_f32_e32 v19, v8, v31
	s_delay_alu instid0(VALU_DEP_4) | instskip(NEXT) | instid1(VALU_DEP_3)
	v_dual_add_f32 v5, v18, v5 :: v_dual_fmac_f32 v6, v7, v15
	v_dual_add_f32 v17, v17, v42 :: v_dual_fmac_f32 v20, v8, v13
	v_and_b32_e32 v9, 0xffff0000, v78
	v_lshlrev_b32_e32 v18, 16, v74
	s_delay_alu instid0(VALU_DEP_4) | instskip(NEXT) | instid1(VALU_DEP_4)
	v_dual_add_f32 v5, v5, v6 :: v_dual_mul_f32 v44, v11, v33
	v_add_f32_e32 v100, v17, v20
	s_delay_alu instid0(VALU_DEP_4) | instskip(SKIP_3) | instid1(VALU_DEP_1)
	v_mul_f32_e32 v17, v9, v54
	v_lshlrev_b32_e32 v11, 16, v73
	v_and_b32_e32 v6, 0xffff0000, v74
	v_dual_fmac_f32 v44, v7, v30 :: v_dual_mul_f32 v7, v12, v64
	v_add_f32_e32 v10, v10, v44
	s_delay_alu instid0(VALU_DEP_1) | instskip(NEXT) | instid1(VALU_DEP_1)
	v_dual_fmac_f32 v7, v8, v16 :: v_dual_add_f32 v104, v10, v19
	v_dual_add_f32 v99, v5, v7 :: v_dual_lshlrev_b32 v10, 16, v78
	v_and_b32_e32 v19, 0xffff0000, v73
	s_delay_alu instid0(VALU_DEP_2) | instskip(NEXT) | instid1(VALU_DEP_2)
	v_fmac_f32_e32 v17, v10, v40
	v_mul_f32_e32 v20, v19, v56
	s_delay_alu instid0(VALU_DEP_2) | instskip(NEXT) | instid1(VALU_DEP_2)
	v_add_f32_e32 v12, v38, v17
	v_dual_fmac_f32 v20, v11, v55 :: v_dual_mul_f32 v17, v9, v58
	s_delay_alu instid0(VALU_DEP_1) | instskip(SKIP_3) | instid1(VALU_DEP_4)
	v_dual_add_f32 v8, v12, v20 :: v_dual_fmac_f32 v17, v10, v35
	v_mul_f32_e32 v12, v19, v59
	v_dual_mul_f32 v20, v6, v33 :: v_dual_and_b32 v33, 0xffff0000, v75
	v_mul_f32_e32 v35, v6, v60
	v_add_f32_e32 v17, v39, v17
	s_delay_alu instid0(VALU_DEP_4) | instskip(NEXT) | instid1(VALU_DEP_4)
	v_fmac_f32_e32 v12, v11, v36
	v_fmac_f32_e32 v20, v18, v30
	v_lshlrev_b32_e32 v30, 16, v75
	v_dual_mul_f32 v34, v33, v34 :: v_dual_fmac_f32 v35, v18, v61
	s_delay_alu instid0(VALU_DEP_4) | instskip(SKIP_4) | instid1(VALU_DEP_4)
	v_add_f32_e32 v12, v17, v12
	v_mul_f32_e32 v17, v9, v57
	v_dual_mul_f32 v9, v9, v63 :: v_dual_add_f32 v8, v8, v20
	v_mul_f32_e32 v20, v19, v27
	v_fmac_f32_e32 v34, v30, v31
	v_fmac_f32_e32 v17, v10, v26
	s_delay_alu instid0(VALU_DEP_4) | instskip(NEXT) | instid1(VALU_DEP_4)
	v_dual_fmac_f32 v9, v10, v62 :: v_dual_mul_f32 v10, v19, v24
	v_dual_fmac_f32 v20, v11, v22 :: v_dual_mul_f32 v19, v6, v28
	s_delay_alu instid0(VALU_DEP_3) | instskip(NEXT) | instid1(VALU_DEP_3)
	v_add_f32_e32 v17, v29, v17
	v_dual_add_f32 v9, v25, v9 :: v_dual_fmac_f32 v10, v11, v14
	v_mul_f32_e32 v6, v6, v53
	v_mul_f32_e32 v26, v33, v32
	s_delay_alu instid0(VALU_DEP_4)
	v_add_f32_e32 v11, v17, v20
	v_fmac_f32_e32 v19, v18, v23
	v_mul_f32_e32 v14, v33, v51
	v_dual_add_f32 v9, v9, v10 :: v_dual_fmac_f32 v6, v18, v15
	v_mul_f32_e32 v10, v33, v64
	v_add_f32_e32 v12, v12, v35
	v_dual_fmac_f32 v26, v30, v21 :: v_dual_add_f32 v11, v11, v19
	v_fmac_f32_e32 v14, v30, v13
	v_add_f32_e32 v6, v9, v6
	v_fmac_f32_e32 v10, v30, v16
	v_add_f32_e32 v98, v8, v34
	v_add_f32_e32 v97, v12, v26
	;; [unrolled: 1-line block ×3, first 2 shown]
	s_delay_alu instid0(VALU_DEP_4)
	v_add_f32_e32 v77, v6, v10
.LBB307_16:                             ;   in Loop: Header=BB307_17 Depth=2
	s_or_b32 exec_lo, exec_lo, s2
	s_addk_i32 s4, 0x400
	s_delay_alu instid0(SALU_CYCLE_1)
	s_cmp_ge_u32 s4, s16
	s_cbranch_scc1 .LBB307_29
.LBB307_17:                             ;   Parent Loop BB307_12 Depth=1
                                        ; =>  This Loop Header: Depth=2
                                        ;       Child Loop BB307_22 Depth 3
	s_cmp_eq_u32 s4, 0
	s_cselect_b32 s5, -1, 0
	s_add_i32 s2, s3, s24
	s_delay_alu instid0(SALU_CYCLE_1) | instskip(SKIP_1) | instid1(SALU_CYCLE_1)
	s_cmp_eq_u32 s4, s2
	s_cselect_b32 s42, -1, 0
	s_or_b32 s42, s5, s42
	s_delay_alu instid0(SALU_CYCLE_1)
	s_and_not1_b32 vcc_lo, exec_lo, s42
	s_cbranch_vccz .LBB307_19
; %bb.18:                               ;   in Loop: Header=BB307_17 Depth=2
	s_and_saveexec_b32 s2, s1
	s_cbranch_execz .LBB307_16
	s_branch .LBB307_26
.LBB307_19:                             ;   in Loop: Header=BB307_17 Depth=2
	s_and_b32 s5, s5, exec_lo
	s_cselect_b32 s3, s3, s2
	s_and_not1_b32 vcc_lo, exec_lo, s21
	s_waitcnt vmcnt(0)
	s_waitcnt_vscnt null, 0x0
	s_barrier
	buffer_gl0_inv
	s_cbranch_vccnz .LBB307_25
; %bb.20:                               ;   in Loop: Header=BB307_17 Depth=2
	v_dual_mov_b32 v10, v91 :: v_dual_add_nc_u32 v5, s3, v92
	v_add_nc_u32_e32 v6, s3, v80
	v_add_nc_u32_e32 v7, s3, v93
	;; [unrolled: 1-line block ×4, first 2 shown]
	s_mov_b32 s5, 0
	s_mov_b32 s42, 0
                                        ; implicit-def: $sgpr43
	s_branch .LBB307_22
.LBB307_21:                             ;   in Loop: Header=BB307_22 Depth=3
	s_or_b32 exec_lo, exec_lo, s2
	s_delay_alu instid0(SALU_CYCLE_1) | instskip(NEXT) | instid1(SALU_CYCLE_1)
	s_and_b32 s2, exec_lo, s43
	s_or_b32 s5, s2, s5
	s_delay_alu instid0(SALU_CYCLE_1)
	s_and_not1_b32 exec_lo, exec_lo, s5
	s_cbranch_execz .LBB307_24
.LBB307_22:                             ;   Parent Loop BB307_12 Depth=1
                                        ;     Parent Loop BB307_17 Depth=2
                                        ; =>    This Inner Loop Header: Depth=3
	s_delay_alu instid0(VALU_DEP_1) | instskip(SKIP_2) | instid1(VALU_DEP_2)
	v_add_nc_u32_e32 v78, s42, v9
	v_add_nc_u32_e32 v11, s42, v0
	s_or_b32 s43, s43, exec_lo
	v_cmp_gt_u32_e32 vcc_lo, s18, v78
	s_delay_alu instid0(VALU_DEP_2) | instskip(NEXT) | instid1(VALU_DEP_1)
	v_cmp_gt_u32_e64 s2, s24, v11
	s_and_b32 s44, s2, vcc_lo
	s_delay_alu instid0(SALU_CYCLE_1)
	s_and_saveexec_b32 s2, s44
	s_cbranch_execz .LBB307_21
; %bb.23:                               ;   in Loop: Header=BB307_22 Depth=3
	v_lshlrev_b64 v[11:12], 1, v[78:79]
	v_add_nc_u32_e32 v78, s42, v8
	v_add_nc_u32_e32 v31, s41, v10
	;; [unrolled: 1-line block ×3, first 2 shown]
	s_delay_alu instid0(VALU_DEP_3) | instskip(SKIP_3) | instid1(VALU_DEP_3)
	v_lshlrev_b64 v[13:14], 1, v[78:79]
	v_add_nc_u32_e32 v78, s42, v5
	v_add_co_u32 v11, vcc_lo, s12, v11
	v_add_co_ci_u32_e32 v12, vcc_lo, s13, v12, vcc_lo
	v_lshlrev_b64 v[15:16], 1, v[78:79]
	v_add_nc_u32_e32 v78, s42, v6
	v_add_co_u32 v17, vcc_lo, s12, v13
	v_add_co_ci_u32_e32 v18, vcc_lo, s13, v14, vcc_lo
	s_delay_alu instid0(VALU_DEP_3) | instskip(SKIP_3) | instid1(VALU_DEP_3)
	v_lshlrev_b64 v[23:24], 1, v[78:79]
	v_add_nc_u32_e32 v78, s42, v7
	v_add_co_u32 v19, vcc_lo, s12, v15
	v_add_co_ci_u32_e32 v20, vcc_lo, s13, v16, vcc_lo
	v_lshlrev_b64 v[25:26], 1, v[78:79]
	v_add_co_u32 v23, vcc_lo, s12, v23
	v_add_co_ci_u32_e32 v24, vcc_lo, s13, v24, vcc_lo
	s_clause 0x2
	global_load_b128 v[11:14], v[11:12], off
	global_load_b128 v[15:18], v[17:18], off
	;; [unrolled: 1-line block ×3, first 2 shown]
	v_add_co_u32 v27, vcc_lo, s12, v25
	v_add_co_ci_u32_e32 v28, vcc_lo, s13, v26, vcc_lo
	s_clause 0x1
	global_load_b128 v[23:26], v[23:24], off
	global_load_b128 v[27:30], v[27:28], off
	s_add_i32 s42, s42, s26
	s_waitcnt vmcnt(4)
	ds_store_b128 v10, v[11:14]
	s_waitcnt vmcnt(3)
	ds_store_2addr_b64 v31, v[15:16], v[17:18] offset1:1
	s_waitcnt vmcnt(2)
	ds_store_2addr_b32 v32, v19, v20 offset1:1
	ds_store_2addr_b32 v32, v21, v22 offset0:2 offset1:3
	s_cmp_ge_u32 s42, s24
	v_add_nc_u32_e32 v11, s9, v10
	s_cselect_b32 s44, -1, 0
	v_add_nc_u32_e32 v12, s38, v10
	v_add_nc_u32_e32 v10, s20, v10
	s_and_not1_b32 s43, s43, exec_lo
	s_and_b32 s44, s44, exec_lo
	s_waitcnt vmcnt(1)
	ds_store_2addr_b64 v11, v[23:24], v[25:26] offset1:1
	s_or_b32 s43, s43, s44
	s_waitcnt vmcnt(0)
	ds_store_2addr_b64 v12, v[27:28], v[29:30] offset1:1
	s_branch .LBB307_21
.LBB307_24:                             ;   in Loop: Header=BB307_17 Depth=2
	s_or_b32 exec_lo, exec_lo, s5
.LBB307_25:                             ;   in Loop: Header=BB307_17 Depth=2
	s_waitcnt lgkmcnt(0)
	s_barrier
	buffer_gl0_inv
	s_and_saveexec_b32 s2, s1
	s_cbranch_execz .LBB307_16
.LBB307_26:                             ;   in Loop: Header=BB307_17 Depth=2
	v_dual_mov_b32 v74, 0 :: v_dual_add_nc_u32 v115, s4, v90
	v_dual_mov_b32 v73, 0 :: v_dual_mov_b32 v20, 0
	v_mov_b32_e32 v19, 0
	s_delay_alu instid0(VALU_DEP_3) | instskip(SKIP_2) | instid1(VALU_DEP_3)
	v_min_u32_e32 v78, s27, v115
	v_dual_mov_b32 v75, 0 :: v_dual_add_nc_u32 v116, 0x200, v115
	v_dual_mov_b32 v18, 0 :: v_dual_mov_b32 v17, 0
	v_lshlrev_b64 v[5:6], 1, v[78:79]
	s_delay_alu instid0(VALU_DEP_3)
	v_min_u32_e32 v78, s27, v116
	s_waitcnt vmcnt(3)
	v_dual_mov_b32 v36, 0 :: v_dual_mov_b32 v35, 0
	s_waitcnt vmcnt(2)
	v_dual_mov_b32 v34, 0 :: v_dual_mov_b32 v33, 0
	v_add_co_u32 v13, vcc_lo, s10, v5
	v_add_co_ci_u32_e32 v14, vcc_lo, s11, v6, vcc_lo
	v_lshlrev_b64 v[5:6], 1, v[78:79]
	s_delay_alu instid0(VALU_DEP_3) | instskip(NEXT) | instid1(VALU_DEP_3)
	v_add_co_u32 v7, vcc_lo, v13, v81
	v_add_co_ci_u32_e32 v8, vcc_lo, v14, v82, vcc_lo
	v_add_co_u32 v9, vcc_lo, v13, v83
	v_add_co_ci_u32_e32 v10, vcc_lo, v14, v84, vcc_lo
	;; [unrolled: 2-line block ×5, first 2 shown]
	s_clause 0x1
	global_load_b128 v[65:68], v[7:8], off slc dlc
	global_load_b128 v[61:64], v[9:10], off slc dlc
	v_add_co_u32 v7, vcc_lo, v15, v81
	v_add_co_ci_u32_e32 v8, vcc_lo, v16, v82, vcc_lo
	v_add_co_u32 v9, vcc_lo, v15, v83
	v_add_co_ci_u32_e32 v10, vcc_lo, v16, v84, vcc_lo
	;; [unrolled: 2-line block ×4, first 2 shown]
	s_clause 0x5
	global_load_b128 v[57:60], v[11:12], off slc dlc
	global_load_b128 v[49:52], v[5:6], off slc dlc
	;; [unrolled: 1-line block ×6, first 2 shown]
	v_cmp_gt_u32_e32 vcc_lo, s16, v115
	v_mov_b32_e32 v78, 0
	v_dual_mov_b32 v8, 0 :: v_dual_mov_b32 v7, 0
	v_dual_mov_b32 v6, 0 :: v_dual_mov_b32 v5, 0
	;; [unrolled: 1-line block ×14, first 2 shown]
	s_and_saveexec_b32 s5, vcc_lo
	s_cbranch_execz .LBB307_15
; %bb.27:                               ;   in Loop: Header=BB307_17 Depth=2
	v_subrev_nc_u32_e32 v5, s3, v115
	v_cmp_gt_u32_e32 vcc_lo, s16, v116
	v_dual_mov_b32 v17, 0 :: v_dual_mov_b32 v20, 0
	v_dual_mov_b32 v19, 0 :: v_dual_mov_b32 v10, 0
	s_delay_alu instid0(VALU_DEP_4) | instskip(SKIP_1) | instid1(VALU_DEP_2)
	v_dual_mov_b32 v34, 0 :: v_dual_lshlrev_b32 v119, 1, v5
	v_dual_mov_b32 v9, 0 :: v_dual_mov_b32 v12, 0
	v_dual_mov_b32 v33, 0 :: v_dual_add_nc_u32 v118, s41, v119
	v_dual_mov_b32 v11, 0 :: v_dual_mov_b32 v6, 0
	v_dual_mov_b32 v5, 0 :: v_dual_mov_b32 v8, 0
	s_delay_alu instid0(VALU_DEP_3) | instskip(SKIP_1) | instid1(VALU_DEP_2)
	v_dual_mov_b32 v36, 0 :: v_dual_add_nc_u32 v115, s41, v118
	v_dual_mov_b32 v7, 0 :: v_dual_mov_b32 v78, 0
	v_dual_mov_b32 v35, 0 :: v_dual_add_nc_u32 v116, s41, v115
	v_dual_mov_b32 v73, 0 :: v_dual_mov_b32 v74, 0
	v_dual_mov_b32 v75, 0 :: v_dual_mov_b32 v18, 0
	s_delay_alu instid0(VALU_DEP_3)
	v_add_nc_u32_e32 v117, s41, v116
	ds_load_b128 v[69:72], v119
	ds_load_b128 v[53:56], v118
	;; [unrolled: 1-line block ×5, first 2 shown]
	s_and_saveexec_b32 s42, vcc_lo
	s_cbranch_execz .LBB307_14
; %bb.28:                               ;   in Loop: Header=BB307_17 Depth=2
	ds_load_b128 v[33:36], v119 offset:1024
	ds_load_b128 v[17:20], v118 offset:1024
	;; [unrolled: 1-line block ×4, first 2 shown]
	ds_load_b32 v78, v117 offset:1024
	ds_load_b96 v[73:75], v117 offset:1028
	s_branch .LBB307_14
.LBB307_29:                             ;   in Loop: Header=BB307_12 Depth=1
	s_mov_b32 s1, exec_lo
	v_cmpx_le_u32_e64 s19, v76
	s_xor_b32 s1, exec_lo, s1
; %bb.30:                               ;   in Loop: Header=BB307_12 Depth=1
	v_add_nc_u32_e32 v76, s29, v76
                                        ; implicit-def: $vgpr77
                                        ; implicit-def: $vgpr96
                                        ; implicit-def: $vgpr97
                                        ; implicit-def: $vgpr98
                                        ; implicit-def: $vgpr99
                                        ; implicit-def: $vgpr100
                                        ; implicit-def: $vgpr101
                                        ; implicit-def: $vgpr104
                                        ; implicit-def: $vgpr102
                                        ; implicit-def: $vgpr103
                                        ; implicit-def: $vgpr109
                                        ; implicit-def: $vgpr107
                                        ; implicit-def: $vgpr106
                                        ; implicit-def: $vgpr105
                                        ; implicit-def: $vgpr108
                                        ; implicit-def: $vgpr113
                                        ; implicit-def: $vgpr111
                                        ; implicit-def: $vgpr112
                                        ; implicit-def: $vgpr114
                                        ; implicit-def: $vgpr110
; %bb.31:                               ;   in Loop: Header=BB307_12 Depth=1
	s_and_not1_saveexec_b32 s42, s1
	s_cbranch_execz .LBB307_11
; %bb.32:                               ;   in Loop: Header=BB307_12 Depth=1
	v_xor_b32_e32 v5, 16, v89
	v_cvt_i32_f32_e32 v6, v110
	v_cvt_i32_f32_e32 v7, v114
	s_waitcnt lgkmcnt(3)
	v_cvt_i32_f32_e32 v8, v112
	s_waitcnt lgkmcnt(0)
	v_cvt_i32_f32_e32 v10, v113
	v_cmp_gt_i32_e32 vcc_lo, 32, v5
	v_cvt_f32_i32_dpp v6, v6 row_shr:8 row_mask:0xf bank_mask:0xf bound_ctrl:1
	v_cvt_f32_i32_dpp v7, v7 row_shr:8 row_mask:0xf bank_mask:0xf bound_ctrl:1
	v_cvt_i32_f32_e32 v9, v111
	v_cvt_f32_i32_dpp v8, v8 row_shr:8 row_mask:0xf bank_mask:0xf bound_ctrl:1
	s_delay_alu instid0(VALU_DEP_4) | instskip(SKIP_3) | instid1(VALU_DEP_4)
	v_dual_cndmask_b32 v5, v89, v5 :: v_dual_add_f32 v6, v110, v6
	v_cvt_f32_i32_dpp v10, v10 row_shr:8 row_mask:0xf bank_mask:0xf bound_ctrl:1
	v_add_f32_e32 v7, v114, v7
	v_cvt_f32_i32_dpp v9, v9 row_shr:8 row_mask:0xf bank_mask:0xf bound_ctrl:1
	v_dual_add_f32 v8, v112, v8 :: v_dual_lshlrev_b32 v5, 2, v5
	s_delay_alu instid0(VALU_DEP_4) | instskip(SKIP_2) | instid1(VALU_DEP_4)
	v_add_f32_e32 v10, v113, v10
	v_cvt_i32_f32_e32 v11, v6
	v_cvt_i32_f32_e32 v12, v7
	;; [unrolled: 1-line block ×3, first 2 shown]
	s_delay_alu instid0(VALU_DEP_4) | instskip(NEXT) | instid1(VALU_DEP_4)
	v_cvt_i32_f32_e32 v15, v10
	v_cvt_f32_i32_dpp v11, v11 row_shr:4 row_mask:0xf bank_mask:0xf bound_ctrl:1
	v_add_f32_e32 v9, v111, v9
	v_cvt_f32_i32_dpp v12, v12 row_shr:4 row_mask:0xf bank_mask:0xf bound_ctrl:1
	v_cvt_f32_i32_dpp v13, v13 row_shr:4 row_mask:0xf bank_mask:0xf bound_ctrl:1
	;; [unrolled: 1-line block ×3, first 2 shown]
	v_add_f32_e32 v6, v6, v11
	v_cvt_i32_f32_e32 v14, v9
	s_delay_alu instid0(VALU_DEP_4) | instskip(NEXT) | instid1(VALU_DEP_4)
	v_dual_add_f32 v7, v7, v12 :: v_dual_add_f32 v8, v8, v13
	v_add_f32_e32 v10, v10, v15
	s_delay_alu instid0(VALU_DEP_4) | instskip(NEXT) | instid1(VALU_DEP_4)
	v_cvt_i32_f32_e32 v11, v6
	v_cvt_f32_i32_dpp v14, v14 row_shr:4 row_mask:0xf bank_mask:0xf bound_ctrl:1
	s_delay_alu instid0(VALU_DEP_4)
	v_cvt_i32_f32_e32 v12, v7
	v_cvt_i32_f32_e32 v13, v8
	;; [unrolled: 1-line block ×3, first 2 shown]
	v_cvt_f32_i32_dpp v11, v11 row_shr:2 row_mask:0xf bank_mask:0xf bound_ctrl:1
	v_add_f32_e32 v9, v9, v14
	v_cvt_f32_i32_dpp v12, v12 row_shr:2 row_mask:0xf bank_mask:0xf bound_ctrl:1
	v_cvt_f32_i32_dpp v13, v13 row_shr:2 row_mask:0xf bank_mask:0xf bound_ctrl:1
	;; [unrolled: 1-line block ×3, first 2 shown]
	v_add_f32_e32 v6, v6, v11
	v_cvt_i32_f32_e32 v14, v9
	v_add_f32_e32 v7, v7, v12
	s_delay_alu instid0(VALU_DEP_3) | instskip(NEXT) | instid1(VALU_DEP_3)
	v_cvt_i32_f32_e32 v11, v6
	v_cvt_f32_i32_dpp v14, v14 row_shr:2 row_mask:0xf bank_mask:0xf bound_ctrl:1
	v_add_f32_e32 v8, v8, v13
	s_delay_alu instid0(VALU_DEP_4) | instskip(NEXT) | instid1(VALU_DEP_4)
	v_cvt_i32_f32_e32 v12, v7
	v_cvt_f32_i32_dpp v11, v11 row_shr:1 row_mask:0xf bank_mask:0xf bound_ctrl:1
	s_delay_alu instid0(VALU_DEP_4) | instskip(NEXT) | instid1(VALU_DEP_4)
	v_add_f32_e32 v9, v9, v14
	v_cvt_i32_f32_e32 v13, v8
	s_delay_alu instid0(VALU_DEP_4) | instskip(SKIP_1) | instid1(VALU_DEP_4)
	v_cvt_f32_i32_dpp v12, v12 row_shr:1 row_mask:0xf bank_mask:0xf bound_ctrl:1
	v_add_f32_e32 v10, v10, v15
	v_cvt_i32_f32_e32 v14, v9
	s_delay_alu instid0(VALU_DEP_4) | instskip(NEXT) | instid1(VALU_DEP_4)
	v_cvt_f32_i32_dpp v13, v13 row_shr:1 row_mask:0xf bank_mask:0xf bound_ctrl:1
	v_add_f32_e32 v49, v7, v12
	s_delay_alu instid0(VALU_DEP_4)
	v_cvt_i32_f32_e32 v15, v10
	v_cvt_i32_f32_e32 v7, v108
	v_cvt_f32_i32_dpp v14, v14 row_shr:1 row_mask:0xf bank_mask:0xf bound_ctrl:1
	ds_bpermute_b32 v50, v5, v49
	v_cvt_f32_i32_dpp v15, v15 row_shr:1 row_mask:0xf bank_mask:0xf bound_ctrl:1
	v_add_f32_e32 v46, v8, v13
	v_cvt_i32_f32_e32 v8, v105
	v_cvt_f32_i32_dpp v7, v7 row_shr:8 row_mask:0xf bank_mask:0xf bound_ctrl:1
	s_delay_alu instid0(VALU_DEP_4) | instskip(SKIP_1) | instid1(VALU_DEP_4)
	v_add_f32_e32 v39, v10, v15
	v_cvt_i32_f32_e32 v10, v107
	v_cvt_f32_i32_dpp v8, v8 row_shr:8 row_mask:0xf bank_mask:0xf bound_ctrl:1
	s_delay_alu instid0(VALU_DEP_4)
	v_add_f32_e32 v7, v108, v7
	ds_bpermute_b32 v47, v5, v46
	ds_bpermute_b32 v40, v5, v39
	v_cvt_f32_i32_dpp v10, v10 row_shr:8 row_mask:0xf bank_mask:0xf bound_ctrl:1
	v_add_f32_e32 v8, v105, v8
	v_cvt_i32_f32_e32 v12, v7
	s_delay_alu instid0(VALU_DEP_2) | instskip(NEXT) | instid1(VALU_DEP_2)
	v_cvt_i32_f32_e32 v13, v8
	v_cvt_f32_i32_dpp v12, v12 row_shr:4 row_mask:0xf bank_mask:0xf bound_ctrl:1
	v_add_f32_e32 v52, v6, v11
	v_add_f32_e32 v6, v9, v14
	v_cvt_i32_f32_e32 v9, v106
	v_cvt_f32_i32_dpp v13, v13 row_shr:4 row_mask:0xf bank_mask:0xf bound_ctrl:1
	v_cvt_i32_f32_e32 v11, v109
	v_add_f32_e32 v7, v7, v12
	ds_bpermute_b32 v53, v5, v52
	v_cvt_f32_i32_dpp v9, v9 row_shr:8 row_mask:0xf bank_mask:0xf bound_ctrl:1
	v_cvt_f32_i32_dpp v11, v11 row_shr:8 row_mask:0xf bank_mask:0xf bound_ctrl:1
	v_add_f32_e32 v10, v107, v10
	v_cvt_i32_f32_e32 v12, v7
	s_delay_alu instid0(VALU_DEP_4)
	v_add_f32_e32 v9, v106, v9
	ds_bpermute_b32 v44, v5, v6
	v_add_f32_e32 v11, v109, v11
	v_cvt_i32_f32_e32 v15, v10
	v_cvt_f32_i32_dpp v12, v12 row_shr:2 row_mask:0xf bank_mask:0xf bound_ctrl:1
	v_cvt_i32_f32_e32 v14, v9
	s_delay_alu instid0(VALU_DEP_4) | instskip(NEXT) | instid1(VALU_DEP_4)
	v_cvt_i32_f32_e32 v16, v11
	v_cvt_f32_i32_dpp v15, v15 row_shr:4 row_mask:0xf bank_mask:0xf bound_ctrl:1
	s_delay_alu instid0(VALU_DEP_3) | instskip(SKIP_1) | instid1(VALU_DEP_4)
	v_cvt_f32_i32_dpp v14, v14 row_shr:4 row_mask:0xf bank_mask:0xf bound_ctrl:1
	v_add_f32_e32 v8, v8, v13
	v_cvt_f32_i32_dpp v16, v16 row_shr:4 row_mask:0xf bank_mask:0xf bound_ctrl:1
	s_delay_alu instid0(VALU_DEP_3) | instskip(NEXT) | instid1(VALU_DEP_3)
	v_dual_add_f32 v10, v10, v15 :: v_dual_add_f32 v9, v9, v14
	v_cvt_i32_f32_e32 v13, v8
	s_delay_alu instid0(VALU_DEP_3) | instskip(NEXT) | instid1(VALU_DEP_3)
	v_add_f32_e32 v11, v11, v16
	v_cvt_i32_f32_e32 v15, v10
	s_delay_alu instid0(VALU_DEP_4) | instskip(NEXT) | instid1(VALU_DEP_4)
	v_cvt_i32_f32_e32 v14, v9
	v_cvt_f32_i32_dpp v13, v13 row_shr:2 row_mask:0xf bank_mask:0xf bound_ctrl:1
	v_add_f32_e32 v7, v7, v12
	v_cvt_i32_f32_e32 v16, v11
	v_cvt_f32_i32_dpp v15, v15 row_shr:2 row_mask:0xf bank_mask:0xf bound_ctrl:1
	v_cvt_f32_i32_dpp v14, v14 row_shr:2 row_mask:0xf bank_mask:0xf bound_ctrl:1
	v_add_f32_e32 v8, v8, v13
	v_cvt_i32_f32_e32 v12, v7
	v_cvt_f32_i32_dpp v16, v16 row_shr:2 row_mask:0xf bank_mask:0xf bound_ctrl:1
	s_delay_alu instid0(VALU_DEP_4) | instskip(NEXT) | instid1(VALU_DEP_4)
	v_dual_add_f32 v10, v10, v15 :: v_dual_add_f32 v9, v9, v14
	v_cvt_i32_f32_e32 v13, v8
	s_delay_alu instid0(VALU_DEP_4) | instskip(NEXT) | instid1(VALU_DEP_3)
	v_cvt_f32_i32_dpp v12, v12 row_shr:1 row_mask:0xf bank_mask:0xf bound_ctrl:1
	v_cvt_i32_f32_e32 v15, v10
	s_delay_alu instid0(VALU_DEP_4) | instskip(NEXT) | instid1(VALU_DEP_4)
	v_cvt_i32_f32_e32 v14, v9
	v_cvt_f32_i32_dpp v13, v13 row_shr:1 row_mask:0xf bank_mask:0xf bound_ctrl:1
	s_delay_alu instid0(VALU_DEP_4)
	v_add_f32_e32 v42, v7, v12
	v_cvt_i32_f32_e32 v7, v103
	v_cvt_f32_i32_dpp v15, v15 row_shr:1 row_mask:0xf bank_mask:0xf bound_ctrl:1
	v_cvt_f32_i32_dpp v14, v14 row_shr:1 row_mask:0xf bank_mask:0xf bound_ctrl:1
	v_add_f32_e32 v37, v8, v13
	v_cvt_i32_f32_e32 v8, v102
	v_cvt_f32_i32_dpp v7, v7 row_shr:8 row_mask:0xf bank_mask:0xf bound_ctrl:1
	s_delay_alu instid0(VALU_DEP_4) | instskip(SKIP_1) | instid1(VALU_DEP_4)
	v_dual_add_f32 v11, v11, v16 :: v_dual_add_f32 v34, v9, v14
	v_cvt_i32_f32_e32 v9, v104
	v_cvt_f32_i32_dpp v8, v8 row_shr:8 row_mask:0xf bank_mask:0xf bound_ctrl:1
	s_delay_alu instid0(VALU_DEP_4) | instskip(NEXT) | instid1(VALU_DEP_4)
	v_add_f32_e32 v7, v103, v7
	v_cvt_i32_f32_e32 v16, v11
	ds_bpermute_b32 v43, v5, v42
	v_cvt_f32_i32_dpp v9, v9 row_shr:8 row_mask:0xf bank_mask:0xf bound_ctrl:1
	v_add_f32_e32 v8, v102, v8
	v_cvt_i32_f32_e32 v12, v7
	v_cvt_f32_i32_dpp v16, v16 row_shr:1 row_mask:0xf bank_mask:0xf bound_ctrl:1
	v_add_f32_e32 v31, v10, v15
	v_cvt_i32_f32_e32 v10, v101
	v_cvt_i32_f32_e32 v13, v8
	v_cvt_f32_i32_dpp v12, v12 row_shr:4 row_mask:0xf bank_mask:0xf bound_ctrl:1
	v_add_f32_e32 v26, v11, v16
	v_cvt_i32_f32_e32 v11, v100
	v_cvt_f32_i32_dpp v10, v10 row_shr:8 row_mask:0xf bank_mask:0xf bound_ctrl:1
	v_cvt_f32_i32_dpp v13, v13 row_shr:4 row_mask:0xf bank_mask:0xf bound_ctrl:1
	v_add_f32_e32 v9, v104, v9
	v_add_f32_e32 v7, v7, v12
	v_cvt_f32_i32_dpp v11, v11 row_shr:8 row_mask:0xf bank_mask:0xf bound_ctrl:1
	v_add_f32_e32 v10, v101, v10
	v_add_f32_e32 v8, v8, v13
	v_cvt_i32_f32_e32 v14, v9
	v_cvt_i32_f32_e32 v12, v7
	ds_bpermute_b32 v38, v5, v37
	v_cvt_i32_f32_e32 v15, v10
	v_cvt_i32_f32_e32 v13, v8
	v_cvt_f32_i32_dpp v14, v14 row_shr:4 row_mask:0xf bank_mask:0xf bound_ctrl:1
	v_cvt_f32_i32_dpp v12, v12 row_shr:2 row_mask:0xf bank_mask:0xf bound_ctrl:1
	ds_bpermute_b32 v35, v5, v34
	v_cvt_f32_i32_dpp v15, v15 row_shr:4 row_mask:0xf bank_mask:0xf bound_ctrl:1
	v_cvt_f32_i32_dpp v13, v13 row_shr:2 row_mask:0xf bank_mask:0xf bound_ctrl:1
	v_add_f32_e32 v9, v9, v14
	v_add_f32_e32 v7, v7, v12
	ds_bpermute_b32 v32, v5, v31
	v_add_f32_e32 v10, v10, v15
	v_add_f32_e32 v8, v8, v13
	v_cvt_i32_f32_e32 v14, v9
	v_cvt_i32_f32_e32 v12, v7
	ds_bpermute_b32 v27, v5, v26
	v_cvt_i32_f32_e32 v15, v10
	v_cvt_i32_f32_e32 v13, v8
	v_cvt_f32_i32_dpp v14, v14 row_shr:2 row_mask:0xf bank_mask:0xf bound_ctrl:1
	v_cvt_f32_i32_dpp v12, v12 row_shr:1 row_mask:0xf bank_mask:0xf bound_ctrl:1
	s_delay_alu instid0(VALU_DEP_4) | instskip(NEXT) | instid1(VALU_DEP_4)
	v_cvt_f32_i32_dpp v15, v15 row_shr:2 row_mask:0xf bank_mask:0xf bound_ctrl:1
	v_cvt_f32_i32_dpp v13, v13 row_shr:1 row_mask:0xf bank_mask:0xf bound_ctrl:1
	s_delay_alu instid0(VALU_DEP_2) | instskip(NEXT) | instid1(VALU_DEP_2)
	v_dual_add_f32 v9, v9, v14 :: v_dual_add_f32 v10, v10, v15
	v_add_f32_e32 v24, v8, v13
	v_cvt_i32_f32_e32 v8, v98
	s_delay_alu instid0(VALU_DEP_3) | instskip(NEXT) | instid1(VALU_DEP_4)
	v_cvt_i32_f32_e32 v14, v9
	v_cvt_i32_f32_e32 v15, v10
	ds_bpermute_b32 v25, v5, v24
	v_cvt_f32_i32_dpp v8, v8 row_shr:8 row_mask:0xf bank_mask:0xf bound_ctrl:1
	v_add_f32_e32 v11, v100, v11
	v_cvt_f32_i32_dpp v14, v14 row_shr:1 row_mask:0xf bank_mask:0xf bound_ctrl:1
	v_cvt_f32_i32_dpp v15, v15 row_shr:1 row_mask:0xf bank_mask:0xf bound_ctrl:1
	s_delay_alu instid0(VALU_DEP_4) | instskip(NEXT) | instid1(VALU_DEP_4)
	v_add_f32_e32 v8, v98, v8
	v_cvt_i32_f32_e32 v16, v11
	s_delay_alu instid0(VALU_DEP_2) | instskip(NEXT) | instid1(VALU_DEP_2)
	v_cvt_i32_f32_e32 v13, v8
	v_cvt_f32_i32_dpp v16, v16 row_shr:4 row_mask:0xf bank_mask:0xf bound_ctrl:1
	s_delay_alu instid0(VALU_DEP_2) | instskip(NEXT) | instid1(VALU_DEP_2)
	v_cvt_f32_i32_dpp v13, v13 row_shr:4 row_mask:0xf bank_mask:0xf bound_ctrl:1
	v_add_f32_e32 v11, v11, v16
	v_add_f32_e32 v29, v7, v12
	v_cvt_i32_f32_e32 v7, v99
	s_delay_alu instid0(VALU_DEP_4) | instskip(NEXT) | instid1(VALU_DEP_4)
	v_add_f32_e32 v8, v8, v13
	v_cvt_i32_f32_e32 v16, v11
	ds_bpermute_b32 v30, v5, v29
	v_cvt_f32_i32_dpp v7, v7 row_shr:8 row_mask:0xf bank_mask:0xf bound_ctrl:1
	v_cvt_i32_f32_e32 v13, v8
	v_cvt_f32_i32_dpp v16, v16 row_shr:2 row_mask:0xf bank_mask:0xf bound_ctrl:1
	s_delay_alu instid0(VALU_DEP_3) | instskip(NEXT) | instid1(VALU_DEP_3)
	v_add_f32_e32 v7, v99, v7
	v_cvt_f32_i32_dpp v13, v13 row_shr:2 row_mask:0xf bank_mask:0xf bound_ctrl:1
	v_add_f32_e32 v19, v10, v15
	v_cvt_i32_f32_e32 v10, v96
	s_delay_alu instid0(VALU_DEP_4) | instskip(NEXT) | instid1(VALU_DEP_4)
	v_cvt_i32_f32_e32 v12, v7
	v_add_f32_e32 v8, v8, v13
	ds_bpermute_b32 v20, v5, v19
	v_cvt_f32_i32_dpp v10, v10 row_shr:8 row_mask:0xf bank_mask:0xf bound_ctrl:1
	v_add_f32_e32 v11, v11, v16
	v_cvt_f32_i32_dpp v12, v12 row_shr:4 row_mask:0xf bank_mask:0xf bound_ctrl:1
	v_cvt_i32_f32_e32 v13, v8
	s_delay_alu instid0(VALU_DEP_4) | instskip(NEXT) | instid1(VALU_DEP_4)
	v_add_f32_e32 v10, v96, v10
	v_cvt_i32_f32_e32 v16, v11
	s_delay_alu instid0(VALU_DEP_4) | instskip(NEXT) | instid1(VALU_DEP_4)
	v_add_f32_e32 v7, v7, v12
	v_cvt_f32_i32_dpp v13, v13 row_shr:1 row_mask:0xf bank_mask:0xf bound_ctrl:1
	s_delay_alu instid0(VALU_DEP_4) | instskip(NEXT) | instid1(VALU_DEP_4)
	v_cvt_i32_f32_e32 v17, v10
	v_cvt_f32_i32_dpp v16, v16 row_shr:1 row_mask:0xf bank_mask:0xf bound_ctrl:1
	s_delay_alu instid0(VALU_DEP_4) | instskip(NEXT) | instid1(VALU_DEP_4)
	v_cvt_i32_f32_e32 v12, v7
	v_add_f32_e32 v13, v8, v13
	s_delay_alu instid0(VALU_DEP_4) | instskip(SKIP_3) | instid1(VALU_DEP_4)
	v_cvt_f32_i32_dpp v17, v17 row_shr:4 row_mask:0xf bank_mask:0xf bound_ctrl:1
	v_add_f32_e32 v21, v9, v14
	v_cvt_i32_f32_e32 v9, v97
	v_cvt_f32_i32_dpp v12, v12 row_shr:2 row_mask:0xf bank_mask:0xf bound_ctrl:1
	v_add_f32_e32 v10, v10, v17
	ds_bpermute_b32 v22, v5, v21
	v_cvt_f32_i32_dpp v9, v9 row_shr:8 row_mask:0xf bank_mask:0xf bound_ctrl:1
	v_add_f32_e32 v7, v7, v12
	v_cvt_i32_f32_e32 v17, v10
	s_delay_alu instid0(VALU_DEP_1) | instskip(SKIP_2) | instid1(VALU_DEP_3)
	v_cvt_f32_i32_dpp v17, v17 row_shr:2 row_mask:0xf bank_mask:0xf bound_ctrl:1
	v_add_f32_e32 v15, v11, v16
	v_cvt_i32_f32_e32 v11, v77
	v_add_f32_e32 v10, v10, v17
	ds_bpermute_b32 v16, v5, v15
	v_cvt_f32_i32_dpp v11, v11 row_shr:8 row_mask:0xf bank_mask:0xf bound_ctrl:1
	v_cvt_i32_f32_e32 v17, v10
	s_delay_alu instid0(VALU_DEP_2) | instskip(SKIP_1) | instid1(VALU_DEP_2)
	v_add_f32_e32 v11, v77, v11
	s_waitcnt vmcnt(0)
	v_cvt_f32_i32_dpp v23, v17 row_shr:1 row_mask:0xf bank_mask:0xf bound_ctrl:1
	s_delay_alu instid0(VALU_DEP_2) | instskip(NEXT) | instid1(VALU_DEP_1)
	v_cvt_i32_f32_e32 v18, v11
	v_cvt_f32_i32_dpp v18, v18 row_shr:4 row_mask:0xf bank_mask:0xf bound_ctrl:1
	s_delay_alu instid0(VALU_DEP_1) | instskip(NEXT) | instid1(VALU_DEP_1)
	v_add_f32_e32 v11, v11, v18
	v_cvt_i32_f32_e32 v18, v11
	s_delay_alu instid0(VALU_DEP_1) | instskip(NEXT) | instid1(VALU_DEP_1)
	v_cvt_f32_i32_dpp v18, v18 row_shr:2 row_mask:0xf bank_mask:0xf bound_ctrl:1
	v_dual_add_f32 v9, v97, v9 :: v_dual_add_f32 v12, v11, v18
	s_delay_alu instid0(VALU_DEP_1) | instskip(SKIP_1) | instid1(VALU_DEP_3)
	v_cvt_i32_f32_e32 v14, v9
	v_cvt_i32_f32_e32 v11, v7
	;; [unrolled: 1-line block ×3, first 2 shown]
	s_delay_alu instid0(VALU_DEP_3) | instskip(NEXT) | instid1(VALU_DEP_3)
	v_cvt_f32_i32_dpp v14, v14 row_shr:4 row_mask:0xf bank_mask:0xf bound_ctrl:1
	v_cvt_f32_i32_dpp v11, v11 row_shr:1 row_mask:0xf bank_mask:0xf bound_ctrl:1
	s_delay_alu instid0(VALU_DEP_3) | instskip(NEXT) | instid1(VALU_DEP_3)
	v_cvt_f32_i32_dpp v18, v18 row_shr:1 row_mask:0xf bank_mask:0xf bound_ctrl:1
	v_add_f32_e32 v9, v9, v14
	s_delay_alu instid0(VALU_DEP_3) | instskip(NEXT) | instid1(VALU_DEP_3)
	v_add_f32_e32 v17, v7, v11
	v_add_f32_e32 v7, v12, v18
	s_delay_alu instid0(VALU_DEP_3) | instskip(SKIP_3) | instid1(VALU_DEP_1)
	v_cvt_i32_f32_e32 v14, v9
	ds_bpermute_b32 v18, v5, v17
	ds_bpermute_b32 v8, v5, v7
	v_cvt_f32_i32_dpp v14, v14 row_shr:2 row_mask:0xf bank_mask:0xf bound_ctrl:1
	v_add_f32_e32 v9, v9, v14
	s_delay_alu instid0(VALU_DEP_1) | instskip(NEXT) | instid1(VALU_DEP_1)
	v_cvt_i32_f32_e32 v14, v9
	v_cvt_f32_i32_dpp v14, v14 row_shr:1 row_mask:0xf bank_mask:0xf bound_ctrl:1
	s_delay_alu instid0(VALU_DEP_1)
	v_add_f32_e32 v11, v9, v14
	v_add_f32_e32 v9, v10, v23
	ds_bpermute_b32 v14, v5, v13
	ds_bpermute_b32 v12, v5, v11
	;; [unrolled: 1-line block ×3, first 2 shown]
	s_and_saveexec_b32 s5, s0
	s_cbranch_execz .LBB307_155
; %bb.33:                               ;   in Loop: Header=BB307_12 Depth=1
	v_dual_mov_b32 v65, 0 :: v_dual_add_nc_u32 v78, 2, v76
	v_dual_mov_b32 v64, 0 :: v_dual_add_nc_u32 v5, 3, v76
	v_dual_mov_b32 v63, 0 :: v_dual_mov_b32 v62, 0
	v_dual_mov_b32 v61, 0 :: v_dual_mov_b32 v60, 0
	;; [unrolled: 1-line block ×8, first 2 shown]
	v_mov_b32_e32 v33, 0
	v_mov_b32_e32 v23, 0
	s_and_not1_b32 vcc_lo, exec_lo, s30
	s_cbranch_vccnz .LBB307_35
; %bb.34:                               ;   in Loop: Header=BB307_12 Depth=1
	v_mul_hi_u32 v23, v76, v95
	v_dual_mov_b32 v55, v79 :: v_dual_add_nc_u32 v28, 1, v76
	v_mul_hi_u32 v33, v78, v95
	v_mul_hi_u32 v36, v5, v95
	v_mov_b32_e32 v70, v79
	s_delay_alu instid0(VALU_DEP_4)
	v_mul_hi_u32 v41, v28, v95
	v_mov_b32_e32 v99, v79
	v_mul_lo_u32 v23, v23, s8
	v_mov_b32_e32 v88, v79
	v_mov_b32_e32 v97, v79
	v_mul_lo_u32 v33, v33, s8
	v_mul_lo_u32 v36, v36, s8
	;; [unrolled: 1-line block ×3, first 2 shown]
	v_sub_nc_u32_e32 v23, v76, v23
	s_delay_alu instid0(VALU_DEP_4) | instskip(NEXT) | instid1(VALU_DEP_4)
	v_sub_nc_u32_e32 v33, v78, v33
	v_sub_nc_u32_e32 v36, v5, v36
	s_delay_alu instid0(VALU_DEP_3)
	v_subrev_nc_u32_e32 v45, s8, v23
	v_cmp_le_u32_e32 vcc_lo, s8, v23
	v_sub_nc_u32_e32 v28, v28, v41
	v_subrev_nc_u32_e32 v41, s8, v33
	v_subrev_nc_u32_e32 v48, s8, v36
	v_cndmask_b32_e32 v23, v23, v45, vcc_lo
	v_cmp_le_u32_e32 vcc_lo, s8, v33
	v_mov_b32_e32 v58, v79
	v_subrev_nc_u32_e32 v45, s8, v28
	v_cndmask_b32_e32 v33, v33, v41, vcc_lo
	v_cmp_le_u32_e32 vcc_lo, s8, v36
	v_mov_b32_e32 v67, v79
	v_subrev_nc_u32_e32 v41, s8, v23
	v_cndmask_b32_e32 v36, v36, v48, vcc_lo
	v_cmp_le_u32_e32 vcc_lo, s8, v28
	s_delay_alu instid0(VALU_DEP_2)
	v_subrev_nc_u32_e32 v48, s8, v36
	v_cndmask_b32_e32 v28, v28, v45, vcc_lo
	v_cmp_le_u32_e32 vcc_lo, s8, v23
	v_subrev_nc_u32_e32 v45, s8, v33
	v_cndmask_b32_e32 v54, v23, v41, vcc_lo
	v_cmp_le_u32_e32 vcc_lo, s8, v33
	v_mov_b32_e32 v60, v79
	v_subrev_nc_u32_e32 v23, s8, v28
	v_cndmask_b32_e32 v59, v33, v45, vcc_lo
	v_cmp_le_u32_e32 vcc_lo, s8, v36
	s_delay_alu instid0(VALU_DEP_2) | instskip(SKIP_3) | instid1(VALU_DEP_3)
	v_lshlrev_b64 v[60:61], 1, v[59:60]
	v_cndmask_b32_e32 v66, v36, v48, vcc_lo
	v_cmp_le_u32_e32 vcc_lo, s8, v28
	v_add_nc_u32_e32 v98, s40, v59
	v_lshlrev_b64 v[62:63], 1, v[66:67]
	v_cndmask_b32_e32 v57, v28, v23, vcc_lo
	v_lshlrev_b64 v[55:56], 1, v[54:55]
	s_delay_alu instid0(VALU_DEP_2) | instskip(SKIP_1) | instid1(VALU_DEP_3)
	v_lshlrev_b64 v[64:65], 1, v[57:58]
	v_add_nc_u32_e32 v69, s33, v57
	v_add_co_u32 v55, vcc_lo, s14, v55
	s_delay_alu instid0(VALU_DEP_4) | instskip(NEXT) | instid1(VALU_DEP_4)
	v_add_co_ci_u32_e32 v56, vcc_lo, s15, v56, vcc_lo
	v_add_co_u32 v67, vcc_lo, s14, v64
	v_add_co_ci_u32_e32 v68, vcc_lo, s15, v65, vcc_lo
	v_dual_mov_b32 v65, v79 :: v_dual_add_nc_u32 v64, s33, v54
	v_add_co_u32 v60, vcc_lo, s14, v60
	v_add_co_ci_u32_e32 v61, vcc_lo, s15, v61, vcc_lo
	s_delay_alu instid0(VALU_DEP_3)
	v_lshlrev_b64 v[64:65], 1, v[64:65]
	v_add_co_u32 v71, vcc_lo, s14, v62
	v_add_co_ci_u32_e32 v72, vcc_lo, s15, v63, vcc_lo
	v_lshlrev_b64 v[62:63], 1, v[69:70]
	v_add_nc_u32_e32 v69, s33, v59
	v_add_co_u32 v73, vcc_lo, s14, v64
	v_add_co_ci_u32_e32 v74, vcc_lo, s15, v65, vcc_lo
	s_delay_alu instid0(VALU_DEP_3) | instskip(SKIP_3) | instid1(VALU_DEP_3)
	v_lshlrev_b64 v[64:65], 1, v[69:70]
	v_add_nc_u32_e32 v69, s33, v66
	v_add_co_u32 v81, vcc_lo, s14, v62
	v_add_co_ci_u32_e32 v82, vcc_lo, s15, v63, vcc_lo
	v_lshlrev_b64 v[62:63], 1, v[69:70]
	v_add_co_u32 v69, vcc_lo, s14, v64
	v_add_co_ci_u32_e32 v70, vcc_lo, s15, v65, vcc_lo
	v_dual_mov_b32 v65, v79 :: v_dual_add_nc_u32 v64, s34, v54
	v_add_nc_u32_e32 v87, s34, v57
	v_add_co_u32 v83, vcc_lo, s14, v62
	v_add_co_ci_u32_e32 v84, vcc_lo, s15, v63, vcc_lo
	s_delay_alu instid0(VALU_DEP_4)
	v_lshlrev_b64 v[85:86], 1, v[64:65]
	s_clause 0x7
	global_load_u16 v65, v[55:56], off
	global_load_u16 v64, v[67:68], off
	;; [unrolled: 1-line block ×8, first 2 shown]
	v_dual_mov_b32 v74, v79 :: v_dual_add_nc_u32 v69, s34, v59
	v_mov_b32_e32 v82, v79
	v_mov_b32_e32 v70, v79
	v_lshlrev_b64 v[67:68], 1, v[87:88]
	v_dual_mov_b32 v84, v79 :: v_dual_add_nc_u32 v73, s34, v66
	v_add_co_u32 v71, vcc_lo, s14, v85
	s_delay_alu instid0(VALU_DEP_4)
	v_lshlrev_b64 v[69:70], 1, v[69:70]
	v_add_nc_u32_e32 v81, s35, v54
	v_add_co_ci_u32_e32 v72, vcc_lo, s15, v86, vcc_lo
	v_mov_b32_e32 v86, v79
	v_add_co_u32 v67, vcc_lo, s14, v67
	v_lshlrev_b64 v[73:74], 1, v[73:74]
	v_add_nc_u32_e32 v83, s35, v57
	v_add_co_ci_u32_e32 v68, vcc_lo, s15, v68, vcc_lo
	v_add_co_u32 v69, vcc_lo, s14, v69
	v_lshlrev_b64 v[81:82], 1, v[81:82]
	v_add_nc_u32_e32 v85, s35, v59
	v_add_co_ci_u32_e32 v70, vcc_lo, s15, v70, vcc_lo
	;; [unrolled: 4-line block ×3, first 2 shown]
	v_add_co_u32 v81, vcc_lo, s14, v81
	v_lshlrev_b64 v[85:86], 1, v[85:86]
	v_dual_mov_b32 v55, v79 :: v_dual_add_nc_u32 v54, s40, v54
	v_add_co_ci_u32_e32 v82, vcc_lo, s15, v82, vcc_lo
	v_add_co_u32 v83, vcc_lo, s14, v83
	v_lshlrev_b64 v[87:88], 1, v[87:88]
	v_add_co_ci_u32_e32 v84, vcc_lo, s15, v84, vcc_lo
	v_add_co_u32 v85, vcc_lo, s14, v85
	v_lshlrev_b64 v[54:55], 1, v[54:55]
	v_add_co_ci_u32_e32 v86, vcc_lo, s15, v86, vcc_lo
	v_add_nc_u32_e32 v96, s40, v57
	v_add_co_u32 v87, vcc_lo, s14, v87
	v_add_co_ci_u32_e32 v88, vcc_lo, s15, v88, vcc_lo
	v_add_co_u32 v100, vcc_lo, s14, v54
	s_delay_alu instid0(VALU_DEP_4) | instskip(SKIP_3) | instid1(VALU_DEP_4)
	v_lshlrev_b64 v[96:97], 1, v[96:97]
	v_add_co_ci_u32_e32 v101, vcc_lo, s15, v55, vcc_lo
	v_lshlrev_b64 v[54:55], 1, v[98:99]
	v_add_nc_u32_e32 v98, s40, v66
	v_add_co_u32 v96, vcc_lo, s14, v96
	v_add_co_ci_u32_e32 v97, vcc_lo, s15, v97, vcc_lo
	s_delay_alu instid0(VALU_DEP_3) | instskip(SKIP_2) | instid1(VALU_DEP_3)
	v_lshlrev_b64 v[98:99], 1, v[98:99]
	v_add_co_u32 v102, vcc_lo, s14, v54
	v_add_co_ci_u32_e32 v103, vcc_lo, s15, v55, vcc_lo
	v_add_co_u32 v98, vcc_lo, s14, v98
	s_delay_alu instid0(VALU_DEP_4)
	v_add_co_ci_u32_e32 v99, vcc_lo, s15, v99, vcc_lo
	s_clause 0xb
	global_load_u16 v59, v[71:72], off
	global_load_u16 v57, v[67:68], off
	;; [unrolled: 1-line block ×12, first 2 shown]
.LBB307_35:                             ;   in Loop: Header=BB307_12 Depth=1
	v_cmp_ne_u32_e32 vcc_lo, 0, v1
	s_and_saveexec_b32 s2, vcc_lo
	s_cbranch_execnz .LBB307_55
; %bb.36:                               ;   in Loop: Header=BB307_12 Depth=1
	s_or_b32 exec_lo, exec_lo, s2
	v_cmp_ne_u32_e64 s1, 0, v2
	s_delay_alu instid0(VALU_DEP_1)
	s_and_saveexec_b32 s3, s1
	s_cbranch_execnz .LBB307_60
.LBB307_37:                             ;   in Loop: Header=BB307_12 Depth=1
	s_or_b32 exec_lo, exec_lo, s3
	v_cmp_ne_u32_e64 s2, 0, v3
	s_delay_alu instid0(VALU_DEP_1)
	s_and_saveexec_b32 s4, s2
	s_cbranch_execnz .LBB307_65
.LBB307_38:                             ;   in Loop: Header=BB307_12 Depth=1
	s_or_b32 exec_lo, exec_lo, s4
	v_cmp_ne_u32_e64 s3, 0, v4
	s_delay_alu instid0(VALU_DEP_1)
	s_and_saveexec_b32 s43, s3
	s_cbranch_execnz .LBB307_70
.LBB307_39:                             ;   in Loop: Header=BB307_12 Depth=1
	s_or_b32 exec_lo, exec_lo, s43
	v_add_nc_u32_e32 v78, s19, v76
	s_and_saveexec_b32 s43, vcc_lo
	s_cbranch_execnz .LBB307_75
.LBB307_40:                             ;   in Loop: Header=BB307_12 Depth=1
	s_or_b32 exec_lo, exec_lo, s43
	s_and_saveexec_b32 s43, s1
	s_cbranch_execnz .LBB307_80
.LBB307_41:                             ;   in Loop: Header=BB307_12 Depth=1
	s_or_b32 exec_lo, exec_lo, s43
	s_and_saveexec_b32 s43, s2
	s_cbranch_execnz .LBB307_85
.LBB307_42:                             ;   in Loop: Header=BB307_12 Depth=1
	s_or_b32 exec_lo, exec_lo, s43
	s_and_saveexec_b32 s43, s3
	s_cbranch_execnz .LBB307_90
.LBB307_43:                             ;   in Loop: Header=BB307_12 Depth=1
	s_or_b32 exec_lo, exec_lo, s43
	v_add_nc_u32_e32 v78, s19, v78
	s_and_saveexec_b32 s43, vcc_lo
	s_cbranch_execnz .LBB307_95
.LBB307_44:                             ;   in Loop: Header=BB307_12 Depth=1
	s_or_b32 exec_lo, exec_lo, s43
	s_and_saveexec_b32 s43, s1
	s_cbranch_execnz .LBB307_100
.LBB307_45:                             ;   in Loop: Header=BB307_12 Depth=1
	s_or_b32 exec_lo, exec_lo, s43
	s_and_saveexec_b32 s43, s2
	s_cbranch_execnz .LBB307_105
.LBB307_46:                             ;   in Loop: Header=BB307_12 Depth=1
	s_or_b32 exec_lo, exec_lo, s43
	s_and_saveexec_b32 s43, s3
	s_cbranch_execnz .LBB307_110
.LBB307_47:                             ;   in Loop: Header=BB307_12 Depth=1
	s_or_b32 exec_lo, exec_lo, s43
	v_add_nc_u32_e32 v78, s19, v78
	s_and_saveexec_b32 s43, vcc_lo
	s_cbranch_execnz .LBB307_115
.LBB307_48:                             ;   in Loop: Header=BB307_12 Depth=1
	s_or_b32 exec_lo, exec_lo, s43
	s_and_saveexec_b32 s43, s1
	s_cbranch_execnz .LBB307_120
.LBB307_49:                             ;   in Loop: Header=BB307_12 Depth=1
	s_or_b32 exec_lo, exec_lo, s43
	s_and_saveexec_b32 s43, s2
	s_cbranch_execnz .LBB307_125
.LBB307_50:                             ;   in Loop: Header=BB307_12 Depth=1
	s_or_b32 exec_lo, exec_lo, s43
	s_and_saveexec_b32 s43, s3
	s_cbranch_execnz .LBB307_130
.LBB307_51:                             ;   in Loop: Header=BB307_12 Depth=1
	s_or_b32 exec_lo, exec_lo, s43
	v_add_nc_u32_e32 v78, s19, v78
	s_and_saveexec_b32 s4, vcc_lo
	s_cbranch_execnz .LBB307_135
.LBB307_52:                             ;   in Loop: Header=BB307_12 Depth=1
	s_or_b32 exec_lo, exec_lo, s4
	s_and_saveexec_b32 s4, s1
	s_cbranch_execnz .LBB307_140
.LBB307_53:                             ;   in Loop: Header=BB307_12 Depth=1
	s_or_b32 exec_lo, exec_lo, s4
	s_and_saveexec_b32 s1, s2
	s_cbranch_execnz .LBB307_145
.LBB307_54:                             ;   in Loop: Header=BB307_12 Depth=1
	s_or_b32 exec_lo, exec_lo, s1
	s_delay_alu instid0(SALU_CYCLE_1)
	s_and_b32 exec_lo, exec_lo, s3
	s_cbranch_execnz .LBB307_150
	s_branch .LBB307_155
.LBB307_55:                             ;   in Loop: Header=BB307_12 Depth=1
	s_waitcnt lgkmcnt(16)
	v_add_f32_e32 v52, v52, v53
	s_waitcnt vmcnt(19)
	v_lshlrev_b32_e32 v53, 16, v65
	s_delay_alu instid0(VALU_DEP_1) | instskip(NEXT) | instid1(VALU_DEP_1)
	v_add_f32_e32 v53, v52, v53
	v_and_b32_e32 v52, 0x7f800000, v53
	s_delay_alu instid0(VALU_DEP_1) | instskip(NEXT) | instid1(VALU_DEP_1)
	v_cmp_ne_u32_e64 s1, 0x7f800000, v52
                                        ; implicit-def: $vgpr52
	s_and_saveexec_b32 s3, s1
	s_delay_alu instid0(SALU_CYCLE_1)
	s_xor_b32 s1, exec_lo, s3
; %bb.56:                               ;   in Loop: Header=BB307_12 Depth=1
	v_bfe_u32 v52, v53, 16, 1
	s_delay_alu instid0(VALU_DEP_1)
	v_add3_u32 v52, v53, v52, 0x7fff
                                        ; implicit-def: $vgpr53
; %bb.57:                               ;   in Loop: Header=BB307_12 Depth=1
	s_and_not1_saveexec_b32 s3, s1
; %bb.58:                               ;   in Loop: Header=BB307_12 Depth=1
	v_and_b32_e32 v52, 0xffff, v53
	v_or_b32_e32 v65, 0x10000, v53
	s_delay_alu instid0(VALU_DEP_2) | instskip(NEXT) | instid1(VALU_DEP_1)
	v_cmp_eq_u32_e64 s1, 0, v52
	v_cndmask_b32_e64 v52, v65, v53, s1
; %bb.59:                               ;   in Loop: Header=BB307_12 Depth=1
	s_or_b32 exec_lo, exec_lo, s3
	v_mov_b32_e32 v77, v79
	s_delay_alu instid0(VALU_DEP_1) | instskip(NEXT) | instid1(VALU_DEP_1)
	v_lshlrev_b64 v[65:66], 1, v[76:77]
	v_add_co_u32 v65, s1, s6, v65
	s_delay_alu instid0(VALU_DEP_1) | instskip(SKIP_3) | instid1(VALU_DEP_1)
	v_add_co_ci_u32_e64 v66, s1, s7, v66, s1
	global_store_d16_hi_b16 v[65:66], v52, off
	s_or_b32 exec_lo, exec_lo, s2
	v_cmp_ne_u32_e64 s1, 0, v2
	s_and_saveexec_b32 s3, s1
	s_cbranch_execz .LBB307_37
.LBB307_60:                             ;   in Loop: Header=BB307_12 Depth=1
	s_waitcnt vmcnt(18) lgkmcnt(19)
	v_dual_add_f32 v49, v49, v50 :: v_dual_lshlrev_b32 v50, 16, v64
	s_delay_alu instid0(VALU_DEP_1) | instskip(NEXT) | instid1(VALU_DEP_1)
	v_add_f32_e32 v50, v49, v50
	v_and_b32_e32 v49, 0x7f800000, v50
	s_delay_alu instid0(VALU_DEP_1) | instskip(NEXT) | instid1(VALU_DEP_1)
	v_cmp_ne_u32_e64 s2, 0x7f800000, v49
                                        ; implicit-def: $vgpr49
	s_and_saveexec_b32 s4, s2
	s_delay_alu instid0(SALU_CYCLE_1)
	s_xor_b32 s2, exec_lo, s4
; %bb.61:                               ;   in Loop: Header=BB307_12 Depth=1
	v_bfe_u32 v49, v50, 16, 1
	s_delay_alu instid0(VALU_DEP_1)
	v_add3_u32 v49, v50, v49, 0x7fff
                                        ; implicit-def: $vgpr50
; %bb.62:                               ;   in Loop: Header=BB307_12 Depth=1
	s_and_not1_saveexec_b32 s4, s2
; %bb.63:                               ;   in Loop: Header=BB307_12 Depth=1
	v_and_b32_e32 v49, 0xffff, v50
	v_or_b32_e32 v52, 0x10000, v50
	s_delay_alu instid0(VALU_DEP_2) | instskip(NEXT) | instid1(VALU_DEP_1)
	v_cmp_eq_u32_e64 s2, 0, v49
	v_cndmask_b32_e64 v49, v52, v50, s2
; %bb.64:                               ;   in Loop: Header=BB307_12 Depth=1
	s_or_b32 exec_lo, exec_lo, s4
	v_mov_b32_e32 v77, v79
	s_waitcnt lgkmcnt(16)
	s_delay_alu instid0(VALU_DEP_1) | instskip(NEXT) | instid1(VALU_DEP_1)
	v_lshlrev_b64 v[52:53], 1, v[76:77]
	v_add_co_u32 v52, s2, s36, v52
	s_delay_alu instid0(VALU_DEP_1) | instskip(SKIP_3) | instid1(VALU_DEP_1)
	v_add_co_ci_u32_e64 v53, s2, s37, v53, s2
	global_store_d16_hi_b16 v[52:53], v49, off
	s_or_b32 exec_lo, exec_lo, s3
	v_cmp_ne_u32_e64 s2, 0, v3
	s_and_saveexec_b32 s4, s2
	s_cbranch_execz .LBB307_38
.LBB307_65:                             ;   in Loop: Header=BB307_12 Depth=1
	s_waitcnt lgkmcnt(18)
	v_add_f32_e32 v46, v46, v47
	s_waitcnt vmcnt(17)
	v_lshlrev_b32_e32 v47, 16, v63
	s_delay_alu instid0(VALU_DEP_1) | instskip(NEXT) | instid1(VALU_DEP_1)
	v_add_f32_e32 v47, v46, v47
	v_and_b32_e32 v46, 0x7f800000, v47
	s_delay_alu instid0(VALU_DEP_1) | instskip(NEXT) | instid1(VALU_DEP_1)
	v_cmp_ne_u32_e64 s3, 0x7f800000, v46
                                        ; implicit-def: $vgpr46
	s_and_saveexec_b32 s43, s3
	s_delay_alu instid0(SALU_CYCLE_1)
	s_xor_b32 s3, exec_lo, s43
; %bb.66:                               ;   in Loop: Header=BB307_12 Depth=1
	v_bfe_u32 v46, v47, 16, 1
	s_delay_alu instid0(VALU_DEP_1)
	v_add3_u32 v46, v47, v46, 0x7fff
                                        ; implicit-def: $vgpr47
; %bb.67:                               ;   in Loop: Header=BB307_12 Depth=1
	s_and_not1_saveexec_b32 s43, s3
; %bb.68:                               ;   in Loop: Header=BB307_12 Depth=1
	v_and_b32_e32 v46, 0xffff, v47
	v_or_b32_e32 v49, 0x10000, v47
	s_delay_alu instid0(VALU_DEP_2) | instskip(NEXT) | instid1(VALU_DEP_1)
	v_cmp_eq_u32_e64 s3, 0, v46
	v_cndmask_b32_e64 v46, v49, v47, s3
; %bb.69:                               ;   in Loop: Header=BB307_12 Depth=1
	s_or_b32 exec_lo, exec_lo, s43
	v_lshlrev_b64 v[49:50], 1, v[78:79]
	s_delay_alu instid0(VALU_DEP_1) | instskip(NEXT) | instid1(VALU_DEP_1)
	v_add_co_u32 v49, s3, s6, v49
	v_add_co_ci_u32_e64 v50, s3, s7, v50, s3
	global_store_d16_hi_b16 v[49:50], v46, off
	s_or_b32 exec_lo, exec_lo, s4
	v_cmp_ne_u32_e64 s3, 0, v4
	s_delay_alu instid0(VALU_DEP_1)
	s_and_saveexec_b32 s43, s3
	s_cbranch_execz .LBB307_39
.LBB307_70:                             ;   in Loop: Header=BB307_12 Depth=1
	s_waitcnt lgkmcnt(15)
	v_add_f32_e32 v6, v6, v44
	s_waitcnt vmcnt(16)
	v_lshlrev_b32_e32 v44, 16, v62
	s_delay_alu instid0(VALU_DEP_1) | instskip(NEXT) | instid1(VALU_DEP_1)
	v_add_f32_e32 v6, v6, v44
	v_and_b32_e32 v44, 0x7f800000, v6
	s_delay_alu instid0(VALU_DEP_1) | instskip(NEXT) | instid1(VALU_DEP_1)
	v_cmp_ne_u32_e64 s4, 0x7f800000, v44
                                        ; implicit-def: $vgpr44
	s_and_saveexec_b32 s44, s4
	s_delay_alu instid0(SALU_CYCLE_1)
	s_xor_b32 s4, exec_lo, s44
; %bb.71:                               ;   in Loop: Header=BB307_12 Depth=1
	v_bfe_u32 v44, v6, 16, 1
	s_delay_alu instid0(VALU_DEP_1)
	v_add3_u32 v44, v6, v44, 0x7fff
                                        ; implicit-def: $vgpr6
; %bb.72:                               ;   in Loop: Header=BB307_12 Depth=1
	s_and_not1_saveexec_b32 s44, s4
; %bb.73:                               ;   in Loop: Header=BB307_12 Depth=1
	v_and_b32_e32 v44, 0xffff, v6
	v_or_b32_e32 v46, 0x10000, v6
	s_delay_alu instid0(VALU_DEP_2) | instskip(NEXT) | instid1(VALU_DEP_1)
	v_cmp_eq_u32_e64 s4, 0, v44
	v_cndmask_b32_e64 v44, v46, v6, s4
; %bb.74:                               ;   in Loop: Header=BB307_12 Depth=1
	s_or_b32 exec_lo, exec_lo, s44
	v_mov_b32_e32 v6, v79
	s_delay_alu instid0(VALU_DEP_1) | instskip(NEXT) | instid1(VALU_DEP_1)
	v_lshlrev_b64 v[5:6], 1, v[5:6]
	v_add_co_u32 v5, s4, s6, v5
	s_delay_alu instid0(VALU_DEP_1)
	v_add_co_ci_u32_e64 v6, s4, s7, v6, s4
	global_store_d16_hi_b16 v[5:6], v44, off
	s_or_b32 exec_lo, exec_lo, s43
	v_add_nc_u32_e32 v78, s19, v76
	s_and_saveexec_b32 s43, vcc_lo
	s_cbranch_execz .LBB307_40
.LBB307_75:                             ;   in Loop: Header=BB307_12 Depth=1
	s_waitcnt vmcnt(15) lgkmcnt(17)
	v_dual_add_f32 v5, v39, v40 :: v_dual_lshlrev_b32 v6, 16, v61
	s_delay_alu instid0(VALU_DEP_1) | instskip(NEXT) | instid1(VALU_DEP_1)
	v_add_f32_e32 v6, v5, v6
	v_and_b32_e32 v5, 0x7f800000, v6
	s_delay_alu instid0(VALU_DEP_1) | instskip(NEXT) | instid1(VALU_DEP_1)
	v_cmp_ne_u32_e64 s4, 0x7f800000, v5
                                        ; implicit-def: $vgpr5
	s_and_saveexec_b32 s44, s4
	s_delay_alu instid0(SALU_CYCLE_1)
	s_xor_b32 s4, exec_lo, s44
; %bb.76:                               ;   in Loop: Header=BB307_12 Depth=1
	v_bfe_u32 v5, v6, 16, 1
	s_delay_alu instid0(VALU_DEP_1)
	v_add3_u32 v5, v6, v5, 0x7fff
                                        ; implicit-def: $vgpr6
; %bb.77:                               ;   in Loop: Header=BB307_12 Depth=1
	s_and_not1_saveexec_b32 s44, s4
; %bb.78:                               ;   in Loop: Header=BB307_12 Depth=1
	v_and_b32_e32 v5, 0xffff, v6
	v_or_b32_e32 v39, 0x10000, v6
	s_delay_alu instid0(VALU_DEP_2) | instskip(NEXT) | instid1(VALU_DEP_1)
	v_cmp_eq_u32_e64 s4, 0, v5
	v_cndmask_b32_e64 v5, v39, v6, s4
; %bb.79:                               ;   in Loop: Header=BB307_12 Depth=1
	s_or_b32 exec_lo, exec_lo, s44
	v_lshlrev_b64 v[39:40], 1, v[78:79]
	s_delay_alu instid0(VALU_DEP_1) | instskip(NEXT) | instid1(VALU_DEP_1)
	v_add_co_u32 v39, s4, s6, v39
	v_add_co_ci_u32_e64 v40, s4, s7, v40, s4
	global_store_d16_hi_b16 v[39:40], v5, off
	s_or_b32 exec_lo, exec_lo, s43
	s_and_saveexec_b32 s43, s1
	s_cbranch_execz .LBB307_41
.LBB307_80:                             ;   in Loop: Header=BB307_12 Depth=1
	s_waitcnt vmcnt(14) lgkmcnt(14)
	v_dual_add_f32 v5, v42, v43 :: v_dual_lshlrev_b32 v6, 16, v60
	s_delay_alu instid0(VALU_DEP_1) | instskip(NEXT) | instid1(VALU_DEP_1)
	v_add_f32_e32 v6, v5, v6
	v_and_b32_e32 v5, 0x7f800000, v6
	s_delay_alu instid0(VALU_DEP_1) | instskip(NEXT) | instid1(VALU_DEP_1)
	v_cmp_ne_u32_e64 s4, 0x7f800000, v5
                                        ; implicit-def: $vgpr5
	s_and_saveexec_b32 s44, s4
	s_delay_alu instid0(SALU_CYCLE_1)
	s_xor_b32 s4, exec_lo, s44
; %bb.81:                               ;   in Loop: Header=BB307_12 Depth=1
	v_bfe_u32 v5, v6, 16, 1
	s_delay_alu instid0(VALU_DEP_1)
	v_add3_u32 v5, v6, v5, 0x7fff
                                        ; implicit-def: $vgpr6
; %bb.82:                               ;   in Loop: Header=BB307_12 Depth=1
	s_and_not1_saveexec_b32 s44, s4
; %bb.83:                               ;   in Loop: Header=BB307_12 Depth=1
	v_and_b32_e32 v5, 0xffff, v6
	v_or_b32_e32 v39, 0x10000, v6
	s_delay_alu instid0(VALU_DEP_2) | instskip(NEXT) | instid1(VALU_DEP_1)
	v_cmp_eq_u32_e64 s4, 0, v5
	v_cndmask_b32_e64 v5, v39, v6, s4
; %bb.84:                               ;   in Loop: Header=BB307_12 Depth=1
	s_or_b32 exec_lo, exec_lo, s44
	v_dual_mov_b32 v40, v79 :: v_dual_add_nc_u32 v39, 1, v78
	s_delay_alu instid0(VALU_DEP_1) | instskip(NEXT) | instid1(VALU_DEP_1)
	v_lshlrev_b64 v[39:40], 1, v[39:40]
	v_add_co_u32 v39, s4, s6, v39
	s_delay_alu instid0(VALU_DEP_1)
	v_add_co_ci_u32_e64 v40, s4, s7, v40, s4
	global_store_d16_hi_b16 v[39:40], v5, off
	s_or_b32 exec_lo, exec_lo, s43
	s_and_saveexec_b32 s43, s2
	s_cbranch_execz .LBB307_42
.LBB307_85:                             ;   in Loop: Header=BB307_12 Depth=1
	s_waitcnt lgkmcnt(13)
	v_add_f32_e32 v5, v37, v38
	s_waitcnt vmcnt(13)
	v_lshlrev_b32_e32 v6, 16, v58
	s_delay_alu instid0(VALU_DEP_1) | instskip(NEXT) | instid1(VALU_DEP_1)
	v_add_f32_e32 v6, v5, v6
	v_and_b32_e32 v5, 0x7f800000, v6
	s_delay_alu instid0(VALU_DEP_1) | instskip(NEXT) | instid1(VALU_DEP_1)
	v_cmp_ne_u32_e64 s4, 0x7f800000, v5
                                        ; implicit-def: $vgpr5
	s_and_saveexec_b32 s44, s4
	s_delay_alu instid0(SALU_CYCLE_1)
	s_xor_b32 s4, exec_lo, s44
; %bb.86:                               ;   in Loop: Header=BB307_12 Depth=1
	v_bfe_u32 v5, v6, 16, 1
	s_delay_alu instid0(VALU_DEP_1)
	v_add3_u32 v5, v6, v5, 0x7fff
                                        ; implicit-def: $vgpr6
; %bb.87:                               ;   in Loop: Header=BB307_12 Depth=1
	s_and_not1_saveexec_b32 s44, s4
; %bb.88:                               ;   in Loop: Header=BB307_12 Depth=1
	v_and_b32_e32 v5, 0xffff, v6
	v_or_b32_e32 v37, 0x10000, v6
	s_delay_alu instid0(VALU_DEP_2) | instskip(NEXT) | instid1(VALU_DEP_1)
	v_cmp_eq_u32_e64 s4, 0, v5
	v_cndmask_b32_e64 v5, v37, v6, s4
; %bb.89:                               ;   in Loop: Header=BB307_12 Depth=1
	s_or_b32 exec_lo, exec_lo, s44
	v_dual_mov_b32 v38, v79 :: v_dual_add_nc_u32 v37, 2, v78
	s_delay_alu instid0(VALU_DEP_1) | instskip(NEXT) | instid1(VALU_DEP_1)
	v_lshlrev_b64 v[37:38], 1, v[37:38]
	v_add_co_u32 v37, s4, s6, v37
	s_delay_alu instid0(VALU_DEP_1)
	v_add_co_ci_u32_e64 v38, s4, s7, v38, s4
	global_store_d16_hi_b16 v[37:38], v5, off
	s_or_b32 exec_lo, exec_lo, s43
	s_and_saveexec_b32 s43, s3
	s_cbranch_execz .LBB307_43
.LBB307_90:                             ;   in Loop: Header=BB307_12 Depth=1
	s_waitcnt vmcnt(12) lgkmcnt(12)
	v_dual_add_f32 v5, v34, v35 :: v_dual_lshlrev_b32 v6, 16, v56
	s_delay_alu instid0(VALU_DEP_1) | instskip(NEXT) | instid1(VALU_DEP_1)
	v_add_f32_e32 v6, v5, v6
	v_and_b32_e32 v5, 0x7f800000, v6
	s_delay_alu instid0(VALU_DEP_1) | instskip(NEXT) | instid1(VALU_DEP_1)
	v_cmp_ne_u32_e64 s4, 0x7f800000, v5
                                        ; implicit-def: $vgpr5
	s_and_saveexec_b32 s44, s4
	s_delay_alu instid0(SALU_CYCLE_1)
	s_xor_b32 s4, exec_lo, s44
; %bb.91:                               ;   in Loop: Header=BB307_12 Depth=1
	v_bfe_u32 v5, v6, 16, 1
	s_delay_alu instid0(VALU_DEP_1)
	v_add3_u32 v5, v6, v5, 0x7fff
                                        ; implicit-def: $vgpr6
; %bb.92:                               ;   in Loop: Header=BB307_12 Depth=1
	s_and_not1_saveexec_b32 s44, s4
; %bb.93:                               ;   in Loop: Header=BB307_12 Depth=1
	v_and_b32_e32 v5, 0xffff, v6
	v_or_b32_e32 v34, 0x10000, v6
	s_delay_alu instid0(VALU_DEP_2) | instskip(NEXT) | instid1(VALU_DEP_1)
	v_cmp_eq_u32_e64 s4, 0, v5
	v_cndmask_b32_e64 v5, v34, v6, s4
; %bb.94:                               ;   in Loop: Header=BB307_12 Depth=1
	s_or_b32 exec_lo, exec_lo, s44
	v_dual_mov_b32 v35, v79 :: v_dual_add_nc_u32 v34, 3, v78
	s_delay_alu instid0(VALU_DEP_1) | instskip(NEXT) | instid1(VALU_DEP_1)
	v_lshlrev_b64 v[34:35], 1, v[34:35]
	v_add_co_u32 v34, s4, s6, v34
	s_delay_alu instid0(VALU_DEP_1)
	v_add_co_ci_u32_e64 v35, s4, s7, v35, s4
	global_store_d16_hi_b16 v[34:35], v5, off
	s_or_b32 exec_lo, exec_lo, s43
	v_add_nc_u32_e32 v78, s19, v78
	s_and_saveexec_b32 s43, vcc_lo
	s_cbranch_execz .LBB307_44
.LBB307_95:                             ;   in Loop: Header=BB307_12 Depth=1
	s_waitcnt vmcnt(11) lgkmcnt(11)
	v_dual_add_f32 v5, v31, v32 :: v_dual_lshlrev_b32 v6, 16, v59
	s_delay_alu instid0(VALU_DEP_1) | instskip(NEXT) | instid1(VALU_DEP_1)
	v_add_f32_e32 v6, v5, v6
	v_and_b32_e32 v5, 0x7f800000, v6
	s_delay_alu instid0(VALU_DEP_1) | instskip(NEXT) | instid1(VALU_DEP_1)
	v_cmp_ne_u32_e64 s4, 0x7f800000, v5
                                        ; implicit-def: $vgpr5
	s_and_saveexec_b32 s44, s4
	s_delay_alu instid0(SALU_CYCLE_1)
	s_xor_b32 s4, exec_lo, s44
; %bb.96:                               ;   in Loop: Header=BB307_12 Depth=1
	v_bfe_u32 v5, v6, 16, 1
	s_delay_alu instid0(VALU_DEP_1)
	v_add3_u32 v5, v6, v5, 0x7fff
                                        ; implicit-def: $vgpr6
; %bb.97:                               ;   in Loop: Header=BB307_12 Depth=1
	s_and_not1_saveexec_b32 s44, s4
; %bb.98:                               ;   in Loop: Header=BB307_12 Depth=1
	v_and_b32_e32 v5, 0xffff, v6
	v_or_b32_e32 v31, 0x10000, v6
	s_delay_alu instid0(VALU_DEP_2) | instskip(NEXT) | instid1(VALU_DEP_1)
	v_cmp_eq_u32_e64 s4, 0, v5
	v_cndmask_b32_e64 v5, v31, v6, s4
; %bb.99:                               ;   in Loop: Header=BB307_12 Depth=1
	s_or_b32 exec_lo, exec_lo, s44
	v_lshlrev_b64 v[31:32], 1, v[78:79]
	s_delay_alu instid0(VALU_DEP_1) | instskip(NEXT) | instid1(VALU_DEP_1)
	v_add_co_u32 v31, s4, s6, v31
	v_add_co_ci_u32_e64 v32, s4, s7, v32, s4
	global_store_d16_hi_b16 v[31:32], v5, off
	s_or_b32 exec_lo, exec_lo, s43
	s_and_saveexec_b32 s43, s1
	s_cbranch_execz .LBB307_45
.LBB307_100:                            ;   in Loop: Header=BB307_12 Depth=1
	s_waitcnt vmcnt(10) lgkmcnt(10)
	v_dual_add_f32 v5, v26, v27 :: v_dual_lshlrev_b32 v6, 16, v57
	s_delay_alu instid0(VALU_DEP_1) | instskip(NEXT) | instid1(VALU_DEP_1)
	v_add_f32_e32 v6, v5, v6
	v_and_b32_e32 v5, 0x7f800000, v6
	s_delay_alu instid0(VALU_DEP_1) | instskip(NEXT) | instid1(VALU_DEP_1)
	v_cmp_ne_u32_e64 s4, 0x7f800000, v5
                                        ; implicit-def: $vgpr5
	s_and_saveexec_b32 s44, s4
	s_delay_alu instid0(SALU_CYCLE_1)
	s_xor_b32 s4, exec_lo, s44
; %bb.101:                              ;   in Loop: Header=BB307_12 Depth=1
	v_bfe_u32 v5, v6, 16, 1
	s_delay_alu instid0(VALU_DEP_1)
	v_add3_u32 v5, v6, v5, 0x7fff
                                        ; implicit-def: $vgpr6
; %bb.102:                              ;   in Loop: Header=BB307_12 Depth=1
	s_and_not1_saveexec_b32 s44, s4
; %bb.103:                              ;   in Loop: Header=BB307_12 Depth=1
	v_and_b32_e32 v5, 0xffff, v6
	v_or_b32_e32 v26, 0x10000, v6
	s_delay_alu instid0(VALU_DEP_2) | instskip(NEXT) | instid1(VALU_DEP_1)
	v_cmp_eq_u32_e64 s4, 0, v5
	v_cndmask_b32_e64 v5, v26, v6, s4
; %bb.104:                              ;   in Loop: Header=BB307_12 Depth=1
	s_or_b32 exec_lo, exec_lo, s44
	v_dual_mov_b32 v27, v79 :: v_dual_add_nc_u32 v26, 1, v78
	s_delay_alu instid0(VALU_DEP_1) | instskip(NEXT) | instid1(VALU_DEP_1)
	v_lshlrev_b64 v[26:27], 1, v[26:27]
	v_add_co_u32 v26, s4, s6, v26
	s_delay_alu instid0(VALU_DEP_1)
	v_add_co_ci_u32_e64 v27, s4, s7, v27, s4
	global_store_d16_hi_b16 v[26:27], v5, off
	s_or_b32 exec_lo, exec_lo, s43
	s_and_saveexec_b32 s43, s2
	s_cbranch_execz .LBB307_46
.LBB307_105:                            ;   in Loop: Header=BB307_12 Depth=1
	s_waitcnt vmcnt(9) lgkmcnt(8)
	v_dual_add_f32 v5, v29, v30 :: v_dual_lshlrev_b32 v6, 16, v55
	s_delay_alu instid0(VALU_DEP_1) | instskip(NEXT) | instid1(VALU_DEP_1)
	v_add_f32_e32 v6, v5, v6
	v_and_b32_e32 v5, 0x7f800000, v6
	s_delay_alu instid0(VALU_DEP_1) | instskip(NEXT) | instid1(VALU_DEP_1)
	v_cmp_ne_u32_e64 s4, 0x7f800000, v5
                                        ; implicit-def: $vgpr5
	s_and_saveexec_b32 s44, s4
	s_delay_alu instid0(SALU_CYCLE_1)
	s_xor_b32 s4, exec_lo, s44
; %bb.106:                              ;   in Loop: Header=BB307_12 Depth=1
	v_bfe_u32 v5, v6, 16, 1
	s_delay_alu instid0(VALU_DEP_1)
	v_add3_u32 v5, v6, v5, 0x7fff
                                        ; implicit-def: $vgpr6
; %bb.107:                              ;   in Loop: Header=BB307_12 Depth=1
	s_and_not1_saveexec_b32 s44, s4
; %bb.108:                              ;   in Loop: Header=BB307_12 Depth=1
	v_and_b32_e32 v5, 0xffff, v6
	v_or_b32_e32 v26, 0x10000, v6
	s_delay_alu instid0(VALU_DEP_2) | instskip(NEXT) | instid1(VALU_DEP_1)
	v_cmp_eq_u32_e64 s4, 0, v5
	v_cndmask_b32_e64 v5, v26, v6, s4
; %bb.109:                              ;   in Loop: Header=BB307_12 Depth=1
	s_or_b32 exec_lo, exec_lo, s44
	v_dual_mov_b32 v27, v79 :: v_dual_add_nc_u32 v26, 2, v78
	s_delay_alu instid0(VALU_DEP_1) | instskip(NEXT) | instid1(VALU_DEP_1)
	v_lshlrev_b64 v[26:27], 1, v[26:27]
	v_add_co_u32 v26, s4, s6, v26
	s_delay_alu instid0(VALU_DEP_1)
	v_add_co_ci_u32_e64 v27, s4, s7, v27, s4
	global_store_d16_hi_b16 v[26:27], v5, off
	s_or_b32 exec_lo, exec_lo, s43
	s_and_saveexec_b32 s43, s3
	s_cbranch_execz .LBB307_47
.LBB307_110:                            ;   in Loop: Header=BB307_12 Depth=1
	s_waitcnt vmcnt(8) lgkmcnt(9)
	v_dual_add_f32 v5, v24, v25 :: v_dual_lshlrev_b32 v6, 16, v54
	s_delay_alu instid0(VALU_DEP_1) | instskip(NEXT) | instid1(VALU_DEP_1)
	v_add_f32_e32 v6, v5, v6
	v_and_b32_e32 v5, 0x7f800000, v6
	s_delay_alu instid0(VALU_DEP_1) | instskip(NEXT) | instid1(VALU_DEP_1)
	v_cmp_ne_u32_e64 s4, 0x7f800000, v5
                                        ; implicit-def: $vgpr5
	s_and_saveexec_b32 s44, s4
	s_delay_alu instid0(SALU_CYCLE_1)
	s_xor_b32 s4, exec_lo, s44
; %bb.111:                              ;   in Loop: Header=BB307_12 Depth=1
	v_bfe_u32 v5, v6, 16, 1
	s_delay_alu instid0(VALU_DEP_1)
	v_add3_u32 v5, v6, v5, 0x7fff
                                        ; implicit-def: $vgpr6
; %bb.112:                              ;   in Loop: Header=BB307_12 Depth=1
	s_and_not1_saveexec_b32 s44, s4
; %bb.113:                              ;   in Loop: Header=BB307_12 Depth=1
	v_and_b32_e32 v5, 0xffff, v6
	v_or_b32_e32 v24, 0x10000, v6
	s_delay_alu instid0(VALU_DEP_2) | instskip(NEXT) | instid1(VALU_DEP_1)
	v_cmp_eq_u32_e64 s4, 0, v5
	v_cndmask_b32_e64 v5, v24, v6, s4
; %bb.114:                              ;   in Loop: Header=BB307_12 Depth=1
	s_or_b32 exec_lo, exec_lo, s44
	v_dual_mov_b32 v25, v79 :: v_dual_add_nc_u32 v24, 3, v78
	s_delay_alu instid0(VALU_DEP_1) | instskip(NEXT) | instid1(VALU_DEP_1)
	v_lshlrev_b64 v[24:25], 1, v[24:25]
	v_add_co_u32 v24, s4, s6, v24
	s_delay_alu instid0(VALU_DEP_1)
	v_add_co_ci_u32_e64 v25, s4, s7, v25, s4
	global_store_d16_hi_b16 v[24:25], v5, off
	s_or_b32 exec_lo, exec_lo, s43
	v_add_nc_u32_e32 v78, s19, v78
	s_and_saveexec_b32 s43, vcc_lo
	s_cbranch_execz .LBB307_48
.LBB307_115:                            ;   in Loop: Header=BB307_12 Depth=1
	s_waitcnt vmcnt(7) lgkmcnt(6)
	v_dual_add_f32 v5, v21, v22 :: v_dual_lshlrev_b32 v6, 16, v51
	s_delay_alu instid0(VALU_DEP_1) | instskip(NEXT) | instid1(VALU_DEP_1)
	v_add_f32_e32 v6, v5, v6
	v_and_b32_e32 v5, 0x7f800000, v6
	s_delay_alu instid0(VALU_DEP_1) | instskip(NEXT) | instid1(VALU_DEP_1)
	v_cmp_ne_u32_e64 s4, 0x7f800000, v5
                                        ; implicit-def: $vgpr5
	s_and_saveexec_b32 s44, s4
	s_delay_alu instid0(SALU_CYCLE_1)
	s_xor_b32 s4, exec_lo, s44
; %bb.116:                              ;   in Loop: Header=BB307_12 Depth=1
	v_bfe_u32 v5, v6, 16, 1
	s_delay_alu instid0(VALU_DEP_1)
	v_add3_u32 v5, v6, v5, 0x7fff
                                        ; implicit-def: $vgpr6
; %bb.117:                              ;   in Loop: Header=BB307_12 Depth=1
	s_and_not1_saveexec_b32 s44, s4
; %bb.118:                              ;   in Loop: Header=BB307_12 Depth=1
	v_and_b32_e32 v5, 0xffff, v6
	v_or_b32_e32 v21, 0x10000, v6
	s_delay_alu instid0(VALU_DEP_2) | instskip(NEXT) | instid1(VALU_DEP_1)
	v_cmp_eq_u32_e64 s4, 0, v5
	v_cndmask_b32_e64 v5, v21, v6, s4
; %bb.119:                              ;   in Loop: Header=BB307_12 Depth=1
	s_or_b32 exec_lo, exec_lo, s44
	v_lshlrev_b64 v[21:22], 1, v[78:79]
	s_delay_alu instid0(VALU_DEP_1) | instskip(NEXT) | instid1(VALU_DEP_1)
	v_add_co_u32 v21, s4, s6, v21
	v_add_co_ci_u32_e64 v22, s4, s7, v22, s4
	global_store_d16_hi_b16 v[21:22], v5, off
	s_or_b32 exec_lo, exec_lo, s43
	s_and_saveexec_b32 s43, s1
	s_cbranch_execz .LBB307_49
.LBB307_120:                            ;   in Loop: Header=BB307_12 Depth=1
	s_waitcnt lgkmcnt(7)
	v_add_f32_e32 v5, v19, v20
	s_waitcnt vmcnt(6)
	v_lshlrev_b32_e32 v6, 16, v48
	s_delay_alu instid0(VALU_DEP_1) | instskip(NEXT) | instid1(VALU_DEP_1)
	v_add_f32_e32 v6, v5, v6
	v_and_b32_e32 v5, 0x7f800000, v6
	s_delay_alu instid0(VALU_DEP_1) | instskip(NEXT) | instid1(VALU_DEP_1)
	v_cmp_ne_u32_e64 s4, 0x7f800000, v5
                                        ; implicit-def: $vgpr5
	s_and_saveexec_b32 s44, s4
	s_delay_alu instid0(SALU_CYCLE_1)
	s_xor_b32 s4, exec_lo, s44
; %bb.121:                              ;   in Loop: Header=BB307_12 Depth=1
	v_bfe_u32 v5, v6, 16, 1
	s_delay_alu instid0(VALU_DEP_1)
	v_add3_u32 v5, v6, v5, 0x7fff
                                        ; implicit-def: $vgpr6
; %bb.122:                              ;   in Loop: Header=BB307_12 Depth=1
	s_and_not1_saveexec_b32 s44, s4
; %bb.123:                              ;   in Loop: Header=BB307_12 Depth=1
	v_and_b32_e32 v5, 0xffff, v6
	v_or_b32_e32 v19, 0x10000, v6
	s_delay_alu instid0(VALU_DEP_2) | instskip(NEXT) | instid1(VALU_DEP_1)
	v_cmp_eq_u32_e64 s4, 0, v5
	v_cndmask_b32_e64 v5, v19, v6, s4
; %bb.124:                              ;   in Loop: Header=BB307_12 Depth=1
	s_or_b32 exec_lo, exec_lo, s44
	v_dual_mov_b32 v20, v79 :: v_dual_add_nc_u32 v19, 1, v78
	s_delay_alu instid0(VALU_DEP_1) | instskip(NEXT) | instid1(VALU_DEP_1)
	v_lshlrev_b64 v[19:20], 1, v[19:20]
	v_add_co_u32 v19, s4, s6, v19
	s_delay_alu instid0(VALU_DEP_1)
	v_add_co_ci_u32_e64 v20, s4, s7, v20, s4
	global_store_d16_hi_b16 v[19:20], v5, off
	s_or_b32 exec_lo, exec_lo, s43
	s_and_saveexec_b32 s43, s2
	s_cbranch_execz .LBB307_50
.LBB307_125:                            ;   in Loop: Header=BB307_12 Depth=1
	s_waitcnt vmcnt(5) lgkmcnt(5)
	v_dual_add_f32 v5, v15, v16 :: v_dual_lshlrev_b32 v6, 16, v45
	s_delay_alu instid0(VALU_DEP_1) | instskip(NEXT) | instid1(VALU_DEP_1)
	v_add_f32_e32 v6, v5, v6
	v_and_b32_e32 v5, 0x7f800000, v6
	s_delay_alu instid0(VALU_DEP_1) | instskip(NEXT) | instid1(VALU_DEP_1)
	v_cmp_ne_u32_e64 s4, 0x7f800000, v5
                                        ; implicit-def: $vgpr5
	s_and_saveexec_b32 s44, s4
	s_delay_alu instid0(SALU_CYCLE_1)
	s_xor_b32 s4, exec_lo, s44
; %bb.126:                              ;   in Loop: Header=BB307_12 Depth=1
	v_bfe_u32 v5, v6, 16, 1
	s_delay_alu instid0(VALU_DEP_1)
	v_add3_u32 v5, v6, v5, 0x7fff
                                        ; implicit-def: $vgpr6
; %bb.127:                              ;   in Loop: Header=BB307_12 Depth=1
	s_and_not1_saveexec_b32 s44, s4
; %bb.128:                              ;   in Loop: Header=BB307_12 Depth=1
	v_and_b32_e32 v5, 0xffff, v6
	v_or_b32_e32 v15, 0x10000, v6
	s_delay_alu instid0(VALU_DEP_2) | instskip(NEXT) | instid1(VALU_DEP_1)
	v_cmp_eq_u32_e64 s4, 0, v5
	v_cndmask_b32_e64 v5, v15, v6, s4
; %bb.129:                              ;   in Loop: Header=BB307_12 Depth=1
	s_or_b32 exec_lo, exec_lo, s44
	v_dual_mov_b32 v16, v79 :: v_dual_add_nc_u32 v15, 2, v78
	s_delay_alu instid0(VALU_DEP_1) | instskip(NEXT) | instid1(VALU_DEP_1)
	v_lshlrev_b64 v[15:16], 1, v[15:16]
	v_add_co_u32 v15, s4, s6, v15
	s_delay_alu instid0(VALU_DEP_1)
	v_add_co_ci_u32_e64 v16, s4, s7, v16, s4
	global_store_d16_hi_b16 v[15:16], v5, off
	s_or_b32 exec_lo, exec_lo, s43
	s_and_saveexec_b32 s43, s3
	s_cbranch_execz .LBB307_51
.LBB307_130:                            ;   in Loop: Header=BB307_12 Depth=1
	s_waitcnt vmcnt(4) lgkmcnt(4)
	v_dual_add_f32 v5, v17, v18 :: v_dual_lshlrev_b32 v6, 16, v41
	s_delay_alu instid0(VALU_DEP_1) | instskip(NEXT) | instid1(VALU_DEP_1)
	v_add_f32_e32 v6, v5, v6
	v_and_b32_e32 v5, 0x7f800000, v6
	s_delay_alu instid0(VALU_DEP_1) | instskip(NEXT) | instid1(VALU_DEP_1)
	v_cmp_ne_u32_e64 s4, 0x7f800000, v5
                                        ; implicit-def: $vgpr5
	s_and_saveexec_b32 s44, s4
	s_delay_alu instid0(SALU_CYCLE_1)
	s_xor_b32 s4, exec_lo, s44
; %bb.131:                              ;   in Loop: Header=BB307_12 Depth=1
	v_bfe_u32 v5, v6, 16, 1
	s_delay_alu instid0(VALU_DEP_1)
	v_add3_u32 v5, v6, v5, 0x7fff
                                        ; implicit-def: $vgpr6
; %bb.132:                              ;   in Loop: Header=BB307_12 Depth=1
	s_and_not1_saveexec_b32 s44, s4
; %bb.133:                              ;   in Loop: Header=BB307_12 Depth=1
	v_and_b32_e32 v5, 0xffff, v6
	v_or_b32_e32 v15, 0x10000, v6
	s_delay_alu instid0(VALU_DEP_2) | instskip(NEXT) | instid1(VALU_DEP_1)
	v_cmp_eq_u32_e64 s4, 0, v5
	v_cndmask_b32_e64 v5, v15, v6, s4
; %bb.134:                              ;   in Loop: Header=BB307_12 Depth=1
	s_or_b32 exec_lo, exec_lo, s44
	v_dual_mov_b32 v16, v79 :: v_dual_add_nc_u32 v15, 3, v78
	s_delay_alu instid0(VALU_DEP_1) | instskip(NEXT) | instid1(VALU_DEP_1)
	v_lshlrev_b64 v[15:16], 1, v[15:16]
	v_add_co_u32 v15, s4, s6, v15
	s_delay_alu instid0(VALU_DEP_1)
	v_add_co_ci_u32_e64 v16, s4, s7, v16, s4
	global_store_d16_hi_b16 v[15:16], v5, off
	s_or_b32 exec_lo, exec_lo, s43
	v_add_nc_u32_e32 v78, s19, v78
	s_and_saveexec_b32 s4, vcc_lo
	s_cbranch_execz .LBB307_52
.LBB307_135:                            ;   in Loop: Header=BB307_12 Depth=1
	s_waitcnt vmcnt(3) lgkmcnt(2)
	v_dual_add_f32 v5, v13, v14 :: v_dual_lshlrev_b32 v6, 16, v36
	s_delay_alu instid0(VALU_DEP_1) | instskip(NEXT) | instid1(VALU_DEP_1)
	v_add_f32_e32 v6, v5, v6
	v_and_b32_e32 v5, 0x7f800000, v6
	s_delay_alu instid0(VALU_DEP_1) | instskip(SKIP_1) | instid1(SALU_CYCLE_1)
	v_cmp_ne_u32_e32 vcc_lo, 0x7f800000, v5
                                        ; implicit-def: $vgpr5
	s_and_saveexec_b32 s43, vcc_lo
	s_xor_b32 s43, exec_lo, s43
; %bb.136:                              ;   in Loop: Header=BB307_12 Depth=1
	v_bfe_u32 v5, v6, 16, 1
	s_delay_alu instid0(VALU_DEP_1)
	v_add3_u32 v5, v6, v5, 0x7fff
                                        ; implicit-def: $vgpr6
; %bb.137:                              ;   in Loop: Header=BB307_12 Depth=1
	s_and_not1_saveexec_b32 s43, s43
; %bb.138:                              ;   in Loop: Header=BB307_12 Depth=1
	v_and_b32_e32 v5, 0xffff, v6
	v_or_b32_e32 v13, 0x10000, v6
	s_delay_alu instid0(VALU_DEP_2) | instskip(NEXT) | instid1(VALU_DEP_2)
	v_cmp_eq_u32_e32 vcc_lo, 0, v5
	v_cndmask_b32_e32 v5, v13, v6, vcc_lo
; %bb.139:                              ;   in Loop: Header=BB307_12 Depth=1
	s_or_b32 exec_lo, exec_lo, s43
	v_lshlrev_b64 v[13:14], 1, v[78:79]
	s_delay_alu instid0(VALU_DEP_1) | instskip(NEXT) | instid1(VALU_DEP_2)
	v_add_co_u32 v13, vcc_lo, s6, v13
	v_add_co_ci_u32_e32 v14, vcc_lo, s7, v14, vcc_lo
	global_store_d16_hi_b16 v[13:14], v5, off
	s_or_b32 exec_lo, exec_lo, s4
	s_and_saveexec_b32 s4, s1
	s_cbranch_execz .LBB307_53
.LBB307_140:                            ;   in Loop: Header=BB307_12 Depth=1
	s_waitcnt vmcnt(2) lgkmcnt(1)
	v_dual_add_f32 v5, v11, v12 :: v_dual_lshlrev_b32 v6, 16, v33
	s_delay_alu instid0(VALU_DEP_1) | instskip(NEXT) | instid1(VALU_DEP_1)
	v_add_f32_e32 v6, v5, v6
	v_and_b32_e32 v5, 0x7f800000, v6
	s_delay_alu instid0(VALU_DEP_1) | instskip(SKIP_1) | instid1(SALU_CYCLE_1)
	v_cmp_ne_u32_e32 vcc_lo, 0x7f800000, v5
                                        ; implicit-def: $vgpr5
	s_and_saveexec_b32 s1, vcc_lo
	s_xor_b32 s1, exec_lo, s1
; %bb.141:                              ;   in Loop: Header=BB307_12 Depth=1
	v_bfe_u32 v5, v6, 16, 1
	s_delay_alu instid0(VALU_DEP_1)
	v_add3_u32 v5, v6, v5, 0x7fff
                                        ; implicit-def: $vgpr6
; %bb.142:                              ;   in Loop: Header=BB307_12 Depth=1
	s_and_not1_saveexec_b32 s1, s1
; %bb.143:                              ;   in Loop: Header=BB307_12 Depth=1
	v_and_b32_e32 v5, 0xffff, v6
	v_or_b32_e32 v11, 0x10000, v6
	s_delay_alu instid0(VALU_DEP_2) | instskip(NEXT) | instid1(VALU_DEP_2)
	v_cmp_eq_u32_e32 vcc_lo, 0, v5
	v_cndmask_b32_e32 v5, v11, v6, vcc_lo
; %bb.144:                              ;   in Loop: Header=BB307_12 Depth=1
	s_or_b32 exec_lo, exec_lo, s1
	v_dual_mov_b32 v12, v79 :: v_dual_add_nc_u32 v11, 1, v78
	s_delay_alu instid0(VALU_DEP_1) | instskip(NEXT) | instid1(VALU_DEP_1)
	v_lshlrev_b64 v[11:12], 1, v[11:12]
	v_add_co_u32 v11, vcc_lo, s6, v11
	s_delay_alu instid0(VALU_DEP_2)
	v_add_co_ci_u32_e32 v12, vcc_lo, s7, v12, vcc_lo
	global_store_d16_hi_b16 v[11:12], v5, off
	s_or_b32 exec_lo, exec_lo, s4
	s_and_saveexec_b32 s1, s2
	s_cbranch_execz .LBB307_54
.LBB307_145:                            ;   in Loop: Header=BB307_12 Depth=1
	s_waitcnt vmcnt(1) lgkmcnt(0)
	v_dual_add_f32 v5, v9, v10 :: v_dual_lshlrev_b32 v6, 16, v28
	s_delay_alu instid0(VALU_DEP_1) | instskip(NEXT) | instid1(VALU_DEP_1)
	v_add_f32_e32 v6, v5, v6
	v_and_b32_e32 v5, 0x7f800000, v6
	s_delay_alu instid0(VALU_DEP_1) | instskip(SKIP_1) | instid1(SALU_CYCLE_1)
	v_cmp_ne_u32_e32 vcc_lo, 0x7f800000, v5
                                        ; implicit-def: $vgpr5
	s_and_saveexec_b32 s2, vcc_lo
	s_xor_b32 s2, exec_lo, s2
; %bb.146:                              ;   in Loop: Header=BB307_12 Depth=1
	v_bfe_u32 v5, v6, 16, 1
	s_delay_alu instid0(VALU_DEP_1)
	v_add3_u32 v5, v6, v5, 0x7fff
                                        ; implicit-def: $vgpr6
; %bb.147:                              ;   in Loop: Header=BB307_12 Depth=1
	s_and_not1_saveexec_b32 s2, s2
; %bb.148:                              ;   in Loop: Header=BB307_12 Depth=1
	v_and_b32_e32 v5, 0xffff, v6
	v_or_b32_e32 v9, 0x10000, v6
	s_delay_alu instid0(VALU_DEP_2) | instskip(NEXT) | instid1(VALU_DEP_2)
	v_cmp_eq_u32_e32 vcc_lo, 0, v5
	v_cndmask_b32_e32 v5, v9, v6, vcc_lo
; %bb.149:                              ;   in Loop: Header=BB307_12 Depth=1
	s_or_b32 exec_lo, exec_lo, s2
	v_dual_mov_b32 v10, v79 :: v_dual_add_nc_u32 v9, 2, v78
	s_delay_alu instid0(VALU_DEP_1) | instskip(NEXT) | instid1(VALU_DEP_1)
	v_lshlrev_b64 v[9:10], 1, v[9:10]
	v_add_co_u32 v9, vcc_lo, s6, v9
	s_delay_alu instid0(VALU_DEP_2) | instskip(SKIP_2) | instid1(SALU_CYCLE_1)
	v_add_co_ci_u32_e32 v10, vcc_lo, s7, v10, vcc_lo
	global_store_d16_hi_b16 v[9:10], v5, off
	s_or_b32 exec_lo, exec_lo, s1
	s_and_b32 exec_lo, exec_lo, s3
	s_cbranch_execz .LBB307_155
.LBB307_150:                            ;   in Loop: Header=BB307_12 Depth=1
	s_waitcnt vmcnt(0) lgkmcnt(3)
	v_dual_add_f32 v5, v7, v8 :: v_dual_lshlrev_b32 v6, 16, v23
	s_delay_alu instid0(VALU_DEP_1) | instskip(NEXT) | instid1(VALU_DEP_1)
	v_add_f32_e32 v6, v5, v6
	v_and_b32_e32 v5, 0x7f800000, v6
	s_delay_alu instid0(VALU_DEP_1) | instskip(SKIP_1) | instid1(SALU_CYCLE_1)
	v_cmp_ne_u32_e32 vcc_lo, 0x7f800000, v5
                                        ; implicit-def: $vgpr5
	s_and_saveexec_b32 s1, vcc_lo
	s_xor_b32 s1, exec_lo, s1
; %bb.151:                              ;   in Loop: Header=BB307_12 Depth=1
	v_bfe_u32 v5, v6, 16, 1
	s_delay_alu instid0(VALU_DEP_1)
	v_add3_u32 v5, v6, v5, 0x7fff
                                        ; implicit-def: $vgpr6
; %bb.152:                              ;   in Loop: Header=BB307_12 Depth=1
	s_and_not1_saveexec_b32 s1, s1
; %bb.153:                              ;   in Loop: Header=BB307_12 Depth=1
	v_and_b32_e32 v5, 0xffff, v6
	v_or_b32_e32 v7, 0x10000, v6
	s_delay_alu instid0(VALU_DEP_2) | instskip(NEXT) | instid1(VALU_DEP_2)
	v_cmp_eq_u32_e32 vcc_lo, 0, v5
	v_cndmask_b32_e32 v5, v7, v6, vcc_lo
; %bb.154:                              ;   in Loop: Header=BB307_12 Depth=1
	s_or_b32 exec_lo, exec_lo, s1
	v_add_nc_u32_e32 v78, 3, v78
	s_delay_alu instid0(VALU_DEP_1) | instskip(NEXT) | instid1(VALU_DEP_1)
	v_lshlrev_b64 v[6:7], 1, v[78:79]
	v_add_co_u32 v6, vcc_lo, s6, v6
	s_delay_alu instid0(VALU_DEP_2)
	v_add_co_ci_u32_e32 v7, vcc_lo, s7, v7, vcc_lo
	global_store_d16_hi_b16 v[6:7], v5, off
.LBB307_155:                            ;   in Loop: Header=BB307_12 Depth=1
	s_or_b32 exec_lo, exec_lo, s5
	v_add_nc_u32_e32 v76, s29, v76
	s_delay_alu instid0(VALU_DEP_1) | instskip(SKIP_1) | instid1(VALU_DEP_2)
	v_add_nc_u32_e32 v5, 4, v76
	v_cmp_gt_u32_e32 vcc_lo, s19, v76
	v_cmp_le_u32_e64 s1, s19, v5
	s_delay_alu instid0(VALU_DEP_1) | instskip(NEXT) | instid1(SALU_CYCLE_1)
	s_and_b32 s1, vcc_lo, s1
	s_and_saveexec_b32 s43, s1
	s_cbranch_execz .LBB307_10
; %bb.156:                              ;   in Loop: Header=BB307_12 Depth=1
	s_mov_b32 s44, exec_lo
	v_cmpx_ne_u32_e64 s31, v76
	s_cbranch_execz .LBB307_9
; %bb.157:                              ;   in Loop: Header=BB307_12 Depth=1
	v_subrev_nc_u32_e32 v5, s31, v76
	s_mov_b32 s45, 0
	s_mov_b64 s[4:5], 0
	s_delay_alu instid0(VALU_DEP_1)
	v_cmp_lt_u32_e32 vcc_lo, 1, v5
	v_cndmask_b32_e32 v5, 1, v5, vcc_lo
	.p2align	6
.LBB307_158:                            ;   Parent Loop BB307_12 Depth=1
                                        ; =>  This Inner Loop Header: Depth=2
	s_cmp_lg_u32 s4, 3
	s_cselect_b32 vcc_lo, -1, 0
	s_cmp_lg_u32 s4, 2
	v_cndmask_b32_e32 v4, 0, v4, vcc_lo
	s_cselect_b32 s1, -1, 0
	s_cmp_lg_u32 s4, 1
	v_cndmask_b32_e64 v3, 0, v3, s1
	s_cselect_b32 s2, -1, 0
	s_cmp_lg_u32 s4, 0
	v_cndmask_b32_e64 v2, 0, v2, s2
	s_cselect_b32 s3, -1, 0
	s_add_u32 s4, s4, 1
	v_cndmask_b32_e64 v1, 0, v1, s3
	v_cmp_eq_u32_e32 vcc_lo, s4, v5
	s_addc_u32 s5, s5, 0
	s_or_b32 s45, vcc_lo, s45
	s_delay_alu instid0(SALU_CYCLE_1)
	s_and_not1_b32 exec_lo, exec_lo, s45
	s_cbranch_execnz .LBB307_158
; %bb.159:                              ;   in Loop: Header=BB307_12 Depth=1
	s_or_b32 exec_lo, exec_lo, s45
	s_branch .LBB307_9
.LBB307_160:
	s_nop 0
	s_sendmsg sendmsg(MSG_DEALLOC_VGPRS)
	s_endpgm
	.section	.rodata,"a",@progbits
	.p2align	6, 0x0
	.amdhsa_kernel _Z16wvSplitK_hf_big_I14__hip_bfloat16Li64ELi4ELi16ELi8ELi2ELi5EEviiiiiiPKT_S3_S3_PS1_ii
		.amdhsa_group_segment_fixed_size 65536
		.amdhsa_private_segment_fixed_size 0
		.amdhsa_kernarg_size 64
		.amdhsa_user_sgpr_count 15
		.amdhsa_user_sgpr_dispatch_ptr 0
		.amdhsa_user_sgpr_queue_ptr 0
		.amdhsa_user_sgpr_kernarg_segment_ptr 1
		.amdhsa_user_sgpr_dispatch_id 0
		.amdhsa_user_sgpr_private_segment_size 0
		.amdhsa_wavefront_size32 1
		.amdhsa_uses_dynamic_stack 0
		.amdhsa_enable_private_segment 0
		.amdhsa_system_sgpr_workgroup_id_x 1
		.amdhsa_system_sgpr_workgroup_id_y 0
		.amdhsa_system_sgpr_workgroup_id_z 0
		.amdhsa_system_sgpr_workgroup_info 0
		.amdhsa_system_vgpr_workitem_id 1
		.amdhsa_next_free_vgpr 136
		.amdhsa_next_free_sgpr 46
		.amdhsa_reserve_vcc 1
		.amdhsa_float_round_mode_32 0
		.amdhsa_float_round_mode_16_64 0
		.amdhsa_float_denorm_mode_32 3
		.amdhsa_float_denorm_mode_16_64 3
		.amdhsa_dx10_clamp 1
		.amdhsa_ieee_mode 1
		.amdhsa_fp16_overflow 0
		.amdhsa_workgroup_processor_mode 1
		.amdhsa_memory_ordered 1
		.amdhsa_forward_progress 0
		.amdhsa_shared_vgpr_count 0
		.amdhsa_exception_fp_ieee_invalid_op 0
		.amdhsa_exception_fp_denorm_src 0
		.amdhsa_exception_fp_ieee_div_zero 0
		.amdhsa_exception_fp_ieee_overflow 0
		.amdhsa_exception_fp_ieee_underflow 0
		.amdhsa_exception_fp_ieee_inexact 0
		.amdhsa_exception_int_div_zero 0
	.end_amdhsa_kernel
	.section	.text._Z16wvSplitK_hf_big_I14__hip_bfloat16Li64ELi4ELi16ELi8ELi2ELi5EEviiiiiiPKT_S3_S3_PS1_ii,"axG",@progbits,_Z16wvSplitK_hf_big_I14__hip_bfloat16Li64ELi4ELi16ELi8ELi2ELi5EEviiiiiiPKT_S3_S3_PS1_ii,comdat
.Lfunc_end307:
	.size	_Z16wvSplitK_hf_big_I14__hip_bfloat16Li64ELi4ELi16ELi8ELi2ELi5EEviiiiiiPKT_S3_S3_PS1_ii, .Lfunc_end307-_Z16wvSplitK_hf_big_I14__hip_bfloat16Li64ELi4ELi16ELi8ELi2ELi5EEviiiiiiPKT_S3_S3_PS1_ii
                                        ; -- End function
	.section	.AMDGPU.csdata,"",@progbits
; Kernel info:
; codeLenInByte = 12608
; NumSgprs: 48
; NumVgprs: 136
; ScratchSize: 0
; MemoryBound: 0
; FloatMode: 240
; IeeeMode: 1
; LDSByteSize: 65536 bytes/workgroup (compile time only)
; SGPRBlocks: 5
; VGPRBlocks: 16
; NumSGPRsForWavesPerEU: 48
; NumVGPRsForWavesPerEU: 136
; Occupancy: 10
; WaveLimiterHint : 0
; COMPUTE_PGM_RSRC2:SCRATCH_EN: 0
; COMPUTE_PGM_RSRC2:USER_SGPR: 15
; COMPUTE_PGM_RSRC2:TRAP_HANDLER: 0
; COMPUTE_PGM_RSRC2:TGID_X_EN: 1
; COMPUTE_PGM_RSRC2:TGID_Y_EN: 0
; COMPUTE_PGM_RSRC2:TGID_Z_EN: 0
; COMPUTE_PGM_RSRC2:TIDIG_COMP_CNT: 1
	.text
	.p2align	2                               ; -- Begin function __ockl_fprintf_append_string_n
	.type	__ockl_fprintf_append_string_n,@function
__ockl_fprintf_append_string_n:         ; @__ockl_fprintf_append_string_n
; %bb.0:
	s_waitcnt vmcnt(0) expcnt(0) lgkmcnt(0)
	v_dual_mov_b32 v8, v3 :: v_dual_mov_b32 v7, v2
	v_or_b32_e32 v2, 2, v0
	v_cmp_eq_u32_e32 vcc_lo, 0, v6
	v_mbcnt_lo_u32_b32 v33, -1, 0
	s_mov_b32 s11, 0
	s_mov_b32 s0, exec_lo
	v_cndmask_b32_e32 v0, v2, v0, vcc_lo
	v_cmpx_ne_u64_e32 0, v[7:8]
	s_xor_b32 s10, exec_lo, s0
	s_cbranch_execz .LBB308_86
; %bb.1:
	s_load_b64 s[2:3], s[8:9], 0x50
	v_dual_mov_b32 v11, 2 :: v_dual_and_b32 v6, 2, v0
	v_mov_b32_e32 v10, 0
	v_and_b32_e32 v0, -3, v0
	v_mov_b32_e32 v12, 1
	s_mov_b32 s12, 0
	s_branch .LBB308_3
.LBB308_2:                              ;   in Loop: Header=BB308_3 Depth=1
	s_or_b32 exec_lo, exec_lo, s1
	v_sub_co_u32 v4, vcc_lo, v4, v29
	v_sub_co_ci_u32_e32 v5, vcc_lo, v5, v30, vcc_lo
	v_add_co_u32 v7, s0, v7, v29
	s_delay_alu instid0(VALU_DEP_1) | instskip(NEXT) | instid1(VALU_DEP_3)
	v_add_co_ci_u32_e64 v8, s0, v8, v30, s0
	v_cmp_eq_u64_e32 vcc_lo, 0, v[4:5]
	s_or_b32 s12, vcc_lo, s12
	s_delay_alu instid0(SALU_CYCLE_1)
	s_and_not1_b32 exec_lo, exec_lo, s12
	s_cbranch_execz .LBB308_85
.LBB308_3:                              ; =>This Loop Header: Depth=1
                                        ;     Child Loop BB308_6 Depth 2
                                        ;     Child Loop BB308_14 Depth 2
	;; [unrolled: 1-line block ×11, first 2 shown]
	v_cmp_gt_u64_e32 vcc_lo, 56, v[4:5]
	s_mov_b32 s1, exec_lo
                                        ; implicit-def: $vgpr2_vgpr3
                                        ; implicit-def: $sgpr4
	v_dual_cndmask_b32 v30, 0, v5 :: v_dual_cndmask_b32 v29, 56, v4
	v_cmpx_gt_u64_e32 8, v[4:5]
	s_xor_b32 s1, exec_lo, s1
	s_cbranch_execz .LBB308_9
; %bb.4:                                ;   in Loop: Header=BB308_3 Depth=1
	s_waitcnt vmcnt(0)
	v_mov_b32_e32 v2, 0
	v_mov_b32_e32 v3, 0
	s_mov_b64 s[4:5], 0
	s_mov_b32 s6, exec_lo
	v_cmpx_ne_u64_e32 0, v[4:5]
	s_cbranch_execz .LBB308_8
; %bb.5:                                ;   in Loop: Header=BB308_3 Depth=1
	v_lshlrev_b64 v[13:14], 3, v[29:30]
	v_dual_mov_b32 v2, 0 :: v_dual_mov_b32 v15, v8
	v_dual_mov_b32 v3, 0 :: v_dual_mov_b32 v14, v7
	s_mov_b32 s7, 0
	.p2align	6
.LBB308_6:                              ;   Parent Loop BB308_3 Depth=1
                                        ; =>  This Inner Loop Header: Depth=2
	flat_load_u8 v9, v[14:15]
	v_mov_b32_e32 v17, s11
	v_add_co_u32 v14, vcc_lo, v14, 1
	v_add_co_ci_u32_e32 v15, vcc_lo, 0, v15, vcc_lo
	s_waitcnt vmcnt(0) lgkmcnt(0)
	v_and_b32_e32 v16, 0xffff, v9
	s_delay_alu instid0(VALU_DEP_1) | instskip(SKIP_3) | instid1(VALU_DEP_2)
	v_lshlrev_b64 v[16:17], s4, v[16:17]
	s_add_u32 s4, s4, 8
	s_addc_u32 s5, s5, 0
	v_cmp_eq_u32_e64 s0, s4, v13
	v_or_b32_e32 v3, v17, v3
	s_delay_alu instid0(VALU_DEP_3) | instskip(NEXT) | instid1(VALU_DEP_3)
	v_or_b32_e32 v2, v16, v2
	s_or_b32 s7, s0, s7
	s_delay_alu instid0(SALU_CYCLE_1)
	s_and_not1_b32 exec_lo, exec_lo, s7
	s_cbranch_execnz .LBB308_6
; %bb.7:                                ;   in Loop: Header=BB308_3 Depth=1
	s_or_b32 exec_lo, exec_lo, s7
.LBB308_8:                              ;   in Loop: Header=BB308_3 Depth=1
	s_delay_alu instid0(SALU_CYCLE_1)
	s_or_b32 exec_lo, exec_lo, s6
	s_mov_b32 s4, 0
.LBB308_9:                              ;   in Loop: Header=BB308_3 Depth=1
	s_or_saveexec_b32 s0, s1
	v_dual_mov_b32 v9, s4 :: v_dual_mov_b32 v26, v8
	v_mov_b32_e32 v25, v7
	s_xor_b32 exec_lo, exec_lo, s0
	s_cbranch_execz .LBB308_11
; %bb.10:                               ;   in Loop: Header=BB308_3 Depth=1
	s_waitcnt vmcnt(0)
	flat_load_b64 v[2:3], v[7:8]
	v_add_co_u32 v25, vcc_lo, v7, 8
	v_add_co_ci_u32_e32 v26, vcc_lo, 0, v8, vcc_lo
	s_waitcnt vmcnt(0) lgkmcnt(0)
	v_and_b32_e32 v9, 0xff, v3
	v_and_b32_e32 v13, 0xff00, v3
	;; [unrolled: 1-line block ×4, first 2 shown]
	v_or3_b32 v2, v2, 0, 0
	s_delay_alu instid0(VALU_DEP_4) | instskip(SKIP_1) | instid1(VALU_DEP_2)
	v_or_b32_e32 v13, v9, v13
	v_add_nc_u32_e32 v9, -8, v29
	v_or3_b32 v3, v13, v14, v3
.LBB308_11:                             ;   in Loop: Header=BB308_3 Depth=1
	s_or_b32 exec_lo, exec_lo, s0
                                        ; implicit-def: $vgpr13_vgpr14
                                        ; implicit-def: $sgpr1
	s_delay_alu instid0(SALU_CYCLE_1) | instskip(NEXT) | instid1(VALU_DEP_2)
	s_mov_b32 s0, exec_lo
	v_cmpx_gt_u32_e32 8, v9
	s_xor_b32 s6, exec_lo, s0
	s_cbranch_execz .LBB308_17
; %bb.12:                               ;   in Loop: Header=BB308_3 Depth=1
	v_mov_b32_e32 v13, 0
	v_mov_b32_e32 v14, 0
	s_mov_b32 s7, exec_lo
	v_cmpx_ne_u32_e32 0, v9
	s_cbranch_execz .LBB308_16
; %bb.13:                               ;   in Loop: Header=BB308_3 Depth=1
	v_mov_b32_e32 v13, 0
	v_mov_b32_e32 v14, 0
	s_mov_b64 s[0:1], 0
	s_mov_b32 s13, 0
	s_mov_b64 s[4:5], 0
	.p2align	6
.LBB308_14:                             ;   Parent Loop BB308_3 Depth=1
                                        ; =>  This Inner Loop Header: Depth=2
	s_delay_alu instid0(SALU_CYCLE_1)
	v_add_co_u32 v15, vcc_lo, v25, s4
	v_add_co_ci_u32_e32 v16, vcc_lo, s5, v26, vcc_lo
	s_add_u32 s4, s4, 1
	s_addc_u32 s5, s5, 0
	v_cmp_eq_u32_e32 vcc_lo, s4, v9
	flat_load_u8 v15, v[15:16]
	s_waitcnt vmcnt(0) lgkmcnt(0)
	v_dual_mov_b32 v16, s11 :: v_dual_and_b32 v15, 0xffff, v15
	s_delay_alu instid0(VALU_DEP_1) | instskip(SKIP_3) | instid1(VALU_DEP_1)
	v_lshlrev_b64 v[15:16], s0, v[15:16]
	s_add_u32 s0, s0, 8
	s_addc_u32 s1, s1, 0
	s_or_b32 s13, vcc_lo, s13
	v_or_b32_e32 v14, v16, v14
	s_delay_alu instid0(VALU_DEP_2)
	v_or_b32_e32 v13, v15, v13
	s_and_not1_b32 exec_lo, exec_lo, s13
	s_cbranch_execnz .LBB308_14
; %bb.15:                               ;   in Loop: Header=BB308_3 Depth=1
	s_or_b32 exec_lo, exec_lo, s13
.LBB308_16:                             ;   in Loop: Header=BB308_3 Depth=1
	s_delay_alu instid0(SALU_CYCLE_1)
	s_or_b32 exec_lo, exec_lo, s7
	s_mov_b32 s1, 0
                                        ; implicit-def: $vgpr9
.LBB308_17:                             ;   in Loop: Header=BB308_3 Depth=1
	s_or_saveexec_b32 s0, s6
	v_mov_b32_e32 v17, s1
	s_xor_b32 exec_lo, exec_lo, s0
	s_cbranch_execz .LBB308_19
; %bb.18:                               ;   in Loop: Header=BB308_3 Depth=1
	flat_load_b64 v[13:14], v[25:26]
	v_add_co_u32 v25, vcc_lo, v25, 8
	v_add_nc_u32_e32 v17, -8, v9
	v_add_co_ci_u32_e32 v26, vcc_lo, 0, v26, vcc_lo
	s_waitcnt vmcnt(0) lgkmcnt(0)
	v_and_b32_e32 v15, 0xff, v14
	v_and_b32_e32 v16, 0xff00, v14
	;; [unrolled: 1-line block ×4, first 2 shown]
	v_or3_b32 v13, v13, 0, 0
	s_delay_alu instid0(VALU_DEP_4) | instskip(NEXT) | instid1(VALU_DEP_1)
	v_or_b32_e32 v15, v15, v16
	v_or3_b32 v14, v15, v18, v14
.LBB308_19:                             ;   in Loop: Header=BB308_3 Depth=1
	s_or_b32 exec_lo, exec_lo, s0
                                        ; implicit-def: $sgpr1
	s_delay_alu instid0(SALU_CYCLE_1)
	s_mov_b32 s0, exec_lo
	v_cmpx_gt_u32_e32 8, v17
	s_xor_b32 s6, exec_lo, s0
	s_cbranch_execz .LBB308_25
; %bb.20:                               ;   in Loop: Header=BB308_3 Depth=1
	v_mov_b32_e32 v15, 0
	v_mov_b32_e32 v16, 0
	s_mov_b32 s7, exec_lo
	v_cmpx_ne_u32_e32 0, v17
	s_cbranch_execz .LBB308_24
; %bb.21:                               ;   in Loop: Header=BB308_3 Depth=1
	v_mov_b32_e32 v15, 0
	v_mov_b32_e32 v16, 0
	s_mov_b64 s[0:1], 0
	s_mov_b32 s13, 0
	s_mov_b64 s[4:5], 0
	.p2align	6
.LBB308_22:                             ;   Parent Loop BB308_3 Depth=1
                                        ; =>  This Inner Loop Header: Depth=2
	s_delay_alu instid0(SALU_CYCLE_1)
	v_add_co_u32 v18, vcc_lo, v25, s4
	v_add_co_ci_u32_e32 v19, vcc_lo, s5, v26, vcc_lo
	s_add_u32 s4, s4, 1
	s_addc_u32 s5, s5, 0
	v_cmp_eq_u32_e32 vcc_lo, s4, v17
	flat_load_u8 v9, v[18:19]
	s_waitcnt vmcnt(0) lgkmcnt(0)
	v_dual_mov_b32 v19, s11 :: v_dual_and_b32 v18, 0xffff, v9
	s_delay_alu instid0(VALU_DEP_1) | instskip(SKIP_3) | instid1(VALU_DEP_1)
	v_lshlrev_b64 v[18:19], s0, v[18:19]
	s_add_u32 s0, s0, 8
	s_addc_u32 s1, s1, 0
	s_or_b32 s13, vcc_lo, s13
	v_or_b32_e32 v16, v19, v16
	s_delay_alu instid0(VALU_DEP_2)
	v_or_b32_e32 v15, v18, v15
	s_and_not1_b32 exec_lo, exec_lo, s13
	s_cbranch_execnz .LBB308_22
; %bb.23:                               ;   in Loop: Header=BB308_3 Depth=1
	s_or_b32 exec_lo, exec_lo, s13
.LBB308_24:                             ;   in Loop: Header=BB308_3 Depth=1
	s_delay_alu instid0(SALU_CYCLE_1)
	s_or_b32 exec_lo, exec_lo, s7
	s_mov_b32 s1, 0
                                        ; implicit-def: $vgpr17
.LBB308_25:                             ;   in Loop: Header=BB308_3 Depth=1
	s_or_saveexec_b32 s0, s6
	v_mov_b32_e32 v9, s1
	s_xor_b32 exec_lo, exec_lo, s0
	s_cbranch_execz .LBB308_27
; %bb.26:                               ;   in Loop: Header=BB308_3 Depth=1
	flat_load_b64 v[15:16], v[25:26]
	v_add_co_u32 v25, vcc_lo, v25, 8
	v_add_co_ci_u32_e32 v26, vcc_lo, 0, v26, vcc_lo
	s_waitcnt vmcnt(0) lgkmcnt(0)
	v_and_b32_e32 v9, 0xff, v16
	v_and_b32_e32 v18, 0xff00, v16
	;; [unrolled: 1-line block ×4, first 2 shown]
	v_or3_b32 v15, v15, 0, 0
	s_delay_alu instid0(VALU_DEP_4) | instskip(SKIP_1) | instid1(VALU_DEP_2)
	v_or_b32_e32 v18, v9, v18
	v_add_nc_u32_e32 v9, -8, v17
	v_or3_b32 v16, v18, v19, v16
.LBB308_27:                             ;   in Loop: Header=BB308_3 Depth=1
	s_or_b32 exec_lo, exec_lo, s0
                                        ; implicit-def: $vgpr17_vgpr18
                                        ; implicit-def: $sgpr1
	s_delay_alu instid0(SALU_CYCLE_1) | instskip(NEXT) | instid1(VALU_DEP_1)
	s_mov_b32 s0, exec_lo
	v_cmpx_gt_u32_e32 8, v9
	s_xor_b32 s6, exec_lo, s0
	s_cbranch_execz .LBB308_33
; %bb.28:                               ;   in Loop: Header=BB308_3 Depth=1
	v_mov_b32_e32 v17, 0
	v_mov_b32_e32 v18, 0
	s_mov_b32 s7, exec_lo
	v_cmpx_ne_u32_e32 0, v9
	s_cbranch_execz .LBB308_32
; %bb.29:                               ;   in Loop: Header=BB308_3 Depth=1
	v_mov_b32_e32 v17, 0
	v_mov_b32_e32 v18, 0
	s_mov_b64 s[0:1], 0
	s_mov_b32 s13, 0
	s_mov_b64 s[4:5], 0
	.p2align	6
.LBB308_30:                             ;   Parent Loop BB308_3 Depth=1
                                        ; =>  This Inner Loop Header: Depth=2
	s_delay_alu instid0(SALU_CYCLE_1)
	v_add_co_u32 v19, vcc_lo, v25, s4
	v_add_co_ci_u32_e32 v20, vcc_lo, s5, v26, vcc_lo
	s_add_u32 s4, s4, 1
	s_addc_u32 s5, s5, 0
	v_cmp_eq_u32_e32 vcc_lo, s4, v9
	flat_load_u8 v19, v[19:20]
	s_waitcnt vmcnt(0) lgkmcnt(0)
	v_dual_mov_b32 v20, s11 :: v_dual_and_b32 v19, 0xffff, v19
	s_delay_alu instid0(VALU_DEP_1) | instskip(SKIP_3) | instid1(VALU_DEP_1)
	v_lshlrev_b64 v[19:20], s0, v[19:20]
	s_add_u32 s0, s0, 8
	s_addc_u32 s1, s1, 0
	s_or_b32 s13, vcc_lo, s13
	v_or_b32_e32 v18, v20, v18
	s_delay_alu instid0(VALU_DEP_2)
	v_or_b32_e32 v17, v19, v17
	s_and_not1_b32 exec_lo, exec_lo, s13
	s_cbranch_execnz .LBB308_30
; %bb.31:                               ;   in Loop: Header=BB308_3 Depth=1
	s_or_b32 exec_lo, exec_lo, s13
.LBB308_32:                             ;   in Loop: Header=BB308_3 Depth=1
	s_delay_alu instid0(SALU_CYCLE_1)
	s_or_b32 exec_lo, exec_lo, s7
	s_mov_b32 s1, 0
                                        ; implicit-def: $vgpr9
.LBB308_33:                             ;   in Loop: Header=BB308_3 Depth=1
	s_or_saveexec_b32 s0, s6
	v_mov_b32_e32 v21, s1
	s_xor_b32 exec_lo, exec_lo, s0
	s_cbranch_execz .LBB308_35
; %bb.34:                               ;   in Loop: Header=BB308_3 Depth=1
	flat_load_b64 v[17:18], v[25:26]
	v_add_co_u32 v25, vcc_lo, v25, 8
	v_add_nc_u32_e32 v21, -8, v9
	v_add_co_ci_u32_e32 v26, vcc_lo, 0, v26, vcc_lo
	s_waitcnt vmcnt(0) lgkmcnt(0)
	v_and_b32_e32 v19, 0xff, v18
	v_and_b32_e32 v20, 0xff00, v18
	;; [unrolled: 1-line block ×4, first 2 shown]
	v_or3_b32 v17, v17, 0, 0
	s_delay_alu instid0(VALU_DEP_4) | instskip(NEXT) | instid1(VALU_DEP_1)
	v_or_b32_e32 v19, v19, v20
	v_or3_b32 v18, v19, v22, v18
.LBB308_35:                             ;   in Loop: Header=BB308_3 Depth=1
	s_or_b32 exec_lo, exec_lo, s0
                                        ; implicit-def: $sgpr1
	s_delay_alu instid0(SALU_CYCLE_1)
	s_mov_b32 s0, exec_lo
	v_cmpx_gt_u32_e32 8, v21
	s_xor_b32 s6, exec_lo, s0
	s_cbranch_execz .LBB308_41
; %bb.36:                               ;   in Loop: Header=BB308_3 Depth=1
	v_mov_b32_e32 v19, 0
	v_mov_b32_e32 v20, 0
	s_mov_b32 s7, exec_lo
	v_cmpx_ne_u32_e32 0, v21
	s_cbranch_execz .LBB308_40
; %bb.37:                               ;   in Loop: Header=BB308_3 Depth=1
	v_mov_b32_e32 v19, 0
	v_mov_b32_e32 v20, 0
	s_mov_b64 s[0:1], 0
	s_mov_b32 s13, 0
	s_mov_b64 s[4:5], 0
	.p2align	6
.LBB308_38:                             ;   Parent Loop BB308_3 Depth=1
                                        ; =>  This Inner Loop Header: Depth=2
	s_delay_alu instid0(SALU_CYCLE_1)
	v_add_co_u32 v22, vcc_lo, v25, s4
	v_add_co_ci_u32_e32 v23, vcc_lo, s5, v26, vcc_lo
	s_add_u32 s4, s4, 1
	s_addc_u32 s5, s5, 0
	v_cmp_eq_u32_e32 vcc_lo, s4, v21
	flat_load_u8 v9, v[22:23]
	s_waitcnt vmcnt(0) lgkmcnt(0)
	v_dual_mov_b32 v23, s11 :: v_dual_and_b32 v22, 0xffff, v9
	s_delay_alu instid0(VALU_DEP_1) | instskip(SKIP_3) | instid1(VALU_DEP_1)
	v_lshlrev_b64 v[22:23], s0, v[22:23]
	s_add_u32 s0, s0, 8
	s_addc_u32 s1, s1, 0
	s_or_b32 s13, vcc_lo, s13
	v_or_b32_e32 v20, v23, v20
	s_delay_alu instid0(VALU_DEP_2)
	v_or_b32_e32 v19, v22, v19
	s_and_not1_b32 exec_lo, exec_lo, s13
	s_cbranch_execnz .LBB308_38
; %bb.39:                               ;   in Loop: Header=BB308_3 Depth=1
	s_or_b32 exec_lo, exec_lo, s13
.LBB308_40:                             ;   in Loop: Header=BB308_3 Depth=1
	s_delay_alu instid0(SALU_CYCLE_1)
	s_or_b32 exec_lo, exec_lo, s7
	s_mov_b32 s1, 0
                                        ; implicit-def: $vgpr21
.LBB308_41:                             ;   in Loop: Header=BB308_3 Depth=1
	s_or_saveexec_b32 s0, s6
	v_mov_b32_e32 v9, s1
	s_xor_b32 exec_lo, exec_lo, s0
	s_cbranch_execz .LBB308_43
; %bb.42:                               ;   in Loop: Header=BB308_3 Depth=1
	flat_load_b64 v[19:20], v[25:26]
	v_add_co_u32 v25, vcc_lo, v25, 8
	v_add_co_ci_u32_e32 v26, vcc_lo, 0, v26, vcc_lo
	s_waitcnt vmcnt(0) lgkmcnt(0)
	v_and_b32_e32 v9, 0xff, v20
	v_and_b32_e32 v22, 0xff00, v20
	;; [unrolled: 1-line block ×4, first 2 shown]
	v_or3_b32 v19, v19, 0, 0
	s_delay_alu instid0(VALU_DEP_4) | instskip(SKIP_1) | instid1(VALU_DEP_2)
	v_or_b32_e32 v22, v9, v22
	v_add_nc_u32_e32 v9, -8, v21
	v_or3_b32 v20, v22, v23, v20
.LBB308_43:                             ;   in Loop: Header=BB308_3 Depth=1
	s_or_b32 exec_lo, exec_lo, s0
                                        ; implicit-def: $vgpr21_vgpr22
                                        ; implicit-def: $sgpr1
	s_delay_alu instid0(SALU_CYCLE_1) | instskip(NEXT) | instid1(VALU_DEP_1)
	s_mov_b32 s0, exec_lo
	v_cmpx_gt_u32_e32 8, v9
	s_xor_b32 s6, exec_lo, s0
	s_cbranch_execz .LBB308_49
; %bb.44:                               ;   in Loop: Header=BB308_3 Depth=1
	v_mov_b32_e32 v21, 0
	v_mov_b32_e32 v22, 0
	s_mov_b32 s7, exec_lo
	v_cmpx_ne_u32_e32 0, v9
	s_cbranch_execz .LBB308_48
; %bb.45:                               ;   in Loop: Header=BB308_3 Depth=1
	v_mov_b32_e32 v21, 0
	v_mov_b32_e32 v22, 0
	s_mov_b64 s[0:1], 0
	s_mov_b32 s13, 0
	s_mov_b64 s[4:5], 0
	.p2align	6
.LBB308_46:                             ;   Parent Loop BB308_3 Depth=1
                                        ; =>  This Inner Loop Header: Depth=2
	s_delay_alu instid0(SALU_CYCLE_1)
	v_add_co_u32 v23, vcc_lo, v25, s4
	v_add_co_ci_u32_e32 v24, vcc_lo, s5, v26, vcc_lo
	s_add_u32 s4, s4, 1
	s_addc_u32 s5, s5, 0
	v_cmp_eq_u32_e32 vcc_lo, s4, v9
	flat_load_u8 v23, v[23:24]
	s_waitcnt vmcnt(0) lgkmcnt(0)
	v_dual_mov_b32 v24, s11 :: v_dual_and_b32 v23, 0xffff, v23
	s_delay_alu instid0(VALU_DEP_1) | instskip(SKIP_3) | instid1(VALU_DEP_1)
	v_lshlrev_b64 v[23:24], s0, v[23:24]
	s_add_u32 s0, s0, 8
	s_addc_u32 s1, s1, 0
	s_or_b32 s13, vcc_lo, s13
	v_or_b32_e32 v22, v24, v22
	s_delay_alu instid0(VALU_DEP_2)
	v_or_b32_e32 v21, v23, v21
	s_and_not1_b32 exec_lo, exec_lo, s13
	s_cbranch_execnz .LBB308_46
; %bb.47:                               ;   in Loop: Header=BB308_3 Depth=1
	s_or_b32 exec_lo, exec_lo, s13
.LBB308_48:                             ;   in Loop: Header=BB308_3 Depth=1
	s_delay_alu instid0(SALU_CYCLE_1)
	s_or_b32 exec_lo, exec_lo, s7
	s_mov_b32 s1, 0
                                        ; implicit-def: $vgpr9
.LBB308_49:                             ;   in Loop: Header=BB308_3 Depth=1
	s_or_saveexec_b32 s0, s6
	v_mov_b32_e32 v27, s1
	s_xor_b32 exec_lo, exec_lo, s0
	s_cbranch_execz .LBB308_51
; %bb.50:                               ;   in Loop: Header=BB308_3 Depth=1
	flat_load_b64 v[21:22], v[25:26]
	v_add_co_u32 v25, vcc_lo, v25, 8
	v_add_nc_u32_e32 v27, -8, v9
	v_add_co_ci_u32_e32 v26, vcc_lo, 0, v26, vcc_lo
	s_waitcnt vmcnt(0) lgkmcnt(0)
	v_and_b32_e32 v23, 0xff, v22
	v_and_b32_e32 v24, 0xff00, v22
	v_and_b32_e32 v28, 0xff0000, v22
	v_and_b32_e32 v22, 0xff000000, v22
	v_or3_b32 v21, v21, 0, 0
	s_delay_alu instid0(VALU_DEP_4) | instskip(NEXT) | instid1(VALU_DEP_1)
	v_or_b32_e32 v23, v23, v24
	v_or3_b32 v22, v23, v28, v22
.LBB308_51:                             ;   in Loop: Header=BB308_3 Depth=1
	s_or_b32 exec_lo, exec_lo, s0
	s_delay_alu instid0(SALU_CYCLE_1)
	s_mov_b32 s0, exec_lo
	v_cmpx_gt_u32_e32 8, v27
	s_xor_b32 s4, exec_lo, s0
	s_cbranch_execz .LBB308_57
; %bb.52:                               ;   in Loop: Header=BB308_3 Depth=1
	v_mov_b32_e32 v23, 0
	v_mov_b32_e32 v24, 0
	s_mov_b32 s5, exec_lo
	v_cmpx_ne_u32_e32 0, v27
	s_cbranch_execz .LBB308_56
; %bb.53:                               ;   in Loop: Header=BB308_3 Depth=1
	v_mov_b32_e32 v23, 0
	v_mov_b32_e32 v24, 0
	s_mov_b64 s[0:1], 0
	s_mov_b32 s6, 0
	.p2align	6
.LBB308_54:                             ;   Parent Loop BB308_3 Depth=1
                                        ; =>  This Inner Loop Header: Depth=2
	flat_load_u8 v9, v[25:26]
	v_dual_mov_b32 v32, s11 :: v_dual_add_nc_u32 v27, -1, v27
	v_add_co_u32 v25, vcc_lo, v25, 1
	v_add_co_ci_u32_e32 v26, vcc_lo, 0, v26, vcc_lo
	s_delay_alu instid0(VALU_DEP_3) | instskip(SKIP_2) | instid1(VALU_DEP_1)
	v_cmp_eq_u32_e32 vcc_lo, 0, v27
	s_waitcnt vmcnt(0) lgkmcnt(0)
	v_and_b32_e32 v31, 0xffff, v9
	v_lshlrev_b64 v[31:32], s0, v[31:32]
	s_add_u32 s0, s0, 8
	s_addc_u32 s1, s1, 0
	s_or_b32 s6, vcc_lo, s6
	s_delay_alu instid0(VALU_DEP_1) | instskip(NEXT) | instid1(VALU_DEP_2)
	v_or_b32_e32 v24, v32, v24
	v_or_b32_e32 v23, v31, v23
	s_and_not1_b32 exec_lo, exec_lo, s6
	s_cbranch_execnz .LBB308_54
; %bb.55:                               ;   in Loop: Header=BB308_3 Depth=1
	s_or_b32 exec_lo, exec_lo, s6
.LBB308_56:                             ;   in Loop: Header=BB308_3 Depth=1
	s_delay_alu instid0(SALU_CYCLE_1)
	s_or_b32 exec_lo, exec_lo, s5
                                        ; implicit-def: $vgpr25_vgpr26
.LBB308_57:                             ;   in Loop: Header=BB308_3 Depth=1
	s_and_not1_saveexec_b32 s0, s4
	s_cbranch_execz .LBB308_59
; %bb.58:                               ;   in Loop: Header=BB308_3 Depth=1
	flat_load_b64 v[23:24], v[25:26]
	s_waitcnt vmcnt(0) lgkmcnt(0)
	v_and_b32_e32 v9, 0xff, v24
	v_and_b32_e32 v25, 0xff00, v24
	;; [unrolled: 1-line block ×4, first 2 shown]
	v_or3_b32 v23, v23, 0, 0
	s_delay_alu instid0(VALU_DEP_4) | instskip(NEXT) | instid1(VALU_DEP_1)
	v_or_b32_e32 v9, v9, v25
	v_or3_b32 v24, v9, v26, v24
.LBB308_59:                             ;   in Loop: Header=BB308_3 Depth=1
	s_or_b32 exec_lo, exec_lo, s0
	v_readfirstlane_b32 s0, v33
	v_mov_b32_e32 v31, 0
	v_mov_b32_e32 v32, 0
	s_delay_alu instid0(VALU_DEP_3) | instskip(NEXT) | instid1(VALU_DEP_1)
	v_cmp_eq_u32_e64 s0, s0, v33
	s_and_saveexec_b32 s1, s0
	s_cbranch_execz .LBB308_65
; %bb.60:                               ;   in Loop: Header=BB308_3 Depth=1
	s_waitcnt lgkmcnt(0)
	global_load_b64 v[27:28], v10, s[2:3] offset:24 glc
	s_waitcnt vmcnt(0)
	buffer_gl1_inv
	buffer_gl0_inv
	s_clause 0x1
	global_load_b64 v[25:26], v10, s[2:3] offset:40
	global_load_b64 v[31:32], v10, s[2:3]
	s_mov_b32 s4, exec_lo
	s_waitcnt vmcnt(1)
	v_and_b32_e32 v9, v26, v28
	v_and_b32_e32 v25, v25, v27
	s_delay_alu instid0(VALU_DEP_2) | instskip(NEXT) | instid1(VALU_DEP_2)
	v_mul_lo_u32 v9, v9, 24
	v_mul_hi_u32 v26, v25, 24
	v_mul_lo_u32 v25, v25, 24
	s_delay_alu instid0(VALU_DEP_2) | instskip(SKIP_1) | instid1(VALU_DEP_2)
	v_add_nc_u32_e32 v9, v26, v9
	s_waitcnt vmcnt(0)
	v_add_co_u32 v25, vcc_lo, v31, v25
	s_delay_alu instid0(VALU_DEP_2)
	v_add_co_ci_u32_e32 v26, vcc_lo, v32, v9, vcc_lo
	global_load_b64 v[25:26], v[25:26], off glc
	s_waitcnt vmcnt(0)
	global_atomic_cmpswap_b64 v[31:32], v10, v[25:28], s[2:3] offset:24 glc
	s_waitcnt vmcnt(0)
	buffer_gl1_inv
	buffer_gl0_inv
	v_cmpx_ne_u64_e64 v[31:32], v[27:28]
	s_cbranch_execz .LBB308_64
; %bb.61:                               ;   in Loop: Header=BB308_3 Depth=1
	s_mov_b32 s5, 0
	.p2align	6
.LBB308_62:                             ;   Parent Loop BB308_3 Depth=1
                                        ; =>  This Inner Loop Header: Depth=2
	s_sleep 1
	s_clause 0x1
	global_load_b64 v[25:26], v10, s[2:3] offset:40
	global_load_b64 v[34:35], v10, s[2:3]
	v_dual_mov_b32 v27, v31 :: v_dual_mov_b32 v28, v32
	s_waitcnt vmcnt(1)
	s_delay_alu instid0(VALU_DEP_1) | instskip(SKIP_1) | instid1(VALU_DEP_1)
	v_and_b32_e32 v9, v25, v27
	s_waitcnt vmcnt(0)
	v_mad_u64_u32 v[31:32], null, v9, 24, v[34:35]
	s_delay_alu instid0(VALU_DEP_1) | instskip(NEXT) | instid1(VALU_DEP_1)
	v_dual_mov_b32 v9, v32 :: v_dual_and_b32 v34, v26, v28
	v_mad_u64_u32 v[25:26], null, v34, 24, v[9:10]
	s_delay_alu instid0(VALU_DEP_1)
	v_mov_b32_e32 v32, v25
	global_load_b64 v[25:26], v[31:32], off glc
	s_waitcnt vmcnt(0)
	global_atomic_cmpswap_b64 v[31:32], v10, v[25:28], s[2:3] offset:24 glc
	s_waitcnt vmcnt(0)
	buffer_gl1_inv
	buffer_gl0_inv
	v_cmp_eq_u64_e32 vcc_lo, v[31:32], v[27:28]
	s_or_b32 s5, vcc_lo, s5
	s_delay_alu instid0(SALU_CYCLE_1)
	s_and_not1_b32 exec_lo, exec_lo, s5
	s_cbranch_execnz .LBB308_62
; %bb.63:                               ;   in Loop: Header=BB308_3 Depth=1
	s_or_b32 exec_lo, exec_lo, s5
.LBB308_64:                             ;   in Loop: Header=BB308_3 Depth=1
	s_delay_alu instid0(SALU_CYCLE_1)
	s_or_b32 exec_lo, exec_lo, s4
.LBB308_65:                             ;   in Loop: Header=BB308_3 Depth=1
	s_delay_alu instid0(SALU_CYCLE_1)
	s_or_b32 exec_lo, exec_lo, s1
	s_waitcnt lgkmcnt(0)
	s_clause 0x1
	global_load_b64 v[34:35], v10, s[2:3] offset:40
	global_load_b128 v[25:28], v10, s[2:3]
	v_readfirstlane_b32 s4, v31
	v_readfirstlane_b32 s5, v32
	s_mov_b32 s1, exec_lo
	s_waitcnt vmcnt(1)
	v_readfirstlane_b32 s6, v34
	v_readfirstlane_b32 s7, v35
	s_delay_alu instid0(VALU_DEP_1) | instskip(NEXT) | instid1(SALU_CYCLE_1)
	s_and_b64 s[6:7], s[4:5], s[6:7]
	s_mul_i32 s13, s7, 24
	s_mul_hi_u32 s14, s6, 24
	s_mul_i32 s15, s6, 24
	s_add_i32 s14, s14, s13
	s_waitcnt vmcnt(0)
	v_add_co_u32 v31, vcc_lo, v25, s15
	v_add_co_ci_u32_e32 v32, vcc_lo, s14, v26, vcc_lo
	s_and_saveexec_b32 s13, s0
	s_cbranch_execz .LBB308_67
; %bb.66:                               ;   in Loop: Header=BB308_3 Depth=1
	v_mov_b32_e32 v9, s1
	global_store_b128 v[31:32], v[9:12], off offset:8
.LBB308_67:                             ;   in Loop: Header=BB308_3 Depth=1
	s_or_b32 exec_lo, exec_lo, s13
	v_cmp_lt_u64_e32 vcc_lo, 56, v[4:5]
	v_or_b32_e32 v9, 0, v1
	v_or_b32_e32 v34, v0, v6
	v_lshl_add_u32 v35, v29, 2, 28
	s_lshl_b64 s[6:7], s[6:7], 12
	s_delay_alu instid0(SALU_CYCLE_1) | instskip(NEXT) | instid1(VALU_DEP_1)
	v_add_co_u32 v27, s1, v27, s6
	v_add_co_ci_u32_e64 v28, s1, s7, v28, s1
	v_dual_cndmask_b32 v1, v9, v1 :: v_dual_cndmask_b32 v0, v34, v0
	v_and_b32_e32 v9, 0x1e0, v35
	v_lshlrev_b32_e32 v34, 6, v33
	v_readfirstlane_b32 s6, v27
	v_readfirstlane_b32 s7, v28
	s_delay_alu instid0(VALU_DEP_4)
	v_and_or_b32 v0, 0xffffff1f, v0, v9
	s_clause 0x3
	global_store_b128 v34, v[0:3], s[6:7]
	global_store_b128 v34, v[13:16], s[6:7] offset:16
	global_store_b128 v34, v[17:20], s[6:7] offset:32
	;; [unrolled: 1-line block ×3, first 2 shown]
	s_and_saveexec_b32 s1, s0
	s_cbranch_execz .LBB308_75
; %bb.68:                               ;   in Loop: Header=BB308_3 Depth=1
	s_clause 0x1
	global_load_b64 v[17:18], v10, s[2:3] offset:32 glc
	global_load_b64 v[0:1], v10, s[2:3] offset:40
	v_dual_mov_b32 v15, s4 :: v_dual_mov_b32 v16, s5
	s_waitcnt vmcnt(0)
	v_readfirstlane_b32 s6, v0
	v_readfirstlane_b32 s7, v1
	s_delay_alu instid0(VALU_DEP_1) | instskip(NEXT) | instid1(SALU_CYCLE_1)
	s_and_b64 s[6:7], s[6:7], s[4:5]
	s_mul_i32 s7, s7, 24
	s_mul_hi_u32 s13, s6, 24
	s_mul_i32 s6, s6, 24
	s_add_i32 s13, s13, s7
	v_add_co_u32 v13, vcc_lo, v25, s6
	v_add_co_ci_u32_e32 v14, vcc_lo, s13, v26, vcc_lo
	s_mov_b32 s6, exec_lo
	global_store_b64 v[13:14], v[17:18], off
	s_waitcnt_vscnt null, 0x0
	global_atomic_cmpswap_b64 v[2:3], v10, v[15:18], s[2:3] offset:32 glc
	s_waitcnt vmcnt(0)
	v_cmpx_ne_u64_e64 v[2:3], v[17:18]
	s_cbranch_execz .LBB308_71
; %bb.69:                               ;   in Loop: Header=BB308_3 Depth=1
	s_mov_b32 s7, 0
.LBB308_70:                             ;   Parent Loop BB308_3 Depth=1
                                        ; =>  This Inner Loop Header: Depth=2
	v_dual_mov_b32 v0, s4 :: v_dual_mov_b32 v1, s5
	s_sleep 1
	global_store_b64 v[13:14], v[2:3], off
	s_waitcnt_vscnt null, 0x0
	global_atomic_cmpswap_b64 v[0:1], v10, v[0:3], s[2:3] offset:32 glc
	s_waitcnt vmcnt(0)
	v_cmp_eq_u64_e32 vcc_lo, v[0:1], v[2:3]
	v_dual_mov_b32 v3, v1 :: v_dual_mov_b32 v2, v0
	s_or_b32 s7, vcc_lo, s7
	s_delay_alu instid0(SALU_CYCLE_1)
	s_and_not1_b32 exec_lo, exec_lo, s7
	s_cbranch_execnz .LBB308_70
.LBB308_71:                             ;   in Loop: Header=BB308_3 Depth=1
	s_or_b32 exec_lo, exec_lo, s6
	global_load_b64 v[0:1], v10, s[2:3] offset:16
	s_mov_b32 s7, exec_lo
	s_mov_b32 s6, exec_lo
	v_mbcnt_lo_u32_b32 v2, s7, 0
	s_delay_alu instid0(VALU_DEP_1)
	v_cmpx_eq_u32_e32 0, v2
	s_cbranch_execz .LBB308_73
; %bb.72:                               ;   in Loop: Header=BB308_3 Depth=1
	s_bcnt1_i32_b32 s7, s7
	s_delay_alu instid0(SALU_CYCLE_1)
	v_mov_b32_e32 v9, s7
	s_waitcnt vmcnt(0)
	global_atomic_add_u64 v[0:1], v[9:10], off offset:8
.LBB308_73:                             ;   in Loop: Header=BB308_3 Depth=1
	s_or_b32 exec_lo, exec_lo, s6
	s_waitcnt vmcnt(0)
	global_load_b64 v[2:3], v[0:1], off offset:16
	s_waitcnt vmcnt(0)
	v_cmp_eq_u64_e32 vcc_lo, 0, v[2:3]
	s_cbranch_vccnz .LBB308_75
; %bb.74:                               ;   in Loop: Header=BB308_3 Depth=1
	global_load_b32 v9, v[0:1], off offset:24
	s_waitcnt vmcnt(0)
	v_and_b32_e32 v0, 0xffffff, v9
	s_waitcnt_vscnt null, 0x0
	global_store_b64 v[2:3], v[9:10], off
	v_readfirstlane_b32 m0, v0
	s_sendmsg sendmsg(MSG_INTERRUPT)
.LBB308_75:                             ;   in Loop: Header=BB308_3 Depth=1
	s_or_b32 exec_lo, exec_lo, s1
	v_add_co_u32 v0, vcc_lo, v27, v34
	v_add_co_ci_u32_e32 v1, vcc_lo, 0, v28, vcc_lo
	s_branch .LBB308_79
	.p2align	6
.LBB308_76:                             ;   in Loop: Header=BB308_79 Depth=2
	s_or_b32 exec_lo, exec_lo, s1
	s_delay_alu instid0(VALU_DEP_1) | instskip(NEXT) | instid1(VALU_DEP_1)
	v_readfirstlane_b32 s1, v2
	s_cmp_eq_u32 s1, 0
	s_cbranch_scc1 .LBB308_78
; %bb.77:                               ;   in Loop: Header=BB308_79 Depth=2
	s_sleep 1
	s_cbranch_execnz .LBB308_79
	s_branch .LBB308_81
	.p2align	6
.LBB308_78:                             ;   in Loop: Header=BB308_3 Depth=1
	s_branch .LBB308_81
.LBB308_79:                             ;   Parent Loop BB308_3 Depth=1
                                        ; =>  This Inner Loop Header: Depth=2
	v_mov_b32_e32 v2, 1
	s_and_saveexec_b32 s1, s0
	s_cbranch_execz .LBB308_76
; %bb.80:                               ;   in Loop: Header=BB308_79 Depth=2
	global_load_b32 v2, v[31:32], off offset:20 glc
	s_waitcnt vmcnt(0)
	buffer_gl1_inv
	buffer_gl0_inv
	v_and_b32_e32 v2, 1, v2
	s_branch .LBB308_76
.LBB308_81:                             ;   in Loop: Header=BB308_3 Depth=1
	global_load_b128 v[0:3], v[0:1], off
	s_and_saveexec_b32 s1, s0
	s_cbranch_execz .LBB308_2
; %bb.82:                               ;   in Loop: Header=BB308_3 Depth=1
	s_clause 0x2
	global_load_b64 v[2:3], v10, s[2:3] offset:40
	global_load_b64 v[17:18], v10, s[2:3] offset:24 glc
	global_load_b64 v[15:16], v10, s[2:3]
	s_waitcnt vmcnt(2)
	v_add_co_u32 v9, vcc_lo, v2, 1
	v_add_co_ci_u32_e32 v19, vcc_lo, 0, v3, vcc_lo
	s_delay_alu instid0(VALU_DEP_2) | instskip(NEXT) | instid1(VALU_DEP_2)
	v_add_co_u32 v13, vcc_lo, v9, s4
	v_add_co_ci_u32_e32 v14, vcc_lo, s5, v19, vcc_lo
	s_delay_alu instid0(VALU_DEP_1) | instskip(SKIP_1) | instid1(VALU_DEP_1)
	v_cmp_eq_u64_e32 vcc_lo, 0, v[13:14]
	v_dual_cndmask_b32 v14, v14, v19 :: v_dual_cndmask_b32 v13, v13, v9
	v_and_b32_e32 v3, v14, v3
	s_delay_alu instid0(VALU_DEP_2) | instskip(NEXT) | instid1(VALU_DEP_2)
	v_and_b32_e32 v2, v13, v2
	v_mul_lo_u32 v3, v3, 24
	s_delay_alu instid0(VALU_DEP_2) | instskip(SKIP_1) | instid1(VALU_DEP_2)
	v_mul_hi_u32 v9, v2, 24
	v_mul_lo_u32 v2, v2, 24
	v_add_nc_u32_e32 v3, v9, v3
	s_waitcnt vmcnt(0)
	s_delay_alu instid0(VALU_DEP_2) | instskip(SKIP_1) | instid1(VALU_DEP_3)
	v_add_co_u32 v2, vcc_lo, v15, v2
	v_mov_b32_e32 v15, v17
	v_add_co_ci_u32_e32 v3, vcc_lo, v16, v3, vcc_lo
	v_mov_b32_e32 v16, v18
	global_store_b64 v[2:3], v[17:18], off
	s_waitcnt_vscnt null, 0x0
	global_atomic_cmpswap_b64 v[15:16], v10, v[13:16], s[2:3] offset:24 glc
	s_waitcnt vmcnt(0)
	v_cmp_ne_u64_e32 vcc_lo, v[15:16], v[17:18]
	s_and_b32 exec_lo, exec_lo, vcc_lo
	s_cbranch_execz .LBB308_2
; %bb.83:                               ;   in Loop: Header=BB308_3 Depth=1
	s_mov_b32 s0, 0
.LBB308_84:                             ;   Parent Loop BB308_3 Depth=1
                                        ; =>  This Inner Loop Header: Depth=2
	s_sleep 1
	global_store_b64 v[2:3], v[15:16], off
	s_waitcnt_vscnt null, 0x0
	global_atomic_cmpswap_b64 v[17:18], v10, v[13:16], s[2:3] offset:24 glc
	s_waitcnt vmcnt(0)
	v_cmp_eq_u64_e32 vcc_lo, v[17:18], v[15:16]
	v_dual_mov_b32 v15, v17 :: v_dual_mov_b32 v16, v18
	s_or_b32 s0, vcc_lo, s0
	s_delay_alu instid0(SALU_CYCLE_1)
	s_and_not1_b32 exec_lo, exec_lo, s0
	s_cbranch_execnz .LBB308_84
	s_branch .LBB308_2
.LBB308_85:
	s_or_b32 exec_lo, exec_lo, s12
                                        ; implicit-def: $vgpr0
                                        ; implicit-def: $vgpr33
                                        ; implicit-def: $vgpr1
.LBB308_86:
	s_and_not1_saveexec_b32 s1, s10
	s_cbranch_execz .LBB308_108
; %bb.87:
	s_load_b64 s[2:3], s[8:9], 0x50
	v_readfirstlane_b32 s0, v33
	v_mov_b32_e32 v8, 0
	v_mov_b32_e32 v9, 0
	s_delay_alu instid0(VALU_DEP_3) | instskip(NEXT) | instid1(VALU_DEP_1)
	v_cmp_eq_u32_e64 s0, s0, v33
	s_and_saveexec_b32 s4, s0
	s_cbranch_execz .LBB308_93
; %bb.88:
	s_waitcnt vmcnt(0)
	v_mov_b32_e32 v2, 0
	s_mov_b32 s5, exec_lo
	s_waitcnt lgkmcnt(0)
	global_load_b64 v[5:6], v2, s[2:3] offset:24 glc
	s_waitcnt vmcnt(0)
	buffer_gl1_inv
	buffer_gl0_inv
	s_clause 0x1
	global_load_b64 v[3:4], v2, s[2:3] offset:40
	global_load_b64 v[7:8], v2, s[2:3]
	s_waitcnt vmcnt(1)
	v_and_b32_e32 v3, v3, v5
	v_and_b32_e32 v4, v4, v6
	s_delay_alu instid0(VALU_DEP_2) | instskip(NEXT) | instid1(VALU_DEP_2)
	v_mul_hi_u32 v9, v3, 24
	v_mul_lo_u32 v4, v4, 24
	v_mul_lo_u32 v3, v3, 24
	s_delay_alu instid0(VALU_DEP_2) | instskip(SKIP_1) | instid1(VALU_DEP_2)
	v_add_nc_u32_e32 v4, v9, v4
	s_waitcnt vmcnt(0)
	v_add_co_u32 v3, vcc_lo, v7, v3
	s_delay_alu instid0(VALU_DEP_2)
	v_add_co_ci_u32_e32 v4, vcc_lo, v8, v4, vcc_lo
	global_load_b64 v[3:4], v[3:4], off glc
	s_waitcnt vmcnt(0)
	global_atomic_cmpswap_b64 v[8:9], v2, v[3:6], s[2:3] offset:24 glc
	s_waitcnt vmcnt(0)
	buffer_gl1_inv
	buffer_gl0_inv
	v_cmpx_ne_u64_e64 v[8:9], v[5:6]
	s_cbranch_execz .LBB308_92
; %bb.89:
	s_mov_b32 s6, 0
	.p2align	6
.LBB308_90:                             ; =>This Inner Loop Header: Depth=1
	s_sleep 1
	s_clause 0x1
	global_load_b64 v[3:4], v2, s[2:3] offset:40
	global_load_b64 v[10:11], v2, s[2:3]
	v_dual_mov_b32 v5, v8 :: v_dual_mov_b32 v6, v9
	s_waitcnt vmcnt(1)
	s_delay_alu instid0(VALU_DEP_1) | instskip(NEXT) | instid1(VALU_DEP_2)
	v_and_b32_e32 v3, v3, v5
	v_and_b32_e32 v4, v4, v6
	s_waitcnt vmcnt(0)
	s_delay_alu instid0(VALU_DEP_2) | instskip(NEXT) | instid1(VALU_DEP_1)
	v_mad_u64_u32 v[7:8], null, v3, 24, v[10:11]
	v_mov_b32_e32 v3, v8
	s_delay_alu instid0(VALU_DEP_1)
	v_mad_u64_u32 v[8:9], null, v4, 24, v[3:4]
	global_load_b64 v[3:4], v[7:8], off glc
	s_waitcnt vmcnt(0)
	global_atomic_cmpswap_b64 v[8:9], v2, v[3:6], s[2:3] offset:24 glc
	s_waitcnt vmcnt(0)
	buffer_gl1_inv
	buffer_gl0_inv
	v_cmp_eq_u64_e32 vcc_lo, v[8:9], v[5:6]
	s_or_b32 s6, vcc_lo, s6
	s_delay_alu instid0(SALU_CYCLE_1)
	s_and_not1_b32 exec_lo, exec_lo, s6
	s_cbranch_execnz .LBB308_90
; %bb.91:
	s_or_b32 exec_lo, exec_lo, s6
.LBB308_92:
	s_delay_alu instid0(SALU_CYCLE_1)
	s_or_b32 exec_lo, exec_lo, s5
.LBB308_93:
	s_delay_alu instid0(SALU_CYCLE_1)
	s_or_b32 exec_lo, exec_lo, s4
	s_waitcnt vmcnt(0)
	v_mov_b32_e32 v2, 0
	v_readfirstlane_b32 s4, v8
	v_readfirstlane_b32 s5, v9
	s_mov_b32 s8, exec_lo
	s_waitcnt lgkmcnt(0)
	s_clause 0x1
	global_load_b64 v[10:11], v2, s[2:3] offset:40
	global_load_b128 v[4:7], v2, s[2:3]
	s_waitcnt vmcnt(1)
	v_readfirstlane_b32 s6, v10
	v_readfirstlane_b32 s7, v11
	s_delay_alu instid0(VALU_DEP_1) | instskip(NEXT) | instid1(SALU_CYCLE_1)
	s_and_b64 s[6:7], s[4:5], s[6:7]
	s_mul_i32 s9, s7, 24
	s_mul_hi_u32 s10, s6, 24
	s_mul_i32 s11, s6, 24
	s_add_i32 s10, s10, s9
	s_waitcnt vmcnt(0)
	v_add_co_u32 v8, vcc_lo, v4, s11
	v_add_co_ci_u32_e32 v9, vcc_lo, s10, v5, vcc_lo
	s_and_saveexec_b32 s9, s0
	s_cbranch_execz .LBB308_95
; %bb.94:
	v_dual_mov_b32 v10, s8 :: v_dual_mov_b32 v11, v2
	v_dual_mov_b32 v12, 2 :: v_dual_mov_b32 v13, 1
	global_store_b128 v[8:9], v[10:13], off offset:8
.LBB308_95:
	s_or_b32 exec_lo, exec_lo, s9
	s_lshl_b64 s[6:7], s[6:7], 12
	s_mov_b32 s8, 0
	v_add_co_u32 v6, vcc_lo, v6, s6
	v_add_co_ci_u32_e32 v7, vcc_lo, s7, v7, vcc_lo
	s_mov_b32 s11, s8
	s_mov_b32 s9, s8
	;; [unrolled: 1-line block ×3, first 2 shown]
	v_and_or_b32 v0, 0xffffff1f, v0, 32
	v_dual_mov_b32 v3, v2 :: v_dual_lshlrev_b32 v14, 6, v33
	v_readfirstlane_b32 s6, v6
	v_readfirstlane_b32 s7, v7
	v_dual_mov_b32 v13, s11 :: v_dual_mov_b32 v12, s10
	v_dual_mov_b32 v11, s9 :: v_dual_mov_b32 v10, s8
	s_clause 0x3
	global_store_b128 v14, v[0:3], s[6:7]
	global_store_b128 v14, v[10:13], s[6:7] offset:16
	global_store_b128 v14, v[10:13], s[6:7] offset:32
	global_store_b128 v14, v[10:13], s[6:7] offset:48
	s_and_saveexec_b32 s6, s0
	s_cbranch_execz .LBB308_102
; %bb.96:
	v_mov_b32_e32 v6, 0
	s_mov_b32 s7, exec_lo
	s_clause 0x1
	global_load_b64 v[12:13], v6, s[2:3] offset:32 glc
	global_load_b64 v[0:1], v6, s[2:3] offset:40
	v_dual_mov_b32 v11, s5 :: v_dual_mov_b32 v10, s4
	s_waitcnt vmcnt(0)
	v_and_b32_e32 v1, s5, v1
	v_and_b32_e32 v0, s4, v0
	s_delay_alu instid0(VALU_DEP_2) | instskip(NEXT) | instid1(VALU_DEP_2)
	v_mul_lo_u32 v1, v1, 24
	v_mul_hi_u32 v2, v0, 24
	v_mul_lo_u32 v0, v0, 24
	s_delay_alu instid0(VALU_DEP_2) | instskip(NEXT) | instid1(VALU_DEP_2)
	v_add_nc_u32_e32 v1, v2, v1
	v_add_co_u32 v4, vcc_lo, v4, v0
	s_delay_alu instid0(VALU_DEP_2)
	v_add_co_ci_u32_e32 v5, vcc_lo, v5, v1, vcc_lo
	global_store_b64 v[4:5], v[12:13], off
	s_waitcnt_vscnt null, 0x0
	global_atomic_cmpswap_b64 v[2:3], v6, v[10:13], s[2:3] offset:32 glc
	s_waitcnt vmcnt(0)
	v_cmpx_ne_u64_e64 v[2:3], v[12:13]
	s_cbranch_execz .LBB308_98
.LBB308_97:                             ; =>This Inner Loop Header: Depth=1
	v_dual_mov_b32 v0, s4 :: v_dual_mov_b32 v1, s5
	s_sleep 1
	global_store_b64 v[4:5], v[2:3], off
	s_waitcnt_vscnt null, 0x0
	global_atomic_cmpswap_b64 v[0:1], v6, v[0:3], s[2:3] offset:32 glc
	s_waitcnt vmcnt(0)
	v_cmp_eq_u64_e32 vcc_lo, v[0:1], v[2:3]
	v_dual_mov_b32 v3, v1 :: v_dual_mov_b32 v2, v0
	s_or_b32 s8, vcc_lo, s8
	s_delay_alu instid0(SALU_CYCLE_1)
	s_and_not1_b32 exec_lo, exec_lo, s8
	s_cbranch_execnz .LBB308_97
.LBB308_98:
	s_or_b32 exec_lo, exec_lo, s7
	v_mov_b32_e32 v3, 0
	s_mov_b32 s8, exec_lo
	s_mov_b32 s7, exec_lo
	v_mbcnt_lo_u32_b32 v2, s8, 0
	global_load_b64 v[0:1], v3, s[2:3] offset:16
	v_cmpx_eq_u32_e32 0, v2
	s_cbranch_execz .LBB308_100
; %bb.99:
	s_bcnt1_i32_b32 s8, s8
	s_delay_alu instid0(SALU_CYCLE_1)
	v_mov_b32_e32 v2, s8
	s_waitcnt vmcnt(0)
	global_atomic_add_u64 v[0:1], v[2:3], off offset:8
.LBB308_100:
	s_or_b32 exec_lo, exec_lo, s7
	s_waitcnt vmcnt(0)
	global_load_b64 v[2:3], v[0:1], off offset:16
	s_waitcnt vmcnt(0)
	v_cmp_eq_u64_e32 vcc_lo, 0, v[2:3]
	s_cbranch_vccnz .LBB308_102
; %bb.101:
	global_load_b32 v0, v[0:1], off offset:24
	s_waitcnt vmcnt(0)
	v_dual_mov_b32 v1, 0 :: v_dual_and_b32 v4, 0xffffff, v0
	s_waitcnt_vscnt null, 0x0
	global_store_b64 v[2:3], v[0:1], off
	v_readfirstlane_b32 m0, v4
	s_sendmsg sendmsg(MSG_INTERRUPT)
.LBB308_102:
	s_or_b32 exec_lo, exec_lo, s6
	s_branch .LBB308_106
	.p2align	6
.LBB308_103:                            ;   in Loop: Header=BB308_106 Depth=1
	s_or_b32 exec_lo, exec_lo, s6
	s_delay_alu instid0(VALU_DEP_1) | instskip(NEXT) | instid1(VALU_DEP_1)
	v_readfirstlane_b32 s6, v0
	s_cmp_eq_u32 s6, 0
	s_cbranch_scc1 .LBB308_105
; %bb.104:                              ;   in Loop: Header=BB308_106 Depth=1
	s_sleep 1
	s_cbranch_execnz .LBB308_106
	s_branch .LBB308_109
	.p2align	6
.LBB308_105:
	s_branch .LBB308_109
.LBB308_106:                            ; =>This Inner Loop Header: Depth=1
	v_mov_b32_e32 v0, 1
	s_and_saveexec_b32 s6, s0
	s_cbranch_execz .LBB308_103
; %bb.107:                              ;   in Loop: Header=BB308_106 Depth=1
	global_load_b32 v0, v[8:9], off offset:20 glc
	s_waitcnt vmcnt(0)
	buffer_gl1_inv
	buffer_gl0_inv
	v_and_b32_e32 v0, 1, v0
	s_branch .LBB308_103
.LBB308_108:
	s_or_b32 exec_lo, exec_lo, s1
	s_waitcnt vmcnt(0) lgkmcnt(0)
	s_setpc_b64 s[30:31]
.LBB308_109:
	s_and_saveexec_b32 s6, s0
	s_cbranch_execz .LBB308_113
; %bb.110:
	v_mov_b32_e32 v6, 0
	s_clause 0x2
	global_load_b64 v[2:3], v6, s[2:3] offset:40
	global_load_b64 v[7:8], v6, s[2:3] offset:24 glc
	global_load_b64 v[4:5], v6, s[2:3]
	s_waitcnt vmcnt(2)
	v_add_co_u32 v9, vcc_lo, v2, 1
	v_add_co_ci_u32_e32 v10, vcc_lo, 0, v3, vcc_lo
	s_delay_alu instid0(VALU_DEP_2) | instskip(NEXT) | instid1(VALU_DEP_2)
	v_add_co_u32 v0, vcc_lo, v9, s4
	v_add_co_ci_u32_e32 v1, vcc_lo, s5, v10, vcc_lo
	s_delay_alu instid0(VALU_DEP_1) | instskip(SKIP_1) | instid1(VALU_DEP_1)
	v_cmp_eq_u64_e32 vcc_lo, 0, v[0:1]
	v_dual_cndmask_b32 v1, v1, v10 :: v_dual_cndmask_b32 v0, v0, v9
	v_and_b32_e32 v3, v1, v3
	s_delay_alu instid0(VALU_DEP_2) | instskip(NEXT) | instid1(VALU_DEP_2)
	v_and_b32_e32 v2, v0, v2
	v_mul_lo_u32 v3, v3, 24
	s_delay_alu instid0(VALU_DEP_2) | instskip(SKIP_1) | instid1(VALU_DEP_2)
	v_mul_hi_u32 v9, v2, 24
	v_mul_lo_u32 v2, v2, 24
	v_add_nc_u32_e32 v3, v9, v3
	s_waitcnt vmcnt(0)
	s_delay_alu instid0(VALU_DEP_2) | instskip(SKIP_1) | instid1(VALU_DEP_3)
	v_add_co_u32 v4, vcc_lo, v4, v2
	v_mov_b32_e32 v2, v7
	v_add_co_ci_u32_e32 v5, vcc_lo, v5, v3, vcc_lo
	v_mov_b32_e32 v3, v8
	global_store_b64 v[4:5], v[7:8], off
	s_waitcnt_vscnt null, 0x0
	global_atomic_cmpswap_b64 v[2:3], v6, v[0:3], s[2:3] offset:24 glc
	s_waitcnt vmcnt(0)
	v_cmp_ne_u64_e32 vcc_lo, v[2:3], v[7:8]
	s_and_b32 exec_lo, exec_lo, vcc_lo
	s_cbranch_execz .LBB308_113
; %bb.111:
	s_mov_b32 s0, 0
.LBB308_112:                            ; =>This Inner Loop Header: Depth=1
	s_sleep 1
	global_store_b64 v[4:5], v[2:3], off
	s_waitcnt_vscnt null, 0x0
	global_atomic_cmpswap_b64 v[7:8], v6, v[0:3], s[2:3] offset:24 glc
	s_waitcnt vmcnt(0)
	v_cmp_eq_u64_e32 vcc_lo, v[7:8], v[2:3]
	v_dual_mov_b32 v2, v7 :: v_dual_mov_b32 v3, v8
	s_or_b32 s0, vcc_lo, s0
	s_delay_alu instid0(SALU_CYCLE_1)
	s_and_not1_b32 exec_lo, exec_lo, s0
	s_cbranch_execnz .LBB308_112
.LBB308_113:
	s_or_b32 exec_lo, exec_lo, s6
	s_delay_alu instid0(SALU_CYCLE_1)
	s_or_b32 exec_lo, exec_lo, s1
	s_waitcnt lgkmcnt(0)
	s_setpc_b64 s[30:31]
.Lfunc_end308:
	.size	__ockl_fprintf_append_string_n, .Lfunc_end308-__ockl_fprintf_append_string_n
                                        ; -- End function
	.section	.AMDGPU.csdata,"",@progbits
; Function info:
; codeLenInByte = 4740
; NumSgprs: 34
; NumVgprs: 36
; ScratchSize: 0
; MemoryBound: 0
	.text
	.p2align	2                               ; -- Begin function __assert_fail
	.type	__assert_fail,@function
__assert_fail:                          ; @__assert_fail
; %bb.0:
	s_waitcnt vmcnt(0) expcnt(0) lgkmcnt(0)
	s_mov_b32 s20, s33
	s_mov_b32 s33, s32
	s_or_saveexec_b32 s0, -1
	scratch_store_b32 off, v40, s33 offset:48 ; 4-byte Folded Spill
	s_mov_b32 exec_lo, s0
	v_writelane_b32 v40, s30, 0
	s_add_i32 s32, s32, 64
	v_writelane_b32 v40, s31, 1
	s_getpc_b64 s[0:1]
	s_add_u32 s0, s0, __const.__assert_fail.fmt@rel32@lo+4
	s_addc_u32 s1, s1, __const.__assert_fail.fmt@rel32@hi+12
	s_getpc_b64 s[2:3]
	s_add_u32 s2, s2, __const.__assert_fail.fmt@rel32@lo+20
	s_addc_u32 s3, s3, __const.__assert_fail.fmt@rel32@hi+28
	v_mbcnt_lo_u32_b32 v37, -1, 0
	s_clause 0x1
	s_load_b128 s[4:7], s[0:1], 0x0
	s_load_b128 s[12:15], s[2:3], 0x0
	s_load_b64 s[2:3], s[8:9], 0x50
	v_dual_mov_b32 v5, v2 :: v_dual_mov_b32 v4, v1
	v_mov_b32_e32 v1, 0
	v_readfirstlane_b32 s0, v37
	v_dual_mov_b32 v3, 0 :: v_dual_mov_b32 v14, 0x73256020
	v_mov_b32_e32 v17, 0xa2e
	v_mov_b32_e32 v15, 0x61662027
	s_delay_alu instid0(VALU_DEP_4)
	v_cmp_eq_u32_e64 s0, s0, v37
	v_mov_b32_e32 v2, 0
	s_waitcnt lgkmcnt(0)
	v_dual_mov_b32 v16, 0x64656c69 :: v_dual_mov_b32 v9, s7
	v_mov_b32_e32 v10, s12
	v_dual_mov_b32 v8, s6 :: v_dual_mov_b32 v7, s5
	v_mov_b32_e32 v12, s14
	;; [unrolled: 2-line block ×3, first 2 shown]
	s_clause 0x4
	scratch_store_b128 off, v[6:9], s33
	scratch_store_b128 off, v[10:13], s33 offset:16
	scratch_store_b8 off, v3, s33 offset:46
	scratch_store_b16 off, v17, s33 offset:44
	scratch_store_b96 off, v[14:16], s33 offset:32
	s_and_saveexec_b32 s1, s0
	s_cbranch_execz .LBB309_6
; %bb.1:
	global_load_b64 v[8:9], v3, s[2:3] offset:24 glc
	s_waitcnt vmcnt(0)
	buffer_gl1_inv
	buffer_gl0_inv
	s_clause 0x1
	global_load_b64 v[1:2], v3, s[2:3] offset:40
	global_load_b64 v[6:7], v3, s[2:3]
	s_mov_b32 s4, exec_lo
	s_waitcnt vmcnt(1)
	v_and_b32_e32 v2, v2, v9
	v_and_b32_e32 v1, v1, v8
	s_delay_alu instid0(VALU_DEP_2) | instskip(NEXT) | instid1(VALU_DEP_2)
	v_mul_lo_u32 v2, v2, 24
	v_mul_hi_u32 v10, v1, 24
	v_mul_lo_u32 v1, v1, 24
	s_delay_alu instid0(VALU_DEP_2) | instskip(SKIP_1) | instid1(VALU_DEP_2)
	v_add_nc_u32_e32 v2, v10, v2
	s_waitcnt vmcnt(0)
	v_add_co_u32 v1, vcc_lo, v6, v1
	s_delay_alu instid0(VALU_DEP_2)
	v_add_co_ci_u32_e32 v2, vcc_lo, v7, v2, vcc_lo
	global_load_b64 v[6:7], v[1:2], off glc
	s_waitcnt vmcnt(0)
	global_atomic_cmpswap_b64 v[1:2], v3, v[6:9], s[2:3] offset:24 glc
	s_waitcnt vmcnt(0)
	buffer_gl1_inv
	buffer_gl0_inv
	v_cmpx_ne_u64_e64 v[1:2], v[8:9]
	s_cbranch_execz .LBB309_5
; %bb.2:
	s_mov_b32 s5, 0
	.p2align	6
.LBB309_3:                              ; =>This Inner Loop Header: Depth=1
	s_sleep 1
	s_clause 0x1
	global_load_b64 v[6:7], v3, s[2:3] offset:40
	global_load_b64 v[10:11], v3, s[2:3]
	v_dual_mov_b32 v9, v2 :: v_dual_mov_b32 v8, v1
	s_waitcnt vmcnt(1)
	s_delay_alu instid0(VALU_DEP_1) | instskip(SKIP_1) | instid1(VALU_DEP_1)
	v_and_b32_e32 v6, v6, v8
	s_waitcnt vmcnt(0)
	v_mad_u64_u32 v[1:2], null, v6, 24, v[10:11]
	v_and_b32_e32 v10, v7, v9
	s_delay_alu instid0(VALU_DEP_1) | instskip(NEXT) | instid1(VALU_DEP_1)
	v_mad_u64_u32 v[6:7], null, v10, 24, v[2:3]
	v_mov_b32_e32 v2, v6
	global_load_b64 v[6:7], v[1:2], off glc
	s_waitcnt vmcnt(0)
	global_atomic_cmpswap_b64 v[1:2], v3, v[6:9], s[2:3] offset:24 glc
	s_waitcnt vmcnt(0)
	buffer_gl1_inv
	buffer_gl0_inv
	v_cmp_eq_u64_e32 vcc_lo, v[1:2], v[8:9]
	s_or_b32 s5, vcc_lo, s5
	s_delay_alu instid0(SALU_CYCLE_1)
	s_and_not1_b32 exec_lo, exec_lo, s5
	s_cbranch_execnz .LBB309_3
; %bb.4:
	s_or_b32 exec_lo, exec_lo, s5
.LBB309_5:
	s_delay_alu instid0(SALU_CYCLE_1)
	s_or_b32 exec_lo, exec_lo, s4
.LBB309_6:
	s_delay_alu instid0(SALU_CYCLE_1)
	s_or_b32 exec_lo, exec_lo, s1
	s_clause 0x1
	global_load_b64 v[6:7], v3, s[2:3] offset:40
	global_load_b128 v[10:13], v3, s[2:3]
	v_readfirstlane_b32 s4, v1
	v_readfirstlane_b32 s5, v2
	s_mov_b32 s1, exec_lo
	s_waitcnt vmcnt(1)
	v_readfirstlane_b32 s6, v6
	v_readfirstlane_b32 s7, v7
	s_delay_alu instid0(VALU_DEP_1) | instskip(NEXT) | instid1(SALU_CYCLE_1)
	s_and_b64 s[6:7], s[4:5], s[6:7]
	s_mul_i32 s10, s7, 24
	s_mul_hi_u32 s11, s6, 24
	s_mul_i32 s12, s6, 24
	s_add_i32 s11, s11, s10
	s_waitcnt vmcnt(0)
	v_add_co_u32 v1, vcc_lo, v10, s12
	v_add_co_ci_u32_e32 v2, vcc_lo, s11, v11, vcc_lo
	s_and_saveexec_b32 s10, s0
	s_cbranch_execz .LBB309_8
; %bb.7:
	v_dual_mov_b32 v6, s1 :: v_dual_mov_b32 v7, 0
	v_dual_mov_b32 v8, 2 :: v_dual_mov_b32 v9, 1
	global_store_b128 v[1:2], v[6:9], off offset:8
.LBB309_8:
	s_or_b32 exec_lo, exec_lo, s10
	s_lshl_b64 s[6:7], s[6:7], 12
	v_dual_mov_b32 v7, 0 :: v_dual_lshlrev_b32 v36, 6, v37
	v_add_co_u32 v3, vcc_lo, v12, s6
	v_add_co_ci_u32_e32 v13, vcc_lo, s7, v13, vcc_lo
	s_mov_b32 s12, 0
	s_delay_alu instid0(VALU_DEP_2)
	v_add_co_u32 v12, vcc_lo, v3, v36
	s_mov_b32 s15, s12
	s_mov_b32 s13, s12
	s_mov_b32 s14, s12
	v_dual_mov_b32 v6, 33 :: v_dual_mov_b32 v9, v7
	v_dual_mov_b32 v8, 1 :: v_dual_mov_b32 v17, s15
	v_readfirstlane_b32 s6, v3
	v_readfirstlane_b32 s7, v13
	v_add_co_ci_u32_e32 v13, vcc_lo, 0, v13, vcc_lo
	v_dual_mov_b32 v16, s14 :: v_dual_mov_b32 v15, s13
	v_mov_b32_e32 v14, s12
	s_clause 0x3
	global_store_b128 v36, v[6:9], s[6:7]
	global_store_b128 v36, v[14:17], s[6:7] offset:16
	global_store_b128 v36, v[14:17], s[6:7] offset:32
	;; [unrolled: 1-line block ×3, first 2 shown]
	s_and_saveexec_b32 s1, s0
	s_cbranch_execz .LBB309_16
; %bb.9:
	s_clause 0x1
	global_load_b64 v[18:19], v7, s[2:3] offset:32 glc
	global_load_b64 v[8:9], v7, s[2:3] offset:40
	s_mov_b32 s6, exec_lo
	v_dual_mov_b32 v16, s4 :: v_dual_mov_b32 v17, s5
	s_waitcnt vmcnt(0)
	v_and_b32_e32 v3, s5, v9
	v_and_b32_e32 v6, s4, v8
	s_delay_alu instid0(VALU_DEP_2) | instskip(NEXT) | instid1(VALU_DEP_2)
	v_mul_lo_u32 v3, v3, 24
	v_mul_hi_u32 v8, v6, 24
	v_mul_lo_u32 v6, v6, 24
	s_delay_alu instid0(VALU_DEP_2) | instskip(NEXT) | instid1(VALU_DEP_2)
	v_add_nc_u32_e32 v3, v8, v3
	v_add_co_u32 v14, vcc_lo, v10, v6
	s_delay_alu instid0(VALU_DEP_2)
	v_add_co_ci_u32_e32 v15, vcc_lo, v11, v3, vcc_lo
	global_store_b64 v[14:15], v[18:19], off
	s_waitcnt_vscnt null, 0x0
	global_atomic_cmpswap_b64 v[10:11], v7, v[16:19], s[2:3] offset:32 glc
	s_waitcnt vmcnt(0)
	v_cmpx_ne_u64_e64 v[10:11], v[18:19]
	s_cbranch_execz .LBB309_12
; %bb.10:
	s_mov_b32 s7, 0
.LBB309_11:                             ; =>This Inner Loop Header: Depth=1
	v_dual_mov_b32 v8, s4 :: v_dual_mov_b32 v9, s5
	s_sleep 1
	global_store_b64 v[14:15], v[10:11], off
	s_waitcnt_vscnt null, 0x0
	global_atomic_cmpswap_b64 v[8:9], v7, v[8:11], s[2:3] offset:32 glc
	s_waitcnt vmcnt(0)
	v_cmp_eq_u64_e32 vcc_lo, v[8:9], v[10:11]
	v_dual_mov_b32 v11, v9 :: v_dual_mov_b32 v10, v8
	s_or_b32 s7, vcc_lo, s7
	s_delay_alu instid0(SALU_CYCLE_1)
	s_and_not1_b32 exec_lo, exec_lo, s7
	s_cbranch_execnz .LBB309_11
.LBB309_12:
	s_or_b32 exec_lo, exec_lo, s6
	v_mov_b32_e32 v9, 0
	s_mov_b32 s7, exec_lo
	s_mov_b32 s6, exec_lo
	v_mbcnt_lo_u32_b32 v3, s7, 0
	global_load_b64 v[6:7], v9, s[2:3] offset:16
	v_cmpx_eq_u32_e32 0, v3
	s_cbranch_execz .LBB309_14
; %bb.13:
	s_bcnt1_i32_b32 s7, s7
	s_delay_alu instid0(SALU_CYCLE_1)
	v_mov_b32_e32 v8, s7
	s_waitcnt vmcnt(0)
	global_atomic_add_u64 v[6:7], v[8:9], off offset:8
.LBB309_14:
	s_or_b32 exec_lo, exec_lo, s6
	s_waitcnt vmcnt(0)
	global_load_b64 v[8:9], v[6:7], off offset:16
	s_waitcnt vmcnt(0)
	v_cmp_eq_u64_e32 vcc_lo, 0, v[8:9]
	s_cbranch_vccnz .LBB309_16
; %bb.15:
	global_load_b32 v6, v[6:7], off offset:24
	v_mov_b32_e32 v7, 0
	s_waitcnt vmcnt(0)
	v_and_b32_e32 v3, 0xffffff, v6
	s_waitcnt_vscnt null, 0x0
	global_store_b64 v[8:9], v[6:7], off
	v_readfirstlane_b32 m0, v3
	s_sendmsg sendmsg(MSG_INTERRUPT)
.LBB309_16:
	s_or_b32 exec_lo, exec_lo, s1
	s_branch .LBB309_20
	.p2align	6
.LBB309_17:                             ;   in Loop: Header=BB309_20 Depth=1
	s_or_b32 exec_lo, exec_lo, s1
	s_delay_alu instid0(VALU_DEP_1) | instskip(NEXT) | instid1(VALU_DEP_1)
	v_readfirstlane_b32 s1, v3
	s_cmp_eq_u32 s1, 0
	s_cbranch_scc1 .LBB309_19
; %bb.18:                               ;   in Loop: Header=BB309_20 Depth=1
	s_sleep 1
	s_cbranch_execnz .LBB309_20
	s_branch .LBB309_22
	.p2align	6
.LBB309_19:
	s_branch .LBB309_22
.LBB309_20:                             ; =>This Inner Loop Header: Depth=1
	v_mov_b32_e32 v3, 1
	s_and_saveexec_b32 s1, s0
	s_cbranch_execz .LBB309_17
; %bb.21:                               ;   in Loop: Header=BB309_20 Depth=1
	global_load_b32 v3, v[1:2], off offset:20 glc
	s_waitcnt vmcnt(0)
	buffer_gl1_inv
	buffer_gl0_inv
	v_and_b32_e32 v3, 1, v3
	s_branch .LBB309_17
.LBB309_22:
	global_load_b64 v[10:11], v[12:13], off
	s_and_saveexec_b32 s1, s0
	s_cbranch_execz .LBB309_26
; %bb.23:
	v_mov_b32_e32 v3, 0
	s_clause 0x2
	global_load_b64 v[1:2], v3, s[2:3] offset:40
	global_load_b64 v[12:13], v3, s[2:3] offset:24 glc
	global_load_b64 v[8:9], v3, s[2:3]
	s_waitcnt vmcnt(2)
	v_add_co_u32 v14, vcc_lo, v1, 1
	v_add_co_ci_u32_e32 v15, vcc_lo, 0, v2, vcc_lo
	s_delay_alu instid0(VALU_DEP_2) | instskip(NEXT) | instid1(VALU_DEP_2)
	v_add_co_u32 v6, vcc_lo, v14, s4
	v_add_co_ci_u32_e32 v7, vcc_lo, s5, v15, vcc_lo
	s_delay_alu instid0(VALU_DEP_1) | instskip(SKIP_1) | instid1(VALU_DEP_1)
	v_cmp_eq_u64_e32 vcc_lo, 0, v[6:7]
	v_cndmask_b32_e32 v6, v6, v14, vcc_lo
	v_and_b32_e32 v1, v6, v1
	s_delay_alu instid0(VALU_DEP_1) | instskip(SKIP_2) | instid1(VALU_DEP_2)
	v_mul_hi_u32 v14, v1, 24
	v_cndmask_b32_e32 v7, v7, v15, vcc_lo
	v_mul_lo_u32 v1, v1, 24
	v_and_b32_e32 v2, v7, v2
	s_waitcnt vmcnt(0)
	s_delay_alu instid0(VALU_DEP_2) | instskip(NEXT) | instid1(VALU_DEP_2)
	v_add_co_u32 v1, vcc_lo, v8, v1
	v_mul_lo_u32 v2, v2, 24
	v_mov_b32_e32 v8, v12
	s_delay_alu instid0(VALU_DEP_2) | instskip(NEXT) | instid1(VALU_DEP_1)
	v_add_nc_u32_e32 v2, v14, v2
	v_add_co_ci_u32_e32 v2, vcc_lo, v9, v2, vcc_lo
	v_mov_b32_e32 v9, v13
	global_store_b64 v[1:2], v[12:13], off
	s_waitcnt_vscnt null, 0x0
	global_atomic_cmpswap_b64 v[8:9], v3, v[6:9], s[2:3] offset:24 glc
	s_waitcnt vmcnt(0)
	v_cmp_ne_u64_e32 vcc_lo, v[8:9], v[12:13]
	s_and_b32 exec_lo, exec_lo, vcc_lo
	s_cbranch_execz .LBB309_26
; %bb.24:
	s_mov_b32 s0, 0
.LBB309_25:                             ; =>This Inner Loop Header: Depth=1
	s_sleep 1
	global_store_b64 v[1:2], v[8:9], off
	s_waitcnt_vscnt null, 0x0
	global_atomic_cmpswap_b64 v[12:13], v3, v[6:9], s[2:3] offset:24 glc
	s_waitcnt vmcnt(0)
	v_cmp_eq_u64_e32 vcc_lo, v[12:13], v[8:9]
	v_dual_mov_b32 v8, v12 :: v_dual_mov_b32 v9, v13
	s_or_b32 s0, vcc_lo, s0
	s_delay_alu instid0(SALU_CYCLE_1)
	s_and_not1_b32 exec_lo, exec_lo, s0
	s_cbranch_execnz .LBB309_25
.LBB309_26:
	s_or_b32 exec_lo, exec_lo, s1
	v_mov_b32_e32 v2, s33
	s_mov_b32 s0, 0
.LBB309_27:                             ; =>This Inner Loop Header: Depth=1
	scratch_load_u8 v3, v2, off
	v_add_nc_u32_e32 v1, 1, v2
	s_delay_alu instid0(VALU_DEP_1) | instskip(SKIP_3) | instid1(SALU_CYCLE_1)
	v_mov_b32_e32 v2, v1
	s_waitcnt vmcnt(0)
	v_cmp_eq_u16_e32 vcc_lo, 0, v3
	s_or_b32 s0, vcc_lo, s0
	s_and_not1_b32 exec_lo, exec_lo, s0
	s_cbranch_execnz .LBB309_27
; %bb.28:
	s_or_b32 exec_lo, exec_lo, s0
	v_cmp_ne_u32_e64 s0, -1, s33
	s_delay_alu instid0(VALU_DEP_1)
	s_and_b32 vcc_lo, exec_lo, s0
	s_cbranch_vccz .LBB309_113
; %bb.29:
	v_subrev_nc_u32_e32 v1, s33, v1
	v_dual_mov_b32 v38, s33 :: v_dual_and_b32 v3, 2, v10
	v_dual_mov_b32 v13, 0 :: v_dual_and_b32 v6, -3, v10
	v_dual_mov_b32 v7, v11 :: v_dual_mov_b32 v14, 2
	s_delay_alu instid0(VALU_DEP_4)
	v_ashrrev_i32_e32 v2, 31, v1
	v_mov_b32_e32 v15, 1
	s_mov_b32 s11, 0
	s_mov_b32 s10, 0
	s_branch .LBB309_31
.LBB309_30:                             ;   in Loop: Header=BB309_31 Depth=1
	s_or_b32 exec_lo, exec_lo, s1
	v_sub_co_u32 v1, vcc_lo, v1, v32
	v_sub_co_ci_u32_e32 v2, vcc_lo, v2, v33, vcc_lo
	v_add_nc_u32_e32 v38, v38, v32
	s_delay_alu instid0(VALU_DEP_2) | instskip(SKIP_1) | instid1(SALU_CYCLE_1)
	v_cmp_eq_u64_e32 vcc_lo, 0, v[1:2]
	s_or_b32 s10, vcc_lo, s10
	s_and_not1_b32 exec_lo, exec_lo, s10
	s_cbranch_execz .LBB309_114
.LBB309_31:                             ; =>This Loop Header: Depth=1
                                        ;     Child Loop BB309_34 Depth 2
                                        ;     Child Loop BB309_42 Depth 2
	;; [unrolled: 1-line block ×11, first 2 shown]
	v_cmp_gt_u64_e32 vcc_lo, 56, v[1:2]
	s_mov_b32 s4, exec_lo
                                        ; implicit-def: $vgpr8_vgpr9
                                        ; implicit-def: $sgpr1
	v_dual_cndmask_b32 v33, 0, v2 :: v_dual_cndmask_b32 v32, 56, v1
	v_cmpx_gt_u64_e32 8, v[1:2]
	s_xor_b32 s4, exec_lo, s4
	s_cbranch_execz .LBB309_37
; %bb.32:                               ;   in Loop: Header=BB309_31 Depth=1
	s_waitcnt vmcnt(0)
	v_mov_b32_e32 v8, 0
	v_mov_b32_e32 v9, 0
	s_mov_b64 s[0:1], 0
	s_mov_b32 s5, exec_lo
	v_cmpx_ne_u64_e32 0, v[1:2]
	s_cbranch_execz .LBB309_36
; %bb.33:                               ;   in Loop: Header=BB309_31 Depth=1
	v_lshlrev_b64 v[16:17], 3, v[32:33]
	v_mov_b32_e32 v8, 0
	v_dual_mov_b32 v9, 0 :: v_dual_mov_b32 v12, v38
	s_mov_b32 s6, 0
.LBB309_34:                             ;   Parent Loop BB309_31 Depth=1
                                        ; =>  This Inner Loop Header: Depth=2
	scratch_load_u8 v17, v12, off
	v_mov_b32_e32 v18, s11
	v_add_nc_u32_e32 v12, 1, v12
	s_waitcnt vmcnt(0)
	v_and_b32_e32 v17, 0xffff, v17
	s_delay_alu instid0(VALU_DEP_1) | instskip(SKIP_3) | instid1(VALU_DEP_2)
	v_lshlrev_b64 v[17:18], s0, v[17:18]
	s_add_u32 s0, s0, 8
	s_addc_u32 s1, s1, 0
	v_cmp_eq_u32_e32 vcc_lo, s0, v16
	v_or_b32_e32 v9, v18, v9
	s_delay_alu instid0(VALU_DEP_3) | instskip(SKIP_1) | instid1(SALU_CYCLE_1)
	v_or_b32_e32 v8, v17, v8
	s_or_b32 s6, vcc_lo, s6
	s_and_not1_b32 exec_lo, exec_lo, s6
	s_cbranch_execnz .LBB309_34
; %bb.35:                               ;   in Loop: Header=BB309_31 Depth=1
	s_or_b32 exec_lo, exec_lo, s6
.LBB309_36:                             ;   in Loop: Header=BB309_31 Depth=1
	s_delay_alu instid0(SALU_CYCLE_1)
	s_or_b32 exec_lo, exec_lo, s5
	s_mov_b32 s1, 0
.LBB309_37:                             ;   in Loop: Header=BB309_31 Depth=1
	s_or_saveexec_b32 s0, s4
	v_mov_b32_e32 v18, s1
	v_mov_b32_e32 v12, v38
	s_xor_b32 exec_lo, exec_lo, s0
	s_cbranch_execz .LBB309_39
; %bb.38:                               ;   in Loop: Header=BB309_31 Depth=1
	scratch_load_b64 v[8:9], v38, off
	v_add_nc_u32_e32 v18, -8, v32
	s_waitcnt vmcnt(0)
	v_and_b32_e32 v12, 0xff, v9
	v_and_b32_e32 v16, 0xff00, v9
	;; [unrolled: 1-line block ×4, first 2 shown]
	v_or3_b32 v8, v8, 0, 0
	s_delay_alu instid0(VALU_DEP_4) | instskip(NEXT) | instid1(VALU_DEP_1)
	v_or_b32_e32 v12, v12, v16
	v_or3_b32 v9, v12, v17, v9
	v_add_nc_u32_e32 v12, 8, v38
.LBB309_39:                             ;   in Loop: Header=BB309_31 Depth=1
	s_or_b32 exec_lo, exec_lo, s0
                                        ; implicit-def: $vgpr16_vgpr17
                                        ; implicit-def: $sgpr1
	s_delay_alu instid0(SALU_CYCLE_1)
	s_mov_b32 s0, exec_lo
	v_cmpx_gt_u32_e32 8, v18
	s_xor_b32 s4, exec_lo, s0
	s_cbranch_execz .LBB309_45
; %bb.40:                               ;   in Loop: Header=BB309_31 Depth=1
	v_mov_b32_e32 v16, 0
	v_mov_b32_e32 v17, 0
	s_mov_b32 s5, exec_lo
	v_cmpx_ne_u32_e32 0, v18
	s_cbranch_execz .LBB309_44
; %bb.41:                               ;   in Loop: Header=BB309_31 Depth=1
	v_mov_b32_e32 v16, 0
	v_mov_b32_e32 v17, 0
	s_mov_b64 s[0:1], 0
	s_mov_b32 s6, 0
	s_mov_b32 s7, 0
	.p2align	6
.LBB309_42:                             ;   Parent Loop BB309_31 Depth=1
                                        ; =>  This Inner Loop Header: Depth=2
	s_delay_alu instid0(SALU_CYCLE_1) | instskip(SKIP_1) | instid1(SALU_CYCLE_1)
	v_dual_mov_b32 v20, s11 :: v_dual_add_nc_u32 v19, s7, v12
	s_add_i32 s7, s7, 1
	v_cmp_eq_u32_e32 vcc_lo, s7, v18
	scratch_load_u8 v19, v19, off
	s_waitcnt vmcnt(0)
	v_and_b32_e32 v19, 0xffff, v19
	s_delay_alu instid0(VALU_DEP_1) | instskip(SKIP_3) | instid1(VALU_DEP_1)
	v_lshlrev_b64 v[19:20], s0, v[19:20]
	s_add_u32 s0, s0, 8
	s_addc_u32 s1, s1, 0
	s_or_b32 s6, vcc_lo, s6
	v_or_b32_e32 v17, v20, v17
	s_delay_alu instid0(VALU_DEP_2)
	v_or_b32_e32 v16, v19, v16
	s_and_not1_b32 exec_lo, exec_lo, s6
	s_cbranch_execnz .LBB309_42
; %bb.43:                               ;   in Loop: Header=BB309_31 Depth=1
	s_or_b32 exec_lo, exec_lo, s6
.LBB309_44:                             ;   in Loop: Header=BB309_31 Depth=1
	s_delay_alu instid0(SALU_CYCLE_1)
	s_or_b32 exec_lo, exec_lo, s5
	s_mov_b32 s1, 0
                                        ; implicit-def: $vgpr18
.LBB309_45:                             ;   in Loop: Header=BB309_31 Depth=1
	s_or_saveexec_b32 s0, s4
	v_mov_b32_e32 v20, s1
	s_xor_b32 exec_lo, exec_lo, s0
	s_cbranch_execz .LBB309_47
; %bb.46:                               ;   in Loop: Header=BB309_31 Depth=1
	scratch_load_b64 v[16:17], v12, off
	v_add_nc_u32_e32 v12, 8, v12
	s_waitcnt vmcnt(0)
	v_and_b32_e32 v19, 0xff, v17
	v_and_b32_e32 v20, 0xff00, v17
	;; [unrolled: 1-line block ×4, first 2 shown]
	v_or3_b32 v16, v16, 0, 0
	s_delay_alu instid0(VALU_DEP_4) | instskip(SKIP_1) | instid1(VALU_DEP_2)
	v_or_b32_e32 v19, v19, v20
	v_add_nc_u32_e32 v20, -8, v18
	v_or3_b32 v17, v19, v21, v17
.LBB309_47:                             ;   in Loop: Header=BB309_31 Depth=1
	s_or_b32 exec_lo, exec_lo, s0
                                        ; implicit-def: $sgpr1
	s_delay_alu instid0(SALU_CYCLE_1) | instskip(NEXT) | instid1(VALU_DEP_1)
	s_mov_b32 s0, exec_lo
	v_cmpx_gt_u32_e32 8, v20
	s_xor_b32 s4, exec_lo, s0
	s_cbranch_execz .LBB309_53
; %bb.48:                               ;   in Loop: Header=BB309_31 Depth=1
	v_mov_b32_e32 v18, 0
	v_mov_b32_e32 v19, 0
	s_mov_b32 s5, exec_lo
	v_cmpx_ne_u32_e32 0, v20
	s_cbranch_execz .LBB309_52
; %bb.49:                               ;   in Loop: Header=BB309_31 Depth=1
	v_mov_b32_e32 v18, 0
	v_mov_b32_e32 v19, 0
	s_mov_b64 s[0:1], 0
	s_mov_b32 s6, 0
	s_mov_b32 s7, 0
	.p2align	6
.LBB309_50:                             ;   Parent Loop BB309_31 Depth=1
                                        ; =>  This Inner Loop Header: Depth=2
	s_delay_alu instid0(SALU_CYCLE_1) | instskip(SKIP_1) | instid1(SALU_CYCLE_1)
	v_dual_mov_b32 v22, s11 :: v_dual_add_nc_u32 v21, s7, v12
	s_add_i32 s7, s7, 1
	v_cmp_eq_u32_e32 vcc_lo, s7, v20
	scratch_load_u8 v21, v21, off
	s_waitcnt vmcnt(0)
	v_and_b32_e32 v21, 0xffff, v21
	s_delay_alu instid0(VALU_DEP_1) | instskip(SKIP_3) | instid1(VALU_DEP_1)
	v_lshlrev_b64 v[21:22], s0, v[21:22]
	s_add_u32 s0, s0, 8
	s_addc_u32 s1, s1, 0
	s_or_b32 s6, vcc_lo, s6
	v_or_b32_e32 v19, v22, v19
	s_delay_alu instid0(VALU_DEP_2)
	v_or_b32_e32 v18, v21, v18
	s_and_not1_b32 exec_lo, exec_lo, s6
	s_cbranch_execnz .LBB309_50
; %bb.51:                               ;   in Loop: Header=BB309_31 Depth=1
	s_or_b32 exec_lo, exec_lo, s6
.LBB309_52:                             ;   in Loop: Header=BB309_31 Depth=1
	s_delay_alu instid0(SALU_CYCLE_1)
	s_or_b32 exec_lo, exec_lo, s5
	s_mov_b32 s1, 0
                                        ; implicit-def: $vgpr20
.LBB309_53:                             ;   in Loop: Header=BB309_31 Depth=1
	s_or_saveexec_b32 s0, s4
	v_mov_b32_e32 v22, s1
	s_xor_b32 exec_lo, exec_lo, s0
	s_cbranch_execz .LBB309_55
; %bb.54:                               ;   in Loop: Header=BB309_31 Depth=1
	scratch_load_b64 v[18:19], v12, off
	v_add_nc_u32_e32 v12, 8, v12
	s_waitcnt vmcnt(0)
	v_and_b32_e32 v21, 0xff, v19
	v_and_b32_e32 v22, 0xff00, v19
	;; [unrolled: 1-line block ×4, first 2 shown]
	v_or3_b32 v18, v18, 0, 0
	s_delay_alu instid0(VALU_DEP_4) | instskip(SKIP_1) | instid1(VALU_DEP_2)
	v_or_b32_e32 v21, v21, v22
	v_add_nc_u32_e32 v22, -8, v20
	v_or3_b32 v19, v21, v23, v19
.LBB309_55:                             ;   in Loop: Header=BB309_31 Depth=1
	s_or_b32 exec_lo, exec_lo, s0
                                        ; implicit-def: $vgpr20_vgpr21
                                        ; implicit-def: $sgpr1
	s_delay_alu instid0(SALU_CYCLE_1) | instskip(NEXT) | instid1(VALU_DEP_1)
	s_mov_b32 s0, exec_lo
	v_cmpx_gt_u32_e32 8, v22
	s_xor_b32 s4, exec_lo, s0
	s_cbranch_execz .LBB309_61
; %bb.56:                               ;   in Loop: Header=BB309_31 Depth=1
	v_mov_b32_e32 v20, 0
	v_mov_b32_e32 v21, 0
	s_mov_b32 s5, exec_lo
	v_cmpx_ne_u32_e32 0, v22
	s_cbranch_execz .LBB309_60
; %bb.57:                               ;   in Loop: Header=BB309_31 Depth=1
	v_mov_b32_e32 v20, 0
	v_mov_b32_e32 v21, 0
	s_mov_b64 s[0:1], 0
	s_mov_b32 s6, 0
	s_mov_b32 s7, 0
	.p2align	6
.LBB309_58:                             ;   Parent Loop BB309_31 Depth=1
                                        ; =>  This Inner Loop Header: Depth=2
	s_delay_alu instid0(SALU_CYCLE_1) | instskip(SKIP_1) | instid1(SALU_CYCLE_1)
	v_dual_mov_b32 v24, s11 :: v_dual_add_nc_u32 v23, s7, v12
	s_add_i32 s7, s7, 1
	v_cmp_eq_u32_e32 vcc_lo, s7, v22
	scratch_load_u8 v23, v23, off
	s_waitcnt vmcnt(0)
	v_and_b32_e32 v23, 0xffff, v23
	s_delay_alu instid0(VALU_DEP_1) | instskip(SKIP_3) | instid1(VALU_DEP_1)
	v_lshlrev_b64 v[23:24], s0, v[23:24]
	s_add_u32 s0, s0, 8
	s_addc_u32 s1, s1, 0
	s_or_b32 s6, vcc_lo, s6
	v_or_b32_e32 v21, v24, v21
	s_delay_alu instid0(VALU_DEP_2)
	v_or_b32_e32 v20, v23, v20
	s_and_not1_b32 exec_lo, exec_lo, s6
	s_cbranch_execnz .LBB309_58
; %bb.59:                               ;   in Loop: Header=BB309_31 Depth=1
	s_or_b32 exec_lo, exec_lo, s6
.LBB309_60:                             ;   in Loop: Header=BB309_31 Depth=1
	s_delay_alu instid0(SALU_CYCLE_1)
	s_or_b32 exec_lo, exec_lo, s5
	s_mov_b32 s1, 0
                                        ; implicit-def: $vgpr22
.LBB309_61:                             ;   in Loop: Header=BB309_31 Depth=1
	s_or_saveexec_b32 s0, s4
	v_mov_b32_e32 v24, s1
	s_xor_b32 exec_lo, exec_lo, s0
	s_cbranch_execz .LBB309_63
; %bb.62:                               ;   in Loop: Header=BB309_31 Depth=1
	scratch_load_b64 v[20:21], v12, off
	v_add_nc_u32_e32 v12, 8, v12
	s_waitcnt vmcnt(0)
	v_and_b32_e32 v23, 0xff, v21
	v_and_b32_e32 v24, 0xff00, v21
	;; [unrolled: 1-line block ×4, first 2 shown]
	v_or3_b32 v20, v20, 0, 0
	s_delay_alu instid0(VALU_DEP_4) | instskip(SKIP_1) | instid1(VALU_DEP_2)
	v_or_b32_e32 v23, v23, v24
	v_add_nc_u32_e32 v24, -8, v22
	v_or3_b32 v21, v23, v25, v21
.LBB309_63:                             ;   in Loop: Header=BB309_31 Depth=1
	s_or_b32 exec_lo, exec_lo, s0
                                        ; implicit-def: $sgpr1
	s_delay_alu instid0(SALU_CYCLE_1) | instskip(NEXT) | instid1(VALU_DEP_1)
	s_mov_b32 s0, exec_lo
	v_cmpx_gt_u32_e32 8, v24
	s_xor_b32 s4, exec_lo, s0
	s_cbranch_execz .LBB309_69
; %bb.64:                               ;   in Loop: Header=BB309_31 Depth=1
	v_mov_b32_e32 v22, 0
	v_mov_b32_e32 v23, 0
	s_mov_b32 s5, exec_lo
	v_cmpx_ne_u32_e32 0, v24
	s_cbranch_execz .LBB309_68
; %bb.65:                               ;   in Loop: Header=BB309_31 Depth=1
	v_mov_b32_e32 v22, 0
	v_mov_b32_e32 v23, 0
	s_mov_b64 s[0:1], 0
	s_mov_b32 s6, 0
	s_mov_b32 s7, 0
	.p2align	6
.LBB309_66:                             ;   Parent Loop BB309_31 Depth=1
                                        ; =>  This Inner Loop Header: Depth=2
	s_delay_alu instid0(SALU_CYCLE_1) | instskip(SKIP_1) | instid1(SALU_CYCLE_1)
	v_dual_mov_b32 v26, s11 :: v_dual_add_nc_u32 v25, s7, v12
	s_add_i32 s7, s7, 1
	v_cmp_eq_u32_e32 vcc_lo, s7, v24
	scratch_load_u8 v25, v25, off
	s_waitcnt vmcnt(0)
	v_and_b32_e32 v25, 0xffff, v25
	s_delay_alu instid0(VALU_DEP_1) | instskip(SKIP_3) | instid1(VALU_DEP_1)
	v_lshlrev_b64 v[25:26], s0, v[25:26]
	s_add_u32 s0, s0, 8
	s_addc_u32 s1, s1, 0
	s_or_b32 s6, vcc_lo, s6
	v_or_b32_e32 v23, v26, v23
	s_delay_alu instid0(VALU_DEP_2)
	v_or_b32_e32 v22, v25, v22
	s_and_not1_b32 exec_lo, exec_lo, s6
	s_cbranch_execnz .LBB309_66
; %bb.67:                               ;   in Loop: Header=BB309_31 Depth=1
	s_or_b32 exec_lo, exec_lo, s6
.LBB309_68:                             ;   in Loop: Header=BB309_31 Depth=1
	s_delay_alu instid0(SALU_CYCLE_1)
	s_or_b32 exec_lo, exec_lo, s5
	s_mov_b32 s1, 0
                                        ; implicit-def: $vgpr24
.LBB309_69:                             ;   in Loop: Header=BB309_31 Depth=1
	s_or_saveexec_b32 s0, s4
	v_mov_b32_e32 v26, s1
	s_xor_b32 exec_lo, exec_lo, s0
	s_cbranch_execz .LBB309_71
; %bb.70:                               ;   in Loop: Header=BB309_31 Depth=1
	scratch_load_b64 v[22:23], v12, off
	v_add_nc_u32_e32 v12, 8, v12
	s_waitcnt vmcnt(0)
	v_and_b32_e32 v25, 0xff, v23
	v_and_b32_e32 v26, 0xff00, v23
	;; [unrolled: 1-line block ×4, first 2 shown]
	v_or3_b32 v22, v22, 0, 0
	s_delay_alu instid0(VALU_DEP_4) | instskip(SKIP_1) | instid1(VALU_DEP_2)
	v_or_b32_e32 v25, v25, v26
	v_add_nc_u32_e32 v26, -8, v24
	v_or3_b32 v23, v25, v27, v23
.LBB309_71:                             ;   in Loop: Header=BB309_31 Depth=1
	s_or_b32 exec_lo, exec_lo, s0
                                        ; implicit-def: $vgpr24_vgpr25
                                        ; implicit-def: $sgpr1
	s_delay_alu instid0(SALU_CYCLE_1) | instskip(NEXT) | instid1(VALU_DEP_1)
	s_mov_b32 s0, exec_lo
	v_cmpx_gt_u32_e32 8, v26
	s_xor_b32 s4, exec_lo, s0
	s_cbranch_execz .LBB309_77
; %bb.72:                               ;   in Loop: Header=BB309_31 Depth=1
	v_mov_b32_e32 v24, 0
	v_mov_b32_e32 v25, 0
	s_mov_b32 s5, exec_lo
	v_cmpx_ne_u32_e32 0, v26
	s_cbranch_execz .LBB309_76
; %bb.73:                               ;   in Loop: Header=BB309_31 Depth=1
	v_mov_b32_e32 v24, 0
	v_mov_b32_e32 v25, 0
	s_mov_b64 s[0:1], 0
	s_mov_b32 s6, 0
	s_mov_b32 s7, 0
	.p2align	6
.LBB309_74:                             ;   Parent Loop BB309_31 Depth=1
                                        ; =>  This Inner Loop Header: Depth=2
	s_delay_alu instid0(SALU_CYCLE_1) | instskip(SKIP_1) | instid1(SALU_CYCLE_1)
	v_dual_mov_b32 v28, s11 :: v_dual_add_nc_u32 v27, s7, v12
	s_add_i32 s7, s7, 1
	v_cmp_eq_u32_e32 vcc_lo, s7, v26
	scratch_load_u8 v27, v27, off
	s_waitcnt vmcnt(0)
	v_and_b32_e32 v27, 0xffff, v27
	s_delay_alu instid0(VALU_DEP_1) | instskip(SKIP_3) | instid1(VALU_DEP_1)
	v_lshlrev_b64 v[27:28], s0, v[27:28]
	s_add_u32 s0, s0, 8
	s_addc_u32 s1, s1, 0
	s_or_b32 s6, vcc_lo, s6
	v_or_b32_e32 v25, v28, v25
	s_delay_alu instid0(VALU_DEP_2)
	v_or_b32_e32 v24, v27, v24
	s_and_not1_b32 exec_lo, exec_lo, s6
	s_cbranch_execnz .LBB309_74
; %bb.75:                               ;   in Loop: Header=BB309_31 Depth=1
	s_or_b32 exec_lo, exec_lo, s6
.LBB309_76:                             ;   in Loop: Header=BB309_31 Depth=1
	s_delay_alu instid0(SALU_CYCLE_1)
	s_or_b32 exec_lo, exec_lo, s5
	s_mov_b32 s1, 0
                                        ; implicit-def: $vgpr26
.LBB309_77:                             ;   in Loop: Header=BB309_31 Depth=1
	s_or_saveexec_b32 s0, s4
	v_mov_b32_e32 v28, s1
	s_xor_b32 exec_lo, exec_lo, s0
	s_cbranch_execz .LBB309_79
; %bb.78:                               ;   in Loop: Header=BB309_31 Depth=1
	scratch_load_b64 v[24:25], v12, off
	v_add_nc_u32_e32 v12, 8, v12
	s_waitcnt vmcnt(0)
	v_and_b32_e32 v27, 0xff, v25
	v_and_b32_e32 v28, 0xff00, v25
	v_and_b32_e32 v29, 0xff0000, v25
	v_and_b32_e32 v25, 0xff000000, v25
	v_or3_b32 v24, v24, 0, 0
	s_delay_alu instid0(VALU_DEP_4) | instskip(SKIP_1) | instid1(VALU_DEP_2)
	v_or_b32_e32 v27, v27, v28
	v_add_nc_u32_e32 v28, -8, v26
	v_or3_b32 v25, v27, v29, v25
.LBB309_79:                             ;   in Loop: Header=BB309_31 Depth=1
	s_or_b32 exec_lo, exec_lo, s0
	s_delay_alu instid0(SALU_CYCLE_1) | instskip(NEXT) | instid1(VALU_DEP_1)
	s_mov_b32 s0, exec_lo
	v_cmpx_gt_u32_e32 8, v28
	s_xor_b32 s4, exec_lo, s0
	s_cbranch_execz .LBB309_85
; %bb.80:                               ;   in Loop: Header=BB309_31 Depth=1
	v_mov_b32_e32 v26, 0
	v_mov_b32_e32 v27, 0
	s_mov_b32 s5, exec_lo
	v_cmpx_ne_u32_e32 0, v28
	s_cbranch_execz .LBB309_84
; %bb.81:                               ;   in Loop: Header=BB309_31 Depth=1
	v_mov_b32_e32 v26, 0
	v_mov_b32_e32 v27, 0
	s_mov_b64 s[0:1], 0
	s_mov_b32 s6, 0
	.p2align	6
.LBB309_82:                             ;   Parent Loop BB309_31 Depth=1
                                        ; =>  This Inner Loop Header: Depth=2
	scratch_load_u8 v29, v12, off
	v_mov_b32_e32 v30, s11
	v_add_nc_u32_e32 v28, -1, v28
	v_add_nc_u32_e32 v12, 1, v12
	s_delay_alu instid0(VALU_DEP_2) | instskip(SKIP_2) | instid1(VALU_DEP_1)
	v_cmp_eq_u32_e32 vcc_lo, 0, v28
	s_waitcnt vmcnt(0)
	v_and_b32_e32 v29, 0xffff, v29
	v_lshlrev_b64 v[29:30], s0, v[29:30]
	s_add_u32 s0, s0, 8
	s_addc_u32 s1, s1, 0
	s_or_b32 s6, vcc_lo, s6
	s_delay_alu instid0(VALU_DEP_1) | instskip(NEXT) | instid1(VALU_DEP_2)
	v_or_b32_e32 v27, v30, v27
	v_or_b32_e32 v26, v29, v26
	s_and_not1_b32 exec_lo, exec_lo, s6
	s_cbranch_execnz .LBB309_82
; %bb.83:                               ;   in Loop: Header=BB309_31 Depth=1
	s_or_b32 exec_lo, exec_lo, s6
.LBB309_84:                             ;   in Loop: Header=BB309_31 Depth=1
	s_delay_alu instid0(SALU_CYCLE_1)
	s_or_b32 exec_lo, exec_lo, s5
                                        ; implicit-def: $vgpr12
.LBB309_85:                             ;   in Loop: Header=BB309_31 Depth=1
	s_and_not1_saveexec_b32 s0, s4
	s_cbranch_execz .LBB309_87
; %bb.86:                               ;   in Loop: Header=BB309_31 Depth=1
	scratch_load_b64 v[26:27], v12, off
	s_waitcnt vmcnt(0)
	v_and_b32_e32 v12, 0xff, v27
	v_and_b32_e32 v28, 0xff00, v27
	;; [unrolled: 1-line block ×4, first 2 shown]
	v_or3_b32 v26, v26, 0, 0
	s_delay_alu instid0(VALU_DEP_4) | instskip(NEXT) | instid1(VALU_DEP_1)
	v_or_b32_e32 v12, v12, v28
	v_or3_b32 v27, v12, v29, v27
.LBB309_87:                             ;   in Loop: Header=BB309_31 Depth=1
	s_or_b32 exec_lo, exec_lo, s0
	v_readfirstlane_b32 s0, v37
	v_mov_b32_e32 v34, 0
	v_mov_b32_e32 v35, 0
	s_delay_alu instid0(VALU_DEP_3) | instskip(NEXT) | instid1(VALU_DEP_1)
	v_cmp_eq_u32_e64 s0, s0, v37
	s_and_saveexec_b32 s1, s0
	s_cbranch_execz .LBB309_93
; %bb.88:                               ;   in Loop: Header=BB309_31 Depth=1
	global_load_b64 v[30:31], v13, s[2:3] offset:24 glc
	s_waitcnt vmcnt(0)
	buffer_gl1_inv
	buffer_gl0_inv
	s_clause 0x1
	global_load_b64 v[28:29], v13, s[2:3] offset:40
	global_load_b64 v[34:35], v13, s[2:3]
	s_mov_b32 s4, exec_lo
	s_waitcnt vmcnt(1)
	v_and_b32_e32 v12, v29, v31
	v_and_b32_e32 v28, v28, v30
	s_delay_alu instid0(VALU_DEP_2) | instskip(NEXT) | instid1(VALU_DEP_2)
	v_mul_lo_u32 v12, v12, 24
	v_mul_hi_u32 v29, v28, 24
	v_mul_lo_u32 v28, v28, 24
	s_delay_alu instid0(VALU_DEP_2) | instskip(SKIP_1) | instid1(VALU_DEP_2)
	v_add_nc_u32_e32 v12, v29, v12
	s_waitcnt vmcnt(0)
	v_add_co_u32 v28, vcc_lo, v34, v28
	s_delay_alu instid0(VALU_DEP_2)
	v_add_co_ci_u32_e32 v29, vcc_lo, v35, v12, vcc_lo
	global_load_b64 v[28:29], v[28:29], off glc
	s_waitcnt vmcnt(0)
	global_atomic_cmpswap_b64 v[34:35], v13, v[28:31], s[2:3] offset:24 glc
	s_waitcnt vmcnt(0)
	buffer_gl1_inv
	buffer_gl0_inv
	v_cmpx_ne_u64_e64 v[34:35], v[30:31]
	s_cbranch_execz .LBB309_92
; %bb.89:                               ;   in Loop: Header=BB309_31 Depth=1
	s_mov_b32 s5, 0
	.p2align	6
.LBB309_90:                             ;   Parent Loop BB309_31 Depth=1
                                        ; =>  This Inner Loop Header: Depth=2
	s_sleep 1
	s_clause 0x1
	global_load_b64 v[28:29], v13, s[2:3] offset:40
	global_load_b64 v[48:49], v13, s[2:3]
	v_dual_mov_b32 v30, v34 :: v_dual_mov_b32 v31, v35
	s_waitcnt vmcnt(1)
	s_delay_alu instid0(VALU_DEP_1) | instskip(SKIP_1) | instid1(VALU_DEP_1)
	v_and_b32_e32 v12, v28, v30
	s_waitcnt vmcnt(0)
	v_mad_u64_u32 v[34:35], null, v12, 24, v[48:49]
	s_delay_alu instid0(VALU_DEP_1) | instskip(NEXT) | instid1(VALU_DEP_1)
	v_dual_mov_b32 v12, v35 :: v_dual_and_b32 v39, v29, v31
	v_mad_u64_u32 v[28:29], null, v39, 24, v[12:13]
	s_delay_alu instid0(VALU_DEP_1)
	v_mov_b32_e32 v35, v28
	global_load_b64 v[28:29], v[34:35], off glc
	s_waitcnt vmcnt(0)
	global_atomic_cmpswap_b64 v[34:35], v13, v[28:31], s[2:3] offset:24 glc
	s_waitcnt vmcnt(0)
	buffer_gl1_inv
	buffer_gl0_inv
	v_cmp_eq_u64_e32 vcc_lo, v[34:35], v[30:31]
	s_or_b32 s5, vcc_lo, s5
	s_delay_alu instid0(SALU_CYCLE_1)
	s_and_not1_b32 exec_lo, exec_lo, s5
	s_cbranch_execnz .LBB309_90
; %bb.91:                               ;   in Loop: Header=BB309_31 Depth=1
	s_or_b32 exec_lo, exec_lo, s5
.LBB309_92:                             ;   in Loop: Header=BB309_31 Depth=1
	s_delay_alu instid0(SALU_CYCLE_1)
	s_or_b32 exec_lo, exec_lo, s4
.LBB309_93:                             ;   in Loop: Header=BB309_31 Depth=1
	s_delay_alu instid0(SALU_CYCLE_1)
	s_or_b32 exec_lo, exec_lo, s1
	s_clause 0x1
	global_load_b64 v[48:49], v13, s[2:3] offset:40
	global_load_b128 v[28:31], v13, s[2:3]
	v_readfirstlane_b32 s4, v34
	v_readfirstlane_b32 s5, v35
	s_mov_b32 s1, exec_lo
	s_waitcnt vmcnt(1)
	v_readfirstlane_b32 s6, v48
	v_readfirstlane_b32 s7, v49
	s_delay_alu instid0(VALU_DEP_1) | instskip(NEXT) | instid1(SALU_CYCLE_1)
	s_and_b64 s[6:7], s[4:5], s[6:7]
	s_mul_i32 s12, s7, 24
	s_mul_hi_u32 s13, s6, 24
	s_mul_i32 s14, s6, 24
	s_add_i32 s13, s13, s12
	s_waitcnt vmcnt(0)
	v_add_co_u32 v34, vcc_lo, v28, s14
	v_add_co_ci_u32_e32 v35, vcc_lo, s13, v29, vcc_lo
	s_and_saveexec_b32 s12, s0
	s_cbranch_execz .LBB309_95
; %bb.94:                               ;   in Loop: Header=BB309_31 Depth=1
	v_mov_b32_e32 v12, s1
	global_store_b128 v[34:35], v[12:15], off offset:8
.LBB309_95:                             ;   in Loop: Header=BB309_31 Depth=1
	s_or_b32 exec_lo, exec_lo, s12
	v_cmp_lt_u64_e32 vcc_lo, 56, v[1:2]
	v_or_b32_e32 v12, 0, v7
	v_or_b32_e32 v39, v6, v3
	v_lshl_add_u32 v48, v32, 2, 28
	s_lshl_b64 s[6:7], s[6:7], 12
	s_delay_alu instid0(SALU_CYCLE_1) | instskip(NEXT) | instid1(VALU_DEP_1)
	v_add_co_u32 v30, s1, v30, s6
	v_add_co_ci_u32_e64 v31, s1, s7, v31, s1
	v_dual_cndmask_b32 v7, v12, v7 :: v_dual_cndmask_b32 v6, v39, v6
	v_and_b32_e32 v12, 0x1e0, v48
	s_delay_alu instid0(VALU_DEP_4) | instskip(NEXT) | instid1(VALU_DEP_4)
	v_readfirstlane_b32 s6, v30
	v_readfirstlane_b32 s7, v31
	s_delay_alu instid0(VALU_DEP_3)
	v_and_or_b32 v6, 0xffffff1f, v6, v12
	s_clause 0x3
	global_store_b128 v36, v[6:9], s[6:7]
	global_store_b128 v36, v[16:19], s[6:7] offset:16
	global_store_b128 v36, v[20:23], s[6:7] offset:32
	;; [unrolled: 1-line block ×3, first 2 shown]
	s_and_saveexec_b32 s1, s0
	s_cbranch_execz .LBB309_103
; %bb.96:                               ;   in Loop: Header=BB309_31 Depth=1
	s_clause 0x1
	global_load_b64 v[20:21], v13, s[2:3] offset:32 glc
	global_load_b64 v[6:7], v13, s[2:3] offset:40
	v_dual_mov_b32 v18, s4 :: v_dual_mov_b32 v19, s5
	s_waitcnt vmcnt(0)
	v_readfirstlane_b32 s6, v6
	v_readfirstlane_b32 s7, v7
	s_delay_alu instid0(VALU_DEP_1) | instskip(NEXT) | instid1(SALU_CYCLE_1)
	s_and_b64 s[6:7], s[6:7], s[4:5]
	s_mul_i32 s7, s7, 24
	s_mul_hi_u32 s12, s6, 24
	s_mul_i32 s6, s6, 24
	s_add_i32 s12, s12, s7
	v_add_co_u32 v16, vcc_lo, v28, s6
	v_add_co_ci_u32_e32 v17, vcc_lo, s12, v29, vcc_lo
	s_mov_b32 s6, exec_lo
	global_store_b64 v[16:17], v[20:21], off
	s_waitcnt_vscnt null, 0x0
	global_atomic_cmpswap_b64 v[8:9], v13, v[18:21], s[2:3] offset:32 glc
	s_waitcnt vmcnt(0)
	v_cmpx_ne_u64_e64 v[8:9], v[20:21]
	s_cbranch_execz .LBB309_99
; %bb.97:                               ;   in Loop: Header=BB309_31 Depth=1
	s_mov_b32 s7, 0
.LBB309_98:                             ;   Parent Loop BB309_31 Depth=1
                                        ; =>  This Inner Loop Header: Depth=2
	v_dual_mov_b32 v6, s4 :: v_dual_mov_b32 v7, s5
	s_sleep 1
	global_store_b64 v[16:17], v[8:9], off
	s_waitcnt_vscnt null, 0x0
	global_atomic_cmpswap_b64 v[6:7], v13, v[6:9], s[2:3] offset:32 glc
	s_waitcnt vmcnt(0)
	v_cmp_eq_u64_e32 vcc_lo, v[6:7], v[8:9]
	v_dual_mov_b32 v9, v7 :: v_dual_mov_b32 v8, v6
	s_or_b32 s7, vcc_lo, s7
	s_delay_alu instid0(SALU_CYCLE_1)
	s_and_not1_b32 exec_lo, exec_lo, s7
	s_cbranch_execnz .LBB309_98
.LBB309_99:                             ;   in Loop: Header=BB309_31 Depth=1
	s_or_b32 exec_lo, exec_lo, s6
	global_load_b64 v[6:7], v13, s[2:3] offset:16
	s_mov_b32 s7, exec_lo
	s_mov_b32 s6, exec_lo
	v_mbcnt_lo_u32_b32 v8, s7, 0
	s_delay_alu instid0(VALU_DEP_1)
	v_cmpx_eq_u32_e32 0, v8
	s_cbranch_execz .LBB309_101
; %bb.100:                              ;   in Loop: Header=BB309_31 Depth=1
	s_bcnt1_i32_b32 s7, s7
	s_delay_alu instid0(SALU_CYCLE_1)
	v_mov_b32_e32 v12, s7
	s_waitcnt vmcnt(0)
	global_atomic_add_u64 v[6:7], v[12:13], off offset:8
.LBB309_101:                            ;   in Loop: Header=BB309_31 Depth=1
	s_or_b32 exec_lo, exec_lo, s6
	s_waitcnt vmcnt(0)
	global_load_b64 v[8:9], v[6:7], off offset:16
	s_waitcnt vmcnt(0)
	v_cmp_eq_u64_e32 vcc_lo, 0, v[8:9]
	s_cbranch_vccnz .LBB309_103
; %bb.102:                              ;   in Loop: Header=BB309_31 Depth=1
	global_load_b32 v12, v[6:7], off offset:24
	s_waitcnt vmcnt(0)
	v_and_b32_e32 v6, 0xffffff, v12
	s_waitcnt_vscnt null, 0x0
	global_store_b64 v[8:9], v[12:13], off
	v_readfirstlane_b32 m0, v6
	s_sendmsg sendmsg(MSG_INTERRUPT)
.LBB309_103:                            ;   in Loop: Header=BB309_31 Depth=1
	s_or_b32 exec_lo, exec_lo, s1
	v_add_co_u32 v6, vcc_lo, v30, v36
	v_add_co_ci_u32_e32 v7, vcc_lo, 0, v31, vcc_lo
	s_branch .LBB309_107
	.p2align	6
.LBB309_104:                            ;   in Loop: Header=BB309_107 Depth=2
	s_or_b32 exec_lo, exec_lo, s1
	s_delay_alu instid0(VALU_DEP_1) | instskip(NEXT) | instid1(VALU_DEP_1)
	v_readfirstlane_b32 s1, v8
	s_cmp_eq_u32 s1, 0
	s_cbranch_scc1 .LBB309_106
; %bb.105:                              ;   in Loop: Header=BB309_107 Depth=2
	s_sleep 1
	s_cbranch_execnz .LBB309_107
	s_branch .LBB309_109
	.p2align	6
.LBB309_106:                            ;   in Loop: Header=BB309_31 Depth=1
	s_branch .LBB309_109
.LBB309_107:                            ;   Parent Loop BB309_31 Depth=1
                                        ; =>  This Inner Loop Header: Depth=2
	v_mov_b32_e32 v8, 1
	s_and_saveexec_b32 s1, s0
	s_cbranch_execz .LBB309_104
; %bb.108:                              ;   in Loop: Header=BB309_107 Depth=2
	global_load_b32 v8, v[34:35], off offset:20 glc
	s_waitcnt vmcnt(0)
	buffer_gl1_inv
	buffer_gl0_inv
	v_and_b32_e32 v8, 1, v8
	s_branch .LBB309_104
.LBB309_109:                            ;   in Loop: Header=BB309_31 Depth=1
	global_load_b128 v[6:9], v[6:7], off
	s_and_saveexec_b32 s1, s0
	s_cbranch_execz .LBB309_30
; %bb.110:                              ;   in Loop: Header=BB309_31 Depth=1
	s_clause 0x2
	global_load_b64 v[8:9], v13, s[2:3] offset:40
	global_load_b64 v[20:21], v13, s[2:3] offset:24 glc
	global_load_b64 v[18:19], v13, s[2:3]
	s_waitcnt vmcnt(2)
	v_add_co_u32 v12, vcc_lo, v8, 1
	v_add_co_ci_u32_e32 v22, vcc_lo, 0, v9, vcc_lo
	s_delay_alu instid0(VALU_DEP_2) | instskip(NEXT) | instid1(VALU_DEP_2)
	v_add_co_u32 v16, vcc_lo, v12, s4
	v_add_co_ci_u32_e32 v17, vcc_lo, s5, v22, vcc_lo
	s_delay_alu instid0(VALU_DEP_1) | instskip(SKIP_1) | instid1(VALU_DEP_1)
	v_cmp_eq_u64_e32 vcc_lo, 0, v[16:17]
	v_dual_cndmask_b32 v17, v17, v22 :: v_dual_cndmask_b32 v16, v16, v12
	v_and_b32_e32 v9, v17, v9
	s_delay_alu instid0(VALU_DEP_2) | instskip(NEXT) | instid1(VALU_DEP_1)
	v_and_b32_e32 v8, v16, v8
	v_mul_hi_u32 v12, v8, 24
	v_mul_lo_u32 v8, v8, 24
	s_waitcnt vmcnt(0)
	s_delay_alu instid0(VALU_DEP_1) | instskip(SKIP_2) | instid1(VALU_DEP_1)
	v_add_co_u32 v8, vcc_lo, v18, v8
	v_mov_b32_e32 v18, v20
	v_mul_lo_u32 v9, v9, 24
	v_add_nc_u32_e32 v9, v12, v9
	s_delay_alu instid0(VALU_DEP_1)
	v_add_co_ci_u32_e32 v9, vcc_lo, v19, v9, vcc_lo
	v_mov_b32_e32 v19, v21
	global_store_b64 v[8:9], v[20:21], off
	s_waitcnt_vscnt null, 0x0
	global_atomic_cmpswap_b64 v[18:19], v13, v[16:19], s[2:3] offset:24 glc
	s_waitcnt vmcnt(0)
	v_cmp_ne_u64_e32 vcc_lo, v[18:19], v[20:21]
	s_and_b32 exec_lo, exec_lo, vcc_lo
	s_cbranch_execz .LBB309_30
; %bb.111:                              ;   in Loop: Header=BB309_31 Depth=1
	s_mov_b32 s0, 0
.LBB309_112:                            ;   Parent Loop BB309_31 Depth=1
                                        ; =>  This Inner Loop Header: Depth=2
	s_sleep 1
	global_store_b64 v[8:9], v[18:19], off
	s_waitcnt_vscnt null, 0x0
	global_atomic_cmpswap_b64 v[20:21], v13, v[16:19], s[2:3] offset:24 glc
	s_waitcnt vmcnt(0)
	v_cmp_eq_u64_e32 vcc_lo, v[20:21], v[18:19]
	v_dual_mov_b32 v18, v20 :: v_dual_mov_b32 v19, v21
	s_or_b32 s0, vcc_lo, s0
	s_delay_alu instid0(SALU_CYCLE_1)
	s_and_not1_b32 exec_lo, exec_lo, s0
	s_cbranch_execnz .LBB309_112
	s_branch .LBB309_30
.LBB309_113:
                                        ; implicit-def: $vgpr6_vgpr7
	s_cbranch_execnz .LBB309_115
	s_branch .LBB309_142
.LBB309_114:
	s_or_b32 exec_lo, exec_lo, s10
	s_branch .LBB309_142
.LBB309_115:
	v_readfirstlane_b32 s0, v37
	v_mov_b32_e32 v1, 0
	v_mov_b32_e32 v2, 0
	s_delay_alu instid0(VALU_DEP_3) | instskip(NEXT) | instid1(VALU_DEP_1)
	v_cmp_eq_u32_e64 s0, s0, v37
	s_and_saveexec_b32 s1, s0
	s_cbranch_execz .LBB309_121
; %bb.116:
	v_mov_b32_e32 v3, 0
	s_mov_b32 s4, exec_lo
	global_load_b64 v[8:9], v3, s[2:3] offset:24 glc
	s_waitcnt vmcnt(0)
	buffer_gl1_inv
	buffer_gl0_inv
	s_clause 0x1
	global_load_b64 v[1:2], v3, s[2:3] offset:40
	global_load_b64 v[6:7], v3, s[2:3]
	s_waitcnt vmcnt(1)
	v_and_b32_e32 v2, v2, v9
	v_and_b32_e32 v1, v1, v8
	s_delay_alu instid0(VALU_DEP_2) | instskip(NEXT) | instid1(VALU_DEP_2)
	v_mul_lo_u32 v2, v2, 24
	v_mul_hi_u32 v12, v1, 24
	v_mul_lo_u32 v1, v1, 24
	s_delay_alu instid0(VALU_DEP_2) | instskip(SKIP_1) | instid1(VALU_DEP_2)
	v_add_nc_u32_e32 v2, v12, v2
	s_waitcnt vmcnt(0)
	v_add_co_u32 v1, vcc_lo, v6, v1
	s_delay_alu instid0(VALU_DEP_2)
	v_add_co_ci_u32_e32 v2, vcc_lo, v7, v2, vcc_lo
	global_load_b64 v[6:7], v[1:2], off glc
	s_waitcnt vmcnt(0)
	global_atomic_cmpswap_b64 v[1:2], v3, v[6:9], s[2:3] offset:24 glc
	s_waitcnt vmcnt(0)
	buffer_gl1_inv
	buffer_gl0_inv
	v_cmpx_ne_u64_e64 v[1:2], v[8:9]
	s_cbranch_execz .LBB309_120
; %bb.117:
	s_mov_b32 s5, 0
	.p2align	6
.LBB309_118:                            ; =>This Inner Loop Header: Depth=1
	s_sleep 1
	s_clause 0x1
	global_load_b64 v[6:7], v3, s[2:3] offset:40
	global_load_b64 v[12:13], v3, s[2:3]
	v_dual_mov_b32 v9, v2 :: v_dual_mov_b32 v8, v1
	s_waitcnt vmcnt(1)
	s_delay_alu instid0(VALU_DEP_1) | instskip(SKIP_1) | instid1(VALU_DEP_1)
	v_and_b32_e32 v6, v6, v8
	s_waitcnt vmcnt(0)
	v_mad_u64_u32 v[1:2], null, v6, 24, v[12:13]
	v_and_b32_e32 v12, v7, v9
	s_delay_alu instid0(VALU_DEP_1) | instskip(NEXT) | instid1(VALU_DEP_1)
	v_mad_u64_u32 v[6:7], null, v12, 24, v[2:3]
	v_mov_b32_e32 v2, v6
	global_load_b64 v[6:7], v[1:2], off glc
	s_waitcnt vmcnt(0)
	global_atomic_cmpswap_b64 v[1:2], v3, v[6:9], s[2:3] offset:24 glc
	s_waitcnt vmcnt(0)
	buffer_gl1_inv
	buffer_gl0_inv
	v_cmp_eq_u64_e32 vcc_lo, v[1:2], v[8:9]
	s_or_b32 s5, vcc_lo, s5
	s_delay_alu instid0(SALU_CYCLE_1)
	s_and_not1_b32 exec_lo, exec_lo, s5
	s_cbranch_execnz .LBB309_118
; %bb.119:
	s_or_b32 exec_lo, exec_lo, s5
.LBB309_120:
	s_delay_alu instid0(SALU_CYCLE_1)
	s_or_b32 exec_lo, exec_lo, s4
.LBB309_121:
	s_delay_alu instid0(SALU_CYCLE_1)
	s_or_b32 exec_lo, exec_lo, s1
	v_mov_b32_e32 v12, 0
	v_readfirstlane_b32 s4, v1
	v_readfirstlane_b32 s5, v2
	s_mov_b32 s1, exec_lo
	s_clause 0x1
	global_load_b64 v[13:14], v12, s[2:3] offset:40
	global_load_b128 v[6:9], v12, s[2:3]
	s_waitcnt vmcnt(1)
	v_readfirstlane_b32 s6, v13
	v_readfirstlane_b32 s7, v14
	s_delay_alu instid0(VALU_DEP_1) | instskip(NEXT) | instid1(SALU_CYCLE_1)
	s_and_b64 s[6:7], s[4:5], s[6:7]
	s_mul_i32 s10, s7, 24
	s_mul_hi_u32 s11, s6, 24
	s_mul_i32 s12, s6, 24
	s_add_i32 s11, s11, s10
	s_waitcnt vmcnt(0)
	v_add_co_u32 v1, vcc_lo, v6, s12
	v_add_co_ci_u32_e32 v2, vcc_lo, s11, v7, vcc_lo
	s_and_saveexec_b32 s10, s0
	s_cbranch_execz .LBB309_123
; %bb.122:
	v_dual_mov_b32 v13, s1 :: v_dual_mov_b32 v14, v12
	v_dual_mov_b32 v15, 2 :: v_dual_mov_b32 v16, 1
	global_store_b128 v[1:2], v[13:16], off offset:8
.LBB309_123:
	s_or_b32 exec_lo, exec_lo, s10
	s_lshl_b64 s[6:7], s[6:7], 12
	s_mov_b32 s12, 0
	v_add_co_u32 v3, vcc_lo, v8, s6
	v_add_co_ci_u32_e32 v8, vcc_lo, s7, v9, vcc_lo
	s_mov_b32 s15, s12
	s_delay_alu instid0(VALU_DEP_2)
	v_add_co_u32 v14, vcc_lo, v3, v36
	s_mov_b32 s13, s12
	s_mov_b32 s14, s12
	v_and_or_b32 v10, 0xffffff1f, v10, 32
	v_mov_b32_e32 v13, v12
	v_readfirstlane_b32 s6, v3
	v_readfirstlane_b32 s7, v8
	v_dual_mov_b32 v19, s15 :: v_dual_mov_b32 v16, s12
	v_add_co_ci_u32_e32 v15, vcc_lo, 0, v8, vcc_lo
	v_dual_mov_b32 v18, s14 :: v_dual_mov_b32 v17, s13
	s_clause 0x3
	global_store_b128 v36, v[10:13], s[6:7]
	global_store_b128 v36, v[16:19], s[6:7] offset:16
	global_store_b128 v36, v[16:19], s[6:7] offset:32
	;; [unrolled: 1-line block ×3, first 2 shown]
	s_and_saveexec_b32 s1, s0
	s_cbranch_execz .LBB309_131
; %bb.124:
	v_dual_mov_b32 v3, 0 :: v_dual_mov_b32 v16, s4
	v_mov_b32_e32 v17, s5
	s_clause 0x1
	global_load_b64 v[18:19], v3, s[2:3] offset:32 glc
	global_load_b64 v[8:9], v3, s[2:3] offset:40
	s_waitcnt vmcnt(0)
	v_readfirstlane_b32 s6, v8
	v_readfirstlane_b32 s7, v9
	s_delay_alu instid0(VALU_DEP_1) | instskip(NEXT) | instid1(SALU_CYCLE_1)
	s_and_b64 s[6:7], s[6:7], s[4:5]
	s_mul_i32 s7, s7, 24
	s_mul_hi_u32 s10, s6, 24
	s_mul_i32 s6, s6, 24
	s_add_i32 s10, s10, s7
	v_add_co_u32 v10, vcc_lo, v6, s6
	v_add_co_ci_u32_e32 v11, vcc_lo, s10, v7, vcc_lo
	s_mov_b32 s6, exec_lo
	global_store_b64 v[10:11], v[18:19], off
	s_waitcnt_vscnt null, 0x0
	global_atomic_cmpswap_b64 v[8:9], v3, v[16:19], s[2:3] offset:32 glc
	s_waitcnt vmcnt(0)
	v_cmpx_ne_u64_e64 v[8:9], v[18:19]
	s_cbranch_execz .LBB309_127
; %bb.125:
	s_mov_b32 s7, 0
.LBB309_126:                            ; =>This Inner Loop Header: Depth=1
	v_dual_mov_b32 v6, s4 :: v_dual_mov_b32 v7, s5
	s_sleep 1
	global_store_b64 v[10:11], v[8:9], off
	s_waitcnt_vscnt null, 0x0
	global_atomic_cmpswap_b64 v[6:7], v3, v[6:9], s[2:3] offset:32 glc
	s_waitcnt vmcnt(0)
	v_cmp_eq_u64_e32 vcc_lo, v[6:7], v[8:9]
	v_dual_mov_b32 v9, v7 :: v_dual_mov_b32 v8, v6
	s_or_b32 s7, vcc_lo, s7
	s_delay_alu instid0(SALU_CYCLE_1)
	s_and_not1_b32 exec_lo, exec_lo, s7
	s_cbranch_execnz .LBB309_126
.LBB309_127:
	s_or_b32 exec_lo, exec_lo, s6
	v_mov_b32_e32 v9, 0
	s_mov_b32 s7, exec_lo
	s_mov_b32 s6, exec_lo
	v_mbcnt_lo_u32_b32 v3, s7, 0
	global_load_b64 v[6:7], v9, s[2:3] offset:16
	v_cmpx_eq_u32_e32 0, v3
	s_cbranch_execz .LBB309_129
; %bb.128:
	s_bcnt1_i32_b32 s7, s7
	s_delay_alu instid0(SALU_CYCLE_1)
	v_mov_b32_e32 v8, s7
	s_waitcnt vmcnt(0)
	global_atomic_add_u64 v[6:7], v[8:9], off offset:8
.LBB309_129:
	s_or_b32 exec_lo, exec_lo, s6
	s_waitcnt vmcnt(0)
	global_load_b64 v[8:9], v[6:7], off offset:16
	s_waitcnt vmcnt(0)
	v_cmp_eq_u64_e32 vcc_lo, 0, v[8:9]
	s_cbranch_vccnz .LBB309_131
; %bb.130:
	global_load_b32 v6, v[6:7], off offset:24
	v_mov_b32_e32 v7, 0
	s_waitcnt vmcnt(0)
	v_and_b32_e32 v3, 0xffffff, v6
	s_waitcnt_vscnt null, 0x0
	global_store_b64 v[8:9], v[6:7], off
	v_readfirstlane_b32 m0, v3
	s_sendmsg sendmsg(MSG_INTERRUPT)
.LBB309_131:
	s_or_b32 exec_lo, exec_lo, s1
	s_branch .LBB309_135
	.p2align	6
.LBB309_132:                            ;   in Loop: Header=BB309_135 Depth=1
	s_or_b32 exec_lo, exec_lo, s1
	s_delay_alu instid0(VALU_DEP_1) | instskip(NEXT) | instid1(VALU_DEP_1)
	v_readfirstlane_b32 s1, v3
	s_cmp_eq_u32 s1, 0
	s_cbranch_scc1 .LBB309_134
; %bb.133:                              ;   in Loop: Header=BB309_135 Depth=1
	s_sleep 1
	s_cbranch_execnz .LBB309_135
	s_branch .LBB309_137
	.p2align	6
.LBB309_134:
	s_branch .LBB309_137
.LBB309_135:                            ; =>This Inner Loop Header: Depth=1
	v_mov_b32_e32 v3, 1
	s_and_saveexec_b32 s1, s0
	s_cbranch_execz .LBB309_132
; %bb.136:                              ;   in Loop: Header=BB309_135 Depth=1
	global_load_b32 v3, v[1:2], off offset:20 glc
	s_waitcnt vmcnt(0)
	buffer_gl1_inv
	buffer_gl0_inv
	v_and_b32_e32 v3, 1, v3
	s_branch .LBB309_132
.LBB309_137:
	global_load_b64 v[6:7], v[14:15], off
	s_and_saveexec_b32 s1, s0
	s_cbranch_execz .LBB309_141
; %bb.138:
	v_mov_b32_e32 v3, 0
	s_clause 0x2
	global_load_b64 v[1:2], v3, s[2:3] offset:40
	global_load_b64 v[12:13], v3, s[2:3] offset:24 glc
	global_load_b64 v[10:11], v3, s[2:3]
	s_waitcnt vmcnt(2)
	v_add_co_u32 v14, vcc_lo, v1, 1
	v_add_co_ci_u32_e32 v15, vcc_lo, 0, v2, vcc_lo
	s_delay_alu instid0(VALU_DEP_2) | instskip(NEXT) | instid1(VALU_DEP_2)
	v_add_co_u32 v8, vcc_lo, v14, s4
	v_add_co_ci_u32_e32 v9, vcc_lo, s5, v15, vcc_lo
	s_delay_alu instid0(VALU_DEP_1) | instskip(SKIP_1) | instid1(VALU_DEP_1)
	v_cmp_eq_u64_e32 vcc_lo, 0, v[8:9]
	v_cndmask_b32_e32 v8, v8, v14, vcc_lo
	v_and_b32_e32 v1, v8, v1
	s_delay_alu instid0(VALU_DEP_1) | instskip(SKIP_2) | instid1(VALU_DEP_2)
	v_mul_hi_u32 v14, v1, 24
	v_cndmask_b32_e32 v9, v9, v15, vcc_lo
	v_mul_lo_u32 v1, v1, 24
	v_and_b32_e32 v2, v9, v2
	s_waitcnt vmcnt(0)
	s_delay_alu instid0(VALU_DEP_2) | instskip(NEXT) | instid1(VALU_DEP_2)
	v_add_co_u32 v1, vcc_lo, v10, v1
	v_mul_lo_u32 v2, v2, 24
	v_mov_b32_e32 v10, v12
	s_delay_alu instid0(VALU_DEP_2) | instskip(NEXT) | instid1(VALU_DEP_1)
	v_add_nc_u32_e32 v2, v14, v2
	v_add_co_ci_u32_e32 v2, vcc_lo, v11, v2, vcc_lo
	v_mov_b32_e32 v11, v13
	global_store_b64 v[1:2], v[12:13], off
	s_waitcnt_vscnt null, 0x0
	global_atomic_cmpswap_b64 v[10:11], v3, v[8:11], s[2:3] offset:24 glc
	s_waitcnt vmcnt(0)
	v_cmp_ne_u64_e32 vcc_lo, v[10:11], v[12:13]
	s_and_b32 exec_lo, exec_lo, vcc_lo
	s_cbranch_execz .LBB309_141
; %bb.139:
	s_mov_b32 s0, 0
.LBB309_140:                            ; =>This Inner Loop Header: Depth=1
	s_sleep 1
	global_store_b64 v[1:2], v[10:11], off
	s_waitcnt_vscnt null, 0x0
	global_atomic_cmpswap_b64 v[12:13], v3, v[8:11], s[2:3] offset:24 glc
	s_waitcnt vmcnt(0)
	v_cmp_eq_u64_e32 vcc_lo, v[12:13], v[10:11]
	v_dual_mov_b32 v10, v12 :: v_dual_mov_b32 v11, v13
	s_or_b32 s0, vcc_lo, s0
	s_delay_alu instid0(SALU_CYCLE_1)
	s_and_not1_b32 exec_lo, exec_lo, s0
	s_cbranch_execnz .LBB309_140
.LBB309_141:
	s_or_b32 exec_lo, exec_lo, s1
.LBB309_142:
	s_getpc_b64 s[4:5]
	s_add_u32 s4, s4, .str.2@rel32@lo+4
	s_addc_u32 s5, s5, .str.2@rel32@hi+12
	s_delay_alu instid0(SALU_CYCLE_1)
	s_cmp_lg_u64 s[4:5], 0
	s_cbranch_scc0 .LBB309_220
; %bb.143:
	s_getpc_b64 s[0:1]
	s_add_u32 s0, s0, .str.2@rel32@lo+82
	s_addc_u32 s1, s1, .str.2@rel32@hi+90
	s_waitcnt vmcnt(0)
	v_dual_mov_b32 v12, 0 :: v_dual_and_b32 v3, 2, v6
	v_dual_mov_b32 v9, v7 :: v_dual_and_b32 v8, -3, v6
	v_dual_mov_b32 v13, 2 :: v_dual_mov_b32 v14, 1
	s_sub_i32 s6, s0, s4
	s_delay_alu instid0(SALU_CYCLE_1)
	s_ashr_i32 s7, s6, 31
	s_branch .LBB309_145
.LBB309_144:                            ;   in Loop: Header=BB309_145 Depth=1
	s_or_b32 exec_lo, exec_lo, s1
	s_sub_u32 s6, s6, s10
	s_subb_u32 s7, s7, s11
	s_add_u32 s4, s4, s10
	s_addc_u32 s5, s5, s11
	s_cmp_lg_u64 s[6:7], 0
	s_cbranch_scc0 .LBB309_221
.LBB309_145:                            ; =>This Loop Header: Depth=1
                                        ;     Child Loop BB309_154 Depth 2
                                        ;     Child Loop BB309_150 Depth 2
	;; [unrolled: 1-line block ×11, first 2 shown]
	v_cmp_lt_u64_e64 s0, s[6:7], 56
	v_cmp_gt_u64_e64 s1, s[6:7], 7
                                        ; implicit-def: $vgpr17_vgpr18
                                        ; implicit-def: $sgpr16
	s_delay_alu instid0(VALU_DEP_2) | instskip(SKIP_2) | instid1(VALU_DEP_1)
	s_and_b32 s0, s0, exec_lo
	s_cselect_b32 s11, s7, 0
	s_cselect_b32 s10, s6, 56
	s_and_b32 vcc_lo, exec_lo, s1
	s_mov_b32 s0, -1
	s_cbranch_vccz .LBB309_152
; %bb.146:                              ;   in Loop: Header=BB309_145 Depth=1
	s_and_not1_b32 vcc_lo, exec_lo, s0
	s_mov_b64 s[0:1], s[4:5]
	s_cbranch_vccz .LBB309_156
.LBB309_147:                            ;   in Loop: Header=BB309_145 Depth=1
	s_cmp_gt_u32 s16, 7
	s_cbranch_scc1 .LBB309_157
.LBB309_148:                            ;   in Loop: Header=BB309_145 Depth=1
	v_mov_b32_e32 v19, 0
	v_mov_b32_e32 v20, 0
	s_cmp_eq_u32 s16, 0
	s_cbranch_scc1 .LBB309_151
; %bb.149:                              ;   in Loop: Header=BB309_145 Depth=1
	s_mov_b64 s[12:13], 0
	s_mov_b64 s[14:15], 0
.LBB309_150:                            ;   Parent Loop BB309_145 Depth=1
                                        ; =>  This Inner Loop Header: Depth=2
	s_delay_alu instid0(SALU_CYCLE_1)
	s_add_u32 s18, s0, s14
	s_addc_u32 s19, s1, s15
	s_add_u32 s14, s14, 1
	global_load_u8 v1, v12, s[18:19]
	s_addc_u32 s15, s15, 0
	s_waitcnt vmcnt(0)
	v_and_b32_e32 v11, 0xffff, v1
	s_delay_alu instid0(VALU_DEP_1) | instskip(SKIP_3) | instid1(VALU_DEP_1)
	v_lshlrev_b64 v[1:2], s12, v[11:12]
	s_add_u32 s12, s12, 8
	s_addc_u32 s13, s13, 0
	s_cmp_lg_u32 s16, s14
	v_or_b32_e32 v19, v1, v19
	s_delay_alu instid0(VALU_DEP_2)
	v_or_b32_e32 v20, v2, v20
	s_cbranch_scc1 .LBB309_150
.LBB309_151:                            ;   in Loop: Header=BB309_145 Depth=1
	s_mov_b32 s17, 0
	s_cbranch_execz .LBB309_158
	s_branch .LBB309_159
.LBB309_152:                            ;   in Loop: Header=BB309_145 Depth=1
	v_mov_b32_e32 v17, 0
	v_mov_b32_e32 v18, 0
	s_cmp_eq_u64 s[6:7], 0
	s_mov_b64 s[0:1], 0
	s_cbranch_scc1 .LBB309_155
; %bb.153:                              ;   in Loop: Header=BB309_145 Depth=1
	v_mov_b32_e32 v17, 0
	v_mov_b32_e32 v18, 0
	s_lshl_b64 s[12:13], s[10:11], 3
	s_mov_b64 s[14:15], s[4:5]
.LBB309_154:                            ;   Parent Loop BB309_145 Depth=1
                                        ; =>  This Inner Loop Header: Depth=2
	global_load_u8 v1, v12, s[14:15]
	s_waitcnt vmcnt(0)
	v_and_b32_e32 v11, 0xffff, v1
	s_delay_alu instid0(VALU_DEP_1)
	v_lshlrev_b64 v[1:2], s0, v[11:12]
	s_add_u32 s0, s0, 8
	s_addc_u32 s1, s1, 0
	s_add_u32 s14, s14, 1
	s_addc_u32 s15, s15, 0
	s_cmp_lg_u32 s12, s0
	v_or_b32_e32 v17, v1, v17
	v_or_b32_e32 v18, v2, v18
	s_cbranch_scc1 .LBB309_154
.LBB309_155:                            ;   in Loop: Header=BB309_145 Depth=1
	s_mov_b32 s16, 0
	s_mov_b64 s[0:1], s[4:5]
	s_cbranch_execnz .LBB309_147
.LBB309_156:                            ;   in Loop: Header=BB309_145 Depth=1
	global_load_b64 v[17:18], v12, s[4:5]
	s_add_i32 s16, s10, -8
	s_add_u32 s0, s4, 8
	s_addc_u32 s1, s5, 0
	s_cmp_gt_u32 s16, 7
	s_cbranch_scc0 .LBB309_148
.LBB309_157:                            ;   in Loop: Header=BB309_145 Depth=1
                                        ; implicit-def: $vgpr19_vgpr20
                                        ; implicit-def: $sgpr17
.LBB309_158:                            ;   in Loop: Header=BB309_145 Depth=1
	global_load_b64 v[19:20], v12, s[0:1]
	s_add_i32 s17, s16, -8
	s_add_u32 s0, s0, 8
	s_addc_u32 s1, s1, 0
.LBB309_159:                            ;   in Loop: Header=BB309_145 Depth=1
	s_cmp_gt_u32 s17, 7
	s_cbranch_scc1 .LBB309_164
; %bb.160:                              ;   in Loop: Header=BB309_145 Depth=1
	v_mov_b32_e32 v21, 0
	v_mov_b32_e32 v22, 0
	s_cmp_eq_u32 s17, 0
	s_cbranch_scc1 .LBB309_163
; %bb.161:                              ;   in Loop: Header=BB309_145 Depth=1
	s_mov_b64 s[12:13], 0
	s_mov_b64 s[14:15], 0
.LBB309_162:                            ;   Parent Loop BB309_145 Depth=1
                                        ; =>  This Inner Loop Header: Depth=2
	s_delay_alu instid0(SALU_CYCLE_1)
	s_add_u32 s18, s0, s14
	s_addc_u32 s19, s1, s15
	s_add_u32 s14, s14, 1
	global_load_u8 v1, v12, s[18:19]
	s_addc_u32 s15, s15, 0
	s_waitcnt vmcnt(0)
	v_and_b32_e32 v11, 0xffff, v1
	s_delay_alu instid0(VALU_DEP_1) | instskip(SKIP_3) | instid1(VALU_DEP_1)
	v_lshlrev_b64 v[1:2], s12, v[11:12]
	s_add_u32 s12, s12, 8
	s_addc_u32 s13, s13, 0
	s_cmp_lg_u32 s17, s14
	v_or_b32_e32 v21, v1, v21
	s_delay_alu instid0(VALU_DEP_2)
	v_or_b32_e32 v22, v2, v22
	s_cbranch_scc1 .LBB309_162
.LBB309_163:                            ;   in Loop: Header=BB309_145 Depth=1
	s_mov_b32 s16, 0
	s_cbranch_execz .LBB309_165
	s_branch .LBB309_166
.LBB309_164:                            ;   in Loop: Header=BB309_145 Depth=1
                                        ; implicit-def: $sgpr16
.LBB309_165:                            ;   in Loop: Header=BB309_145 Depth=1
	global_load_b64 v[21:22], v12, s[0:1]
	s_add_i32 s16, s17, -8
	s_add_u32 s0, s0, 8
	s_addc_u32 s1, s1, 0
.LBB309_166:                            ;   in Loop: Header=BB309_145 Depth=1
	s_cmp_gt_u32 s16, 7
	s_cbranch_scc1 .LBB309_171
; %bb.167:                              ;   in Loop: Header=BB309_145 Depth=1
	v_mov_b32_e32 v23, 0
	v_mov_b32_e32 v24, 0
	s_cmp_eq_u32 s16, 0
	s_cbranch_scc1 .LBB309_170
; %bb.168:                              ;   in Loop: Header=BB309_145 Depth=1
	s_mov_b64 s[12:13], 0
	s_mov_b64 s[14:15], 0
.LBB309_169:                            ;   Parent Loop BB309_145 Depth=1
                                        ; =>  This Inner Loop Header: Depth=2
	s_delay_alu instid0(SALU_CYCLE_1)
	s_add_u32 s18, s0, s14
	s_addc_u32 s19, s1, s15
	s_add_u32 s14, s14, 1
	global_load_u8 v1, v12, s[18:19]
	s_addc_u32 s15, s15, 0
	s_waitcnt vmcnt(0)
	v_and_b32_e32 v11, 0xffff, v1
	s_delay_alu instid0(VALU_DEP_1) | instskip(SKIP_3) | instid1(VALU_DEP_1)
	v_lshlrev_b64 v[1:2], s12, v[11:12]
	s_add_u32 s12, s12, 8
	s_addc_u32 s13, s13, 0
	s_cmp_lg_u32 s16, s14
	v_or_b32_e32 v23, v1, v23
	s_delay_alu instid0(VALU_DEP_2)
	v_or_b32_e32 v24, v2, v24
	s_cbranch_scc1 .LBB309_169
.LBB309_170:                            ;   in Loop: Header=BB309_145 Depth=1
	s_mov_b32 s17, 0
	s_cbranch_execz .LBB309_172
	s_branch .LBB309_173
.LBB309_171:                            ;   in Loop: Header=BB309_145 Depth=1
                                        ; implicit-def: $vgpr23_vgpr24
                                        ; implicit-def: $sgpr17
.LBB309_172:                            ;   in Loop: Header=BB309_145 Depth=1
	global_load_b64 v[23:24], v12, s[0:1]
	s_add_i32 s17, s16, -8
	s_add_u32 s0, s0, 8
	s_addc_u32 s1, s1, 0
.LBB309_173:                            ;   in Loop: Header=BB309_145 Depth=1
	s_cmp_gt_u32 s17, 7
	s_cbranch_scc1 .LBB309_178
; %bb.174:                              ;   in Loop: Header=BB309_145 Depth=1
	v_mov_b32_e32 v25, 0
	v_mov_b32_e32 v26, 0
	s_cmp_eq_u32 s17, 0
	s_cbranch_scc1 .LBB309_177
; %bb.175:                              ;   in Loop: Header=BB309_145 Depth=1
	s_mov_b64 s[12:13], 0
	s_mov_b64 s[14:15], 0
.LBB309_176:                            ;   Parent Loop BB309_145 Depth=1
                                        ; =>  This Inner Loop Header: Depth=2
	s_delay_alu instid0(SALU_CYCLE_1)
	s_add_u32 s18, s0, s14
	s_addc_u32 s19, s1, s15
	s_add_u32 s14, s14, 1
	global_load_u8 v1, v12, s[18:19]
	s_addc_u32 s15, s15, 0
	s_waitcnt vmcnt(0)
	v_and_b32_e32 v11, 0xffff, v1
	s_delay_alu instid0(VALU_DEP_1) | instskip(SKIP_3) | instid1(VALU_DEP_1)
	v_lshlrev_b64 v[1:2], s12, v[11:12]
	s_add_u32 s12, s12, 8
	s_addc_u32 s13, s13, 0
	s_cmp_lg_u32 s17, s14
	v_or_b32_e32 v25, v1, v25
	s_delay_alu instid0(VALU_DEP_2)
	v_or_b32_e32 v26, v2, v26
	s_cbranch_scc1 .LBB309_176
.LBB309_177:                            ;   in Loop: Header=BB309_145 Depth=1
	s_mov_b32 s16, 0
	s_cbranch_execz .LBB309_179
	s_branch .LBB309_180
.LBB309_178:                            ;   in Loop: Header=BB309_145 Depth=1
                                        ; implicit-def: $sgpr16
.LBB309_179:                            ;   in Loop: Header=BB309_145 Depth=1
	global_load_b64 v[25:26], v12, s[0:1]
	s_add_i32 s16, s17, -8
	s_add_u32 s0, s0, 8
	s_addc_u32 s1, s1, 0
.LBB309_180:                            ;   in Loop: Header=BB309_145 Depth=1
	s_cmp_gt_u32 s16, 7
	s_cbranch_scc1 .LBB309_185
; %bb.181:                              ;   in Loop: Header=BB309_145 Depth=1
	v_mov_b32_e32 v27, 0
	v_mov_b32_e32 v28, 0
	s_cmp_eq_u32 s16, 0
	s_cbranch_scc1 .LBB309_184
; %bb.182:                              ;   in Loop: Header=BB309_145 Depth=1
	s_mov_b64 s[12:13], 0
	s_mov_b64 s[14:15], 0
.LBB309_183:                            ;   Parent Loop BB309_145 Depth=1
                                        ; =>  This Inner Loop Header: Depth=2
	s_delay_alu instid0(SALU_CYCLE_1)
	s_add_u32 s18, s0, s14
	s_addc_u32 s19, s1, s15
	s_add_u32 s14, s14, 1
	global_load_u8 v1, v12, s[18:19]
	s_addc_u32 s15, s15, 0
	s_waitcnt vmcnt(0)
	v_and_b32_e32 v11, 0xffff, v1
	s_delay_alu instid0(VALU_DEP_1) | instskip(SKIP_3) | instid1(VALU_DEP_1)
	v_lshlrev_b64 v[1:2], s12, v[11:12]
	s_add_u32 s12, s12, 8
	s_addc_u32 s13, s13, 0
	s_cmp_lg_u32 s16, s14
	v_or_b32_e32 v27, v1, v27
	s_delay_alu instid0(VALU_DEP_2)
	v_or_b32_e32 v28, v2, v28
	s_cbranch_scc1 .LBB309_183
.LBB309_184:                            ;   in Loop: Header=BB309_145 Depth=1
	s_mov_b32 s17, 0
	s_cbranch_execz .LBB309_186
	s_branch .LBB309_187
.LBB309_185:                            ;   in Loop: Header=BB309_145 Depth=1
                                        ; implicit-def: $vgpr27_vgpr28
                                        ; implicit-def: $sgpr17
.LBB309_186:                            ;   in Loop: Header=BB309_145 Depth=1
	global_load_b64 v[27:28], v12, s[0:1]
	s_add_i32 s17, s16, -8
	s_add_u32 s0, s0, 8
	s_addc_u32 s1, s1, 0
.LBB309_187:                            ;   in Loop: Header=BB309_145 Depth=1
	s_cmp_gt_u32 s17, 7
	s_cbranch_scc1 .LBB309_192
; %bb.188:                              ;   in Loop: Header=BB309_145 Depth=1
	v_mov_b32_e32 v29, 0
	v_mov_b32_e32 v30, 0
	s_cmp_eq_u32 s17, 0
	s_cbranch_scc1 .LBB309_191
; %bb.189:                              ;   in Loop: Header=BB309_145 Depth=1
	s_mov_b64 s[12:13], 0
	s_mov_b64 s[14:15], s[0:1]
.LBB309_190:                            ;   Parent Loop BB309_145 Depth=1
                                        ; =>  This Inner Loop Header: Depth=2
	global_load_u8 v1, v12, s[14:15]
	s_add_i32 s17, s17, -1
	s_waitcnt vmcnt(0)
	v_and_b32_e32 v11, 0xffff, v1
	s_delay_alu instid0(VALU_DEP_1)
	v_lshlrev_b64 v[1:2], s12, v[11:12]
	s_add_u32 s12, s12, 8
	s_addc_u32 s13, s13, 0
	s_add_u32 s14, s14, 1
	s_addc_u32 s15, s15, 0
	s_cmp_lg_u32 s17, 0
	v_or_b32_e32 v29, v1, v29
	v_or_b32_e32 v30, v2, v30
	s_cbranch_scc1 .LBB309_190
.LBB309_191:                            ;   in Loop: Header=BB309_145 Depth=1
	s_cbranch_execz .LBB309_193
	s_branch .LBB309_194
.LBB309_192:                            ;   in Loop: Header=BB309_145 Depth=1
.LBB309_193:                            ;   in Loop: Header=BB309_145 Depth=1
	global_load_b64 v[29:30], v12, s[0:1]
.LBB309_194:                            ;   in Loop: Header=BB309_145 Depth=1
	v_readfirstlane_b32 s0, v37
	v_mov_b32_e32 v1, 0
	v_mov_b32_e32 v2, 0
	s_delay_alu instid0(VALU_DEP_3) | instskip(NEXT) | instid1(VALU_DEP_1)
	v_cmp_eq_u32_e64 s0, s0, v37
	s_and_saveexec_b32 s1, s0
	s_cbranch_execz .LBB309_200
; %bb.195:                              ;   in Loop: Header=BB309_145 Depth=1
	global_load_b64 v[33:34], v12, s[2:3] offset:24 glc
	s_waitcnt vmcnt(0)
	buffer_gl1_inv
	buffer_gl0_inv
	s_clause 0x1
	global_load_b64 v[1:2], v12, s[2:3] offset:40
	global_load_b64 v[10:11], v12, s[2:3]
	s_mov_b32 s12, exec_lo
	s_waitcnt vmcnt(1)
	v_and_b32_e32 v2, v2, v34
	v_and_b32_e32 v1, v1, v33
	s_delay_alu instid0(VALU_DEP_2) | instskip(NEXT) | instid1(VALU_DEP_2)
	v_mul_lo_u32 v2, v2, 24
	v_mul_hi_u32 v15, v1, 24
	v_mul_lo_u32 v1, v1, 24
	s_delay_alu instid0(VALU_DEP_2) | instskip(SKIP_1) | instid1(VALU_DEP_2)
	v_add_nc_u32_e32 v2, v15, v2
	s_waitcnt vmcnt(0)
	v_add_co_u32 v1, vcc_lo, v10, v1
	s_delay_alu instid0(VALU_DEP_2)
	v_add_co_ci_u32_e32 v2, vcc_lo, v11, v2, vcc_lo
	global_load_b64 v[31:32], v[1:2], off glc
	s_waitcnt vmcnt(0)
	global_atomic_cmpswap_b64 v[1:2], v12, v[31:34], s[2:3] offset:24 glc
	s_waitcnt vmcnt(0)
	buffer_gl1_inv
	buffer_gl0_inv
	v_cmpx_ne_u64_e64 v[1:2], v[33:34]
	s_cbranch_execz .LBB309_199
; %bb.196:                              ;   in Loop: Header=BB309_145 Depth=1
	s_mov_b32 s13, 0
	.p2align	6
.LBB309_197:                            ;   Parent Loop BB309_145 Depth=1
                                        ; =>  This Inner Loop Header: Depth=2
	s_sleep 1
	s_clause 0x1
	global_load_b64 v[10:11], v12, s[2:3] offset:40
	global_load_b64 v[15:16], v12, s[2:3]
	v_dual_mov_b32 v34, v2 :: v_dual_mov_b32 v33, v1
	s_waitcnt vmcnt(1)
	s_delay_alu instid0(VALU_DEP_1) | instskip(SKIP_1) | instid1(VALU_DEP_1)
	v_and_b32_e32 v10, v10, v33
	s_waitcnt vmcnt(0)
	v_mad_u64_u32 v[1:2], null, v10, 24, v[15:16]
	v_and_b32_e32 v15, v11, v34
	s_delay_alu instid0(VALU_DEP_1) | instskip(NEXT) | instid1(VALU_DEP_1)
	v_mad_u64_u32 v[10:11], null, v15, 24, v[2:3]
	v_mov_b32_e32 v2, v10
	global_load_b64 v[31:32], v[1:2], off glc
	s_waitcnt vmcnt(0)
	global_atomic_cmpswap_b64 v[1:2], v12, v[31:34], s[2:3] offset:24 glc
	s_waitcnt vmcnt(0)
	buffer_gl1_inv
	buffer_gl0_inv
	v_cmp_eq_u64_e32 vcc_lo, v[1:2], v[33:34]
	s_or_b32 s13, vcc_lo, s13
	s_delay_alu instid0(SALU_CYCLE_1)
	s_and_not1_b32 exec_lo, exec_lo, s13
	s_cbranch_execnz .LBB309_197
; %bb.198:                              ;   in Loop: Header=BB309_145 Depth=1
	s_or_b32 exec_lo, exec_lo, s13
.LBB309_199:                            ;   in Loop: Header=BB309_145 Depth=1
	s_delay_alu instid0(SALU_CYCLE_1)
	s_or_b32 exec_lo, exec_lo, s12
.LBB309_200:                            ;   in Loop: Header=BB309_145 Depth=1
	s_delay_alu instid0(SALU_CYCLE_1)
	s_or_b32 exec_lo, exec_lo, s1
	s_clause 0x1
	global_load_b64 v[10:11], v12, s[2:3] offset:40
	global_load_b128 v[31:34], v12, s[2:3]
	v_readfirstlane_b32 s12, v1
	v_readfirstlane_b32 s13, v2
	s_mov_b32 s1, exec_lo
	s_waitcnt vmcnt(1)
	v_readfirstlane_b32 s14, v10
	v_readfirstlane_b32 s15, v11
	s_delay_alu instid0(VALU_DEP_1) | instskip(NEXT) | instid1(SALU_CYCLE_1)
	s_and_b64 s[14:15], s[12:13], s[14:15]
	s_mul_i32 s16, s15, 24
	s_mul_hi_u32 s17, s14, 24
	s_mul_i32 s18, s14, 24
	s_add_i32 s17, s17, s16
	s_waitcnt vmcnt(0)
	v_add_co_u32 v1, vcc_lo, v31, s18
	v_add_co_ci_u32_e32 v2, vcc_lo, s17, v32, vcc_lo
	s_and_saveexec_b32 s16, s0
	s_cbranch_execz .LBB309_202
; %bb.201:                              ;   in Loop: Header=BB309_145 Depth=1
	v_mov_b32_e32 v11, s1
	global_store_b128 v[1:2], v[11:14], off offset:8
.LBB309_202:                            ;   in Loop: Header=BB309_145 Depth=1
	s_or_b32 exec_lo, exec_lo, s16
	s_lshl_b64 s[14:15], s[14:15], 12
	v_cmp_gt_u64_e64 vcc_lo, s[6:7], 56
	v_or_b32_e32 v11, v8, v3
	v_add_co_u32 v33, s1, v33, s14
	s_delay_alu instid0(VALU_DEP_1)
	v_add_co_ci_u32_e64 v34, s1, s15, v34, s1
	s_lshl_b32 s1, s10, 2
	v_or_b32_e32 v10, 0, v9
	v_cndmask_b32_e32 v8, v11, v8, vcc_lo
	s_add_i32 s1, s1, 28
	v_readfirstlane_b32 s14, v33
	s_and_b32 s1, s1, 0x1e0
	v_cndmask_b32_e32 v16, v10, v9, vcc_lo
	v_readfirstlane_b32 s15, v34
	v_and_or_b32 v15, 0xffffff1f, v8, s1
	s_clause 0x3
	global_store_b128 v36, v[15:18], s[14:15]
	global_store_b128 v36, v[19:22], s[14:15] offset:16
	global_store_b128 v36, v[23:26], s[14:15] offset:32
	global_store_b128 v36, v[27:30], s[14:15] offset:48
	s_and_saveexec_b32 s1, s0
	s_cbranch_execz .LBB309_210
; %bb.203:                              ;   in Loop: Header=BB309_145 Depth=1
	s_clause 0x1
	global_load_b64 v[19:20], v12, s[2:3] offset:32 glc
	global_load_b64 v[8:9], v12, s[2:3] offset:40
	v_dual_mov_b32 v17, s12 :: v_dual_mov_b32 v18, s13
	s_waitcnt vmcnt(0)
	v_readfirstlane_b32 s14, v8
	v_readfirstlane_b32 s15, v9
	s_delay_alu instid0(VALU_DEP_1) | instskip(NEXT) | instid1(SALU_CYCLE_1)
	s_and_b64 s[14:15], s[14:15], s[12:13]
	s_mul_i32 s15, s15, 24
	s_mul_hi_u32 s16, s14, 24
	s_mul_i32 s14, s14, 24
	s_add_i32 s16, s16, s15
	v_add_co_u32 v15, vcc_lo, v31, s14
	v_add_co_ci_u32_e32 v16, vcc_lo, s16, v32, vcc_lo
	s_mov_b32 s14, exec_lo
	global_store_b64 v[15:16], v[19:20], off
	s_waitcnt_vscnt null, 0x0
	global_atomic_cmpswap_b64 v[10:11], v12, v[17:20], s[2:3] offset:32 glc
	s_waitcnt vmcnt(0)
	v_cmpx_ne_u64_e64 v[10:11], v[19:20]
	s_cbranch_execz .LBB309_206
; %bb.204:                              ;   in Loop: Header=BB309_145 Depth=1
	s_mov_b32 s15, 0
.LBB309_205:                            ;   Parent Loop BB309_145 Depth=1
                                        ; =>  This Inner Loop Header: Depth=2
	v_dual_mov_b32 v8, s12 :: v_dual_mov_b32 v9, s13
	s_sleep 1
	global_store_b64 v[15:16], v[10:11], off
	s_waitcnt_vscnt null, 0x0
	global_atomic_cmpswap_b64 v[8:9], v12, v[8:11], s[2:3] offset:32 glc
	s_waitcnt vmcnt(0)
	v_cmp_eq_u64_e32 vcc_lo, v[8:9], v[10:11]
	v_dual_mov_b32 v11, v9 :: v_dual_mov_b32 v10, v8
	s_or_b32 s15, vcc_lo, s15
	s_delay_alu instid0(SALU_CYCLE_1)
	s_and_not1_b32 exec_lo, exec_lo, s15
	s_cbranch_execnz .LBB309_205
.LBB309_206:                            ;   in Loop: Header=BB309_145 Depth=1
	s_or_b32 exec_lo, exec_lo, s14
	global_load_b64 v[8:9], v12, s[2:3] offset:16
	s_mov_b32 s15, exec_lo
	s_mov_b32 s14, exec_lo
	v_mbcnt_lo_u32_b32 v10, s15, 0
	s_delay_alu instid0(VALU_DEP_1)
	v_cmpx_eq_u32_e32 0, v10
	s_cbranch_execz .LBB309_208
; %bb.207:                              ;   in Loop: Header=BB309_145 Depth=1
	s_bcnt1_i32_b32 s15, s15
	s_delay_alu instid0(SALU_CYCLE_1)
	v_mov_b32_e32 v11, s15
	s_waitcnt vmcnt(0)
	global_atomic_add_u64 v[8:9], v[11:12], off offset:8
.LBB309_208:                            ;   in Loop: Header=BB309_145 Depth=1
	s_or_b32 exec_lo, exec_lo, s14
	s_waitcnt vmcnt(0)
	global_load_b64 v[15:16], v[8:9], off offset:16
	s_waitcnt vmcnt(0)
	v_cmp_eq_u64_e32 vcc_lo, 0, v[15:16]
	s_cbranch_vccnz .LBB309_210
; %bb.209:                              ;   in Loop: Header=BB309_145 Depth=1
	global_load_b32 v11, v[8:9], off offset:24
	s_waitcnt vmcnt(0)
	v_and_b32_e32 v8, 0xffffff, v11
	s_waitcnt_vscnt null, 0x0
	global_store_b64 v[15:16], v[11:12], off
	v_readfirstlane_b32 m0, v8
	s_sendmsg sendmsg(MSG_INTERRUPT)
.LBB309_210:                            ;   in Loop: Header=BB309_145 Depth=1
	s_or_b32 exec_lo, exec_lo, s1
	v_add_co_u32 v8, vcc_lo, v33, v36
	v_add_co_ci_u32_e32 v9, vcc_lo, 0, v34, vcc_lo
	s_branch .LBB309_214
	.p2align	6
.LBB309_211:                            ;   in Loop: Header=BB309_214 Depth=2
	s_or_b32 exec_lo, exec_lo, s1
	s_delay_alu instid0(VALU_DEP_1) | instskip(NEXT) | instid1(VALU_DEP_1)
	v_readfirstlane_b32 s1, v10
	s_cmp_eq_u32 s1, 0
	s_cbranch_scc1 .LBB309_213
; %bb.212:                              ;   in Loop: Header=BB309_214 Depth=2
	s_sleep 1
	s_cbranch_execnz .LBB309_214
	s_branch .LBB309_216
	.p2align	6
.LBB309_213:                            ;   in Loop: Header=BB309_145 Depth=1
	s_branch .LBB309_216
.LBB309_214:                            ;   Parent Loop BB309_145 Depth=1
                                        ; =>  This Inner Loop Header: Depth=2
	v_mov_b32_e32 v10, 1
	s_and_saveexec_b32 s1, s0
	s_cbranch_execz .LBB309_211
; %bb.215:                              ;   in Loop: Header=BB309_214 Depth=2
	global_load_b32 v10, v[1:2], off offset:20 glc
	s_waitcnt vmcnt(0)
	buffer_gl1_inv
	buffer_gl0_inv
	v_and_b32_e32 v10, 1, v10
	s_branch .LBB309_211
.LBB309_216:                            ;   in Loop: Header=BB309_145 Depth=1
	global_load_b128 v[8:11], v[8:9], off
	s_and_saveexec_b32 s1, s0
	s_cbranch_execz .LBB309_144
; %bb.217:                              ;   in Loop: Header=BB309_145 Depth=1
	s_clause 0x2
	global_load_b64 v[1:2], v12, s[2:3] offset:40
	global_load_b64 v[10:11], v12, s[2:3] offset:24 glc
	global_load_b64 v[17:18], v12, s[2:3]
	s_waitcnt vmcnt(2)
	v_add_co_u32 v19, vcc_lo, v1, 1
	v_add_co_ci_u32_e32 v20, vcc_lo, 0, v2, vcc_lo
	s_delay_alu instid0(VALU_DEP_2) | instskip(NEXT) | instid1(VALU_DEP_2)
	v_add_co_u32 v15, vcc_lo, v19, s12
	v_add_co_ci_u32_e32 v16, vcc_lo, s13, v20, vcc_lo
	s_delay_alu instid0(VALU_DEP_1) | instskip(SKIP_1) | instid1(VALU_DEP_1)
	v_cmp_eq_u64_e32 vcc_lo, 0, v[15:16]
	v_dual_cndmask_b32 v16, v16, v20 :: v_dual_cndmask_b32 v15, v15, v19
	v_and_b32_e32 v2, v16, v2
	s_delay_alu instid0(VALU_DEP_2) | instskip(NEXT) | instid1(VALU_DEP_1)
	v_and_b32_e32 v1, v15, v1
	v_mul_hi_u32 v19, v1, 24
	v_mul_lo_u32 v1, v1, 24
	s_waitcnt vmcnt(0)
	s_delay_alu instid0(VALU_DEP_1) | instskip(SKIP_2) | instid1(VALU_DEP_1)
	v_add_co_u32 v1, vcc_lo, v17, v1
	v_mov_b32_e32 v17, v10
	v_mul_lo_u32 v2, v2, 24
	v_add_nc_u32_e32 v2, v19, v2
	s_delay_alu instid0(VALU_DEP_1)
	v_add_co_ci_u32_e32 v2, vcc_lo, v18, v2, vcc_lo
	v_mov_b32_e32 v18, v11
	global_store_b64 v[1:2], v[10:11], off
	s_waitcnt_vscnt null, 0x0
	global_atomic_cmpswap_b64 v[17:18], v12, v[15:18], s[2:3] offset:24 glc
	s_waitcnt vmcnt(0)
	v_cmp_ne_u64_e32 vcc_lo, v[17:18], v[10:11]
	s_and_b32 exec_lo, exec_lo, vcc_lo
	s_cbranch_execz .LBB309_144
; %bb.218:                              ;   in Loop: Header=BB309_145 Depth=1
	s_mov_b32 s0, 0
.LBB309_219:                            ;   Parent Loop BB309_145 Depth=1
                                        ; =>  This Inner Loop Header: Depth=2
	s_sleep 1
	global_store_b64 v[1:2], v[17:18], off
	s_waitcnt_vscnt null, 0x0
	global_atomic_cmpswap_b64 v[10:11], v12, v[15:18], s[2:3] offset:24 glc
	s_waitcnt vmcnt(0)
	v_cmp_eq_u64_e32 vcc_lo, v[10:11], v[17:18]
	v_dual_mov_b32 v18, v11 :: v_dual_mov_b32 v17, v10
	s_or_b32 s0, vcc_lo, s0
	s_delay_alu instid0(SALU_CYCLE_1)
	s_and_not1_b32 exec_lo, exec_lo, s0
	s_cbranch_execnz .LBB309_219
	s_branch .LBB309_144
.LBB309_220:
                                        ; implicit-def: $vgpr8_vgpr9
	s_cbranch_execnz .LBB309_222
	s_branch .LBB309_249
.LBB309_221:
	s_branch .LBB309_249
.LBB309_222:
	v_readfirstlane_b32 s0, v37
	v_mov_b32_e32 v1, 0
	v_mov_b32_e32 v2, 0
	s_delay_alu instid0(VALU_DEP_3) | instskip(NEXT) | instid1(VALU_DEP_1)
	v_cmp_eq_u32_e64 s0, s0, v37
	s_and_saveexec_b32 s1, s0
	s_cbranch_execz .LBB309_228
; %bb.223:
	v_mov_b32_e32 v3, 0
	s_mov_b32 s4, exec_lo
	global_load_b64 v[10:11], v3, s[2:3] offset:24 glc
	s_waitcnt vmcnt(0)
	buffer_gl1_inv
	buffer_gl0_inv
	s_clause 0x1
	global_load_b64 v[1:2], v3, s[2:3] offset:40
	global_load_b64 v[8:9], v3, s[2:3]
	s_waitcnt vmcnt(1)
	v_and_b32_e32 v2, v2, v11
	v_and_b32_e32 v1, v1, v10
	s_delay_alu instid0(VALU_DEP_2) | instskip(NEXT) | instid1(VALU_DEP_2)
	v_mul_lo_u32 v2, v2, 24
	v_mul_hi_u32 v12, v1, 24
	v_mul_lo_u32 v1, v1, 24
	s_delay_alu instid0(VALU_DEP_2) | instskip(SKIP_1) | instid1(VALU_DEP_2)
	v_add_nc_u32_e32 v2, v12, v2
	s_waitcnt vmcnt(0)
	v_add_co_u32 v1, vcc_lo, v8, v1
	s_delay_alu instid0(VALU_DEP_2)
	v_add_co_ci_u32_e32 v2, vcc_lo, v9, v2, vcc_lo
	global_load_b64 v[8:9], v[1:2], off glc
	s_waitcnt vmcnt(0)
	global_atomic_cmpswap_b64 v[1:2], v3, v[8:11], s[2:3] offset:24 glc
	s_waitcnt vmcnt(0)
	buffer_gl1_inv
	buffer_gl0_inv
	v_cmpx_ne_u64_e64 v[1:2], v[10:11]
	s_cbranch_execz .LBB309_227
; %bb.224:
	s_mov_b32 s5, 0
	.p2align	6
.LBB309_225:                            ; =>This Inner Loop Header: Depth=1
	s_sleep 1
	s_clause 0x1
	global_load_b64 v[8:9], v3, s[2:3] offset:40
	global_load_b64 v[12:13], v3, s[2:3]
	v_dual_mov_b32 v11, v2 :: v_dual_mov_b32 v10, v1
	s_waitcnt vmcnt(1)
	s_delay_alu instid0(VALU_DEP_1) | instskip(SKIP_1) | instid1(VALU_DEP_1)
	v_and_b32_e32 v8, v8, v10
	s_waitcnt vmcnt(0)
	v_mad_u64_u32 v[1:2], null, v8, 24, v[12:13]
	v_and_b32_e32 v12, v9, v11
	s_delay_alu instid0(VALU_DEP_1) | instskip(NEXT) | instid1(VALU_DEP_1)
	v_mad_u64_u32 v[8:9], null, v12, 24, v[2:3]
	v_mov_b32_e32 v2, v8
	global_load_b64 v[8:9], v[1:2], off glc
	s_waitcnt vmcnt(0)
	global_atomic_cmpswap_b64 v[1:2], v3, v[8:11], s[2:3] offset:24 glc
	s_waitcnt vmcnt(0)
	buffer_gl1_inv
	buffer_gl0_inv
	v_cmp_eq_u64_e32 vcc_lo, v[1:2], v[10:11]
	s_or_b32 s5, vcc_lo, s5
	s_delay_alu instid0(SALU_CYCLE_1)
	s_and_not1_b32 exec_lo, exec_lo, s5
	s_cbranch_execnz .LBB309_225
; %bb.226:
	s_or_b32 exec_lo, exec_lo, s5
.LBB309_227:
	s_delay_alu instid0(SALU_CYCLE_1)
	s_or_b32 exec_lo, exec_lo, s4
.LBB309_228:
	s_delay_alu instid0(SALU_CYCLE_1)
	s_or_b32 exec_lo, exec_lo, s1
	s_waitcnt vmcnt(0)
	v_mov_b32_e32 v8, 0
	v_readfirstlane_b32 s4, v1
	v_readfirstlane_b32 s5, v2
	s_mov_b32 s1, exec_lo
	s_clause 0x1
	global_load_b64 v[14:15], v8, s[2:3] offset:40
	global_load_b128 v[10:13], v8, s[2:3]
	s_waitcnt vmcnt(1)
	v_readfirstlane_b32 s6, v14
	v_readfirstlane_b32 s7, v15
	s_delay_alu instid0(VALU_DEP_1) | instskip(NEXT) | instid1(SALU_CYCLE_1)
	s_and_b64 s[6:7], s[4:5], s[6:7]
	s_mul_i32 s10, s7, 24
	s_mul_hi_u32 s11, s6, 24
	s_mul_i32 s12, s6, 24
	s_add_i32 s11, s11, s10
	s_waitcnt vmcnt(0)
	v_add_co_u32 v1, vcc_lo, v10, s12
	v_add_co_ci_u32_e32 v2, vcc_lo, s11, v11, vcc_lo
	s_and_saveexec_b32 s10, s0
	s_cbranch_execz .LBB309_230
; %bb.229:
	v_dual_mov_b32 v14, s1 :: v_dual_mov_b32 v15, v8
	v_dual_mov_b32 v16, 2 :: v_dual_mov_b32 v17, 1
	global_store_b128 v[1:2], v[14:17], off offset:8
.LBB309_230:
	s_or_b32 exec_lo, exec_lo, s10
	s_lshl_b64 s[6:7], s[6:7], 12
	s_mov_b32 s12, 0
	v_add_co_u32 v3, vcc_lo, v12, s6
	v_add_co_ci_u32_e32 v13, vcc_lo, s7, v13, vcc_lo
	s_mov_b32 s15, s12
	s_delay_alu instid0(VALU_DEP_2)
	v_add_co_u32 v12, vcc_lo, v3, v36
	s_mov_b32 s13, s12
	s_mov_b32 s14, s12
	v_and_or_b32 v6, 0xffffff1f, v6, 32
	v_mov_b32_e32 v9, v8
	v_readfirstlane_b32 s6, v3
	v_readfirstlane_b32 s7, v13
	v_dual_mov_b32 v17, s15 :: v_dual_mov_b32 v14, s12
	v_add_co_ci_u32_e32 v13, vcc_lo, 0, v13, vcc_lo
	v_dual_mov_b32 v16, s14 :: v_dual_mov_b32 v15, s13
	s_clause 0x3
	global_store_b128 v36, v[6:9], s[6:7]
	global_store_b128 v36, v[14:17], s[6:7] offset:16
	global_store_b128 v36, v[14:17], s[6:7] offset:32
	;; [unrolled: 1-line block ×3, first 2 shown]
	s_and_saveexec_b32 s1, s0
	s_cbranch_execz .LBB309_238
; %bb.231:
	v_dual_mov_b32 v3, 0 :: v_dual_mov_b32 v14, s4
	v_mov_b32_e32 v15, s5
	s_clause 0x1
	global_load_b64 v[16:17], v3, s[2:3] offset:32 glc
	global_load_b64 v[6:7], v3, s[2:3] offset:40
	s_waitcnt vmcnt(0)
	v_readfirstlane_b32 s6, v6
	v_readfirstlane_b32 s7, v7
	s_delay_alu instid0(VALU_DEP_1) | instskip(NEXT) | instid1(SALU_CYCLE_1)
	s_and_b64 s[6:7], s[6:7], s[4:5]
	s_mul_i32 s7, s7, 24
	s_mul_hi_u32 s10, s6, 24
	s_mul_i32 s6, s6, 24
	s_add_i32 s10, s10, s7
	v_add_co_u32 v10, vcc_lo, v10, s6
	v_add_co_ci_u32_e32 v11, vcc_lo, s10, v11, vcc_lo
	s_mov_b32 s6, exec_lo
	global_store_b64 v[10:11], v[16:17], off
	s_waitcnt_vscnt null, 0x0
	global_atomic_cmpswap_b64 v[8:9], v3, v[14:17], s[2:3] offset:32 glc
	s_waitcnt vmcnt(0)
	v_cmpx_ne_u64_e64 v[8:9], v[16:17]
	s_cbranch_execz .LBB309_234
; %bb.232:
	s_mov_b32 s7, 0
.LBB309_233:                            ; =>This Inner Loop Header: Depth=1
	v_dual_mov_b32 v6, s4 :: v_dual_mov_b32 v7, s5
	s_sleep 1
	global_store_b64 v[10:11], v[8:9], off
	s_waitcnt_vscnt null, 0x0
	global_atomic_cmpswap_b64 v[6:7], v3, v[6:9], s[2:3] offset:32 glc
	s_waitcnt vmcnt(0)
	v_cmp_eq_u64_e32 vcc_lo, v[6:7], v[8:9]
	v_dual_mov_b32 v9, v7 :: v_dual_mov_b32 v8, v6
	s_or_b32 s7, vcc_lo, s7
	s_delay_alu instid0(SALU_CYCLE_1)
	s_and_not1_b32 exec_lo, exec_lo, s7
	s_cbranch_execnz .LBB309_233
.LBB309_234:
	s_or_b32 exec_lo, exec_lo, s6
	v_mov_b32_e32 v9, 0
	s_mov_b32 s7, exec_lo
	s_mov_b32 s6, exec_lo
	v_mbcnt_lo_u32_b32 v3, s7, 0
	global_load_b64 v[6:7], v9, s[2:3] offset:16
	v_cmpx_eq_u32_e32 0, v3
	s_cbranch_execz .LBB309_236
; %bb.235:
	s_bcnt1_i32_b32 s7, s7
	s_delay_alu instid0(SALU_CYCLE_1)
	v_mov_b32_e32 v8, s7
	s_waitcnt vmcnt(0)
	global_atomic_add_u64 v[6:7], v[8:9], off offset:8
.LBB309_236:
	s_or_b32 exec_lo, exec_lo, s6
	s_waitcnt vmcnt(0)
	global_load_b64 v[8:9], v[6:7], off offset:16
	s_waitcnt vmcnt(0)
	v_cmp_eq_u64_e32 vcc_lo, 0, v[8:9]
	s_cbranch_vccnz .LBB309_238
; %bb.237:
	global_load_b32 v6, v[6:7], off offset:24
	v_mov_b32_e32 v7, 0
	s_waitcnt vmcnt(0)
	v_and_b32_e32 v3, 0xffffff, v6
	s_waitcnt_vscnt null, 0x0
	global_store_b64 v[8:9], v[6:7], off
	v_readfirstlane_b32 m0, v3
	s_sendmsg sendmsg(MSG_INTERRUPT)
.LBB309_238:
	s_or_b32 exec_lo, exec_lo, s1
	s_branch .LBB309_242
	.p2align	6
.LBB309_239:                            ;   in Loop: Header=BB309_242 Depth=1
	s_or_b32 exec_lo, exec_lo, s1
	s_delay_alu instid0(VALU_DEP_1) | instskip(NEXT) | instid1(VALU_DEP_1)
	v_readfirstlane_b32 s1, v3
	s_cmp_eq_u32 s1, 0
	s_cbranch_scc1 .LBB309_241
; %bb.240:                              ;   in Loop: Header=BB309_242 Depth=1
	s_sleep 1
	s_cbranch_execnz .LBB309_242
	s_branch .LBB309_244
	.p2align	6
.LBB309_241:
	s_branch .LBB309_244
.LBB309_242:                            ; =>This Inner Loop Header: Depth=1
	v_mov_b32_e32 v3, 1
	s_and_saveexec_b32 s1, s0
	s_cbranch_execz .LBB309_239
; %bb.243:                              ;   in Loop: Header=BB309_242 Depth=1
	global_load_b32 v3, v[1:2], off offset:20 glc
	s_waitcnt vmcnt(0)
	buffer_gl1_inv
	buffer_gl0_inv
	v_and_b32_e32 v3, 1, v3
	s_branch .LBB309_239
.LBB309_244:
	global_load_b64 v[8:9], v[12:13], off
	s_and_saveexec_b32 s1, s0
	s_cbranch_execz .LBB309_248
; %bb.245:
	v_mov_b32_e32 v3, 0
	s_clause 0x2
	global_load_b64 v[1:2], v3, s[2:3] offset:40
	global_load_b64 v[6:7], v3, s[2:3] offset:24 glc
	global_load_b64 v[12:13], v3, s[2:3]
	s_waitcnt vmcnt(2)
	v_add_co_u32 v14, vcc_lo, v1, 1
	v_add_co_ci_u32_e32 v15, vcc_lo, 0, v2, vcc_lo
	s_delay_alu instid0(VALU_DEP_2) | instskip(NEXT) | instid1(VALU_DEP_2)
	v_add_co_u32 v10, vcc_lo, v14, s4
	v_add_co_ci_u32_e32 v11, vcc_lo, s5, v15, vcc_lo
	s_delay_alu instid0(VALU_DEP_1) | instskip(SKIP_1) | instid1(VALU_DEP_1)
	v_cmp_eq_u64_e32 vcc_lo, 0, v[10:11]
	v_cndmask_b32_e32 v10, v10, v14, vcc_lo
	v_and_b32_e32 v1, v10, v1
	s_delay_alu instid0(VALU_DEP_1) | instskip(SKIP_2) | instid1(VALU_DEP_2)
	v_mul_hi_u32 v14, v1, 24
	v_cndmask_b32_e32 v11, v11, v15, vcc_lo
	v_mul_lo_u32 v1, v1, 24
	v_and_b32_e32 v2, v11, v2
	s_waitcnt vmcnt(0)
	s_delay_alu instid0(VALU_DEP_2) | instskip(NEXT) | instid1(VALU_DEP_2)
	v_add_co_u32 v1, vcc_lo, v12, v1
	v_mul_lo_u32 v2, v2, 24
	v_mov_b32_e32 v12, v6
	s_delay_alu instid0(VALU_DEP_2) | instskip(NEXT) | instid1(VALU_DEP_1)
	v_add_nc_u32_e32 v2, v14, v2
	v_add_co_ci_u32_e32 v2, vcc_lo, v13, v2, vcc_lo
	v_mov_b32_e32 v13, v7
	global_store_b64 v[1:2], v[6:7], off
	s_waitcnt_vscnt null, 0x0
	global_atomic_cmpswap_b64 v[12:13], v3, v[10:13], s[2:3] offset:24 glc
	s_waitcnt vmcnt(0)
	v_cmp_ne_u64_e32 vcc_lo, v[12:13], v[6:7]
	s_and_b32 exec_lo, exec_lo, vcc_lo
	s_cbranch_execz .LBB309_248
; %bb.246:
	s_mov_b32 s0, 0
.LBB309_247:                            ; =>This Inner Loop Header: Depth=1
	s_sleep 1
	global_store_b64 v[1:2], v[12:13], off
	s_waitcnt_vscnt null, 0x0
	global_atomic_cmpswap_b64 v[6:7], v3, v[10:13], s[2:3] offset:24 glc
	s_waitcnt vmcnt(0)
	v_cmp_eq_u64_e32 vcc_lo, v[6:7], v[12:13]
	v_dual_mov_b32 v13, v7 :: v_dual_mov_b32 v12, v6
	s_or_b32 s0, vcc_lo, s0
	s_delay_alu instid0(SALU_CYCLE_1)
	s_and_not1_b32 exec_lo, exec_lo, s0
	s_cbranch_execnz .LBB309_247
.LBB309_248:
	s_or_b32 exec_lo, exec_lo, s1
.LBB309_249:
	v_readfirstlane_b32 s0, v37
	v_mov_b32_e32 v1, 0
	v_mov_b32_e32 v2, 0
	s_delay_alu instid0(VALU_DEP_3) | instskip(NEXT) | instid1(VALU_DEP_1)
	v_cmp_eq_u32_e64 s0, s0, v37
	s_and_saveexec_b32 s1, s0
	s_cbranch_execz .LBB309_255
; %bb.250:
	v_mov_b32_e32 v3, 0
	s_mov_b32 s4, exec_lo
	global_load_b64 v[12:13], v3, s[2:3] offset:24 glc
	s_waitcnt vmcnt(0)
	buffer_gl1_inv
	buffer_gl0_inv
	s_clause 0x1
	global_load_b64 v[1:2], v3, s[2:3] offset:40
	global_load_b64 v[6:7], v3, s[2:3]
	s_waitcnt vmcnt(1)
	v_and_b32_e32 v2, v2, v13
	v_and_b32_e32 v1, v1, v12
	s_delay_alu instid0(VALU_DEP_2) | instskip(NEXT) | instid1(VALU_DEP_2)
	v_mul_lo_u32 v2, v2, 24
	v_mul_hi_u32 v10, v1, 24
	v_mul_lo_u32 v1, v1, 24
	s_delay_alu instid0(VALU_DEP_2) | instskip(SKIP_1) | instid1(VALU_DEP_2)
	v_add_nc_u32_e32 v2, v10, v2
	s_waitcnt vmcnt(0)
	v_add_co_u32 v1, vcc_lo, v6, v1
	s_delay_alu instid0(VALU_DEP_2)
	v_add_co_ci_u32_e32 v2, vcc_lo, v7, v2, vcc_lo
	global_load_b64 v[10:11], v[1:2], off glc
	s_waitcnt vmcnt(0)
	global_atomic_cmpswap_b64 v[1:2], v3, v[10:13], s[2:3] offset:24 glc
	s_waitcnt vmcnt(0)
	buffer_gl1_inv
	buffer_gl0_inv
	v_cmpx_ne_u64_e64 v[1:2], v[12:13]
	s_cbranch_execz .LBB309_254
; %bb.251:
	s_mov_b32 s5, 0
	.p2align	6
.LBB309_252:                            ; =>This Inner Loop Header: Depth=1
	s_sleep 1
	s_clause 0x1
	global_load_b64 v[6:7], v3, s[2:3] offset:40
	global_load_b64 v[10:11], v3, s[2:3]
	v_dual_mov_b32 v13, v2 :: v_dual_mov_b32 v12, v1
	s_waitcnt vmcnt(1)
	s_delay_alu instid0(VALU_DEP_1) | instskip(SKIP_1) | instid1(VALU_DEP_1)
	v_and_b32_e32 v6, v6, v12
	s_waitcnt vmcnt(0)
	v_mad_u64_u32 v[1:2], null, v6, 24, v[10:11]
	v_and_b32_e32 v10, v7, v13
	s_delay_alu instid0(VALU_DEP_1) | instskip(NEXT) | instid1(VALU_DEP_1)
	v_mad_u64_u32 v[6:7], null, v10, 24, v[2:3]
	v_mov_b32_e32 v2, v6
	global_load_b64 v[10:11], v[1:2], off glc
	s_waitcnt vmcnt(0)
	global_atomic_cmpswap_b64 v[1:2], v3, v[10:13], s[2:3] offset:24 glc
	s_waitcnt vmcnt(0)
	buffer_gl1_inv
	buffer_gl0_inv
	v_cmp_eq_u64_e32 vcc_lo, v[1:2], v[12:13]
	s_or_b32 s5, vcc_lo, s5
	s_delay_alu instid0(SALU_CYCLE_1)
	s_and_not1_b32 exec_lo, exec_lo, s5
	s_cbranch_execnz .LBB309_252
; %bb.253:
	s_or_b32 exec_lo, exec_lo, s5
.LBB309_254:
	s_delay_alu instid0(SALU_CYCLE_1)
	s_or_b32 exec_lo, exec_lo, s4
.LBB309_255:
	s_delay_alu instid0(SALU_CYCLE_1)
	s_or_b32 exec_lo, exec_lo, s1
	s_waitcnt vmcnt(0)
	v_mov_b32_e32 v11, 0
	v_readfirstlane_b32 s4, v1
	v_readfirstlane_b32 s5, v2
	s_mov_b32 s1, exec_lo
	s_clause 0x1
	global_load_b64 v[6:7], v11, s[2:3] offset:40
	global_load_b128 v[12:15], v11, s[2:3]
	s_waitcnt vmcnt(1)
	v_readfirstlane_b32 s6, v6
	v_readfirstlane_b32 s7, v7
	s_delay_alu instid0(VALU_DEP_1) | instskip(NEXT) | instid1(SALU_CYCLE_1)
	s_and_b64 s[6:7], s[4:5], s[6:7]
	s_mul_i32 s10, s7, 24
	s_mul_hi_u32 s11, s6, 24
	s_mul_i32 s12, s6, 24
	s_add_i32 s11, s11, s10
	s_waitcnt vmcnt(0)
	v_add_co_u32 v6, vcc_lo, v12, s12
	v_add_co_ci_u32_e32 v7, vcc_lo, s11, v13, vcc_lo
	s_and_saveexec_b32 s10, s0
	s_cbranch_execz .LBB309_257
; %bb.256:
	v_dual_mov_b32 v10, s1 :: v_dual_mov_b32 v19, 1
	v_dual_mov_b32 v18, 2 :: v_dual_mov_b32 v17, v11
	s_delay_alu instid0(VALU_DEP_2)
	v_mov_b32_e32 v16, v10
	global_store_b128 v[6:7], v[16:19], off offset:8
.LBB309_257:
	s_or_b32 exec_lo, exec_lo, s10
	s_lshl_b64 s[6:7], s[6:7], 12
	s_mov_b32 s12, 0
	v_add_co_u32 v14, vcc_lo, v14, s6
	v_add_co_ci_u32_e32 v15, vcc_lo, s7, v15, vcc_lo
	s_mov_b32 s13, s12
	s_delay_alu instid0(VALU_DEP_2)
	v_readfirstlane_b32 s6, v14
	v_add_co_u32 v14, vcc_lo, v14, v36
	s_mov_b32 s14, s12
	s_mov_b32 s15, s12
	v_and_or_b32 v8, 0xffffff1f, v8, 32
	v_mov_b32_e32 v10, v0
	v_readfirstlane_b32 s7, v15
	v_dual_mov_b32 v0, s12 :: v_dual_mov_b32 v3, s15
	v_add_co_ci_u32_e32 v15, vcc_lo, 0, v15, vcc_lo
	v_dual_mov_b32 v1, s13 :: v_dual_mov_b32 v2, s14
	s_clause 0x3
	global_store_b128 v36, v[8:11], s[6:7]
	global_store_b128 v36, v[0:3], s[6:7] offset:16
	global_store_b128 v36, v[0:3], s[6:7] offset:32
	;; [unrolled: 1-line block ×3, first 2 shown]
	s_and_saveexec_b32 s1, s0
	s_cbranch_execz .LBB309_265
; %bb.258:
	v_dual_mov_b32 v10, 0 :: v_dual_mov_b32 v17, s5
	v_mov_b32_e32 v16, s4
	s_clause 0x1
	global_load_b64 v[18:19], v10, s[2:3] offset:32 glc
	global_load_b64 v[0:1], v10, s[2:3] offset:40
	s_waitcnt vmcnt(0)
	v_readfirstlane_b32 s6, v0
	v_readfirstlane_b32 s7, v1
	s_delay_alu instid0(VALU_DEP_1) | instskip(NEXT) | instid1(SALU_CYCLE_1)
	s_and_b64 s[6:7], s[6:7], s[4:5]
	s_mul_i32 s7, s7, 24
	s_mul_hi_u32 s10, s6, 24
	s_mul_i32 s6, s6, 24
	s_add_i32 s10, s10, s7
	v_add_co_u32 v8, vcc_lo, v12, s6
	v_add_co_ci_u32_e32 v9, vcc_lo, s10, v13, vcc_lo
	s_mov_b32 s6, exec_lo
	global_store_b64 v[8:9], v[18:19], off
	s_waitcnt_vscnt null, 0x0
	global_atomic_cmpswap_b64 v[2:3], v10, v[16:19], s[2:3] offset:32 glc
	s_waitcnt vmcnt(0)
	v_cmpx_ne_u64_e64 v[2:3], v[18:19]
	s_cbranch_execz .LBB309_261
; %bb.259:
	s_mov_b32 s7, 0
.LBB309_260:                            ; =>This Inner Loop Header: Depth=1
	v_dual_mov_b32 v0, s4 :: v_dual_mov_b32 v1, s5
	s_sleep 1
	global_store_b64 v[8:9], v[2:3], off
	s_waitcnt_vscnt null, 0x0
	global_atomic_cmpswap_b64 v[0:1], v10, v[0:3], s[2:3] offset:32 glc
	s_waitcnt vmcnt(0)
	v_cmp_eq_u64_e32 vcc_lo, v[0:1], v[2:3]
	v_dual_mov_b32 v3, v1 :: v_dual_mov_b32 v2, v0
	s_or_b32 s7, vcc_lo, s7
	s_delay_alu instid0(SALU_CYCLE_1)
	s_and_not1_b32 exec_lo, exec_lo, s7
	s_cbranch_execnz .LBB309_260
.LBB309_261:
	s_or_b32 exec_lo, exec_lo, s6
	v_mov_b32_e32 v3, 0
	s_mov_b32 s7, exec_lo
	s_mov_b32 s6, exec_lo
	v_mbcnt_lo_u32_b32 v2, s7, 0
	global_load_b64 v[0:1], v3, s[2:3] offset:16
	v_cmpx_eq_u32_e32 0, v2
	s_cbranch_execz .LBB309_263
; %bb.262:
	s_bcnt1_i32_b32 s7, s7
	s_delay_alu instid0(SALU_CYCLE_1)
	v_mov_b32_e32 v2, s7
	s_waitcnt vmcnt(0)
	global_atomic_add_u64 v[0:1], v[2:3], off offset:8
.LBB309_263:
	s_or_b32 exec_lo, exec_lo, s6
	s_waitcnt vmcnt(0)
	global_load_b64 v[2:3], v[0:1], off offset:16
	s_waitcnt vmcnt(0)
	v_cmp_eq_u64_e32 vcc_lo, 0, v[2:3]
	s_cbranch_vccnz .LBB309_265
; %bb.264:
	global_load_b32 v0, v[0:1], off offset:24
	s_waitcnt vmcnt(0)
	v_dual_mov_b32 v1, 0 :: v_dual_and_b32 v8, 0xffffff, v0
	s_waitcnt_vscnt null, 0x0
	global_store_b64 v[2:3], v[0:1], off
	v_readfirstlane_b32 m0, v8
	s_sendmsg sendmsg(MSG_INTERRUPT)
.LBB309_265:
	s_or_b32 exec_lo, exec_lo, s1
	s_branch .LBB309_269
	.p2align	6
.LBB309_266:                            ;   in Loop: Header=BB309_269 Depth=1
	s_or_b32 exec_lo, exec_lo, s1
	s_delay_alu instid0(VALU_DEP_1) | instskip(NEXT) | instid1(VALU_DEP_1)
	v_readfirstlane_b32 s1, v0
	s_cmp_eq_u32 s1, 0
	s_cbranch_scc1 .LBB309_268
; %bb.267:                              ;   in Loop: Header=BB309_269 Depth=1
	s_sleep 1
	s_cbranch_execnz .LBB309_269
	s_branch .LBB309_271
	.p2align	6
.LBB309_268:
	s_branch .LBB309_271
.LBB309_269:                            ; =>This Inner Loop Header: Depth=1
	v_mov_b32_e32 v0, 1
	s_and_saveexec_b32 s1, s0
	s_cbranch_execz .LBB309_266
; %bb.270:                              ;   in Loop: Header=BB309_269 Depth=1
	global_load_b32 v0, v[6:7], off offset:20 glc
	s_waitcnt vmcnt(0)
	buffer_gl1_inv
	buffer_gl0_inv
	v_and_b32_e32 v0, 1, v0
	s_branch .LBB309_266
.LBB309_271:
	global_load_b64 v[0:1], v[14:15], off
	s_and_saveexec_b32 s1, s0
	s_cbranch_execz .LBB309_275
; %bb.272:
	v_mov_b32_e32 v10, 0
	s_clause 0x2
	global_load_b64 v[2:3], v10, s[2:3] offset:40
	global_load_b64 v[11:12], v10, s[2:3] offset:24 glc
	global_load_b64 v[8:9], v10, s[2:3]
	s_waitcnt vmcnt(2)
	v_add_co_u32 v13, vcc_lo, v2, 1
	v_add_co_ci_u32_e32 v14, vcc_lo, 0, v3, vcc_lo
	s_delay_alu instid0(VALU_DEP_2) | instskip(NEXT) | instid1(VALU_DEP_2)
	v_add_co_u32 v6, vcc_lo, v13, s4
	v_add_co_ci_u32_e32 v7, vcc_lo, s5, v14, vcc_lo
	s_delay_alu instid0(VALU_DEP_1) | instskip(SKIP_1) | instid1(VALU_DEP_1)
	v_cmp_eq_u64_e32 vcc_lo, 0, v[6:7]
	v_dual_cndmask_b32 v7, v7, v14 :: v_dual_cndmask_b32 v6, v6, v13
	v_and_b32_e32 v3, v7, v3
	s_delay_alu instid0(VALU_DEP_2) | instskip(NEXT) | instid1(VALU_DEP_2)
	v_and_b32_e32 v2, v6, v2
	v_mul_lo_u32 v3, v3, 24
	s_delay_alu instid0(VALU_DEP_2) | instskip(SKIP_1) | instid1(VALU_DEP_2)
	v_mul_hi_u32 v13, v2, 24
	v_mul_lo_u32 v2, v2, 24
	v_add_nc_u32_e32 v3, v13, v3
	s_waitcnt vmcnt(0)
	s_delay_alu instid0(VALU_DEP_2) | instskip(SKIP_1) | instid1(VALU_DEP_3)
	v_add_co_u32 v2, vcc_lo, v8, v2
	v_mov_b32_e32 v8, v11
	v_add_co_ci_u32_e32 v3, vcc_lo, v9, v3, vcc_lo
	v_mov_b32_e32 v9, v12
	global_store_b64 v[2:3], v[11:12], off
	s_waitcnt_vscnt null, 0x0
	global_atomic_cmpswap_b64 v[8:9], v10, v[6:9], s[2:3] offset:24 glc
	s_waitcnt vmcnt(0)
	v_cmp_ne_u64_e32 vcc_lo, v[8:9], v[11:12]
	s_and_b32 exec_lo, exec_lo, vcc_lo
	s_cbranch_execz .LBB309_275
; %bb.273:
	s_mov_b32 s0, 0
.LBB309_274:                            ; =>This Inner Loop Header: Depth=1
	s_sleep 1
	global_store_b64 v[2:3], v[8:9], off
	s_waitcnt_vscnt null, 0x0
	global_atomic_cmpswap_b64 v[11:12], v10, v[6:9], s[2:3] offset:24 glc
	s_waitcnt vmcnt(0)
	v_cmp_eq_u64_e32 vcc_lo, v[11:12], v[8:9]
	v_dual_mov_b32 v8, v11 :: v_dual_mov_b32 v9, v12
	s_or_b32 s0, vcc_lo, s0
	s_delay_alu instid0(SALU_CYCLE_1)
	s_and_not1_b32 exec_lo, exec_lo, s0
	s_cbranch_execnz .LBB309_274
.LBB309_275:
	s_or_b32 exec_lo, exec_lo, s1
	v_dual_mov_b32 v7, v5 :: v_dual_mov_b32 v6, v4
	s_mov_b32 s0, 0
.LBB309_276:                            ; =>This Inner Loop Header: Depth=1
	flat_load_u8 v8, v[6:7]
	v_add_co_u32 v2, vcc_lo, v6, 1
	v_add_co_ci_u32_e32 v3, vcc_lo, 0, v7, vcc_lo
	s_delay_alu instid0(VALU_DEP_1) | instskip(SKIP_3) | instid1(SALU_CYCLE_1)
	v_dual_mov_b32 v7, v3 :: v_dual_mov_b32 v6, v2
	s_waitcnt vmcnt(0) lgkmcnt(0)
	v_cmp_eq_u16_e32 vcc_lo, 0, v8
	s_or_b32 s0, vcc_lo, s0
	s_and_not1_b32 exec_lo, exec_lo, s0
	s_cbranch_execnz .LBB309_276
; %bb.277:
	s_or_b32 exec_lo, exec_lo, s0
	s_delay_alu instid0(SALU_CYCLE_1)
	s_mov_b32 s0, exec_lo
	v_cmpx_ne_u64_e32 0, v[4:5]
	s_xor_b32 s10, exec_lo, s0
	s_cbranch_execz .LBB309_363
; %bb.278:
	v_sub_nc_u32_e32 v26, v2, v4
	v_dual_mov_b32 v7, 0 :: v_dual_and_b32 v32, 2, v0
	v_dual_mov_b32 v9, 1 :: v_dual_and_b32 v0, -3, v0
	v_mov_b32_e32 v8, 2
	s_delay_alu instid0(VALU_DEP_4)
	v_ashrrev_i32_e32 v27, 31, v26
	s_mov_b32 s12, 0
	s_mov_b32 s11, 0
	s_branch .LBB309_280
.LBB309_279:                            ;   in Loop: Header=BB309_280 Depth=1
	s_or_b32 exec_lo, exec_lo, s1
	v_sub_co_u32 v26, vcc_lo, v26, v28
	v_sub_co_ci_u32_e32 v27, vcc_lo, v27, v29, vcc_lo
	v_add_co_u32 v4, s0, v4, v28
	s_delay_alu instid0(VALU_DEP_1) | instskip(NEXT) | instid1(VALU_DEP_3)
	v_add_co_ci_u32_e64 v5, s0, v5, v29, s0
	v_cmp_eq_u64_e32 vcc_lo, 0, v[26:27]
	s_or_b32 s11, vcc_lo, s11
	s_delay_alu instid0(SALU_CYCLE_1)
	s_and_not1_b32 exec_lo, exec_lo, s11
	s_cbranch_execz .LBB309_362
.LBB309_280:                            ; =>This Loop Header: Depth=1
                                        ;     Child Loop BB309_283 Depth 2
                                        ;     Child Loop BB309_291 Depth 2
	;; [unrolled: 1-line block ×11, first 2 shown]
	s_delay_alu instid0(VALU_DEP_1)
	v_cmp_gt_u64_e32 vcc_lo, 56, v[26:27]
	s_mov_b32 s1, exec_lo
                                        ; implicit-def: $vgpr2_vgpr3
                                        ; implicit-def: $sgpr4
	v_dual_cndmask_b32 v29, 0, v27 :: v_dual_cndmask_b32 v28, 56, v26
	v_cmpx_gt_u64_e32 8, v[26:27]
	s_xor_b32 s1, exec_lo, s1
	s_cbranch_execz .LBB309_286
; %bb.281:                              ;   in Loop: Header=BB309_280 Depth=1
	s_waitcnt vmcnt(0)
	v_mov_b32_e32 v2, 0
	v_mov_b32_e32 v3, 0
	s_mov_b64 s[4:5], 0
	s_mov_b32 s6, exec_lo
	v_cmpx_ne_u64_e32 0, v[26:27]
	s_cbranch_execz .LBB309_285
; %bb.282:                              ;   in Loop: Header=BB309_280 Depth=1
	v_lshlrev_b64 v[10:11], 3, v[28:29]
	v_mov_b32_e32 v2, 0
	v_dual_mov_b32 v3, 0 :: v_dual_mov_b32 v12, v5
	v_mov_b32_e32 v11, v4
	s_mov_b32 s7, 0
	.p2align	6
.LBB309_283:                            ;   Parent Loop BB309_280 Depth=1
                                        ; =>  This Inner Loop Header: Depth=2
	flat_load_u8 v6, v[11:12]
	v_mov_b32_e32 v14, s12
	v_add_co_u32 v11, vcc_lo, v11, 1
	v_add_co_ci_u32_e32 v12, vcc_lo, 0, v12, vcc_lo
	s_waitcnt vmcnt(0) lgkmcnt(0)
	v_and_b32_e32 v13, 0xffff, v6
	s_delay_alu instid0(VALU_DEP_1) | instskip(SKIP_3) | instid1(VALU_DEP_2)
	v_lshlrev_b64 v[13:14], s4, v[13:14]
	s_add_u32 s4, s4, 8
	s_addc_u32 s5, s5, 0
	v_cmp_eq_u32_e64 s0, s4, v10
	v_or_b32_e32 v3, v14, v3
	s_delay_alu instid0(VALU_DEP_3) | instskip(NEXT) | instid1(VALU_DEP_3)
	v_or_b32_e32 v2, v13, v2
	s_or_b32 s7, s0, s7
	s_delay_alu instid0(SALU_CYCLE_1)
	s_and_not1_b32 exec_lo, exec_lo, s7
	s_cbranch_execnz .LBB309_283
; %bb.284:                              ;   in Loop: Header=BB309_280 Depth=1
	s_or_b32 exec_lo, exec_lo, s7
.LBB309_285:                            ;   in Loop: Header=BB309_280 Depth=1
	s_delay_alu instid0(SALU_CYCLE_1)
	s_or_b32 exec_lo, exec_lo, s6
	s_mov_b32 s4, 0
.LBB309_286:                            ;   in Loop: Header=BB309_280 Depth=1
	s_or_saveexec_b32 s0, s1
	v_dual_mov_b32 v6, s4 :: v_dual_mov_b32 v23, v5
	v_mov_b32_e32 v22, v4
	s_xor_b32 exec_lo, exec_lo, s0
	s_cbranch_execz .LBB309_288
; %bb.287:                              ;   in Loop: Header=BB309_280 Depth=1
	s_waitcnt vmcnt(0)
	flat_load_b64 v[2:3], v[4:5]
	v_add_co_u32 v22, vcc_lo, v4, 8
	v_add_co_ci_u32_e32 v23, vcc_lo, 0, v5, vcc_lo
	s_waitcnt vmcnt(0) lgkmcnt(0)
	v_and_b32_e32 v6, 0xff, v3
	v_and_b32_e32 v10, 0xff00, v3
	;; [unrolled: 1-line block ×4, first 2 shown]
	v_or3_b32 v2, v2, 0, 0
	s_delay_alu instid0(VALU_DEP_4) | instskip(SKIP_1) | instid1(VALU_DEP_2)
	v_or_b32_e32 v10, v6, v10
	v_add_nc_u32_e32 v6, -8, v28
	v_or3_b32 v3, v10, v11, v3
.LBB309_288:                            ;   in Loop: Header=BB309_280 Depth=1
	s_or_b32 exec_lo, exec_lo, s0
                                        ; implicit-def: $vgpr10_vgpr11
                                        ; implicit-def: $sgpr1
	s_delay_alu instid0(SALU_CYCLE_1) | instskip(NEXT) | instid1(VALU_DEP_2)
	s_mov_b32 s0, exec_lo
	v_cmpx_gt_u32_e32 8, v6
	s_xor_b32 s6, exec_lo, s0
	s_cbranch_execz .LBB309_294
; %bb.289:                              ;   in Loop: Header=BB309_280 Depth=1
	v_mov_b32_e32 v10, 0
	v_mov_b32_e32 v11, 0
	s_mov_b32 s7, exec_lo
	v_cmpx_ne_u32_e32 0, v6
	s_cbranch_execz .LBB309_293
; %bb.290:                              ;   in Loop: Header=BB309_280 Depth=1
	v_mov_b32_e32 v10, 0
	v_mov_b32_e32 v11, 0
	s_mov_b64 s[0:1], 0
	s_mov_b32 s13, 0
	s_mov_b64 s[4:5], 0
	.p2align	6
.LBB309_291:                            ;   Parent Loop BB309_280 Depth=1
                                        ; =>  This Inner Loop Header: Depth=2
	s_delay_alu instid0(SALU_CYCLE_1)
	v_add_co_u32 v12, vcc_lo, v22, s4
	v_add_co_ci_u32_e32 v13, vcc_lo, s5, v23, vcc_lo
	s_add_u32 s4, s4, 1
	s_addc_u32 s5, s5, 0
	v_cmp_eq_u32_e32 vcc_lo, s4, v6
	flat_load_u8 v12, v[12:13]
	s_waitcnt vmcnt(0) lgkmcnt(0)
	v_dual_mov_b32 v13, s12 :: v_dual_and_b32 v12, 0xffff, v12
	s_delay_alu instid0(VALU_DEP_1) | instskip(SKIP_3) | instid1(VALU_DEP_1)
	v_lshlrev_b64 v[12:13], s0, v[12:13]
	s_add_u32 s0, s0, 8
	s_addc_u32 s1, s1, 0
	s_or_b32 s13, vcc_lo, s13
	v_or_b32_e32 v11, v13, v11
	s_delay_alu instid0(VALU_DEP_2)
	v_or_b32_e32 v10, v12, v10
	s_and_not1_b32 exec_lo, exec_lo, s13
	s_cbranch_execnz .LBB309_291
; %bb.292:                              ;   in Loop: Header=BB309_280 Depth=1
	s_or_b32 exec_lo, exec_lo, s13
.LBB309_293:                            ;   in Loop: Header=BB309_280 Depth=1
	s_delay_alu instid0(SALU_CYCLE_1)
	s_or_b32 exec_lo, exec_lo, s7
	s_mov_b32 s1, 0
                                        ; implicit-def: $vgpr6
.LBB309_294:                            ;   in Loop: Header=BB309_280 Depth=1
	s_or_saveexec_b32 s0, s6
	v_mov_b32_e32 v14, s1
	s_xor_b32 exec_lo, exec_lo, s0
	s_cbranch_execz .LBB309_296
; %bb.295:                              ;   in Loop: Header=BB309_280 Depth=1
	flat_load_b64 v[10:11], v[22:23]
	v_add_co_u32 v22, vcc_lo, v22, 8
	v_add_nc_u32_e32 v14, -8, v6
	v_add_co_ci_u32_e32 v23, vcc_lo, 0, v23, vcc_lo
	s_waitcnt vmcnt(0) lgkmcnt(0)
	v_and_b32_e32 v12, 0xff, v11
	v_and_b32_e32 v13, 0xff00, v11
	;; [unrolled: 1-line block ×4, first 2 shown]
	v_or3_b32 v10, v10, 0, 0
	s_delay_alu instid0(VALU_DEP_4) | instskip(NEXT) | instid1(VALU_DEP_1)
	v_or_b32_e32 v12, v12, v13
	v_or3_b32 v11, v12, v15, v11
.LBB309_296:                            ;   in Loop: Header=BB309_280 Depth=1
	s_or_b32 exec_lo, exec_lo, s0
                                        ; implicit-def: $sgpr1
	s_delay_alu instid0(SALU_CYCLE_1)
	s_mov_b32 s0, exec_lo
	v_cmpx_gt_u32_e32 8, v14
	s_xor_b32 s6, exec_lo, s0
	s_cbranch_execz .LBB309_302
; %bb.297:                              ;   in Loop: Header=BB309_280 Depth=1
	v_mov_b32_e32 v12, 0
	v_mov_b32_e32 v13, 0
	s_mov_b32 s7, exec_lo
	v_cmpx_ne_u32_e32 0, v14
	s_cbranch_execz .LBB309_301
; %bb.298:                              ;   in Loop: Header=BB309_280 Depth=1
	v_mov_b32_e32 v12, 0
	v_mov_b32_e32 v13, 0
	s_mov_b64 s[0:1], 0
	s_mov_b32 s13, 0
	s_mov_b64 s[4:5], 0
	.p2align	6
.LBB309_299:                            ;   Parent Loop BB309_280 Depth=1
                                        ; =>  This Inner Loop Header: Depth=2
	s_delay_alu instid0(SALU_CYCLE_1)
	v_add_co_u32 v15, vcc_lo, v22, s4
	v_add_co_ci_u32_e32 v16, vcc_lo, s5, v23, vcc_lo
	s_add_u32 s4, s4, 1
	s_addc_u32 s5, s5, 0
	v_cmp_eq_u32_e32 vcc_lo, s4, v14
	flat_load_u8 v6, v[15:16]
	s_waitcnt vmcnt(0) lgkmcnt(0)
	v_dual_mov_b32 v16, s12 :: v_dual_and_b32 v15, 0xffff, v6
	s_delay_alu instid0(VALU_DEP_1) | instskip(SKIP_3) | instid1(VALU_DEP_1)
	v_lshlrev_b64 v[15:16], s0, v[15:16]
	s_add_u32 s0, s0, 8
	s_addc_u32 s1, s1, 0
	s_or_b32 s13, vcc_lo, s13
	v_or_b32_e32 v13, v16, v13
	s_delay_alu instid0(VALU_DEP_2)
	v_or_b32_e32 v12, v15, v12
	s_and_not1_b32 exec_lo, exec_lo, s13
	s_cbranch_execnz .LBB309_299
; %bb.300:                              ;   in Loop: Header=BB309_280 Depth=1
	s_or_b32 exec_lo, exec_lo, s13
.LBB309_301:                            ;   in Loop: Header=BB309_280 Depth=1
	s_delay_alu instid0(SALU_CYCLE_1)
	s_or_b32 exec_lo, exec_lo, s7
	s_mov_b32 s1, 0
                                        ; implicit-def: $vgpr14
.LBB309_302:                            ;   in Loop: Header=BB309_280 Depth=1
	s_or_saveexec_b32 s0, s6
	v_mov_b32_e32 v6, s1
	s_xor_b32 exec_lo, exec_lo, s0
	s_cbranch_execz .LBB309_304
; %bb.303:                              ;   in Loop: Header=BB309_280 Depth=1
	flat_load_b64 v[12:13], v[22:23]
	v_add_co_u32 v22, vcc_lo, v22, 8
	v_add_co_ci_u32_e32 v23, vcc_lo, 0, v23, vcc_lo
	s_waitcnt vmcnt(0) lgkmcnt(0)
	v_and_b32_e32 v6, 0xff, v13
	v_and_b32_e32 v15, 0xff00, v13
	;; [unrolled: 1-line block ×4, first 2 shown]
	v_or3_b32 v12, v12, 0, 0
	s_delay_alu instid0(VALU_DEP_4) | instskip(SKIP_1) | instid1(VALU_DEP_2)
	v_or_b32_e32 v15, v6, v15
	v_add_nc_u32_e32 v6, -8, v14
	v_or3_b32 v13, v15, v16, v13
.LBB309_304:                            ;   in Loop: Header=BB309_280 Depth=1
	s_or_b32 exec_lo, exec_lo, s0
                                        ; implicit-def: $vgpr14_vgpr15
                                        ; implicit-def: $sgpr1
	s_delay_alu instid0(SALU_CYCLE_1) | instskip(NEXT) | instid1(VALU_DEP_1)
	s_mov_b32 s0, exec_lo
	v_cmpx_gt_u32_e32 8, v6
	s_xor_b32 s6, exec_lo, s0
	s_cbranch_execz .LBB309_310
; %bb.305:                              ;   in Loop: Header=BB309_280 Depth=1
	v_mov_b32_e32 v14, 0
	v_mov_b32_e32 v15, 0
	s_mov_b32 s7, exec_lo
	v_cmpx_ne_u32_e32 0, v6
	s_cbranch_execz .LBB309_309
; %bb.306:                              ;   in Loop: Header=BB309_280 Depth=1
	v_mov_b32_e32 v14, 0
	v_mov_b32_e32 v15, 0
	s_mov_b64 s[0:1], 0
	s_mov_b32 s13, 0
	s_mov_b64 s[4:5], 0
	.p2align	6
.LBB309_307:                            ;   Parent Loop BB309_280 Depth=1
                                        ; =>  This Inner Loop Header: Depth=2
	s_delay_alu instid0(SALU_CYCLE_1)
	v_add_co_u32 v16, vcc_lo, v22, s4
	v_add_co_ci_u32_e32 v17, vcc_lo, s5, v23, vcc_lo
	s_add_u32 s4, s4, 1
	s_addc_u32 s5, s5, 0
	v_cmp_eq_u32_e32 vcc_lo, s4, v6
	flat_load_u8 v16, v[16:17]
	s_waitcnt vmcnt(0) lgkmcnt(0)
	v_dual_mov_b32 v17, s12 :: v_dual_and_b32 v16, 0xffff, v16
	s_delay_alu instid0(VALU_DEP_1) | instskip(SKIP_3) | instid1(VALU_DEP_1)
	v_lshlrev_b64 v[16:17], s0, v[16:17]
	s_add_u32 s0, s0, 8
	s_addc_u32 s1, s1, 0
	s_or_b32 s13, vcc_lo, s13
	v_or_b32_e32 v15, v17, v15
	s_delay_alu instid0(VALU_DEP_2)
	v_or_b32_e32 v14, v16, v14
	s_and_not1_b32 exec_lo, exec_lo, s13
	s_cbranch_execnz .LBB309_307
; %bb.308:                              ;   in Loop: Header=BB309_280 Depth=1
	s_or_b32 exec_lo, exec_lo, s13
.LBB309_309:                            ;   in Loop: Header=BB309_280 Depth=1
	s_delay_alu instid0(SALU_CYCLE_1)
	s_or_b32 exec_lo, exec_lo, s7
	s_mov_b32 s1, 0
                                        ; implicit-def: $vgpr6
.LBB309_310:                            ;   in Loop: Header=BB309_280 Depth=1
	s_or_saveexec_b32 s0, s6
	v_mov_b32_e32 v18, s1
	s_xor_b32 exec_lo, exec_lo, s0
	s_cbranch_execz .LBB309_312
; %bb.311:                              ;   in Loop: Header=BB309_280 Depth=1
	flat_load_b64 v[14:15], v[22:23]
	v_add_co_u32 v22, vcc_lo, v22, 8
	v_add_nc_u32_e32 v18, -8, v6
	v_add_co_ci_u32_e32 v23, vcc_lo, 0, v23, vcc_lo
	s_waitcnt vmcnt(0) lgkmcnt(0)
	v_and_b32_e32 v16, 0xff, v15
	v_and_b32_e32 v17, 0xff00, v15
	;; [unrolled: 1-line block ×4, first 2 shown]
	v_or3_b32 v14, v14, 0, 0
	s_delay_alu instid0(VALU_DEP_4) | instskip(NEXT) | instid1(VALU_DEP_1)
	v_or_b32_e32 v16, v16, v17
	v_or3_b32 v15, v16, v19, v15
.LBB309_312:                            ;   in Loop: Header=BB309_280 Depth=1
	s_or_b32 exec_lo, exec_lo, s0
                                        ; implicit-def: $sgpr1
	s_delay_alu instid0(SALU_CYCLE_1)
	s_mov_b32 s0, exec_lo
	v_cmpx_gt_u32_e32 8, v18
	s_xor_b32 s6, exec_lo, s0
	s_cbranch_execz .LBB309_318
; %bb.313:                              ;   in Loop: Header=BB309_280 Depth=1
	v_mov_b32_e32 v16, 0
	v_mov_b32_e32 v17, 0
	s_mov_b32 s7, exec_lo
	v_cmpx_ne_u32_e32 0, v18
	s_cbranch_execz .LBB309_317
; %bb.314:                              ;   in Loop: Header=BB309_280 Depth=1
	v_mov_b32_e32 v16, 0
	v_mov_b32_e32 v17, 0
	s_mov_b64 s[0:1], 0
	s_mov_b32 s13, 0
	s_mov_b64 s[4:5], 0
	.p2align	6
.LBB309_315:                            ;   Parent Loop BB309_280 Depth=1
                                        ; =>  This Inner Loop Header: Depth=2
	s_delay_alu instid0(SALU_CYCLE_1)
	v_add_co_u32 v19, vcc_lo, v22, s4
	v_add_co_ci_u32_e32 v20, vcc_lo, s5, v23, vcc_lo
	s_add_u32 s4, s4, 1
	s_addc_u32 s5, s5, 0
	v_cmp_eq_u32_e32 vcc_lo, s4, v18
	flat_load_u8 v6, v[19:20]
	s_waitcnt vmcnt(0) lgkmcnt(0)
	v_dual_mov_b32 v20, s12 :: v_dual_and_b32 v19, 0xffff, v6
	s_delay_alu instid0(VALU_DEP_1) | instskip(SKIP_3) | instid1(VALU_DEP_1)
	v_lshlrev_b64 v[19:20], s0, v[19:20]
	s_add_u32 s0, s0, 8
	s_addc_u32 s1, s1, 0
	s_or_b32 s13, vcc_lo, s13
	v_or_b32_e32 v17, v20, v17
	s_delay_alu instid0(VALU_DEP_2)
	v_or_b32_e32 v16, v19, v16
	s_and_not1_b32 exec_lo, exec_lo, s13
	s_cbranch_execnz .LBB309_315
; %bb.316:                              ;   in Loop: Header=BB309_280 Depth=1
	s_or_b32 exec_lo, exec_lo, s13
.LBB309_317:                            ;   in Loop: Header=BB309_280 Depth=1
	s_delay_alu instid0(SALU_CYCLE_1)
	s_or_b32 exec_lo, exec_lo, s7
	s_mov_b32 s1, 0
                                        ; implicit-def: $vgpr18
.LBB309_318:                            ;   in Loop: Header=BB309_280 Depth=1
	s_or_saveexec_b32 s0, s6
	v_mov_b32_e32 v6, s1
	s_xor_b32 exec_lo, exec_lo, s0
	s_cbranch_execz .LBB309_320
; %bb.319:                              ;   in Loop: Header=BB309_280 Depth=1
	flat_load_b64 v[16:17], v[22:23]
	v_add_co_u32 v22, vcc_lo, v22, 8
	v_add_co_ci_u32_e32 v23, vcc_lo, 0, v23, vcc_lo
	s_waitcnt vmcnt(0) lgkmcnt(0)
	v_and_b32_e32 v6, 0xff, v17
	v_and_b32_e32 v19, 0xff00, v17
	;; [unrolled: 1-line block ×4, first 2 shown]
	v_or3_b32 v16, v16, 0, 0
	s_delay_alu instid0(VALU_DEP_4) | instskip(SKIP_1) | instid1(VALU_DEP_2)
	v_or_b32_e32 v19, v6, v19
	v_add_nc_u32_e32 v6, -8, v18
	v_or3_b32 v17, v19, v20, v17
.LBB309_320:                            ;   in Loop: Header=BB309_280 Depth=1
	s_or_b32 exec_lo, exec_lo, s0
                                        ; implicit-def: $vgpr18_vgpr19
                                        ; implicit-def: $sgpr1
	s_delay_alu instid0(SALU_CYCLE_1) | instskip(NEXT) | instid1(VALU_DEP_1)
	s_mov_b32 s0, exec_lo
	v_cmpx_gt_u32_e32 8, v6
	s_xor_b32 s6, exec_lo, s0
	s_cbranch_execz .LBB309_326
; %bb.321:                              ;   in Loop: Header=BB309_280 Depth=1
	v_mov_b32_e32 v18, 0
	v_mov_b32_e32 v19, 0
	s_mov_b32 s7, exec_lo
	v_cmpx_ne_u32_e32 0, v6
	s_cbranch_execz .LBB309_325
; %bb.322:                              ;   in Loop: Header=BB309_280 Depth=1
	v_mov_b32_e32 v18, 0
	v_mov_b32_e32 v19, 0
	s_mov_b64 s[0:1], 0
	s_mov_b32 s13, 0
	s_mov_b64 s[4:5], 0
	.p2align	6
.LBB309_323:                            ;   Parent Loop BB309_280 Depth=1
                                        ; =>  This Inner Loop Header: Depth=2
	s_delay_alu instid0(SALU_CYCLE_1)
	v_add_co_u32 v20, vcc_lo, v22, s4
	v_add_co_ci_u32_e32 v21, vcc_lo, s5, v23, vcc_lo
	s_add_u32 s4, s4, 1
	s_addc_u32 s5, s5, 0
	v_cmp_eq_u32_e32 vcc_lo, s4, v6
	flat_load_u8 v20, v[20:21]
	s_waitcnt vmcnt(0) lgkmcnt(0)
	v_dual_mov_b32 v21, s12 :: v_dual_and_b32 v20, 0xffff, v20
	s_delay_alu instid0(VALU_DEP_1) | instskip(SKIP_3) | instid1(VALU_DEP_1)
	v_lshlrev_b64 v[20:21], s0, v[20:21]
	s_add_u32 s0, s0, 8
	s_addc_u32 s1, s1, 0
	s_or_b32 s13, vcc_lo, s13
	v_or_b32_e32 v19, v21, v19
	s_delay_alu instid0(VALU_DEP_2)
	v_or_b32_e32 v18, v20, v18
	s_and_not1_b32 exec_lo, exec_lo, s13
	s_cbranch_execnz .LBB309_323
; %bb.324:                              ;   in Loop: Header=BB309_280 Depth=1
	s_or_b32 exec_lo, exec_lo, s13
.LBB309_325:                            ;   in Loop: Header=BB309_280 Depth=1
	s_delay_alu instid0(SALU_CYCLE_1)
	s_or_b32 exec_lo, exec_lo, s7
	s_mov_b32 s1, 0
                                        ; implicit-def: $vgpr6
.LBB309_326:                            ;   in Loop: Header=BB309_280 Depth=1
	s_or_saveexec_b32 s0, s6
	v_mov_b32_e32 v24, s1
	s_xor_b32 exec_lo, exec_lo, s0
	s_cbranch_execz .LBB309_328
; %bb.327:                              ;   in Loop: Header=BB309_280 Depth=1
	flat_load_b64 v[18:19], v[22:23]
	v_add_co_u32 v22, vcc_lo, v22, 8
	v_add_nc_u32_e32 v24, -8, v6
	v_add_co_ci_u32_e32 v23, vcc_lo, 0, v23, vcc_lo
	s_waitcnt vmcnt(0) lgkmcnt(0)
	v_and_b32_e32 v20, 0xff, v19
	v_and_b32_e32 v21, 0xff00, v19
	;; [unrolled: 1-line block ×4, first 2 shown]
	v_or3_b32 v18, v18, 0, 0
	s_delay_alu instid0(VALU_DEP_4) | instskip(NEXT) | instid1(VALU_DEP_1)
	v_or_b32_e32 v20, v20, v21
	v_or3_b32 v19, v20, v25, v19
.LBB309_328:                            ;   in Loop: Header=BB309_280 Depth=1
	s_or_b32 exec_lo, exec_lo, s0
	s_delay_alu instid0(SALU_CYCLE_1)
	s_mov_b32 s0, exec_lo
	v_cmpx_gt_u32_e32 8, v24
	s_xor_b32 s4, exec_lo, s0
	s_cbranch_execz .LBB309_334
; %bb.329:                              ;   in Loop: Header=BB309_280 Depth=1
	v_mov_b32_e32 v20, 0
	v_mov_b32_e32 v21, 0
	s_mov_b32 s5, exec_lo
	v_cmpx_ne_u32_e32 0, v24
	s_cbranch_execz .LBB309_333
; %bb.330:                              ;   in Loop: Header=BB309_280 Depth=1
	v_mov_b32_e32 v20, 0
	v_mov_b32_e32 v21, 0
	s_mov_b64 s[0:1], 0
	s_mov_b32 s6, 0
	.p2align	6
.LBB309_331:                            ;   Parent Loop BB309_280 Depth=1
                                        ; =>  This Inner Loop Header: Depth=2
	flat_load_u8 v6, v[22:23]
	v_dual_mov_b32 v31, s12 :: v_dual_add_nc_u32 v24, -1, v24
	v_add_co_u32 v22, vcc_lo, v22, 1
	v_add_co_ci_u32_e32 v23, vcc_lo, 0, v23, vcc_lo
	s_delay_alu instid0(VALU_DEP_3) | instskip(SKIP_2) | instid1(VALU_DEP_1)
	v_cmp_eq_u32_e32 vcc_lo, 0, v24
	s_waitcnt vmcnt(0) lgkmcnt(0)
	v_and_b32_e32 v30, 0xffff, v6
	v_lshlrev_b64 v[30:31], s0, v[30:31]
	s_add_u32 s0, s0, 8
	s_addc_u32 s1, s1, 0
	s_or_b32 s6, vcc_lo, s6
	s_delay_alu instid0(VALU_DEP_1) | instskip(NEXT) | instid1(VALU_DEP_2)
	v_or_b32_e32 v21, v31, v21
	v_or_b32_e32 v20, v30, v20
	s_and_not1_b32 exec_lo, exec_lo, s6
	s_cbranch_execnz .LBB309_331
; %bb.332:                              ;   in Loop: Header=BB309_280 Depth=1
	s_or_b32 exec_lo, exec_lo, s6
.LBB309_333:                            ;   in Loop: Header=BB309_280 Depth=1
	s_delay_alu instid0(SALU_CYCLE_1)
	s_or_b32 exec_lo, exec_lo, s5
                                        ; implicit-def: $vgpr22_vgpr23
.LBB309_334:                            ;   in Loop: Header=BB309_280 Depth=1
	s_and_not1_saveexec_b32 s0, s4
	s_cbranch_execz .LBB309_336
; %bb.335:                              ;   in Loop: Header=BB309_280 Depth=1
	flat_load_b64 v[20:21], v[22:23]
	s_waitcnt vmcnt(0) lgkmcnt(0)
	v_and_b32_e32 v6, 0xff, v21
	v_and_b32_e32 v22, 0xff00, v21
	;; [unrolled: 1-line block ×4, first 2 shown]
	v_or3_b32 v20, v20, 0, 0
	s_delay_alu instid0(VALU_DEP_4) | instskip(NEXT) | instid1(VALU_DEP_1)
	v_or_b32_e32 v6, v6, v22
	v_or3_b32 v21, v6, v23, v21
.LBB309_336:                            ;   in Loop: Header=BB309_280 Depth=1
	s_or_b32 exec_lo, exec_lo, s0
	v_readfirstlane_b32 s0, v37
	v_mov_b32_e32 v30, 0
	v_mov_b32_e32 v31, 0
	s_delay_alu instid0(VALU_DEP_3) | instskip(NEXT) | instid1(VALU_DEP_1)
	v_cmp_eq_u32_e64 s0, s0, v37
	s_and_saveexec_b32 s1, s0
	s_cbranch_execz .LBB309_342
; %bb.337:                              ;   in Loop: Header=BB309_280 Depth=1
	global_load_b64 v[24:25], v7, s[2:3] offset:24 glc
	s_waitcnt vmcnt(0)
	buffer_gl1_inv
	buffer_gl0_inv
	s_clause 0x1
	global_load_b64 v[22:23], v7, s[2:3] offset:40
	global_load_b64 v[30:31], v7, s[2:3]
	s_mov_b32 s4, exec_lo
	s_waitcnt vmcnt(1)
	v_and_b32_e32 v6, v23, v25
	v_and_b32_e32 v22, v22, v24
	s_delay_alu instid0(VALU_DEP_2) | instskip(NEXT) | instid1(VALU_DEP_2)
	v_mul_lo_u32 v6, v6, 24
	v_mul_hi_u32 v23, v22, 24
	v_mul_lo_u32 v22, v22, 24
	s_delay_alu instid0(VALU_DEP_2) | instskip(SKIP_1) | instid1(VALU_DEP_2)
	v_add_nc_u32_e32 v6, v23, v6
	s_waitcnt vmcnt(0)
	v_add_co_u32 v22, vcc_lo, v30, v22
	s_delay_alu instid0(VALU_DEP_2)
	v_add_co_ci_u32_e32 v23, vcc_lo, v31, v6, vcc_lo
	global_load_b64 v[22:23], v[22:23], off glc
	s_waitcnt vmcnt(0)
	global_atomic_cmpswap_b64 v[30:31], v7, v[22:25], s[2:3] offset:24 glc
	s_waitcnt vmcnt(0)
	buffer_gl1_inv
	buffer_gl0_inv
	v_cmpx_ne_u64_e64 v[30:31], v[24:25]
	s_cbranch_execz .LBB309_341
; %bb.338:                              ;   in Loop: Header=BB309_280 Depth=1
	s_mov_b32 s5, 0
	.p2align	6
.LBB309_339:                            ;   Parent Loop BB309_280 Depth=1
                                        ; =>  This Inner Loop Header: Depth=2
	s_sleep 1
	s_clause 0x1
	global_load_b64 v[22:23], v7, s[2:3] offset:40
	global_load_b64 v[33:34], v7, s[2:3]
	v_dual_mov_b32 v24, v30 :: v_dual_mov_b32 v25, v31
	s_waitcnt vmcnt(1)
	s_delay_alu instid0(VALU_DEP_1) | instskip(SKIP_1) | instid1(VALU_DEP_1)
	v_and_b32_e32 v6, v22, v24
	s_waitcnt vmcnt(0)
	v_mad_u64_u32 v[30:31], null, v6, 24, v[33:34]
	v_and_b32_e32 v33, v23, v25
	s_delay_alu instid0(VALU_DEP_2) | instskip(NEXT) | instid1(VALU_DEP_1)
	v_mov_b32_e32 v6, v31
	v_mad_u64_u32 v[22:23], null, v33, 24, v[6:7]
	s_delay_alu instid0(VALU_DEP_1)
	v_mov_b32_e32 v31, v22
	global_load_b64 v[22:23], v[30:31], off glc
	s_waitcnt vmcnt(0)
	global_atomic_cmpswap_b64 v[30:31], v7, v[22:25], s[2:3] offset:24 glc
	s_waitcnt vmcnt(0)
	buffer_gl1_inv
	buffer_gl0_inv
	v_cmp_eq_u64_e32 vcc_lo, v[30:31], v[24:25]
	s_or_b32 s5, vcc_lo, s5
	s_delay_alu instid0(SALU_CYCLE_1)
	s_and_not1_b32 exec_lo, exec_lo, s5
	s_cbranch_execnz .LBB309_339
; %bb.340:                              ;   in Loop: Header=BB309_280 Depth=1
	s_or_b32 exec_lo, exec_lo, s5
.LBB309_341:                            ;   in Loop: Header=BB309_280 Depth=1
	s_delay_alu instid0(SALU_CYCLE_1)
	s_or_b32 exec_lo, exec_lo, s4
.LBB309_342:                            ;   in Loop: Header=BB309_280 Depth=1
	s_delay_alu instid0(SALU_CYCLE_1)
	s_or_b32 exec_lo, exec_lo, s1
	s_clause 0x1
	global_load_b64 v[33:34], v7, s[2:3] offset:40
	global_load_b128 v[22:25], v7, s[2:3]
	v_readfirstlane_b32 s4, v30
	v_readfirstlane_b32 s5, v31
	s_mov_b32 s1, exec_lo
	s_waitcnt vmcnt(1)
	v_readfirstlane_b32 s6, v33
	v_readfirstlane_b32 s7, v34
	s_delay_alu instid0(VALU_DEP_1) | instskip(NEXT) | instid1(SALU_CYCLE_1)
	s_and_b64 s[6:7], s[4:5], s[6:7]
	s_mul_i32 s13, s7, 24
	s_mul_hi_u32 s14, s6, 24
	s_mul_i32 s15, s6, 24
	s_add_i32 s14, s14, s13
	s_waitcnt vmcnt(0)
	v_add_co_u32 v30, vcc_lo, v22, s15
	v_add_co_ci_u32_e32 v31, vcc_lo, s14, v23, vcc_lo
	s_and_saveexec_b32 s13, s0
	s_cbranch_execz .LBB309_344
; %bb.343:                              ;   in Loop: Header=BB309_280 Depth=1
	v_mov_b32_e32 v6, s1
	global_store_b128 v[30:31], v[6:9], off offset:8
.LBB309_344:                            ;   in Loop: Header=BB309_280 Depth=1
	s_or_b32 exec_lo, exec_lo, s13
	v_cmp_lt_u64_e32 vcc_lo, 56, v[26:27]
	v_or_b32_e32 v6, 0, v1
	v_or_b32_e32 v33, v0, v32
	v_lshl_add_u32 v34, v28, 2, 28
	s_lshl_b64 s[6:7], s[6:7], 12
	s_delay_alu instid0(SALU_CYCLE_1) | instskip(NEXT) | instid1(VALU_DEP_1)
	v_add_co_u32 v24, s1, v24, s6
	v_add_co_ci_u32_e64 v25, s1, s7, v25, s1
	v_dual_cndmask_b32 v1, v6, v1 :: v_dual_cndmask_b32 v0, v33, v0
	v_and_b32_e32 v6, 0x1e0, v34
	s_delay_alu instid0(VALU_DEP_4) | instskip(NEXT) | instid1(VALU_DEP_4)
	v_readfirstlane_b32 s6, v24
	v_readfirstlane_b32 s7, v25
	s_delay_alu instid0(VALU_DEP_3)
	v_and_or_b32 v0, 0xffffff1f, v0, v6
	s_clause 0x3
	global_store_b128 v36, v[0:3], s[6:7]
	global_store_b128 v36, v[10:13], s[6:7] offset:16
	global_store_b128 v36, v[14:17], s[6:7] offset:32
	;; [unrolled: 1-line block ×3, first 2 shown]
	s_and_saveexec_b32 s1, s0
	s_cbranch_execz .LBB309_352
; %bb.345:                              ;   in Loop: Header=BB309_280 Depth=1
	s_clause 0x1
	global_load_b64 v[14:15], v7, s[2:3] offset:32 glc
	global_load_b64 v[0:1], v7, s[2:3] offset:40
	v_dual_mov_b32 v12, s4 :: v_dual_mov_b32 v13, s5
	s_waitcnt vmcnt(0)
	v_readfirstlane_b32 s6, v0
	v_readfirstlane_b32 s7, v1
	s_delay_alu instid0(VALU_DEP_1) | instskip(NEXT) | instid1(SALU_CYCLE_1)
	s_and_b64 s[6:7], s[6:7], s[4:5]
	s_mul_i32 s7, s7, 24
	s_mul_hi_u32 s13, s6, 24
	s_mul_i32 s6, s6, 24
	s_add_i32 s13, s13, s7
	v_add_co_u32 v10, vcc_lo, v22, s6
	v_add_co_ci_u32_e32 v11, vcc_lo, s13, v23, vcc_lo
	s_mov_b32 s6, exec_lo
	global_store_b64 v[10:11], v[14:15], off
	s_waitcnt_vscnt null, 0x0
	global_atomic_cmpswap_b64 v[2:3], v7, v[12:15], s[2:3] offset:32 glc
	s_waitcnt vmcnt(0)
	v_cmpx_ne_u64_e64 v[2:3], v[14:15]
	s_cbranch_execz .LBB309_348
; %bb.346:                              ;   in Loop: Header=BB309_280 Depth=1
	s_mov_b32 s7, 0
.LBB309_347:                            ;   Parent Loop BB309_280 Depth=1
                                        ; =>  This Inner Loop Header: Depth=2
	v_dual_mov_b32 v0, s4 :: v_dual_mov_b32 v1, s5
	s_sleep 1
	global_store_b64 v[10:11], v[2:3], off
	s_waitcnt_vscnt null, 0x0
	global_atomic_cmpswap_b64 v[0:1], v7, v[0:3], s[2:3] offset:32 glc
	s_waitcnt vmcnt(0)
	v_cmp_eq_u64_e32 vcc_lo, v[0:1], v[2:3]
	v_dual_mov_b32 v3, v1 :: v_dual_mov_b32 v2, v0
	s_or_b32 s7, vcc_lo, s7
	s_delay_alu instid0(SALU_CYCLE_1)
	s_and_not1_b32 exec_lo, exec_lo, s7
	s_cbranch_execnz .LBB309_347
.LBB309_348:                            ;   in Loop: Header=BB309_280 Depth=1
	s_or_b32 exec_lo, exec_lo, s6
	global_load_b64 v[0:1], v7, s[2:3] offset:16
	s_mov_b32 s7, exec_lo
	s_mov_b32 s6, exec_lo
	v_mbcnt_lo_u32_b32 v2, s7, 0
	s_delay_alu instid0(VALU_DEP_1)
	v_cmpx_eq_u32_e32 0, v2
	s_cbranch_execz .LBB309_350
; %bb.349:                              ;   in Loop: Header=BB309_280 Depth=1
	s_bcnt1_i32_b32 s7, s7
	s_delay_alu instid0(SALU_CYCLE_1)
	v_mov_b32_e32 v6, s7
	s_waitcnt vmcnt(0)
	global_atomic_add_u64 v[0:1], v[6:7], off offset:8
.LBB309_350:                            ;   in Loop: Header=BB309_280 Depth=1
	s_or_b32 exec_lo, exec_lo, s6
	s_waitcnt vmcnt(0)
	global_load_b64 v[2:3], v[0:1], off offset:16
	s_waitcnt vmcnt(0)
	v_cmp_eq_u64_e32 vcc_lo, 0, v[2:3]
	s_cbranch_vccnz .LBB309_352
; %bb.351:                              ;   in Loop: Header=BB309_280 Depth=1
	global_load_b32 v6, v[0:1], off offset:24
	s_waitcnt vmcnt(0)
	v_and_b32_e32 v0, 0xffffff, v6
	s_waitcnt_vscnt null, 0x0
	global_store_b64 v[2:3], v[6:7], off
	v_readfirstlane_b32 m0, v0
	s_sendmsg sendmsg(MSG_INTERRUPT)
.LBB309_352:                            ;   in Loop: Header=BB309_280 Depth=1
	s_or_b32 exec_lo, exec_lo, s1
	v_add_co_u32 v0, vcc_lo, v24, v36
	v_add_co_ci_u32_e32 v1, vcc_lo, 0, v25, vcc_lo
	s_branch .LBB309_356
	.p2align	6
.LBB309_353:                            ;   in Loop: Header=BB309_356 Depth=2
	s_or_b32 exec_lo, exec_lo, s1
	s_delay_alu instid0(VALU_DEP_1) | instskip(NEXT) | instid1(VALU_DEP_1)
	v_readfirstlane_b32 s1, v2
	s_cmp_eq_u32 s1, 0
	s_cbranch_scc1 .LBB309_355
; %bb.354:                              ;   in Loop: Header=BB309_356 Depth=2
	s_sleep 1
	s_cbranch_execnz .LBB309_356
	s_branch .LBB309_358
	.p2align	6
.LBB309_355:                            ;   in Loop: Header=BB309_280 Depth=1
	s_branch .LBB309_358
.LBB309_356:                            ;   Parent Loop BB309_280 Depth=1
                                        ; =>  This Inner Loop Header: Depth=2
	v_mov_b32_e32 v2, 1
	s_and_saveexec_b32 s1, s0
	s_cbranch_execz .LBB309_353
; %bb.357:                              ;   in Loop: Header=BB309_356 Depth=2
	global_load_b32 v2, v[30:31], off offset:20 glc
	s_waitcnt vmcnt(0)
	buffer_gl1_inv
	buffer_gl0_inv
	v_and_b32_e32 v2, 1, v2
	s_branch .LBB309_353
.LBB309_358:                            ;   in Loop: Header=BB309_280 Depth=1
	global_load_b128 v[0:3], v[0:1], off
	s_and_saveexec_b32 s1, s0
	s_cbranch_execz .LBB309_279
; %bb.359:                              ;   in Loop: Header=BB309_280 Depth=1
	s_clause 0x2
	global_load_b64 v[2:3], v7, s[2:3] offset:40
	global_load_b64 v[14:15], v7, s[2:3] offset:24 glc
	global_load_b64 v[12:13], v7, s[2:3]
	s_waitcnt vmcnt(2)
	v_add_co_u32 v6, vcc_lo, v2, 1
	v_add_co_ci_u32_e32 v16, vcc_lo, 0, v3, vcc_lo
	s_delay_alu instid0(VALU_DEP_2) | instskip(NEXT) | instid1(VALU_DEP_2)
	v_add_co_u32 v10, vcc_lo, v6, s4
	v_add_co_ci_u32_e32 v11, vcc_lo, s5, v16, vcc_lo
	s_delay_alu instid0(VALU_DEP_1) | instskip(SKIP_1) | instid1(VALU_DEP_1)
	v_cmp_eq_u64_e32 vcc_lo, 0, v[10:11]
	v_dual_cndmask_b32 v11, v11, v16 :: v_dual_cndmask_b32 v10, v10, v6
	v_and_b32_e32 v3, v11, v3
	s_delay_alu instid0(VALU_DEP_2) | instskip(NEXT) | instid1(VALU_DEP_1)
	v_and_b32_e32 v2, v10, v2
	v_mul_hi_u32 v6, v2, 24
	v_mul_lo_u32 v2, v2, 24
	s_waitcnt vmcnt(0)
	s_delay_alu instid0(VALU_DEP_1) | instskip(SKIP_2) | instid1(VALU_DEP_1)
	v_add_co_u32 v2, vcc_lo, v12, v2
	v_mov_b32_e32 v12, v14
	v_mul_lo_u32 v3, v3, 24
	v_add_nc_u32_e32 v3, v6, v3
	s_delay_alu instid0(VALU_DEP_1)
	v_add_co_ci_u32_e32 v3, vcc_lo, v13, v3, vcc_lo
	v_mov_b32_e32 v13, v15
	global_store_b64 v[2:3], v[14:15], off
	s_waitcnt_vscnt null, 0x0
	global_atomic_cmpswap_b64 v[12:13], v7, v[10:13], s[2:3] offset:24 glc
	s_waitcnt vmcnt(0)
	v_cmp_ne_u64_e32 vcc_lo, v[12:13], v[14:15]
	s_and_b32 exec_lo, exec_lo, vcc_lo
	s_cbranch_execz .LBB309_279
; %bb.360:                              ;   in Loop: Header=BB309_280 Depth=1
	s_mov_b32 s0, 0
.LBB309_361:                            ;   Parent Loop BB309_280 Depth=1
                                        ; =>  This Inner Loop Header: Depth=2
	s_sleep 1
	global_store_b64 v[2:3], v[12:13], off
	s_waitcnt_vscnt null, 0x0
	global_atomic_cmpswap_b64 v[14:15], v7, v[10:13], s[2:3] offset:24 glc
	s_waitcnt vmcnt(0)
	v_cmp_eq_u64_e32 vcc_lo, v[14:15], v[12:13]
	v_dual_mov_b32 v12, v14 :: v_dual_mov_b32 v13, v15
	s_or_b32 s0, vcc_lo, s0
	s_delay_alu instid0(SALU_CYCLE_1)
	s_and_not1_b32 exec_lo, exec_lo, s0
	s_cbranch_execnz .LBB309_361
	s_branch .LBB309_279
.LBB309_362:
	s_or_b32 exec_lo, exec_lo, s11
                                        ; implicit-def: $vgpr36
                                        ; implicit-def: $vgpr37
.LBB309_363:
	s_and_not1_saveexec_b32 s1, s10
	s_cbranch_execz .LBB309_391
; %bb.364:
	v_readfirstlane_b32 s0, v37
	v_mov_b32_e32 v8, 0
	v_mov_b32_e32 v9, 0
	s_delay_alu instid0(VALU_DEP_3) | instskip(NEXT) | instid1(VALU_DEP_1)
	v_cmp_eq_u32_e64 s0, s0, v37
	s_and_saveexec_b32 s4, s0
	s_cbranch_execz .LBB309_370
; %bb.365:
	s_waitcnt vmcnt(0)
	v_mov_b32_e32 v2, 0
	s_mov_b32 s5, exec_lo
	global_load_b64 v[5:6], v2, s[2:3] offset:24 glc
	s_waitcnt vmcnt(0)
	buffer_gl1_inv
	buffer_gl0_inv
	s_clause 0x1
	global_load_b64 v[3:4], v2, s[2:3] offset:40
	global_load_b64 v[7:8], v2, s[2:3]
	s_waitcnt vmcnt(1)
	v_and_b32_e32 v3, v3, v5
	v_and_b32_e32 v4, v4, v6
	s_delay_alu instid0(VALU_DEP_2) | instskip(NEXT) | instid1(VALU_DEP_2)
	v_mul_hi_u32 v9, v3, 24
	v_mul_lo_u32 v4, v4, 24
	v_mul_lo_u32 v3, v3, 24
	s_delay_alu instid0(VALU_DEP_2) | instskip(SKIP_1) | instid1(VALU_DEP_2)
	v_add_nc_u32_e32 v4, v9, v4
	s_waitcnt vmcnt(0)
	v_add_co_u32 v3, vcc_lo, v7, v3
	s_delay_alu instid0(VALU_DEP_2)
	v_add_co_ci_u32_e32 v4, vcc_lo, v8, v4, vcc_lo
	global_load_b64 v[3:4], v[3:4], off glc
	s_waitcnt vmcnt(0)
	global_atomic_cmpswap_b64 v[8:9], v2, v[3:6], s[2:3] offset:24 glc
	s_waitcnt vmcnt(0)
	buffer_gl1_inv
	buffer_gl0_inv
	v_cmpx_ne_u64_e64 v[8:9], v[5:6]
	s_cbranch_execz .LBB309_369
; %bb.366:
	s_mov_b32 s6, 0
	.p2align	6
.LBB309_367:                            ; =>This Inner Loop Header: Depth=1
	s_sleep 1
	s_clause 0x1
	global_load_b64 v[3:4], v2, s[2:3] offset:40
	global_load_b64 v[10:11], v2, s[2:3]
	v_dual_mov_b32 v5, v8 :: v_dual_mov_b32 v6, v9
	s_waitcnt vmcnt(1)
	s_delay_alu instid0(VALU_DEP_1) | instskip(NEXT) | instid1(VALU_DEP_2)
	v_and_b32_e32 v3, v3, v5
	v_and_b32_e32 v4, v4, v6
	s_waitcnt vmcnt(0)
	s_delay_alu instid0(VALU_DEP_2) | instskip(NEXT) | instid1(VALU_DEP_1)
	v_mad_u64_u32 v[7:8], null, v3, 24, v[10:11]
	v_mov_b32_e32 v3, v8
	s_delay_alu instid0(VALU_DEP_1)
	v_mad_u64_u32 v[8:9], null, v4, 24, v[3:4]
	global_load_b64 v[3:4], v[7:8], off glc
	s_waitcnt vmcnt(0)
	global_atomic_cmpswap_b64 v[8:9], v2, v[3:6], s[2:3] offset:24 glc
	s_waitcnt vmcnt(0)
	buffer_gl1_inv
	buffer_gl0_inv
	v_cmp_eq_u64_e32 vcc_lo, v[8:9], v[5:6]
	s_or_b32 s6, vcc_lo, s6
	s_delay_alu instid0(SALU_CYCLE_1)
	s_and_not1_b32 exec_lo, exec_lo, s6
	s_cbranch_execnz .LBB309_367
; %bb.368:
	s_or_b32 exec_lo, exec_lo, s6
.LBB309_369:
	s_delay_alu instid0(SALU_CYCLE_1)
	s_or_b32 exec_lo, exec_lo, s5
.LBB309_370:
	s_delay_alu instid0(SALU_CYCLE_1)
	s_or_b32 exec_lo, exec_lo, s4
	s_waitcnt vmcnt(0)
	v_mov_b32_e32 v2, 0
	v_readfirstlane_b32 s4, v8
	v_readfirstlane_b32 s5, v9
	s_mov_b32 s10, exec_lo
	s_clause 0x1
	global_load_b64 v[10:11], v2, s[2:3] offset:40
	global_load_b128 v[4:7], v2, s[2:3]
	s_waitcnt vmcnt(1)
	v_readfirstlane_b32 s6, v10
	v_readfirstlane_b32 s7, v11
	s_delay_alu instid0(VALU_DEP_1) | instskip(NEXT) | instid1(SALU_CYCLE_1)
	s_and_b64 s[6:7], s[4:5], s[6:7]
	s_mul_i32 s11, s7, 24
	s_mul_hi_u32 s12, s6, 24
	s_mul_i32 s13, s6, 24
	s_add_i32 s12, s12, s11
	s_waitcnt vmcnt(0)
	v_add_co_u32 v8, vcc_lo, v4, s13
	v_add_co_ci_u32_e32 v9, vcc_lo, s12, v5, vcc_lo
	s_and_saveexec_b32 s11, s0
	s_cbranch_execz .LBB309_372
; %bb.371:
	v_dual_mov_b32 v10, s10 :: v_dual_mov_b32 v11, v2
	v_dual_mov_b32 v12, 2 :: v_dual_mov_b32 v13, 1
	global_store_b128 v[8:9], v[10:13], off offset:8
.LBB309_372:
	s_or_b32 exec_lo, exec_lo, s11
	s_lshl_b64 s[6:7], s[6:7], 12
	s_mov_b32 s12, 0
	v_add_co_u32 v6, vcc_lo, v6, s6
	v_add_co_ci_u32_e32 v7, vcc_lo, s7, v7, vcc_lo
	s_mov_b32 s13, s12
	s_delay_alu instid0(VALU_DEP_2)
	v_readfirstlane_b32 s6, v6
	v_add_co_u32 v6, vcc_lo, v6, v36
	s_mov_b32 s14, s12
	s_mov_b32 s15, s12
	v_and_or_b32 v0, 0xffffff1f, v0, 32
	v_dual_mov_b32 v3, v2 :: v_dual_mov_b32 v10, s12
	v_readfirstlane_b32 s7, v7
	v_add_co_ci_u32_e32 v7, vcc_lo, 0, v7, vcc_lo
	v_dual_mov_b32 v11, s13 :: v_dual_mov_b32 v12, s14
	v_mov_b32_e32 v13, s15
	s_clause 0x3
	global_store_b128 v36, v[0:3], s[6:7]
	global_store_b128 v36, v[10:13], s[6:7] offset:16
	global_store_b128 v36, v[10:13], s[6:7] offset:32
	global_store_b128 v36, v[10:13], s[6:7] offset:48
	s_and_saveexec_b32 s6, s0
	s_cbranch_execz .LBB309_380
; %bb.373:
	v_dual_mov_b32 v10, 0 :: v_dual_mov_b32 v11, s4
	v_mov_b32_e32 v12, s5
	s_clause 0x1
	global_load_b64 v[13:14], v10, s[2:3] offset:32 glc
	global_load_b64 v[0:1], v10, s[2:3] offset:40
	s_waitcnt vmcnt(0)
	v_readfirstlane_b32 s10, v0
	v_readfirstlane_b32 s11, v1
	s_delay_alu instid0(VALU_DEP_1) | instskip(NEXT) | instid1(SALU_CYCLE_1)
	s_and_b64 s[10:11], s[10:11], s[4:5]
	s_mul_i32 s7, s11, 24
	s_mul_hi_u32 s11, s10, 24
	s_mul_i32 s10, s10, 24
	s_add_i32 s11, s11, s7
	v_add_co_u32 v4, vcc_lo, v4, s10
	v_add_co_ci_u32_e32 v5, vcc_lo, s11, v5, vcc_lo
	s_mov_b32 s7, exec_lo
	global_store_b64 v[4:5], v[13:14], off
	s_waitcnt_vscnt null, 0x0
	global_atomic_cmpswap_b64 v[2:3], v10, v[11:14], s[2:3] offset:32 glc
	s_waitcnt vmcnt(0)
	v_cmpx_ne_u64_e64 v[2:3], v[13:14]
	s_cbranch_execz .LBB309_376
; %bb.374:
	s_mov_b32 s10, 0
.LBB309_375:                            ; =>This Inner Loop Header: Depth=1
	v_dual_mov_b32 v0, s4 :: v_dual_mov_b32 v1, s5
	s_sleep 1
	global_store_b64 v[4:5], v[2:3], off
	s_waitcnt_vscnt null, 0x0
	global_atomic_cmpswap_b64 v[0:1], v10, v[0:3], s[2:3] offset:32 glc
	s_waitcnt vmcnt(0)
	v_cmp_eq_u64_e32 vcc_lo, v[0:1], v[2:3]
	v_dual_mov_b32 v3, v1 :: v_dual_mov_b32 v2, v0
	s_or_b32 s10, vcc_lo, s10
	s_delay_alu instid0(SALU_CYCLE_1)
	s_and_not1_b32 exec_lo, exec_lo, s10
	s_cbranch_execnz .LBB309_375
.LBB309_376:
	s_or_b32 exec_lo, exec_lo, s7
	v_mov_b32_e32 v3, 0
	s_mov_b32 s10, exec_lo
	s_mov_b32 s7, exec_lo
	v_mbcnt_lo_u32_b32 v2, s10, 0
	global_load_b64 v[0:1], v3, s[2:3] offset:16
	v_cmpx_eq_u32_e32 0, v2
	s_cbranch_execz .LBB309_378
; %bb.377:
	s_bcnt1_i32_b32 s10, s10
	s_delay_alu instid0(SALU_CYCLE_1)
	v_mov_b32_e32 v2, s10
	s_waitcnt vmcnt(0)
	global_atomic_add_u64 v[0:1], v[2:3], off offset:8
.LBB309_378:
	s_or_b32 exec_lo, exec_lo, s7
	s_waitcnt vmcnt(0)
	global_load_b64 v[2:3], v[0:1], off offset:16
	s_waitcnt vmcnt(0)
	v_cmp_eq_u64_e32 vcc_lo, 0, v[2:3]
	s_cbranch_vccnz .LBB309_380
; %bb.379:
	global_load_b32 v0, v[0:1], off offset:24
	s_waitcnt vmcnt(0)
	v_dual_mov_b32 v1, 0 :: v_dual_and_b32 v4, 0xffffff, v0
	s_waitcnt_vscnt null, 0x0
	global_store_b64 v[2:3], v[0:1], off
	v_readfirstlane_b32 m0, v4
	s_sendmsg sendmsg(MSG_INTERRUPT)
.LBB309_380:
	s_or_b32 exec_lo, exec_lo, s6
	s_branch .LBB309_384
	.p2align	6
.LBB309_381:                            ;   in Loop: Header=BB309_384 Depth=1
	s_or_b32 exec_lo, exec_lo, s6
	s_delay_alu instid0(VALU_DEP_1) | instskip(NEXT) | instid1(VALU_DEP_1)
	v_readfirstlane_b32 s6, v0
	s_cmp_eq_u32 s6, 0
	s_cbranch_scc1 .LBB309_383
; %bb.382:                              ;   in Loop: Header=BB309_384 Depth=1
	s_sleep 1
	s_cbranch_execnz .LBB309_384
	s_branch .LBB309_386
	.p2align	6
.LBB309_383:
	s_branch .LBB309_386
.LBB309_384:                            ; =>This Inner Loop Header: Depth=1
	v_mov_b32_e32 v0, 1
	s_and_saveexec_b32 s6, s0
	s_cbranch_execz .LBB309_381
; %bb.385:                              ;   in Loop: Header=BB309_384 Depth=1
	global_load_b32 v0, v[8:9], off offset:20 glc
	s_waitcnt vmcnt(0)
	buffer_gl1_inv
	buffer_gl0_inv
	v_and_b32_e32 v0, 1, v0
	s_branch .LBB309_381
.LBB309_386:
	global_load_b64 v[0:1], v[6:7], off
	s_and_saveexec_b32 s6, s0
	s_cbranch_execz .LBB309_390
; %bb.387:
	v_mov_b32_e32 v8, 0
	s_clause 0x2
	global_load_b64 v[4:5], v8, s[2:3] offset:40
	global_load_b64 v[9:10], v8, s[2:3] offset:24 glc
	global_load_b64 v[6:7], v8, s[2:3]
	s_waitcnt vmcnt(2)
	v_add_co_u32 v11, vcc_lo, v4, 1
	v_add_co_ci_u32_e32 v12, vcc_lo, 0, v5, vcc_lo
	s_delay_alu instid0(VALU_DEP_2) | instskip(NEXT) | instid1(VALU_DEP_2)
	v_add_co_u32 v2, vcc_lo, v11, s4
	v_add_co_ci_u32_e32 v3, vcc_lo, s5, v12, vcc_lo
	s_delay_alu instid0(VALU_DEP_1) | instskip(SKIP_1) | instid1(VALU_DEP_1)
	v_cmp_eq_u64_e32 vcc_lo, 0, v[2:3]
	v_dual_cndmask_b32 v3, v3, v12 :: v_dual_cndmask_b32 v2, v2, v11
	v_and_b32_e32 v5, v3, v5
	s_delay_alu instid0(VALU_DEP_2) | instskip(NEXT) | instid1(VALU_DEP_2)
	v_and_b32_e32 v4, v2, v4
	v_mul_lo_u32 v5, v5, 24
	s_delay_alu instid0(VALU_DEP_2) | instskip(SKIP_1) | instid1(VALU_DEP_2)
	v_mul_hi_u32 v11, v4, 24
	v_mul_lo_u32 v4, v4, 24
	v_add_nc_u32_e32 v5, v11, v5
	s_waitcnt vmcnt(0)
	s_delay_alu instid0(VALU_DEP_2) | instskip(SKIP_1) | instid1(VALU_DEP_3)
	v_add_co_u32 v6, vcc_lo, v6, v4
	v_mov_b32_e32 v4, v9
	v_add_co_ci_u32_e32 v7, vcc_lo, v7, v5, vcc_lo
	v_mov_b32_e32 v5, v10
	global_store_b64 v[6:7], v[9:10], off
	s_waitcnt_vscnt null, 0x0
	global_atomic_cmpswap_b64 v[4:5], v8, v[2:5], s[2:3] offset:24 glc
	s_waitcnt vmcnt(0)
	v_cmp_ne_u64_e32 vcc_lo, v[4:5], v[9:10]
	s_and_b32 exec_lo, exec_lo, vcc_lo
	s_cbranch_execz .LBB309_390
; %bb.388:
	s_mov_b32 s0, 0
.LBB309_389:                            ; =>This Inner Loop Header: Depth=1
	s_sleep 1
	global_store_b64 v[6:7], v[4:5], off
	s_waitcnt_vscnt null, 0x0
	global_atomic_cmpswap_b64 v[9:10], v8, v[2:5], s[2:3] offset:24 glc
	s_waitcnt vmcnt(0)
	v_cmp_eq_u64_e32 vcc_lo, v[9:10], v[4:5]
	v_dual_mov_b32 v4, v9 :: v_dual_mov_b32 v5, v10
	s_or_b32 s0, vcc_lo, s0
	s_delay_alu instid0(SALU_CYCLE_1)
	s_and_not1_b32 exec_lo, exec_lo, s0
	s_cbranch_execnz .LBB309_389
.LBB309_390:
	s_or_b32 exec_lo, exec_lo, s6
.LBB309_391:
	s_delay_alu instid0(SALU_CYCLE_1)
	s_or_b32 exec_lo, exec_lo, s1
	s_getpc_b64 s[0:1]
	s_add_u32 s0, s0, .str.1@rel32@lo+4
	s_addc_u32 s1, s1, .str.1@rel32@hi+12
	s_getpc_b64 s[2:3]
	s_add_u32 s2, s2, .str.1@rel32@lo+10
	s_addc_u32 s3, s3, .str.1@rel32@hi+18
	s_sub_i32 s4, s2, s0
	s_getpc_b64 s[2:3]
	s_add_u32 s2, s2, __ockl_fprintf_append_string_n@rel32@lo+4
	s_addc_u32 s3, s3, __ockl_fprintf_append_string_n@rel32@hi+12
	s_ashr_i32 s5, s4, 31
	s_waitcnt vmcnt(0)
	v_dual_mov_b32 v2, s0 :: v_dual_mov_b32 v3, s1
	v_dual_mov_b32 v4, s4 :: v_dual_mov_b32 v5, s5
	v_mov_b32_e32 v6, 1
	s_swappc_b64 s[30:31], s[2:3]
	s_trap 2
	s_sendmsg_rtn_b32 s0, sendmsg(MSG_RTN_GET_DOORBELL)
	s_mov_b32 ttmp2, m0
	s_waitcnt lgkmcnt(0)
	s_and_b32 s0, s0, 0x3ff
	s_delay_alu instid0(SALU_CYCLE_1) | instskip(NEXT) | instid1(SALU_CYCLE_1)
	s_bitset1_b32 s0, 10
	s_mov_b32 m0, s0
	s_sendmsg sendmsg(MSG_INTERRUPT)
	s_mov_b32 m0, ttmp2
.LBB309_392:                            ; =>This Inner Loop Header: Depth=1
	s_sethalt 5
	s_branch .LBB309_392
.Lfunc_end309:
	.size	__assert_fail, .Lfunc_end309-__assert_fail
                                        ; -- End function
	.section	.AMDGPU.csdata,"",@progbits
; Function info:
; codeLenInByte = 16112
; NumSgprs: 36
; NumVgprs: 50
; ScratchSize: 64
; MemoryBound: 0
	.section	.text._Z11wvSplitKrc_I6__halfLi64ELi16ELi4ELi8ELi1ELi16ELi1ELi1ELi1EEviiiiiiPKT_S3_S3_PfPiPS1_i,"axG",@progbits,_Z11wvSplitKrc_I6__halfLi64ELi16ELi4ELi8ELi1ELi16ELi1ELi1ELi1EEviiiiiiPKT_S3_S3_PfPiPS1_i,comdat
	.protected	_Z11wvSplitKrc_I6__halfLi64ELi16ELi4ELi8ELi1ELi16ELi1ELi1ELi1EEviiiiiiPKT_S3_S3_PfPiPS1_i ; -- Begin function _Z11wvSplitKrc_I6__halfLi64ELi16ELi4ELi8ELi1ELi16ELi1ELi1ELi1EEviiiiiiPKT_S3_S3_PfPiPS1_i
	.globl	_Z11wvSplitKrc_I6__halfLi64ELi16ELi4ELi8ELi1ELi16ELi1ELi1ELi1EEviiiiiiPKT_S3_S3_PfPiPS1_i
	.p2align	8
	.type	_Z11wvSplitKrc_I6__halfLi64ELi16ELi4ELi8ELi1ELi16ELi1ELi1ELi1EEviiiiiiPKT_S3_S3_PfPiPS1_i,@function
_Z11wvSplitKrc_I6__halfLi64ELi16ELi4ELi8ELi1ELi16ELi1ELi1ELi1EEviiiiiiPKT_S3_S3_PfPiPS1_i: ; @_Z11wvSplitKrc_I6__halfLi64ELi16ELi4ELi8ELi1ELi16ELi1ELi1ELi1EEviiiiiiPKT_S3_S3_PfPiPS1_i
; %bb.0:
	s_add_u32 s8, s0, 0x50
	s_addc_u32 s9, s1, 0
	s_getpc_b64 s[0:1]
	s_add_u32 s0, s0, __PRETTY_FUNCTION__._Z11wvSplitKrc_I6__halfLi64ELi16ELi4ELi8ELi1ELi16ELi1ELi1ELi1EEviiiiiiPKT_S3_S3_PfPiPS1_i@rel32@lo+4
	s_addc_u32 s1, s1, __PRETTY_FUNCTION__._Z11wvSplitKrc_I6__halfLi64ELi16ELi4ELi8ELi1ELi16ELi1ELi1ELi1EEviiiiiiPKT_S3_S3_PfPiPS1_i@rel32@hi+12
	v_dual_mov_b32 v0, 0x6c9 :: v_dual_mov_b32 v1, s0
	v_mov_b32_e32 v2, s1
	s_mov_b32 s32, 0
	s_getpc_b64 s[2:3]
	s_add_u32 s2, s2, __assert_fail@rel32@lo+4
	s_addc_u32 s3, s3, __assert_fail@rel32@hi+12
	s_delay_alu instid0(SALU_CYCLE_1)
	s_swappc_b64 s[30:31], s[2:3]
	.section	.rodata,"a",@progbits
	.p2align	6, 0x0
	.amdhsa_kernel _Z11wvSplitKrc_I6__halfLi64ELi16ELi4ELi8ELi1ELi16ELi1ELi1ELi1EEviiiiiiPKT_S3_S3_PfPiPS1_i
		.amdhsa_group_segment_fixed_size 0
		.amdhsa_private_segment_fixed_size 64
		.amdhsa_kernarg_size 336
		.amdhsa_user_sgpr_count 15
		.amdhsa_user_sgpr_dispatch_ptr 0
		.amdhsa_user_sgpr_queue_ptr 0
		.amdhsa_user_sgpr_kernarg_segment_ptr 1
		.amdhsa_user_sgpr_dispatch_id 0
		.amdhsa_user_sgpr_private_segment_size 0
		.amdhsa_wavefront_size32 1
		.amdhsa_uses_dynamic_stack 0
		.amdhsa_enable_private_segment 1
		.amdhsa_system_sgpr_workgroup_id_x 1
		.amdhsa_system_sgpr_workgroup_id_y 0
		.amdhsa_system_sgpr_workgroup_id_z 0
		.amdhsa_system_sgpr_workgroup_info 0
		.amdhsa_system_vgpr_workitem_id 0
		.amdhsa_next_free_vgpr 50
		.amdhsa_next_free_sgpr 34
		.amdhsa_reserve_vcc 1
		.amdhsa_float_round_mode_32 0
		.amdhsa_float_round_mode_16_64 0
		.amdhsa_float_denorm_mode_32 3
		.amdhsa_float_denorm_mode_16_64 3
		.amdhsa_dx10_clamp 1
		.amdhsa_ieee_mode 1
		.amdhsa_fp16_overflow 0
		.amdhsa_workgroup_processor_mode 1
		.amdhsa_memory_ordered 1
		.amdhsa_forward_progress 0
		.amdhsa_shared_vgpr_count 0
		.amdhsa_exception_fp_ieee_invalid_op 0
		.amdhsa_exception_fp_denorm_src 0
		.amdhsa_exception_fp_ieee_div_zero 0
		.amdhsa_exception_fp_ieee_overflow 0
		.amdhsa_exception_fp_ieee_underflow 0
		.amdhsa_exception_fp_ieee_inexact 0
		.amdhsa_exception_int_div_zero 0
	.end_amdhsa_kernel
	.section	.text._Z11wvSplitKrc_I6__halfLi64ELi16ELi4ELi8ELi1ELi16ELi1ELi1ELi1EEviiiiiiPKT_S3_S3_PfPiPS1_i,"axG",@progbits,_Z11wvSplitKrc_I6__halfLi64ELi16ELi4ELi8ELi1ELi16ELi1ELi1ELi1EEviiiiiiPKT_S3_S3_PfPiPS1_i,comdat
.Lfunc_end310:
	.size	_Z11wvSplitKrc_I6__halfLi64ELi16ELi4ELi8ELi1ELi16ELi1ELi1ELi1EEviiiiiiPKT_S3_S3_PfPiPS1_i, .Lfunc_end310-_Z11wvSplitKrc_I6__halfLi64ELi16ELi4ELi8ELi1ELi16ELi1ELi1ELi1EEviiiiiiPKT_S3_S3_PfPiPS1_i
                                        ; -- End function
	.section	.AMDGPU.csdata,"",@progbits
; Kernel info:
; codeLenInByte = 80
; NumSgprs: 36
; NumVgprs: 50
; ScratchSize: 64
; MemoryBound: 0
; FloatMode: 240
; IeeeMode: 1
; LDSByteSize: 0 bytes/workgroup (compile time only)
; SGPRBlocks: 4
; VGPRBlocks: 6
; NumSGPRsForWavesPerEU: 36
; NumVGPRsForWavesPerEU: 50
; Occupancy: 16
; WaveLimiterHint : 1
; COMPUTE_PGM_RSRC2:SCRATCH_EN: 1
; COMPUTE_PGM_RSRC2:USER_SGPR: 15
; COMPUTE_PGM_RSRC2:TRAP_HANDLER: 0
; COMPUTE_PGM_RSRC2:TGID_X_EN: 1
; COMPUTE_PGM_RSRC2:TGID_Y_EN: 0
; COMPUTE_PGM_RSRC2:TGID_Z_EN: 0
; COMPUTE_PGM_RSRC2:TIDIG_COMP_CNT: 0
	.section	.text._Z11wvSplitKrc_I6__halfLi64ELi16ELi4ELi8ELi1ELi16ELi1ELi1ELi0EEviiiiiiPKT_S3_S3_PfPiPS1_i,"axG",@progbits,_Z11wvSplitKrc_I6__halfLi64ELi16ELi4ELi8ELi1ELi16ELi1ELi1ELi0EEviiiiiiPKT_S3_S3_PfPiPS1_i,comdat
	.protected	_Z11wvSplitKrc_I6__halfLi64ELi16ELi4ELi8ELi1ELi16ELi1ELi1ELi0EEviiiiiiPKT_S3_S3_PfPiPS1_i ; -- Begin function _Z11wvSplitKrc_I6__halfLi64ELi16ELi4ELi8ELi1ELi16ELi1ELi1ELi0EEviiiiiiPKT_S3_S3_PfPiPS1_i
	.globl	_Z11wvSplitKrc_I6__halfLi64ELi16ELi4ELi8ELi1ELi16ELi1ELi1ELi0EEviiiiiiPKT_S3_S3_PfPiPS1_i
	.p2align	8
	.type	_Z11wvSplitKrc_I6__halfLi64ELi16ELi4ELi8ELi1ELi16ELi1ELi1ELi0EEviiiiiiPKT_S3_S3_PfPiPS1_i,@function
_Z11wvSplitKrc_I6__halfLi64ELi16ELi4ELi8ELi1ELi16ELi1ELi1ELi0EEviiiiiiPKT_S3_S3_PfPiPS1_i: ; @_Z11wvSplitKrc_I6__halfLi64ELi16ELi4ELi8ELi1ELi16ELi1ELi1ELi0EEviiiiiiPKT_S3_S3_PfPiPS1_i
; %bb.0:
	s_add_u32 s8, s0, 0x50
	s_addc_u32 s9, s1, 0
	s_getpc_b64 s[0:1]
	s_add_u32 s0, s0, __PRETTY_FUNCTION__._Z11wvSplitKrc_I6__halfLi64ELi16ELi4ELi8ELi1ELi16ELi1ELi1ELi0EEviiiiiiPKT_S3_S3_PfPiPS1_i@rel32@lo+4
	s_addc_u32 s1, s1, __PRETTY_FUNCTION__._Z11wvSplitKrc_I6__halfLi64ELi16ELi4ELi8ELi1ELi16ELi1ELi1ELi0EEviiiiiiPKT_S3_S3_PfPiPS1_i@rel32@hi+12
	v_dual_mov_b32 v0, 0x6c9 :: v_dual_mov_b32 v1, s0
	v_mov_b32_e32 v2, s1
	s_mov_b32 s32, 0
	s_getpc_b64 s[2:3]
	s_add_u32 s2, s2, __assert_fail@rel32@lo+4
	s_addc_u32 s3, s3, __assert_fail@rel32@hi+12
	s_delay_alu instid0(SALU_CYCLE_1)
	s_swappc_b64 s[30:31], s[2:3]
	.section	.rodata,"a",@progbits
	.p2align	6, 0x0
	.amdhsa_kernel _Z11wvSplitKrc_I6__halfLi64ELi16ELi4ELi8ELi1ELi16ELi1ELi1ELi0EEviiiiiiPKT_S3_S3_PfPiPS1_i
		.amdhsa_group_segment_fixed_size 0
		.amdhsa_private_segment_fixed_size 64
		.amdhsa_kernarg_size 336
		.amdhsa_user_sgpr_count 15
		.amdhsa_user_sgpr_dispatch_ptr 0
		.amdhsa_user_sgpr_queue_ptr 0
		.amdhsa_user_sgpr_kernarg_segment_ptr 1
		.amdhsa_user_sgpr_dispatch_id 0
		.amdhsa_user_sgpr_private_segment_size 0
		.amdhsa_wavefront_size32 1
		.amdhsa_uses_dynamic_stack 0
		.amdhsa_enable_private_segment 1
		.amdhsa_system_sgpr_workgroup_id_x 1
		.amdhsa_system_sgpr_workgroup_id_y 0
		.amdhsa_system_sgpr_workgroup_id_z 0
		.amdhsa_system_sgpr_workgroup_info 0
		.amdhsa_system_vgpr_workitem_id 0
		.amdhsa_next_free_vgpr 50
		.amdhsa_next_free_sgpr 34
		.amdhsa_reserve_vcc 1
		.amdhsa_float_round_mode_32 0
		.amdhsa_float_round_mode_16_64 0
		.amdhsa_float_denorm_mode_32 3
		.amdhsa_float_denorm_mode_16_64 3
		.amdhsa_dx10_clamp 1
		.amdhsa_ieee_mode 1
		.amdhsa_fp16_overflow 0
		.amdhsa_workgroup_processor_mode 1
		.amdhsa_memory_ordered 1
		.amdhsa_forward_progress 0
		.amdhsa_shared_vgpr_count 0
		.amdhsa_exception_fp_ieee_invalid_op 0
		.amdhsa_exception_fp_denorm_src 0
		.amdhsa_exception_fp_ieee_div_zero 0
		.amdhsa_exception_fp_ieee_overflow 0
		.amdhsa_exception_fp_ieee_underflow 0
		.amdhsa_exception_fp_ieee_inexact 0
		.amdhsa_exception_int_div_zero 0
	.end_amdhsa_kernel
	.section	.text._Z11wvSplitKrc_I6__halfLi64ELi16ELi4ELi8ELi1ELi16ELi1ELi1ELi0EEviiiiiiPKT_S3_S3_PfPiPS1_i,"axG",@progbits,_Z11wvSplitKrc_I6__halfLi64ELi16ELi4ELi8ELi1ELi16ELi1ELi1ELi0EEviiiiiiPKT_S3_S3_PfPiPS1_i,comdat
.Lfunc_end311:
	.size	_Z11wvSplitKrc_I6__halfLi64ELi16ELi4ELi8ELi1ELi16ELi1ELi1ELi0EEviiiiiiPKT_S3_S3_PfPiPS1_i, .Lfunc_end311-_Z11wvSplitKrc_I6__halfLi64ELi16ELi4ELi8ELi1ELi16ELi1ELi1ELi0EEviiiiiiPKT_S3_S3_PfPiPS1_i
                                        ; -- End function
	.section	.AMDGPU.csdata,"",@progbits
; Kernel info:
; codeLenInByte = 80
; NumSgprs: 36
; NumVgprs: 50
; ScratchSize: 64
; MemoryBound: 0
; FloatMode: 240
; IeeeMode: 1
; LDSByteSize: 0 bytes/workgroup (compile time only)
; SGPRBlocks: 4
; VGPRBlocks: 6
; NumSGPRsForWavesPerEU: 36
; NumVGPRsForWavesPerEU: 50
; Occupancy: 16
; WaveLimiterHint : 1
; COMPUTE_PGM_RSRC2:SCRATCH_EN: 1
; COMPUTE_PGM_RSRC2:USER_SGPR: 15
; COMPUTE_PGM_RSRC2:TRAP_HANDLER: 0
; COMPUTE_PGM_RSRC2:TGID_X_EN: 1
; COMPUTE_PGM_RSRC2:TGID_Y_EN: 0
; COMPUTE_PGM_RSRC2:TGID_Z_EN: 0
; COMPUTE_PGM_RSRC2:TIDIG_COMP_CNT: 0
	.section	.text._Z11wvSplitKrc_I6__halfLi64ELi16ELi4ELi8ELi1ELi32ELi2ELi2ELi1EEviiiiiiPKT_S3_S3_PfPiPS1_i,"axG",@progbits,_Z11wvSplitKrc_I6__halfLi64ELi16ELi4ELi8ELi1ELi32ELi2ELi2ELi1EEviiiiiiPKT_S3_S3_PfPiPS1_i,comdat
	.protected	_Z11wvSplitKrc_I6__halfLi64ELi16ELi4ELi8ELi1ELi32ELi2ELi2ELi1EEviiiiiiPKT_S3_S3_PfPiPS1_i ; -- Begin function _Z11wvSplitKrc_I6__halfLi64ELi16ELi4ELi8ELi1ELi32ELi2ELi2ELi1EEviiiiiiPKT_S3_S3_PfPiPS1_i
	.globl	_Z11wvSplitKrc_I6__halfLi64ELi16ELi4ELi8ELi1ELi32ELi2ELi2ELi1EEviiiiiiPKT_S3_S3_PfPiPS1_i
	.p2align	8
	.type	_Z11wvSplitKrc_I6__halfLi64ELi16ELi4ELi8ELi1ELi32ELi2ELi2ELi1EEviiiiiiPKT_S3_S3_PfPiPS1_i,@function
_Z11wvSplitKrc_I6__halfLi64ELi16ELi4ELi8ELi1ELi32ELi2ELi2ELi1EEviiiiiiPKT_S3_S3_PfPiPS1_i: ; @_Z11wvSplitKrc_I6__halfLi64ELi16ELi4ELi8ELi1ELi32ELi2ELi2ELi1EEviiiiiiPKT_S3_S3_PfPiPS1_i
; %bb.0:
	s_add_u32 s8, s0, 0x50
	s_addc_u32 s9, s1, 0
	s_getpc_b64 s[0:1]
	s_add_u32 s0, s0, __PRETTY_FUNCTION__._Z11wvSplitKrc_I6__halfLi64ELi16ELi4ELi8ELi1ELi32ELi2ELi2ELi1EEviiiiiiPKT_S3_S3_PfPiPS1_i@rel32@lo+4
	s_addc_u32 s1, s1, __PRETTY_FUNCTION__._Z11wvSplitKrc_I6__halfLi64ELi16ELi4ELi8ELi1ELi32ELi2ELi2ELi1EEviiiiiiPKT_S3_S3_PfPiPS1_i@rel32@hi+12
	v_dual_mov_b32 v0, 0x6c9 :: v_dual_mov_b32 v1, s0
	v_mov_b32_e32 v2, s1
	s_mov_b32 s32, 0
	s_getpc_b64 s[2:3]
	s_add_u32 s2, s2, __assert_fail@rel32@lo+4
	s_addc_u32 s3, s3, __assert_fail@rel32@hi+12
	s_delay_alu instid0(SALU_CYCLE_1)
	s_swappc_b64 s[30:31], s[2:3]
	.section	.rodata,"a",@progbits
	.p2align	6, 0x0
	.amdhsa_kernel _Z11wvSplitKrc_I6__halfLi64ELi16ELi4ELi8ELi1ELi32ELi2ELi2ELi1EEviiiiiiPKT_S3_S3_PfPiPS1_i
		.amdhsa_group_segment_fixed_size 0
		.amdhsa_private_segment_fixed_size 64
		.amdhsa_kernarg_size 336
		.amdhsa_user_sgpr_count 15
		.amdhsa_user_sgpr_dispatch_ptr 0
		.amdhsa_user_sgpr_queue_ptr 0
		.amdhsa_user_sgpr_kernarg_segment_ptr 1
		.amdhsa_user_sgpr_dispatch_id 0
		.amdhsa_user_sgpr_private_segment_size 0
		.amdhsa_wavefront_size32 1
		.amdhsa_uses_dynamic_stack 0
		.amdhsa_enable_private_segment 1
		.amdhsa_system_sgpr_workgroup_id_x 1
		.amdhsa_system_sgpr_workgroup_id_y 0
		.amdhsa_system_sgpr_workgroup_id_z 0
		.amdhsa_system_sgpr_workgroup_info 0
		.amdhsa_system_vgpr_workitem_id 0
		.amdhsa_next_free_vgpr 50
		.amdhsa_next_free_sgpr 34
		.amdhsa_reserve_vcc 1
		.amdhsa_float_round_mode_32 0
		.amdhsa_float_round_mode_16_64 0
		.amdhsa_float_denorm_mode_32 3
		.amdhsa_float_denorm_mode_16_64 3
		.amdhsa_dx10_clamp 1
		.amdhsa_ieee_mode 1
		.amdhsa_fp16_overflow 0
		.amdhsa_workgroup_processor_mode 1
		.amdhsa_memory_ordered 1
		.amdhsa_forward_progress 0
		.amdhsa_shared_vgpr_count 0
		.amdhsa_exception_fp_ieee_invalid_op 0
		.amdhsa_exception_fp_denorm_src 0
		.amdhsa_exception_fp_ieee_div_zero 0
		.amdhsa_exception_fp_ieee_overflow 0
		.amdhsa_exception_fp_ieee_underflow 0
		.amdhsa_exception_fp_ieee_inexact 0
		.amdhsa_exception_int_div_zero 0
	.end_amdhsa_kernel
	.section	.text._Z11wvSplitKrc_I6__halfLi64ELi16ELi4ELi8ELi1ELi32ELi2ELi2ELi1EEviiiiiiPKT_S3_S3_PfPiPS1_i,"axG",@progbits,_Z11wvSplitKrc_I6__halfLi64ELi16ELi4ELi8ELi1ELi32ELi2ELi2ELi1EEviiiiiiPKT_S3_S3_PfPiPS1_i,comdat
.Lfunc_end312:
	.size	_Z11wvSplitKrc_I6__halfLi64ELi16ELi4ELi8ELi1ELi32ELi2ELi2ELi1EEviiiiiiPKT_S3_S3_PfPiPS1_i, .Lfunc_end312-_Z11wvSplitKrc_I6__halfLi64ELi16ELi4ELi8ELi1ELi32ELi2ELi2ELi1EEviiiiiiPKT_S3_S3_PfPiPS1_i
                                        ; -- End function
	.section	.AMDGPU.csdata,"",@progbits
; Kernel info:
; codeLenInByte = 80
; NumSgprs: 36
; NumVgprs: 50
; ScratchSize: 64
; MemoryBound: 0
; FloatMode: 240
; IeeeMode: 1
; LDSByteSize: 0 bytes/workgroup (compile time only)
; SGPRBlocks: 4
; VGPRBlocks: 6
; NumSGPRsForWavesPerEU: 36
; NumVGPRsForWavesPerEU: 50
; Occupancy: 16
; WaveLimiterHint : 1
; COMPUTE_PGM_RSRC2:SCRATCH_EN: 1
; COMPUTE_PGM_RSRC2:USER_SGPR: 15
; COMPUTE_PGM_RSRC2:TRAP_HANDLER: 0
; COMPUTE_PGM_RSRC2:TGID_X_EN: 1
; COMPUTE_PGM_RSRC2:TGID_Y_EN: 0
; COMPUTE_PGM_RSRC2:TGID_Z_EN: 0
; COMPUTE_PGM_RSRC2:TIDIG_COMP_CNT: 0
	.section	.text._Z11wvSplitKrc_I6__halfLi64ELi16ELi4ELi8ELi1ELi32ELi2ELi2ELi0EEviiiiiiPKT_S3_S3_PfPiPS1_i,"axG",@progbits,_Z11wvSplitKrc_I6__halfLi64ELi16ELi4ELi8ELi1ELi32ELi2ELi2ELi0EEviiiiiiPKT_S3_S3_PfPiPS1_i,comdat
	.protected	_Z11wvSplitKrc_I6__halfLi64ELi16ELi4ELi8ELi1ELi32ELi2ELi2ELi0EEviiiiiiPKT_S3_S3_PfPiPS1_i ; -- Begin function _Z11wvSplitKrc_I6__halfLi64ELi16ELi4ELi8ELi1ELi32ELi2ELi2ELi0EEviiiiiiPKT_S3_S3_PfPiPS1_i
	.globl	_Z11wvSplitKrc_I6__halfLi64ELi16ELi4ELi8ELi1ELi32ELi2ELi2ELi0EEviiiiiiPKT_S3_S3_PfPiPS1_i
	.p2align	8
	.type	_Z11wvSplitKrc_I6__halfLi64ELi16ELi4ELi8ELi1ELi32ELi2ELi2ELi0EEviiiiiiPKT_S3_S3_PfPiPS1_i,@function
_Z11wvSplitKrc_I6__halfLi64ELi16ELi4ELi8ELi1ELi32ELi2ELi2ELi0EEviiiiiiPKT_S3_S3_PfPiPS1_i: ; @_Z11wvSplitKrc_I6__halfLi64ELi16ELi4ELi8ELi1ELi32ELi2ELi2ELi0EEviiiiiiPKT_S3_S3_PfPiPS1_i
; %bb.0:
	s_add_u32 s8, s0, 0x50
	s_addc_u32 s9, s1, 0
	s_getpc_b64 s[0:1]
	s_add_u32 s0, s0, __PRETTY_FUNCTION__._Z11wvSplitKrc_I6__halfLi64ELi16ELi4ELi8ELi1ELi32ELi2ELi2ELi0EEviiiiiiPKT_S3_S3_PfPiPS1_i@rel32@lo+4
	s_addc_u32 s1, s1, __PRETTY_FUNCTION__._Z11wvSplitKrc_I6__halfLi64ELi16ELi4ELi8ELi1ELi32ELi2ELi2ELi0EEviiiiiiPKT_S3_S3_PfPiPS1_i@rel32@hi+12
	v_dual_mov_b32 v0, 0x6c9 :: v_dual_mov_b32 v1, s0
	v_mov_b32_e32 v2, s1
	s_mov_b32 s32, 0
	s_getpc_b64 s[2:3]
	s_add_u32 s2, s2, __assert_fail@rel32@lo+4
	s_addc_u32 s3, s3, __assert_fail@rel32@hi+12
	s_delay_alu instid0(SALU_CYCLE_1)
	s_swappc_b64 s[30:31], s[2:3]
	.section	.rodata,"a",@progbits
	.p2align	6, 0x0
	.amdhsa_kernel _Z11wvSplitKrc_I6__halfLi64ELi16ELi4ELi8ELi1ELi32ELi2ELi2ELi0EEviiiiiiPKT_S3_S3_PfPiPS1_i
		.amdhsa_group_segment_fixed_size 0
		.amdhsa_private_segment_fixed_size 64
		.amdhsa_kernarg_size 336
		.amdhsa_user_sgpr_count 15
		.amdhsa_user_sgpr_dispatch_ptr 0
		.amdhsa_user_sgpr_queue_ptr 0
		.amdhsa_user_sgpr_kernarg_segment_ptr 1
		.amdhsa_user_sgpr_dispatch_id 0
		.amdhsa_user_sgpr_private_segment_size 0
		.amdhsa_wavefront_size32 1
		.amdhsa_uses_dynamic_stack 0
		.amdhsa_enable_private_segment 1
		.amdhsa_system_sgpr_workgroup_id_x 1
		.amdhsa_system_sgpr_workgroup_id_y 0
		.amdhsa_system_sgpr_workgroup_id_z 0
		.amdhsa_system_sgpr_workgroup_info 0
		.amdhsa_system_vgpr_workitem_id 0
		.amdhsa_next_free_vgpr 50
		.amdhsa_next_free_sgpr 34
		.amdhsa_reserve_vcc 1
		.amdhsa_float_round_mode_32 0
		.amdhsa_float_round_mode_16_64 0
		.amdhsa_float_denorm_mode_32 3
		.amdhsa_float_denorm_mode_16_64 3
		.amdhsa_dx10_clamp 1
		.amdhsa_ieee_mode 1
		.amdhsa_fp16_overflow 0
		.amdhsa_workgroup_processor_mode 1
		.amdhsa_memory_ordered 1
		.amdhsa_forward_progress 0
		.amdhsa_shared_vgpr_count 0
		.amdhsa_exception_fp_ieee_invalid_op 0
		.amdhsa_exception_fp_denorm_src 0
		.amdhsa_exception_fp_ieee_div_zero 0
		.amdhsa_exception_fp_ieee_overflow 0
		.amdhsa_exception_fp_ieee_underflow 0
		.amdhsa_exception_fp_ieee_inexact 0
		.amdhsa_exception_int_div_zero 0
	.end_amdhsa_kernel
	.section	.text._Z11wvSplitKrc_I6__halfLi64ELi16ELi4ELi8ELi1ELi32ELi2ELi2ELi0EEviiiiiiPKT_S3_S3_PfPiPS1_i,"axG",@progbits,_Z11wvSplitKrc_I6__halfLi64ELi16ELi4ELi8ELi1ELi32ELi2ELi2ELi0EEviiiiiiPKT_S3_S3_PfPiPS1_i,comdat
.Lfunc_end313:
	.size	_Z11wvSplitKrc_I6__halfLi64ELi16ELi4ELi8ELi1ELi32ELi2ELi2ELi0EEviiiiiiPKT_S3_S3_PfPiPS1_i, .Lfunc_end313-_Z11wvSplitKrc_I6__halfLi64ELi16ELi4ELi8ELi1ELi32ELi2ELi2ELi0EEviiiiiiPKT_S3_S3_PfPiPS1_i
                                        ; -- End function
	.section	.AMDGPU.csdata,"",@progbits
; Kernel info:
; codeLenInByte = 80
; NumSgprs: 36
; NumVgprs: 50
; ScratchSize: 64
; MemoryBound: 0
; FloatMode: 240
; IeeeMode: 1
; LDSByteSize: 0 bytes/workgroup (compile time only)
; SGPRBlocks: 4
; VGPRBlocks: 6
; NumSGPRsForWavesPerEU: 36
; NumVGPRsForWavesPerEU: 50
; Occupancy: 16
; WaveLimiterHint : 1
; COMPUTE_PGM_RSRC2:SCRATCH_EN: 1
; COMPUTE_PGM_RSRC2:USER_SGPR: 15
; COMPUTE_PGM_RSRC2:TRAP_HANDLER: 0
; COMPUTE_PGM_RSRC2:TGID_X_EN: 1
; COMPUTE_PGM_RSRC2:TGID_Y_EN: 0
; COMPUTE_PGM_RSRC2:TGID_Z_EN: 0
; COMPUTE_PGM_RSRC2:TIDIG_COMP_CNT: 0
	.section	.text._Z11wvSplitKrc_I6__halfLi64ELi16ELi4ELi8ELi1ELi32ELi2ELi1ELi1EEviiiiiiPKT_S3_S3_PfPiPS1_i,"axG",@progbits,_Z11wvSplitKrc_I6__halfLi64ELi16ELi4ELi8ELi1ELi32ELi2ELi1ELi1EEviiiiiiPKT_S3_S3_PfPiPS1_i,comdat
	.protected	_Z11wvSplitKrc_I6__halfLi64ELi16ELi4ELi8ELi1ELi32ELi2ELi1ELi1EEviiiiiiPKT_S3_S3_PfPiPS1_i ; -- Begin function _Z11wvSplitKrc_I6__halfLi64ELi16ELi4ELi8ELi1ELi32ELi2ELi1ELi1EEviiiiiiPKT_S3_S3_PfPiPS1_i
	.globl	_Z11wvSplitKrc_I6__halfLi64ELi16ELi4ELi8ELi1ELi32ELi2ELi1ELi1EEviiiiiiPKT_S3_S3_PfPiPS1_i
	.p2align	8
	.type	_Z11wvSplitKrc_I6__halfLi64ELi16ELi4ELi8ELi1ELi32ELi2ELi1ELi1EEviiiiiiPKT_S3_S3_PfPiPS1_i,@function
_Z11wvSplitKrc_I6__halfLi64ELi16ELi4ELi8ELi1ELi32ELi2ELi1ELi1EEviiiiiiPKT_S3_S3_PfPiPS1_i: ; @_Z11wvSplitKrc_I6__halfLi64ELi16ELi4ELi8ELi1ELi32ELi2ELi1ELi1EEviiiiiiPKT_S3_S3_PfPiPS1_i
; %bb.0:
	s_add_u32 s8, s0, 0x50
	s_addc_u32 s9, s1, 0
	s_getpc_b64 s[0:1]
	s_add_u32 s0, s0, __PRETTY_FUNCTION__._Z11wvSplitKrc_I6__halfLi64ELi16ELi4ELi8ELi1ELi32ELi2ELi1ELi1EEviiiiiiPKT_S3_S3_PfPiPS1_i@rel32@lo+4
	s_addc_u32 s1, s1, __PRETTY_FUNCTION__._Z11wvSplitKrc_I6__halfLi64ELi16ELi4ELi8ELi1ELi32ELi2ELi1ELi1EEviiiiiiPKT_S3_S3_PfPiPS1_i@rel32@hi+12
	v_dual_mov_b32 v0, 0x6c9 :: v_dual_mov_b32 v1, s0
	v_mov_b32_e32 v2, s1
	s_mov_b32 s32, 0
	s_getpc_b64 s[2:3]
	s_add_u32 s2, s2, __assert_fail@rel32@lo+4
	s_addc_u32 s3, s3, __assert_fail@rel32@hi+12
	s_delay_alu instid0(SALU_CYCLE_1)
	s_swappc_b64 s[30:31], s[2:3]
	.section	.rodata,"a",@progbits
	.p2align	6, 0x0
	.amdhsa_kernel _Z11wvSplitKrc_I6__halfLi64ELi16ELi4ELi8ELi1ELi32ELi2ELi1ELi1EEviiiiiiPKT_S3_S3_PfPiPS1_i
		.amdhsa_group_segment_fixed_size 0
		.amdhsa_private_segment_fixed_size 64
		.amdhsa_kernarg_size 336
		.amdhsa_user_sgpr_count 15
		.amdhsa_user_sgpr_dispatch_ptr 0
		.amdhsa_user_sgpr_queue_ptr 0
		.amdhsa_user_sgpr_kernarg_segment_ptr 1
		.amdhsa_user_sgpr_dispatch_id 0
		.amdhsa_user_sgpr_private_segment_size 0
		.amdhsa_wavefront_size32 1
		.amdhsa_uses_dynamic_stack 0
		.amdhsa_enable_private_segment 1
		.amdhsa_system_sgpr_workgroup_id_x 1
		.amdhsa_system_sgpr_workgroup_id_y 0
		.amdhsa_system_sgpr_workgroup_id_z 0
		.amdhsa_system_sgpr_workgroup_info 0
		.amdhsa_system_vgpr_workitem_id 0
		.amdhsa_next_free_vgpr 50
		.amdhsa_next_free_sgpr 34
		.amdhsa_reserve_vcc 1
		.amdhsa_float_round_mode_32 0
		.amdhsa_float_round_mode_16_64 0
		.amdhsa_float_denorm_mode_32 3
		.amdhsa_float_denorm_mode_16_64 3
		.amdhsa_dx10_clamp 1
		.amdhsa_ieee_mode 1
		.amdhsa_fp16_overflow 0
		.amdhsa_workgroup_processor_mode 1
		.amdhsa_memory_ordered 1
		.amdhsa_forward_progress 0
		.amdhsa_shared_vgpr_count 0
		.amdhsa_exception_fp_ieee_invalid_op 0
		.amdhsa_exception_fp_denorm_src 0
		.amdhsa_exception_fp_ieee_div_zero 0
		.amdhsa_exception_fp_ieee_overflow 0
		.amdhsa_exception_fp_ieee_underflow 0
		.amdhsa_exception_fp_ieee_inexact 0
		.amdhsa_exception_int_div_zero 0
	.end_amdhsa_kernel
	.section	.text._Z11wvSplitKrc_I6__halfLi64ELi16ELi4ELi8ELi1ELi32ELi2ELi1ELi1EEviiiiiiPKT_S3_S3_PfPiPS1_i,"axG",@progbits,_Z11wvSplitKrc_I6__halfLi64ELi16ELi4ELi8ELi1ELi32ELi2ELi1ELi1EEviiiiiiPKT_S3_S3_PfPiPS1_i,comdat
.Lfunc_end314:
	.size	_Z11wvSplitKrc_I6__halfLi64ELi16ELi4ELi8ELi1ELi32ELi2ELi1ELi1EEviiiiiiPKT_S3_S3_PfPiPS1_i, .Lfunc_end314-_Z11wvSplitKrc_I6__halfLi64ELi16ELi4ELi8ELi1ELi32ELi2ELi1ELi1EEviiiiiiPKT_S3_S3_PfPiPS1_i
                                        ; -- End function
	.section	.AMDGPU.csdata,"",@progbits
; Kernel info:
; codeLenInByte = 80
; NumSgprs: 36
; NumVgprs: 50
; ScratchSize: 64
; MemoryBound: 0
; FloatMode: 240
; IeeeMode: 1
; LDSByteSize: 0 bytes/workgroup (compile time only)
; SGPRBlocks: 4
; VGPRBlocks: 6
; NumSGPRsForWavesPerEU: 36
; NumVGPRsForWavesPerEU: 50
; Occupancy: 16
; WaveLimiterHint : 1
; COMPUTE_PGM_RSRC2:SCRATCH_EN: 1
; COMPUTE_PGM_RSRC2:USER_SGPR: 15
; COMPUTE_PGM_RSRC2:TRAP_HANDLER: 0
; COMPUTE_PGM_RSRC2:TGID_X_EN: 1
; COMPUTE_PGM_RSRC2:TGID_Y_EN: 0
; COMPUTE_PGM_RSRC2:TGID_Z_EN: 0
; COMPUTE_PGM_RSRC2:TIDIG_COMP_CNT: 0
	.section	.text._Z11wvSplitKrc_I6__halfLi64ELi16ELi4ELi8ELi1ELi32ELi2ELi1ELi0EEviiiiiiPKT_S3_S3_PfPiPS1_i,"axG",@progbits,_Z11wvSplitKrc_I6__halfLi64ELi16ELi4ELi8ELi1ELi32ELi2ELi1ELi0EEviiiiiiPKT_S3_S3_PfPiPS1_i,comdat
	.protected	_Z11wvSplitKrc_I6__halfLi64ELi16ELi4ELi8ELi1ELi32ELi2ELi1ELi0EEviiiiiiPKT_S3_S3_PfPiPS1_i ; -- Begin function _Z11wvSplitKrc_I6__halfLi64ELi16ELi4ELi8ELi1ELi32ELi2ELi1ELi0EEviiiiiiPKT_S3_S3_PfPiPS1_i
	.globl	_Z11wvSplitKrc_I6__halfLi64ELi16ELi4ELi8ELi1ELi32ELi2ELi1ELi0EEviiiiiiPKT_S3_S3_PfPiPS1_i
	.p2align	8
	.type	_Z11wvSplitKrc_I6__halfLi64ELi16ELi4ELi8ELi1ELi32ELi2ELi1ELi0EEviiiiiiPKT_S3_S3_PfPiPS1_i,@function
_Z11wvSplitKrc_I6__halfLi64ELi16ELi4ELi8ELi1ELi32ELi2ELi1ELi0EEviiiiiiPKT_S3_S3_PfPiPS1_i: ; @_Z11wvSplitKrc_I6__halfLi64ELi16ELi4ELi8ELi1ELi32ELi2ELi1ELi0EEviiiiiiPKT_S3_S3_PfPiPS1_i
; %bb.0:
	s_add_u32 s8, s0, 0x50
	s_addc_u32 s9, s1, 0
	s_getpc_b64 s[0:1]
	s_add_u32 s0, s0, __PRETTY_FUNCTION__._Z11wvSplitKrc_I6__halfLi64ELi16ELi4ELi8ELi1ELi32ELi2ELi1ELi0EEviiiiiiPKT_S3_S3_PfPiPS1_i@rel32@lo+4
	s_addc_u32 s1, s1, __PRETTY_FUNCTION__._Z11wvSplitKrc_I6__halfLi64ELi16ELi4ELi8ELi1ELi32ELi2ELi1ELi0EEviiiiiiPKT_S3_S3_PfPiPS1_i@rel32@hi+12
	v_dual_mov_b32 v0, 0x6c9 :: v_dual_mov_b32 v1, s0
	v_mov_b32_e32 v2, s1
	s_mov_b32 s32, 0
	s_getpc_b64 s[2:3]
	s_add_u32 s2, s2, __assert_fail@rel32@lo+4
	s_addc_u32 s3, s3, __assert_fail@rel32@hi+12
	s_delay_alu instid0(SALU_CYCLE_1)
	s_swappc_b64 s[30:31], s[2:3]
	.section	.rodata,"a",@progbits
	.p2align	6, 0x0
	.amdhsa_kernel _Z11wvSplitKrc_I6__halfLi64ELi16ELi4ELi8ELi1ELi32ELi2ELi1ELi0EEviiiiiiPKT_S3_S3_PfPiPS1_i
		.amdhsa_group_segment_fixed_size 0
		.amdhsa_private_segment_fixed_size 64
		.amdhsa_kernarg_size 336
		.amdhsa_user_sgpr_count 15
		.amdhsa_user_sgpr_dispatch_ptr 0
		.amdhsa_user_sgpr_queue_ptr 0
		.amdhsa_user_sgpr_kernarg_segment_ptr 1
		.amdhsa_user_sgpr_dispatch_id 0
		.amdhsa_user_sgpr_private_segment_size 0
		.amdhsa_wavefront_size32 1
		.amdhsa_uses_dynamic_stack 0
		.amdhsa_enable_private_segment 1
		.amdhsa_system_sgpr_workgroup_id_x 1
		.amdhsa_system_sgpr_workgroup_id_y 0
		.amdhsa_system_sgpr_workgroup_id_z 0
		.amdhsa_system_sgpr_workgroup_info 0
		.amdhsa_system_vgpr_workitem_id 0
		.amdhsa_next_free_vgpr 50
		.amdhsa_next_free_sgpr 34
		.amdhsa_reserve_vcc 1
		.amdhsa_float_round_mode_32 0
		.amdhsa_float_round_mode_16_64 0
		.amdhsa_float_denorm_mode_32 3
		.amdhsa_float_denorm_mode_16_64 3
		.amdhsa_dx10_clamp 1
		.amdhsa_ieee_mode 1
		.amdhsa_fp16_overflow 0
		.amdhsa_workgroup_processor_mode 1
		.amdhsa_memory_ordered 1
		.amdhsa_forward_progress 0
		.amdhsa_shared_vgpr_count 0
		.amdhsa_exception_fp_ieee_invalid_op 0
		.amdhsa_exception_fp_denorm_src 0
		.amdhsa_exception_fp_ieee_div_zero 0
		.amdhsa_exception_fp_ieee_overflow 0
		.amdhsa_exception_fp_ieee_underflow 0
		.amdhsa_exception_fp_ieee_inexact 0
		.amdhsa_exception_int_div_zero 0
	.end_amdhsa_kernel
	.section	.text._Z11wvSplitKrc_I6__halfLi64ELi16ELi4ELi8ELi1ELi32ELi2ELi1ELi0EEviiiiiiPKT_S3_S3_PfPiPS1_i,"axG",@progbits,_Z11wvSplitKrc_I6__halfLi64ELi16ELi4ELi8ELi1ELi32ELi2ELi1ELi0EEviiiiiiPKT_S3_S3_PfPiPS1_i,comdat
.Lfunc_end315:
	.size	_Z11wvSplitKrc_I6__halfLi64ELi16ELi4ELi8ELi1ELi32ELi2ELi1ELi0EEviiiiiiPKT_S3_S3_PfPiPS1_i, .Lfunc_end315-_Z11wvSplitKrc_I6__halfLi64ELi16ELi4ELi8ELi1ELi32ELi2ELi1ELi0EEviiiiiiPKT_S3_S3_PfPiPS1_i
                                        ; -- End function
	.section	.AMDGPU.csdata,"",@progbits
; Kernel info:
; codeLenInByte = 80
; NumSgprs: 36
; NumVgprs: 50
; ScratchSize: 64
; MemoryBound: 0
; FloatMode: 240
; IeeeMode: 1
; LDSByteSize: 0 bytes/workgroup (compile time only)
; SGPRBlocks: 4
; VGPRBlocks: 6
; NumSGPRsForWavesPerEU: 36
; NumVGPRsForWavesPerEU: 50
; Occupancy: 16
; WaveLimiterHint : 1
; COMPUTE_PGM_RSRC2:SCRATCH_EN: 1
; COMPUTE_PGM_RSRC2:USER_SGPR: 15
; COMPUTE_PGM_RSRC2:TRAP_HANDLER: 0
; COMPUTE_PGM_RSRC2:TGID_X_EN: 1
; COMPUTE_PGM_RSRC2:TGID_Y_EN: 0
; COMPUTE_PGM_RSRC2:TGID_Z_EN: 0
; COMPUTE_PGM_RSRC2:TIDIG_COMP_CNT: 0
	.section	.text._Z11wvSplitKrc_I6__halfLi64ELi16ELi4ELi8ELi1ELi64ELi4ELi2ELi1EEviiiiiiPKT_S3_S3_PfPiPS1_i,"axG",@progbits,_Z11wvSplitKrc_I6__halfLi64ELi16ELi4ELi8ELi1ELi64ELi4ELi2ELi1EEviiiiiiPKT_S3_S3_PfPiPS1_i,comdat
	.protected	_Z11wvSplitKrc_I6__halfLi64ELi16ELi4ELi8ELi1ELi64ELi4ELi2ELi1EEviiiiiiPKT_S3_S3_PfPiPS1_i ; -- Begin function _Z11wvSplitKrc_I6__halfLi64ELi16ELi4ELi8ELi1ELi64ELi4ELi2ELi1EEviiiiiiPKT_S3_S3_PfPiPS1_i
	.globl	_Z11wvSplitKrc_I6__halfLi64ELi16ELi4ELi8ELi1ELi64ELi4ELi2ELi1EEviiiiiiPKT_S3_S3_PfPiPS1_i
	.p2align	8
	.type	_Z11wvSplitKrc_I6__halfLi64ELi16ELi4ELi8ELi1ELi64ELi4ELi2ELi1EEviiiiiiPKT_S3_S3_PfPiPS1_i,@function
_Z11wvSplitKrc_I6__halfLi64ELi16ELi4ELi8ELi1ELi64ELi4ELi2ELi1EEviiiiiiPKT_S3_S3_PfPiPS1_i: ; @_Z11wvSplitKrc_I6__halfLi64ELi16ELi4ELi8ELi1ELi64ELi4ELi2ELi1EEviiiiiiPKT_S3_S3_PfPiPS1_i
; %bb.0:
	s_add_u32 s8, s0, 0x50
	s_addc_u32 s9, s1, 0
	s_getpc_b64 s[0:1]
	s_add_u32 s0, s0, __PRETTY_FUNCTION__._Z11wvSplitKrc_I6__halfLi64ELi16ELi4ELi8ELi1ELi64ELi4ELi2ELi1EEviiiiiiPKT_S3_S3_PfPiPS1_i@rel32@lo+4
	s_addc_u32 s1, s1, __PRETTY_FUNCTION__._Z11wvSplitKrc_I6__halfLi64ELi16ELi4ELi8ELi1ELi64ELi4ELi2ELi1EEviiiiiiPKT_S3_S3_PfPiPS1_i@rel32@hi+12
	v_dual_mov_b32 v0, 0x6c9 :: v_dual_mov_b32 v1, s0
	v_mov_b32_e32 v2, s1
	s_mov_b32 s32, 0
	s_getpc_b64 s[2:3]
	s_add_u32 s2, s2, __assert_fail@rel32@lo+4
	s_addc_u32 s3, s3, __assert_fail@rel32@hi+12
	s_delay_alu instid0(SALU_CYCLE_1)
	s_swappc_b64 s[30:31], s[2:3]
	.section	.rodata,"a",@progbits
	.p2align	6, 0x0
	.amdhsa_kernel _Z11wvSplitKrc_I6__halfLi64ELi16ELi4ELi8ELi1ELi64ELi4ELi2ELi1EEviiiiiiPKT_S3_S3_PfPiPS1_i
		.amdhsa_group_segment_fixed_size 0
		.amdhsa_private_segment_fixed_size 64
		.amdhsa_kernarg_size 336
		.amdhsa_user_sgpr_count 15
		.amdhsa_user_sgpr_dispatch_ptr 0
		.amdhsa_user_sgpr_queue_ptr 0
		.amdhsa_user_sgpr_kernarg_segment_ptr 1
		.amdhsa_user_sgpr_dispatch_id 0
		.amdhsa_user_sgpr_private_segment_size 0
		.amdhsa_wavefront_size32 1
		.amdhsa_uses_dynamic_stack 0
		.amdhsa_enable_private_segment 1
		.amdhsa_system_sgpr_workgroup_id_x 1
		.amdhsa_system_sgpr_workgroup_id_y 0
		.amdhsa_system_sgpr_workgroup_id_z 0
		.amdhsa_system_sgpr_workgroup_info 0
		.amdhsa_system_vgpr_workitem_id 0
		.amdhsa_next_free_vgpr 50
		.amdhsa_next_free_sgpr 34
		.amdhsa_reserve_vcc 1
		.amdhsa_float_round_mode_32 0
		.amdhsa_float_round_mode_16_64 0
		.amdhsa_float_denorm_mode_32 3
		.amdhsa_float_denorm_mode_16_64 3
		.amdhsa_dx10_clamp 1
		.amdhsa_ieee_mode 1
		.amdhsa_fp16_overflow 0
		.amdhsa_workgroup_processor_mode 1
		.amdhsa_memory_ordered 1
		.amdhsa_forward_progress 0
		.amdhsa_shared_vgpr_count 0
		.amdhsa_exception_fp_ieee_invalid_op 0
		.amdhsa_exception_fp_denorm_src 0
		.amdhsa_exception_fp_ieee_div_zero 0
		.amdhsa_exception_fp_ieee_overflow 0
		.amdhsa_exception_fp_ieee_underflow 0
		.amdhsa_exception_fp_ieee_inexact 0
		.amdhsa_exception_int_div_zero 0
	.end_amdhsa_kernel
	.section	.text._Z11wvSplitKrc_I6__halfLi64ELi16ELi4ELi8ELi1ELi64ELi4ELi2ELi1EEviiiiiiPKT_S3_S3_PfPiPS1_i,"axG",@progbits,_Z11wvSplitKrc_I6__halfLi64ELi16ELi4ELi8ELi1ELi64ELi4ELi2ELi1EEviiiiiiPKT_S3_S3_PfPiPS1_i,comdat
.Lfunc_end316:
	.size	_Z11wvSplitKrc_I6__halfLi64ELi16ELi4ELi8ELi1ELi64ELi4ELi2ELi1EEviiiiiiPKT_S3_S3_PfPiPS1_i, .Lfunc_end316-_Z11wvSplitKrc_I6__halfLi64ELi16ELi4ELi8ELi1ELi64ELi4ELi2ELi1EEviiiiiiPKT_S3_S3_PfPiPS1_i
                                        ; -- End function
	.section	.AMDGPU.csdata,"",@progbits
; Kernel info:
; codeLenInByte = 80
; NumSgprs: 36
; NumVgprs: 50
; ScratchSize: 64
; MemoryBound: 0
; FloatMode: 240
; IeeeMode: 1
; LDSByteSize: 0 bytes/workgroup (compile time only)
; SGPRBlocks: 4
; VGPRBlocks: 6
; NumSGPRsForWavesPerEU: 36
; NumVGPRsForWavesPerEU: 50
; Occupancy: 16
; WaveLimiterHint : 1
; COMPUTE_PGM_RSRC2:SCRATCH_EN: 1
; COMPUTE_PGM_RSRC2:USER_SGPR: 15
; COMPUTE_PGM_RSRC2:TRAP_HANDLER: 0
; COMPUTE_PGM_RSRC2:TGID_X_EN: 1
; COMPUTE_PGM_RSRC2:TGID_Y_EN: 0
; COMPUTE_PGM_RSRC2:TGID_Z_EN: 0
; COMPUTE_PGM_RSRC2:TIDIG_COMP_CNT: 0
	.section	.text._Z11wvSplitKrc_I6__halfLi64ELi16ELi4ELi8ELi1ELi64ELi4ELi2ELi0EEviiiiiiPKT_S3_S3_PfPiPS1_i,"axG",@progbits,_Z11wvSplitKrc_I6__halfLi64ELi16ELi4ELi8ELi1ELi64ELi4ELi2ELi0EEviiiiiiPKT_S3_S3_PfPiPS1_i,comdat
	.protected	_Z11wvSplitKrc_I6__halfLi64ELi16ELi4ELi8ELi1ELi64ELi4ELi2ELi0EEviiiiiiPKT_S3_S3_PfPiPS1_i ; -- Begin function _Z11wvSplitKrc_I6__halfLi64ELi16ELi4ELi8ELi1ELi64ELi4ELi2ELi0EEviiiiiiPKT_S3_S3_PfPiPS1_i
	.globl	_Z11wvSplitKrc_I6__halfLi64ELi16ELi4ELi8ELi1ELi64ELi4ELi2ELi0EEviiiiiiPKT_S3_S3_PfPiPS1_i
	.p2align	8
	.type	_Z11wvSplitKrc_I6__halfLi64ELi16ELi4ELi8ELi1ELi64ELi4ELi2ELi0EEviiiiiiPKT_S3_S3_PfPiPS1_i,@function
_Z11wvSplitKrc_I6__halfLi64ELi16ELi4ELi8ELi1ELi64ELi4ELi2ELi0EEviiiiiiPKT_S3_S3_PfPiPS1_i: ; @_Z11wvSplitKrc_I6__halfLi64ELi16ELi4ELi8ELi1ELi64ELi4ELi2ELi0EEviiiiiiPKT_S3_S3_PfPiPS1_i
; %bb.0:
	s_add_u32 s8, s0, 0x50
	s_addc_u32 s9, s1, 0
	s_getpc_b64 s[0:1]
	s_add_u32 s0, s0, __PRETTY_FUNCTION__._Z11wvSplitKrc_I6__halfLi64ELi16ELi4ELi8ELi1ELi64ELi4ELi2ELi0EEviiiiiiPKT_S3_S3_PfPiPS1_i@rel32@lo+4
	s_addc_u32 s1, s1, __PRETTY_FUNCTION__._Z11wvSplitKrc_I6__halfLi64ELi16ELi4ELi8ELi1ELi64ELi4ELi2ELi0EEviiiiiiPKT_S3_S3_PfPiPS1_i@rel32@hi+12
	v_dual_mov_b32 v0, 0x6c9 :: v_dual_mov_b32 v1, s0
	v_mov_b32_e32 v2, s1
	s_mov_b32 s32, 0
	s_getpc_b64 s[2:3]
	s_add_u32 s2, s2, __assert_fail@rel32@lo+4
	s_addc_u32 s3, s3, __assert_fail@rel32@hi+12
	s_delay_alu instid0(SALU_CYCLE_1)
	s_swappc_b64 s[30:31], s[2:3]
	.section	.rodata,"a",@progbits
	.p2align	6, 0x0
	.amdhsa_kernel _Z11wvSplitKrc_I6__halfLi64ELi16ELi4ELi8ELi1ELi64ELi4ELi2ELi0EEviiiiiiPKT_S3_S3_PfPiPS1_i
		.amdhsa_group_segment_fixed_size 0
		.amdhsa_private_segment_fixed_size 64
		.amdhsa_kernarg_size 336
		.amdhsa_user_sgpr_count 15
		.amdhsa_user_sgpr_dispatch_ptr 0
		.amdhsa_user_sgpr_queue_ptr 0
		.amdhsa_user_sgpr_kernarg_segment_ptr 1
		.amdhsa_user_sgpr_dispatch_id 0
		.amdhsa_user_sgpr_private_segment_size 0
		.amdhsa_wavefront_size32 1
		.amdhsa_uses_dynamic_stack 0
		.amdhsa_enable_private_segment 1
		.amdhsa_system_sgpr_workgroup_id_x 1
		.amdhsa_system_sgpr_workgroup_id_y 0
		.amdhsa_system_sgpr_workgroup_id_z 0
		.amdhsa_system_sgpr_workgroup_info 0
		.amdhsa_system_vgpr_workitem_id 0
		.amdhsa_next_free_vgpr 50
		.amdhsa_next_free_sgpr 34
		.amdhsa_reserve_vcc 1
		.amdhsa_float_round_mode_32 0
		.amdhsa_float_round_mode_16_64 0
		.amdhsa_float_denorm_mode_32 3
		.amdhsa_float_denorm_mode_16_64 3
		.amdhsa_dx10_clamp 1
		.amdhsa_ieee_mode 1
		.amdhsa_fp16_overflow 0
		.amdhsa_workgroup_processor_mode 1
		.amdhsa_memory_ordered 1
		.amdhsa_forward_progress 0
		.amdhsa_shared_vgpr_count 0
		.amdhsa_exception_fp_ieee_invalid_op 0
		.amdhsa_exception_fp_denorm_src 0
		.amdhsa_exception_fp_ieee_div_zero 0
		.amdhsa_exception_fp_ieee_overflow 0
		.amdhsa_exception_fp_ieee_underflow 0
		.amdhsa_exception_fp_ieee_inexact 0
		.amdhsa_exception_int_div_zero 0
	.end_amdhsa_kernel
	.section	.text._Z11wvSplitKrc_I6__halfLi64ELi16ELi4ELi8ELi1ELi64ELi4ELi2ELi0EEviiiiiiPKT_S3_S3_PfPiPS1_i,"axG",@progbits,_Z11wvSplitKrc_I6__halfLi64ELi16ELi4ELi8ELi1ELi64ELi4ELi2ELi0EEviiiiiiPKT_S3_S3_PfPiPS1_i,comdat
.Lfunc_end317:
	.size	_Z11wvSplitKrc_I6__halfLi64ELi16ELi4ELi8ELi1ELi64ELi4ELi2ELi0EEviiiiiiPKT_S3_S3_PfPiPS1_i, .Lfunc_end317-_Z11wvSplitKrc_I6__halfLi64ELi16ELi4ELi8ELi1ELi64ELi4ELi2ELi0EEviiiiiiPKT_S3_S3_PfPiPS1_i
                                        ; -- End function
	.section	.AMDGPU.csdata,"",@progbits
; Kernel info:
; codeLenInByte = 80
; NumSgprs: 36
; NumVgprs: 50
; ScratchSize: 64
; MemoryBound: 0
; FloatMode: 240
; IeeeMode: 1
; LDSByteSize: 0 bytes/workgroup (compile time only)
; SGPRBlocks: 4
; VGPRBlocks: 6
; NumSGPRsForWavesPerEU: 36
; NumVGPRsForWavesPerEU: 50
; Occupancy: 16
; WaveLimiterHint : 1
; COMPUTE_PGM_RSRC2:SCRATCH_EN: 1
; COMPUTE_PGM_RSRC2:USER_SGPR: 15
; COMPUTE_PGM_RSRC2:TRAP_HANDLER: 0
; COMPUTE_PGM_RSRC2:TGID_X_EN: 1
; COMPUTE_PGM_RSRC2:TGID_Y_EN: 0
; COMPUTE_PGM_RSRC2:TGID_Z_EN: 0
; COMPUTE_PGM_RSRC2:TIDIG_COMP_CNT: 0
	.section	.text._Z11wvSplitKrc_I6__halfLi64ELi16ELi4ELi8ELi1ELi64ELi4ELi1ELi1EEviiiiiiPKT_S3_S3_PfPiPS1_i,"axG",@progbits,_Z11wvSplitKrc_I6__halfLi64ELi16ELi4ELi8ELi1ELi64ELi4ELi1ELi1EEviiiiiiPKT_S3_S3_PfPiPS1_i,comdat
	.protected	_Z11wvSplitKrc_I6__halfLi64ELi16ELi4ELi8ELi1ELi64ELi4ELi1ELi1EEviiiiiiPKT_S3_S3_PfPiPS1_i ; -- Begin function _Z11wvSplitKrc_I6__halfLi64ELi16ELi4ELi8ELi1ELi64ELi4ELi1ELi1EEviiiiiiPKT_S3_S3_PfPiPS1_i
	.globl	_Z11wvSplitKrc_I6__halfLi64ELi16ELi4ELi8ELi1ELi64ELi4ELi1ELi1EEviiiiiiPKT_S3_S3_PfPiPS1_i
	.p2align	8
	.type	_Z11wvSplitKrc_I6__halfLi64ELi16ELi4ELi8ELi1ELi64ELi4ELi1ELi1EEviiiiiiPKT_S3_S3_PfPiPS1_i,@function
_Z11wvSplitKrc_I6__halfLi64ELi16ELi4ELi8ELi1ELi64ELi4ELi1ELi1EEviiiiiiPKT_S3_S3_PfPiPS1_i: ; @_Z11wvSplitKrc_I6__halfLi64ELi16ELi4ELi8ELi1ELi64ELi4ELi1ELi1EEviiiiiiPKT_S3_S3_PfPiPS1_i
; %bb.0:
	s_add_u32 s8, s0, 0x50
	s_addc_u32 s9, s1, 0
	s_getpc_b64 s[0:1]
	s_add_u32 s0, s0, __PRETTY_FUNCTION__._Z11wvSplitKrc_I6__halfLi64ELi16ELi4ELi8ELi1ELi64ELi4ELi1ELi1EEviiiiiiPKT_S3_S3_PfPiPS1_i@rel32@lo+4
	s_addc_u32 s1, s1, __PRETTY_FUNCTION__._Z11wvSplitKrc_I6__halfLi64ELi16ELi4ELi8ELi1ELi64ELi4ELi1ELi1EEviiiiiiPKT_S3_S3_PfPiPS1_i@rel32@hi+12
	v_dual_mov_b32 v0, 0x6c9 :: v_dual_mov_b32 v1, s0
	v_mov_b32_e32 v2, s1
	s_mov_b32 s32, 0
	s_getpc_b64 s[2:3]
	s_add_u32 s2, s2, __assert_fail@rel32@lo+4
	s_addc_u32 s3, s3, __assert_fail@rel32@hi+12
	s_delay_alu instid0(SALU_CYCLE_1)
	s_swappc_b64 s[30:31], s[2:3]
	.section	.rodata,"a",@progbits
	.p2align	6, 0x0
	.amdhsa_kernel _Z11wvSplitKrc_I6__halfLi64ELi16ELi4ELi8ELi1ELi64ELi4ELi1ELi1EEviiiiiiPKT_S3_S3_PfPiPS1_i
		.amdhsa_group_segment_fixed_size 0
		.amdhsa_private_segment_fixed_size 64
		.amdhsa_kernarg_size 336
		.amdhsa_user_sgpr_count 15
		.amdhsa_user_sgpr_dispatch_ptr 0
		.amdhsa_user_sgpr_queue_ptr 0
		.amdhsa_user_sgpr_kernarg_segment_ptr 1
		.amdhsa_user_sgpr_dispatch_id 0
		.amdhsa_user_sgpr_private_segment_size 0
		.amdhsa_wavefront_size32 1
		.amdhsa_uses_dynamic_stack 0
		.amdhsa_enable_private_segment 1
		.amdhsa_system_sgpr_workgroup_id_x 1
		.amdhsa_system_sgpr_workgroup_id_y 0
		.amdhsa_system_sgpr_workgroup_id_z 0
		.amdhsa_system_sgpr_workgroup_info 0
		.amdhsa_system_vgpr_workitem_id 0
		.amdhsa_next_free_vgpr 50
		.amdhsa_next_free_sgpr 34
		.amdhsa_reserve_vcc 1
		.amdhsa_float_round_mode_32 0
		.amdhsa_float_round_mode_16_64 0
		.amdhsa_float_denorm_mode_32 3
		.amdhsa_float_denorm_mode_16_64 3
		.amdhsa_dx10_clamp 1
		.amdhsa_ieee_mode 1
		.amdhsa_fp16_overflow 0
		.amdhsa_workgroup_processor_mode 1
		.amdhsa_memory_ordered 1
		.amdhsa_forward_progress 0
		.amdhsa_shared_vgpr_count 0
		.amdhsa_exception_fp_ieee_invalid_op 0
		.amdhsa_exception_fp_denorm_src 0
		.amdhsa_exception_fp_ieee_div_zero 0
		.amdhsa_exception_fp_ieee_overflow 0
		.amdhsa_exception_fp_ieee_underflow 0
		.amdhsa_exception_fp_ieee_inexact 0
		.amdhsa_exception_int_div_zero 0
	.end_amdhsa_kernel
	.section	.text._Z11wvSplitKrc_I6__halfLi64ELi16ELi4ELi8ELi1ELi64ELi4ELi1ELi1EEviiiiiiPKT_S3_S3_PfPiPS1_i,"axG",@progbits,_Z11wvSplitKrc_I6__halfLi64ELi16ELi4ELi8ELi1ELi64ELi4ELi1ELi1EEviiiiiiPKT_S3_S3_PfPiPS1_i,comdat
.Lfunc_end318:
	.size	_Z11wvSplitKrc_I6__halfLi64ELi16ELi4ELi8ELi1ELi64ELi4ELi1ELi1EEviiiiiiPKT_S3_S3_PfPiPS1_i, .Lfunc_end318-_Z11wvSplitKrc_I6__halfLi64ELi16ELi4ELi8ELi1ELi64ELi4ELi1ELi1EEviiiiiiPKT_S3_S3_PfPiPS1_i
                                        ; -- End function
	.section	.AMDGPU.csdata,"",@progbits
; Kernel info:
; codeLenInByte = 80
; NumSgprs: 36
; NumVgprs: 50
; ScratchSize: 64
; MemoryBound: 0
; FloatMode: 240
; IeeeMode: 1
; LDSByteSize: 0 bytes/workgroup (compile time only)
; SGPRBlocks: 4
; VGPRBlocks: 6
; NumSGPRsForWavesPerEU: 36
; NumVGPRsForWavesPerEU: 50
; Occupancy: 16
; WaveLimiterHint : 1
; COMPUTE_PGM_RSRC2:SCRATCH_EN: 1
; COMPUTE_PGM_RSRC2:USER_SGPR: 15
; COMPUTE_PGM_RSRC2:TRAP_HANDLER: 0
; COMPUTE_PGM_RSRC2:TGID_X_EN: 1
; COMPUTE_PGM_RSRC2:TGID_Y_EN: 0
; COMPUTE_PGM_RSRC2:TGID_Z_EN: 0
; COMPUTE_PGM_RSRC2:TIDIG_COMP_CNT: 0
	.section	.text._Z11wvSplitKrc_I6__halfLi64ELi16ELi4ELi8ELi1ELi64ELi4ELi1ELi0EEviiiiiiPKT_S3_S3_PfPiPS1_i,"axG",@progbits,_Z11wvSplitKrc_I6__halfLi64ELi16ELi4ELi8ELi1ELi64ELi4ELi1ELi0EEviiiiiiPKT_S3_S3_PfPiPS1_i,comdat
	.protected	_Z11wvSplitKrc_I6__halfLi64ELi16ELi4ELi8ELi1ELi64ELi4ELi1ELi0EEviiiiiiPKT_S3_S3_PfPiPS1_i ; -- Begin function _Z11wvSplitKrc_I6__halfLi64ELi16ELi4ELi8ELi1ELi64ELi4ELi1ELi0EEviiiiiiPKT_S3_S3_PfPiPS1_i
	.globl	_Z11wvSplitKrc_I6__halfLi64ELi16ELi4ELi8ELi1ELi64ELi4ELi1ELi0EEviiiiiiPKT_S3_S3_PfPiPS1_i
	.p2align	8
	.type	_Z11wvSplitKrc_I6__halfLi64ELi16ELi4ELi8ELi1ELi64ELi4ELi1ELi0EEviiiiiiPKT_S3_S3_PfPiPS1_i,@function
_Z11wvSplitKrc_I6__halfLi64ELi16ELi4ELi8ELi1ELi64ELi4ELi1ELi0EEviiiiiiPKT_S3_S3_PfPiPS1_i: ; @_Z11wvSplitKrc_I6__halfLi64ELi16ELi4ELi8ELi1ELi64ELi4ELi1ELi0EEviiiiiiPKT_S3_S3_PfPiPS1_i
; %bb.0:
	s_add_u32 s8, s0, 0x50
	s_addc_u32 s9, s1, 0
	s_getpc_b64 s[0:1]
	s_add_u32 s0, s0, __PRETTY_FUNCTION__._Z11wvSplitKrc_I6__halfLi64ELi16ELi4ELi8ELi1ELi64ELi4ELi1ELi0EEviiiiiiPKT_S3_S3_PfPiPS1_i@rel32@lo+4
	s_addc_u32 s1, s1, __PRETTY_FUNCTION__._Z11wvSplitKrc_I6__halfLi64ELi16ELi4ELi8ELi1ELi64ELi4ELi1ELi0EEviiiiiiPKT_S3_S3_PfPiPS1_i@rel32@hi+12
	v_dual_mov_b32 v0, 0x6c9 :: v_dual_mov_b32 v1, s0
	v_mov_b32_e32 v2, s1
	s_mov_b32 s32, 0
	s_getpc_b64 s[2:3]
	s_add_u32 s2, s2, __assert_fail@rel32@lo+4
	s_addc_u32 s3, s3, __assert_fail@rel32@hi+12
	s_delay_alu instid0(SALU_CYCLE_1)
	s_swappc_b64 s[30:31], s[2:3]
	.section	.rodata,"a",@progbits
	.p2align	6, 0x0
	.amdhsa_kernel _Z11wvSplitKrc_I6__halfLi64ELi16ELi4ELi8ELi1ELi64ELi4ELi1ELi0EEviiiiiiPKT_S3_S3_PfPiPS1_i
		.amdhsa_group_segment_fixed_size 0
		.amdhsa_private_segment_fixed_size 64
		.amdhsa_kernarg_size 336
		.amdhsa_user_sgpr_count 15
		.amdhsa_user_sgpr_dispatch_ptr 0
		.amdhsa_user_sgpr_queue_ptr 0
		.amdhsa_user_sgpr_kernarg_segment_ptr 1
		.amdhsa_user_sgpr_dispatch_id 0
		.amdhsa_user_sgpr_private_segment_size 0
		.amdhsa_wavefront_size32 1
		.amdhsa_uses_dynamic_stack 0
		.amdhsa_enable_private_segment 1
		.amdhsa_system_sgpr_workgroup_id_x 1
		.amdhsa_system_sgpr_workgroup_id_y 0
		.amdhsa_system_sgpr_workgroup_id_z 0
		.amdhsa_system_sgpr_workgroup_info 0
		.amdhsa_system_vgpr_workitem_id 0
		.amdhsa_next_free_vgpr 50
		.amdhsa_next_free_sgpr 34
		.amdhsa_reserve_vcc 1
		.amdhsa_float_round_mode_32 0
		.amdhsa_float_round_mode_16_64 0
		.amdhsa_float_denorm_mode_32 3
		.amdhsa_float_denorm_mode_16_64 3
		.amdhsa_dx10_clamp 1
		.amdhsa_ieee_mode 1
		.amdhsa_fp16_overflow 0
		.amdhsa_workgroup_processor_mode 1
		.amdhsa_memory_ordered 1
		.amdhsa_forward_progress 0
		.amdhsa_shared_vgpr_count 0
		.amdhsa_exception_fp_ieee_invalid_op 0
		.amdhsa_exception_fp_denorm_src 0
		.amdhsa_exception_fp_ieee_div_zero 0
		.amdhsa_exception_fp_ieee_overflow 0
		.amdhsa_exception_fp_ieee_underflow 0
		.amdhsa_exception_fp_ieee_inexact 0
		.amdhsa_exception_int_div_zero 0
	.end_amdhsa_kernel
	.section	.text._Z11wvSplitKrc_I6__halfLi64ELi16ELi4ELi8ELi1ELi64ELi4ELi1ELi0EEviiiiiiPKT_S3_S3_PfPiPS1_i,"axG",@progbits,_Z11wvSplitKrc_I6__halfLi64ELi16ELi4ELi8ELi1ELi64ELi4ELi1ELi0EEviiiiiiPKT_S3_S3_PfPiPS1_i,comdat
.Lfunc_end319:
	.size	_Z11wvSplitKrc_I6__halfLi64ELi16ELi4ELi8ELi1ELi64ELi4ELi1ELi0EEviiiiiiPKT_S3_S3_PfPiPS1_i, .Lfunc_end319-_Z11wvSplitKrc_I6__halfLi64ELi16ELi4ELi8ELi1ELi64ELi4ELi1ELi0EEviiiiiiPKT_S3_S3_PfPiPS1_i
                                        ; -- End function
	.section	.AMDGPU.csdata,"",@progbits
; Kernel info:
; codeLenInByte = 80
; NumSgprs: 36
; NumVgprs: 50
; ScratchSize: 64
; MemoryBound: 0
; FloatMode: 240
; IeeeMode: 1
; LDSByteSize: 0 bytes/workgroup (compile time only)
; SGPRBlocks: 4
; VGPRBlocks: 6
; NumSGPRsForWavesPerEU: 36
; NumVGPRsForWavesPerEU: 50
; Occupancy: 16
; WaveLimiterHint : 1
; COMPUTE_PGM_RSRC2:SCRATCH_EN: 1
; COMPUTE_PGM_RSRC2:USER_SGPR: 15
; COMPUTE_PGM_RSRC2:TRAP_HANDLER: 0
; COMPUTE_PGM_RSRC2:TGID_X_EN: 1
; COMPUTE_PGM_RSRC2:TGID_Y_EN: 0
; COMPUTE_PGM_RSRC2:TGID_Z_EN: 0
; COMPUTE_PGM_RSRC2:TIDIG_COMP_CNT: 0
	.section	.text._Z11wvSplitKrc_I6__halfLi64ELi16ELi4ELi8ELi1ELi128ELi4ELi2ELi1EEviiiiiiPKT_S3_S3_PfPiPS1_i,"axG",@progbits,_Z11wvSplitKrc_I6__halfLi64ELi16ELi4ELi8ELi1ELi128ELi4ELi2ELi1EEviiiiiiPKT_S3_S3_PfPiPS1_i,comdat
	.protected	_Z11wvSplitKrc_I6__halfLi64ELi16ELi4ELi8ELi1ELi128ELi4ELi2ELi1EEviiiiiiPKT_S3_S3_PfPiPS1_i ; -- Begin function _Z11wvSplitKrc_I6__halfLi64ELi16ELi4ELi8ELi1ELi128ELi4ELi2ELi1EEviiiiiiPKT_S3_S3_PfPiPS1_i
	.globl	_Z11wvSplitKrc_I6__halfLi64ELi16ELi4ELi8ELi1ELi128ELi4ELi2ELi1EEviiiiiiPKT_S3_S3_PfPiPS1_i
	.p2align	8
	.type	_Z11wvSplitKrc_I6__halfLi64ELi16ELi4ELi8ELi1ELi128ELi4ELi2ELi1EEviiiiiiPKT_S3_S3_PfPiPS1_i,@function
_Z11wvSplitKrc_I6__halfLi64ELi16ELi4ELi8ELi1ELi128ELi4ELi2ELi1EEviiiiiiPKT_S3_S3_PfPiPS1_i: ; @_Z11wvSplitKrc_I6__halfLi64ELi16ELi4ELi8ELi1ELi128ELi4ELi2ELi1EEviiiiiiPKT_S3_S3_PfPiPS1_i
; %bb.0:
	s_add_u32 s8, s0, 0x50
	s_addc_u32 s9, s1, 0
	s_getpc_b64 s[0:1]
	s_add_u32 s0, s0, __PRETTY_FUNCTION__._Z11wvSplitKrc_I6__halfLi64ELi16ELi4ELi8ELi1ELi128ELi4ELi2ELi1EEviiiiiiPKT_S3_S3_PfPiPS1_i@rel32@lo+4
	s_addc_u32 s1, s1, __PRETTY_FUNCTION__._Z11wvSplitKrc_I6__halfLi64ELi16ELi4ELi8ELi1ELi128ELi4ELi2ELi1EEviiiiiiPKT_S3_S3_PfPiPS1_i@rel32@hi+12
	v_dual_mov_b32 v0, 0x6c9 :: v_dual_mov_b32 v1, s0
	v_mov_b32_e32 v2, s1
	s_mov_b32 s32, 0
	s_getpc_b64 s[2:3]
	s_add_u32 s2, s2, __assert_fail@rel32@lo+4
	s_addc_u32 s3, s3, __assert_fail@rel32@hi+12
	s_delay_alu instid0(SALU_CYCLE_1)
	s_swappc_b64 s[30:31], s[2:3]
	.section	.rodata,"a",@progbits
	.p2align	6, 0x0
	.amdhsa_kernel _Z11wvSplitKrc_I6__halfLi64ELi16ELi4ELi8ELi1ELi128ELi4ELi2ELi1EEviiiiiiPKT_S3_S3_PfPiPS1_i
		.amdhsa_group_segment_fixed_size 0
		.amdhsa_private_segment_fixed_size 64
		.amdhsa_kernarg_size 336
		.amdhsa_user_sgpr_count 15
		.amdhsa_user_sgpr_dispatch_ptr 0
		.amdhsa_user_sgpr_queue_ptr 0
		.amdhsa_user_sgpr_kernarg_segment_ptr 1
		.amdhsa_user_sgpr_dispatch_id 0
		.amdhsa_user_sgpr_private_segment_size 0
		.amdhsa_wavefront_size32 1
		.amdhsa_uses_dynamic_stack 0
		.amdhsa_enable_private_segment 1
		.amdhsa_system_sgpr_workgroup_id_x 1
		.amdhsa_system_sgpr_workgroup_id_y 0
		.amdhsa_system_sgpr_workgroup_id_z 0
		.amdhsa_system_sgpr_workgroup_info 0
		.amdhsa_system_vgpr_workitem_id 0
		.amdhsa_next_free_vgpr 50
		.amdhsa_next_free_sgpr 34
		.amdhsa_reserve_vcc 1
		.amdhsa_float_round_mode_32 0
		.amdhsa_float_round_mode_16_64 0
		.amdhsa_float_denorm_mode_32 3
		.amdhsa_float_denorm_mode_16_64 3
		.amdhsa_dx10_clamp 1
		.amdhsa_ieee_mode 1
		.amdhsa_fp16_overflow 0
		.amdhsa_workgroup_processor_mode 1
		.amdhsa_memory_ordered 1
		.amdhsa_forward_progress 0
		.amdhsa_shared_vgpr_count 0
		.amdhsa_exception_fp_ieee_invalid_op 0
		.amdhsa_exception_fp_denorm_src 0
		.amdhsa_exception_fp_ieee_div_zero 0
		.amdhsa_exception_fp_ieee_overflow 0
		.amdhsa_exception_fp_ieee_underflow 0
		.amdhsa_exception_fp_ieee_inexact 0
		.amdhsa_exception_int_div_zero 0
	.end_amdhsa_kernel
	.section	.text._Z11wvSplitKrc_I6__halfLi64ELi16ELi4ELi8ELi1ELi128ELi4ELi2ELi1EEviiiiiiPKT_S3_S3_PfPiPS1_i,"axG",@progbits,_Z11wvSplitKrc_I6__halfLi64ELi16ELi4ELi8ELi1ELi128ELi4ELi2ELi1EEviiiiiiPKT_S3_S3_PfPiPS1_i,comdat
.Lfunc_end320:
	.size	_Z11wvSplitKrc_I6__halfLi64ELi16ELi4ELi8ELi1ELi128ELi4ELi2ELi1EEviiiiiiPKT_S3_S3_PfPiPS1_i, .Lfunc_end320-_Z11wvSplitKrc_I6__halfLi64ELi16ELi4ELi8ELi1ELi128ELi4ELi2ELi1EEviiiiiiPKT_S3_S3_PfPiPS1_i
                                        ; -- End function
	.section	.AMDGPU.csdata,"",@progbits
; Kernel info:
; codeLenInByte = 80
; NumSgprs: 36
; NumVgprs: 50
; ScratchSize: 64
; MemoryBound: 0
; FloatMode: 240
; IeeeMode: 1
; LDSByteSize: 0 bytes/workgroup (compile time only)
; SGPRBlocks: 4
; VGPRBlocks: 6
; NumSGPRsForWavesPerEU: 36
; NumVGPRsForWavesPerEU: 50
; Occupancy: 16
; WaveLimiterHint : 1
; COMPUTE_PGM_RSRC2:SCRATCH_EN: 1
; COMPUTE_PGM_RSRC2:USER_SGPR: 15
; COMPUTE_PGM_RSRC2:TRAP_HANDLER: 0
; COMPUTE_PGM_RSRC2:TGID_X_EN: 1
; COMPUTE_PGM_RSRC2:TGID_Y_EN: 0
; COMPUTE_PGM_RSRC2:TGID_Z_EN: 0
; COMPUTE_PGM_RSRC2:TIDIG_COMP_CNT: 0
	.section	.text._Z11wvSplitKrc_I6__halfLi64ELi16ELi4ELi8ELi1ELi128ELi4ELi2ELi0EEviiiiiiPKT_S3_S3_PfPiPS1_i,"axG",@progbits,_Z11wvSplitKrc_I6__halfLi64ELi16ELi4ELi8ELi1ELi128ELi4ELi2ELi0EEviiiiiiPKT_S3_S3_PfPiPS1_i,comdat
	.protected	_Z11wvSplitKrc_I6__halfLi64ELi16ELi4ELi8ELi1ELi128ELi4ELi2ELi0EEviiiiiiPKT_S3_S3_PfPiPS1_i ; -- Begin function _Z11wvSplitKrc_I6__halfLi64ELi16ELi4ELi8ELi1ELi128ELi4ELi2ELi0EEviiiiiiPKT_S3_S3_PfPiPS1_i
	.globl	_Z11wvSplitKrc_I6__halfLi64ELi16ELi4ELi8ELi1ELi128ELi4ELi2ELi0EEviiiiiiPKT_S3_S3_PfPiPS1_i
	.p2align	8
	.type	_Z11wvSplitKrc_I6__halfLi64ELi16ELi4ELi8ELi1ELi128ELi4ELi2ELi0EEviiiiiiPKT_S3_S3_PfPiPS1_i,@function
_Z11wvSplitKrc_I6__halfLi64ELi16ELi4ELi8ELi1ELi128ELi4ELi2ELi0EEviiiiiiPKT_S3_S3_PfPiPS1_i: ; @_Z11wvSplitKrc_I6__halfLi64ELi16ELi4ELi8ELi1ELi128ELi4ELi2ELi0EEviiiiiiPKT_S3_S3_PfPiPS1_i
; %bb.0:
	s_add_u32 s8, s0, 0x50
	s_addc_u32 s9, s1, 0
	s_getpc_b64 s[0:1]
	s_add_u32 s0, s0, __PRETTY_FUNCTION__._Z11wvSplitKrc_I6__halfLi64ELi16ELi4ELi8ELi1ELi128ELi4ELi2ELi0EEviiiiiiPKT_S3_S3_PfPiPS1_i@rel32@lo+4
	s_addc_u32 s1, s1, __PRETTY_FUNCTION__._Z11wvSplitKrc_I6__halfLi64ELi16ELi4ELi8ELi1ELi128ELi4ELi2ELi0EEviiiiiiPKT_S3_S3_PfPiPS1_i@rel32@hi+12
	v_dual_mov_b32 v0, 0x6c9 :: v_dual_mov_b32 v1, s0
	v_mov_b32_e32 v2, s1
	s_mov_b32 s32, 0
	s_getpc_b64 s[2:3]
	s_add_u32 s2, s2, __assert_fail@rel32@lo+4
	s_addc_u32 s3, s3, __assert_fail@rel32@hi+12
	s_delay_alu instid0(SALU_CYCLE_1)
	s_swappc_b64 s[30:31], s[2:3]
	.section	.rodata,"a",@progbits
	.p2align	6, 0x0
	.amdhsa_kernel _Z11wvSplitKrc_I6__halfLi64ELi16ELi4ELi8ELi1ELi128ELi4ELi2ELi0EEviiiiiiPKT_S3_S3_PfPiPS1_i
		.amdhsa_group_segment_fixed_size 0
		.amdhsa_private_segment_fixed_size 64
		.amdhsa_kernarg_size 336
		.amdhsa_user_sgpr_count 15
		.amdhsa_user_sgpr_dispatch_ptr 0
		.amdhsa_user_sgpr_queue_ptr 0
		.amdhsa_user_sgpr_kernarg_segment_ptr 1
		.amdhsa_user_sgpr_dispatch_id 0
		.amdhsa_user_sgpr_private_segment_size 0
		.amdhsa_wavefront_size32 1
		.amdhsa_uses_dynamic_stack 0
		.amdhsa_enable_private_segment 1
		.amdhsa_system_sgpr_workgroup_id_x 1
		.amdhsa_system_sgpr_workgroup_id_y 0
		.amdhsa_system_sgpr_workgroup_id_z 0
		.amdhsa_system_sgpr_workgroup_info 0
		.amdhsa_system_vgpr_workitem_id 0
		.amdhsa_next_free_vgpr 50
		.amdhsa_next_free_sgpr 34
		.amdhsa_reserve_vcc 1
		.amdhsa_float_round_mode_32 0
		.amdhsa_float_round_mode_16_64 0
		.amdhsa_float_denorm_mode_32 3
		.amdhsa_float_denorm_mode_16_64 3
		.amdhsa_dx10_clamp 1
		.amdhsa_ieee_mode 1
		.amdhsa_fp16_overflow 0
		.amdhsa_workgroup_processor_mode 1
		.amdhsa_memory_ordered 1
		.amdhsa_forward_progress 0
		.amdhsa_shared_vgpr_count 0
		.amdhsa_exception_fp_ieee_invalid_op 0
		.amdhsa_exception_fp_denorm_src 0
		.amdhsa_exception_fp_ieee_div_zero 0
		.amdhsa_exception_fp_ieee_overflow 0
		.amdhsa_exception_fp_ieee_underflow 0
		.amdhsa_exception_fp_ieee_inexact 0
		.amdhsa_exception_int_div_zero 0
	.end_amdhsa_kernel
	.section	.text._Z11wvSplitKrc_I6__halfLi64ELi16ELi4ELi8ELi1ELi128ELi4ELi2ELi0EEviiiiiiPKT_S3_S3_PfPiPS1_i,"axG",@progbits,_Z11wvSplitKrc_I6__halfLi64ELi16ELi4ELi8ELi1ELi128ELi4ELi2ELi0EEviiiiiiPKT_S3_S3_PfPiPS1_i,comdat
.Lfunc_end321:
	.size	_Z11wvSplitKrc_I6__halfLi64ELi16ELi4ELi8ELi1ELi128ELi4ELi2ELi0EEviiiiiiPKT_S3_S3_PfPiPS1_i, .Lfunc_end321-_Z11wvSplitKrc_I6__halfLi64ELi16ELi4ELi8ELi1ELi128ELi4ELi2ELi0EEviiiiiiPKT_S3_S3_PfPiPS1_i
                                        ; -- End function
	.section	.AMDGPU.csdata,"",@progbits
; Kernel info:
; codeLenInByte = 80
; NumSgprs: 36
; NumVgprs: 50
; ScratchSize: 64
; MemoryBound: 0
; FloatMode: 240
; IeeeMode: 1
; LDSByteSize: 0 bytes/workgroup (compile time only)
; SGPRBlocks: 4
; VGPRBlocks: 6
; NumSGPRsForWavesPerEU: 36
; NumVGPRsForWavesPerEU: 50
; Occupancy: 16
; WaveLimiterHint : 1
; COMPUTE_PGM_RSRC2:SCRATCH_EN: 1
; COMPUTE_PGM_RSRC2:USER_SGPR: 15
; COMPUTE_PGM_RSRC2:TRAP_HANDLER: 0
; COMPUTE_PGM_RSRC2:TGID_X_EN: 1
; COMPUTE_PGM_RSRC2:TGID_Y_EN: 0
; COMPUTE_PGM_RSRC2:TGID_Z_EN: 0
; COMPUTE_PGM_RSRC2:TIDIG_COMP_CNT: 0
	.section	.text._Z11wvSplitKrc_I6__halfLi64ELi16ELi4ELi8ELi1ELi128ELi4ELi1ELi1EEviiiiiiPKT_S3_S3_PfPiPS1_i,"axG",@progbits,_Z11wvSplitKrc_I6__halfLi64ELi16ELi4ELi8ELi1ELi128ELi4ELi1ELi1EEviiiiiiPKT_S3_S3_PfPiPS1_i,comdat
	.protected	_Z11wvSplitKrc_I6__halfLi64ELi16ELi4ELi8ELi1ELi128ELi4ELi1ELi1EEviiiiiiPKT_S3_S3_PfPiPS1_i ; -- Begin function _Z11wvSplitKrc_I6__halfLi64ELi16ELi4ELi8ELi1ELi128ELi4ELi1ELi1EEviiiiiiPKT_S3_S3_PfPiPS1_i
	.globl	_Z11wvSplitKrc_I6__halfLi64ELi16ELi4ELi8ELi1ELi128ELi4ELi1ELi1EEviiiiiiPKT_S3_S3_PfPiPS1_i
	.p2align	8
	.type	_Z11wvSplitKrc_I6__halfLi64ELi16ELi4ELi8ELi1ELi128ELi4ELi1ELi1EEviiiiiiPKT_S3_S3_PfPiPS1_i,@function
_Z11wvSplitKrc_I6__halfLi64ELi16ELi4ELi8ELi1ELi128ELi4ELi1ELi1EEviiiiiiPKT_S3_S3_PfPiPS1_i: ; @_Z11wvSplitKrc_I6__halfLi64ELi16ELi4ELi8ELi1ELi128ELi4ELi1ELi1EEviiiiiiPKT_S3_S3_PfPiPS1_i
; %bb.0:
	s_add_u32 s8, s0, 0x50
	s_addc_u32 s9, s1, 0
	s_getpc_b64 s[0:1]
	s_add_u32 s0, s0, __PRETTY_FUNCTION__._Z11wvSplitKrc_I6__halfLi64ELi16ELi4ELi8ELi1ELi128ELi4ELi1ELi1EEviiiiiiPKT_S3_S3_PfPiPS1_i@rel32@lo+4
	s_addc_u32 s1, s1, __PRETTY_FUNCTION__._Z11wvSplitKrc_I6__halfLi64ELi16ELi4ELi8ELi1ELi128ELi4ELi1ELi1EEviiiiiiPKT_S3_S3_PfPiPS1_i@rel32@hi+12
	v_dual_mov_b32 v0, 0x6c9 :: v_dual_mov_b32 v1, s0
	v_mov_b32_e32 v2, s1
	s_mov_b32 s32, 0
	s_getpc_b64 s[2:3]
	s_add_u32 s2, s2, __assert_fail@rel32@lo+4
	s_addc_u32 s3, s3, __assert_fail@rel32@hi+12
	s_delay_alu instid0(SALU_CYCLE_1)
	s_swappc_b64 s[30:31], s[2:3]
	.section	.rodata,"a",@progbits
	.p2align	6, 0x0
	.amdhsa_kernel _Z11wvSplitKrc_I6__halfLi64ELi16ELi4ELi8ELi1ELi128ELi4ELi1ELi1EEviiiiiiPKT_S3_S3_PfPiPS1_i
		.amdhsa_group_segment_fixed_size 0
		.amdhsa_private_segment_fixed_size 64
		.amdhsa_kernarg_size 336
		.amdhsa_user_sgpr_count 15
		.amdhsa_user_sgpr_dispatch_ptr 0
		.amdhsa_user_sgpr_queue_ptr 0
		.amdhsa_user_sgpr_kernarg_segment_ptr 1
		.amdhsa_user_sgpr_dispatch_id 0
		.amdhsa_user_sgpr_private_segment_size 0
		.amdhsa_wavefront_size32 1
		.amdhsa_uses_dynamic_stack 0
		.amdhsa_enable_private_segment 1
		.amdhsa_system_sgpr_workgroup_id_x 1
		.amdhsa_system_sgpr_workgroup_id_y 0
		.amdhsa_system_sgpr_workgroup_id_z 0
		.amdhsa_system_sgpr_workgroup_info 0
		.amdhsa_system_vgpr_workitem_id 0
		.amdhsa_next_free_vgpr 50
		.amdhsa_next_free_sgpr 34
		.amdhsa_reserve_vcc 1
		.amdhsa_float_round_mode_32 0
		.amdhsa_float_round_mode_16_64 0
		.amdhsa_float_denorm_mode_32 3
		.amdhsa_float_denorm_mode_16_64 3
		.amdhsa_dx10_clamp 1
		.amdhsa_ieee_mode 1
		.amdhsa_fp16_overflow 0
		.amdhsa_workgroup_processor_mode 1
		.amdhsa_memory_ordered 1
		.amdhsa_forward_progress 0
		.amdhsa_shared_vgpr_count 0
		.amdhsa_exception_fp_ieee_invalid_op 0
		.amdhsa_exception_fp_denorm_src 0
		.amdhsa_exception_fp_ieee_div_zero 0
		.amdhsa_exception_fp_ieee_overflow 0
		.amdhsa_exception_fp_ieee_underflow 0
		.amdhsa_exception_fp_ieee_inexact 0
		.amdhsa_exception_int_div_zero 0
	.end_amdhsa_kernel
	.section	.text._Z11wvSplitKrc_I6__halfLi64ELi16ELi4ELi8ELi1ELi128ELi4ELi1ELi1EEviiiiiiPKT_S3_S3_PfPiPS1_i,"axG",@progbits,_Z11wvSplitKrc_I6__halfLi64ELi16ELi4ELi8ELi1ELi128ELi4ELi1ELi1EEviiiiiiPKT_S3_S3_PfPiPS1_i,comdat
.Lfunc_end322:
	.size	_Z11wvSplitKrc_I6__halfLi64ELi16ELi4ELi8ELi1ELi128ELi4ELi1ELi1EEviiiiiiPKT_S3_S3_PfPiPS1_i, .Lfunc_end322-_Z11wvSplitKrc_I6__halfLi64ELi16ELi4ELi8ELi1ELi128ELi4ELi1ELi1EEviiiiiiPKT_S3_S3_PfPiPS1_i
                                        ; -- End function
	.section	.AMDGPU.csdata,"",@progbits
; Kernel info:
; codeLenInByte = 80
; NumSgprs: 36
; NumVgprs: 50
; ScratchSize: 64
; MemoryBound: 0
; FloatMode: 240
; IeeeMode: 1
; LDSByteSize: 0 bytes/workgroup (compile time only)
; SGPRBlocks: 4
; VGPRBlocks: 6
; NumSGPRsForWavesPerEU: 36
; NumVGPRsForWavesPerEU: 50
; Occupancy: 16
; WaveLimiterHint : 1
; COMPUTE_PGM_RSRC2:SCRATCH_EN: 1
; COMPUTE_PGM_RSRC2:USER_SGPR: 15
; COMPUTE_PGM_RSRC2:TRAP_HANDLER: 0
; COMPUTE_PGM_RSRC2:TGID_X_EN: 1
; COMPUTE_PGM_RSRC2:TGID_Y_EN: 0
; COMPUTE_PGM_RSRC2:TGID_Z_EN: 0
; COMPUTE_PGM_RSRC2:TIDIG_COMP_CNT: 0
	.section	.text._Z11wvSplitKrc_I6__halfLi64ELi16ELi4ELi8ELi1ELi128ELi4ELi1ELi0EEviiiiiiPKT_S3_S3_PfPiPS1_i,"axG",@progbits,_Z11wvSplitKrc_I6__halfLi64ELi16ELi4ELi8ELi1ELi128ELi4ELi1ELi0EEviiiiiiPKT_S3_S3_PfPiPS1_i,comdat
	.protected	_Z11wvSplitKrc_I6__halfLi64ELi16ELi4ELi8ELi1ELi128ELi4ELi1ELi0EEviiiiiiPKT_S3_S3_PfPiPS1_i ; -- Begin function _Z11wvSplitKrc_I6__halfLi64ELi16ELi4ELi8ELi1ELi128ELi4ELi1ELi0EEviiiiiiPKT_S3_S3_PfPiPS1_i
	.globl	_Z11wvSplitKrc_I6__halfLi64ELi16ELi4ELi8ELi1ELi128ELi4ELi1ELi0EEviiiiiiPKT_S3_S3_PfPiPS1_i
	.p2align	8
	.type	_Z11wvSplitKrc_I6__halfLi64ELi16ELi4ELi8ELi1ELi128ELi4ELi1ELi0EEviiiiiiPKT_S3_S3_PfPiPS1_i,@function
_Z11wvSplitKrc_I6__halfLi64ELi16ELi4ELi8ELi1ELi128ELi4ELi1ELi0EEviiiiiiPKT_S3_S3_PfPiPS1_i: ; @_Z11wvSplitKrc_I6__halfLi64ELi16ELi4ELi8ELi1ELi128ELi4ELi1ELi0EEviiiiiiPKT_S3_S3_PfPiPS1_i
; %bb.0:
	s_add_u32 s8, s0, 0x50
	s_addc_u32 s9, s1, 0
	s_getpc_b64 s[0:1]
	s_add_u32 s0, s0, __PRETTY_FUNCTION__._Z11wvSplitKrc_I6__halfLi64ELi16ELi4ELi8ELi1ELi128ELi4ELi1ELi0EEviiiiiiPKT_S3_S3_PfPiPS1_i@rel32@lo+4
	s_addc_u32 s1, s1, __PRETTY_FUNCTION__._Z11wvSplitKrc_I6__halfLi64ELi16ELi4ELi8ELi1ELi128ELi4ELi1ELi0EEviiiiiiPKT_S3_S3_PfPiPS1_i@rel32@hi+12
	v_dual_mov_b32 v0, 0x6c9 :: v_dual_mov_b32 v1, s0
	v_mov_b32_e32 v2, s1
	s_mov_b32 s32, 0
	s_getpc_b64 s[2:3]
	s_add_u32 s2, s2, __assert_fail@rel32@lo+4
	s_addc_u32 s3, s3, __assert_fail@rel32@hi+12
	s_delay_alu instid0(SALU_CYCLE_1)
	s_swappc_b64 s[30:31], s[2:3]
	.section	.rodata,"a",@progbits
	.p2align	6, 0x0
	.amdhsa_kernel _Z11wvSplitKrc_I6__halfLi64ELi16ELi4ELi8ELi1ELi128ELi4ELi1ELi0EEviiiiiiPKT_S3_S3_PfPiPS1_i
		.amdhsa_group_segment_fixed_size 0
		.amdhsa_private_segment_fixed_size 64
		.amdhsa_kernarg_size 336
		.amdhsa_user_sgpr_count 15
		.amdhsa_user_sgpr_dispatch_ptr 0
		.amdhsa_user_sgpr_queue_ptr 0
		.amdhsa_user_sgpr_kernarg_segment_ptr 1
		.amdhsa_user_sgpr_dispatch_id 0
		.amdhsa_user_sgpr_private_segment_size 0
		.amdhsa_wavefront_size32 1
		.amdhsa_uses_dynamic_stack 0
		.amdhsa_enable_private_segment 1
		.amdhsa_system_sgpr_workgroup_id_x 1
		.amdhsa_system_sgpr_workgroup_id_y 0
		.amdhsa_system_sgpr_workgroup_id_z 0
		.amdhsa_system_sgpr_workgroup_info 0
		.amdhsa_system_vgpr_workitem_id 0
		.amdhsa_next_free_vgpr 50
		.amdhsa_next_free_sgpr 34
		.amdhsa_reserve_vcc 1
		.amdhsa_float_round_mode_32 0
		.amdhsa_float_round_mode_16_64 0
		.amdhsa_float_denorm_mode_32 3
		.amdhsa_float_denorm_mode_16_64 3
		.amdhsa_dx10_clamp 1
		.amdhsa_ieee_mode 1
		.amdhsa_fp16_overflow 0
		.amdhsa_workgroup_processor_mode 1
		.amdhsa_memory_ordered 1
		.amdhsa_forward_progress 0
		.amdhsa_shared_vgpr_count 0
		.amdhsa_exception_fp_ieee_invalid_op 0
		.amdhsa_exception_fp_denorm_src 0
		.amdhsa_exception_fp_ieee_div_zero 0
		.amdhsa_exception_fp_ieee_overflow 0
		.amdhsa_exception_fp_ieee_underflow 0
		.amdhsa_exception_fp_ieee_inexact 0
		.amdhsa_exception_int_div_zero 0
	.end_amdhsa_kernel
	.section	.text._Z11wvSplitKrc_I6__halfLi64ELi16ELi4ELi8ELi1ELi128ELi4ELi1ELi0EEviiiiiiPKT_S3_S3_PfPiPS1_i,"axG",@progbits,_Z11wvSplitKrc_I6__halfLi64ELi16ELi4ELi8ELi1ELi128ELi4ELi1ELi0EEviiiiiiPKT_S3_S3_PfPiPS1_i,comdat
.Lfunc_end323:
	.size	_Z11wvSplitKrc_I6__halfLi64ELi16ELi4ELi8ELi1ELi128ELi4ELi1ELi0EEviiiiiiPKT_S3_S3_PfPiPS1_i, .Lfunc_end323-_Z11wvSplitKrc_I6__halfLi64ELi16ELi4ELi8ELi1ELi128ELi4ELi1ELi0EEviiiiiiPKT_S3_S3_PfPiPS1_i
                                        ; -- End function
	.section	.AMDGPU.csdata,"",@progbits
; Kernel info:
; codeLenInByte = 80
; NumSgprs: 36
; NumVgprs: 50
; ScratchSize: 64
; MemoryBound: 0
; FloatMode: 240
; IeeeMode: 1
; LDSByteSize: 0 bytes/workgroup (compile time only)
; SGPRBlocks: 4
; VGPRBlocks: 6
; NumSGPRsForWavesPerEU: 36
; NumVGPRsForWavesPerEU: 50
; Occupancy: 16
; WaveLimiterHint : 1
; COMPUTE_PGM_RSRC2:SCRATCH_EN: 1
; COMPUTE_PGM_RSRC2:USER_SGPR: 15
; COMPUTE_PGM_RSRC2:TRAP_HANDLER: 0
; COMPUTE_PGM_RSRC2:TGID_X_EN: 1
; COMPUTE_PGM_RSRC2:TGID_Y_EN: 0
; COMPUTE_PGM_RSRC2:TGID_Z_EN: 0
; COMPUTE_PGM_RSRC2:TIDIG_COMP_CNT: 0
	.section	.text._Z11wvSplitKrc_I14__hip_bfloat16Li64ELi16ELi4ELi8ELi1ELi16ELi1ELi1ELi1EEviiiiiiPKT_S3_S3_PfPiPS1_i,"axG",@progbits,_Z11wvSplitKrc_I14__hip_bfloat16Li64ELi16ELi4ELi8ELi1ELi16ELi1ELi1ELi1EEviiiiiiPKT_S3_S3_PfPiPS1_i,comdat
	.protected	_Z11wvSplitKrc_I14__hip_bfloat16Li64ELi16ELi4ELi8ELi1ELi16ELi1ELi1ELi1EEviiiiiiPKT_S3_S3_PfPiPS1_i ; -- Begin function _Z11wvSplitKrc_I14__hip_bfloat16Li64ELi16ELi4ELi8ELi1ELi16ELi1ELi1ELi1EEviiiiiiPKT_S3_S3_PfPiPS1_i
	.globl	_Z11wvSplitKrc_I14__hip_bfloat16Li64ELi16ELi4ELi8ELi1ELi16ELi1ELi1ELi1EEviiiiiiPKT_S3_S3_PfPiPS1_i
	.p2align	8
	.type	_Z11wvSplitKrc_I14__hip_bfloat16Li64ELi16ELi4ELi8ELi1ELi16ELi1ELi1ELi1EEviiiiiiPKT_S3_S3_PfPiPS1_i,@function
_Z11wvSplitKrc_I14__hip_bfloat16Li64ELi16ELi4ELi8ELi1ELi16ELi1ELi1ELi1EEviiiiiiPKT_S3_S3_PfPiPS1_i: ; @_Z11wvSplitKrc_I14__hip_bfloat16Li64ELi16ELi4ELi8ELi1ELi16ELi1ELi1ELi1EEviiiiiiPKT_S3_S3_PfPiPS1_i
; %bb.0:
	s_add_u32 s8, s0, 0x50
	s_addc_u32 s9, s1, 0
	s_getpc_b64 s[0:1]
	s_add_u32 s0, s0, __PRETTY_FUNCTION__._Z11wvSplitKrc_I14__hip_bfloat16Li64ELi16ELi4ELi8ELi1ELi16ELi1ELi1ELi1EEviiiiiiPKT_S3_S3_PfPiPS1_i@rel32@lo+4
	s_addc_u32 s1, s1, __PRETTY_FUNCTION__._Z11wvSplitKrc_I14__hip_bfloat16Li64ELi16ELi4ELi8ELi1ELi16ELi1ELi1ELi1EEviiiiiiPKT_S3_S3_PfPiPS1_i@rel32@hi+12
	v_dual_mov_b32 v0, 0x6c9 :: v_dual_mov_b32 v1, s0
	v_mov_b32_e32 v2, s1
	s_mov_b32 s32, 0
	s_getpc_b64 s[2:3]
	s_add_u32 s2, s2, __assert_fail@rel32@lo+4
	s_addc_u32 s3, s3, __assert_fail@rel32@hi+12
	s_delay_alu instid0(SALU_CYCLE_1)
	s_swappc_b64 s[30:31], s[2:3]
	.section	.rodata,"a",@progbits
	.p2align	6, 0x0
	.amdhsa_kernel _Z11wvSplitKrc_I14__hip_bfloat16Li64ELi16ELi4ELi8ELi1ELi16ELi1ELi1ELi1EEviiiiiiPKT_S3_S3_PfPiPS1_i
		.amdhsa_group_segment_fixed_size 0
		.amdhsa_private_segment_fixed_size 64
		.amdhsa_kernarg_size 336
		.amdhsa_user_sgpr_count 15
		.amdhsa_user_sgpr_dispatch_ptr 0
		.amdhsa_user_sgpr_queue_ptr 0
		.amdhsa_user_sgpr_kernarg_segment_ptr 1
		.amdhsa_user_sgpr_dispatch_id 0
		.amdhsa_user_sgpr_private_segment_size 0
		.amdhsa_wavefront_size32 1
		.amdhsa_uses_dynamic_stack 0
		.amdhsa_enable_private_segment 1
		.amdhsa_system_sgpr_workgroup_id_x 1
		.amdhsa_system_sgpr_workgroup_id_y 0
		.amdhsa_system_sgpr_workgroup_id_z 0
		.amdhsa_system_sgpr_workgroup_info 0
		.amdhsa_system_vgpr_workitem_id 0
		.amdhsa_next_free_vgpr 50
		.amdhsa_next_free_sgpr 34
		.amdhsa_reserve_vcc 1
		.amdhsa_float_round_mode_32 0
		.amdhsa_float_round_mode_16_64 0
		.amdhsa_float_denorm_mode_32 3
		.amdhsa_float_denorm_mode_16_64 3
		.amdhsa_dx10_clamp 1
		.amdhsa_ieee_mode 1
		.amdhsa_fp16_overflow 0
		.amdhsa_workgroup_processor_mode 1
		.amdhsa_memory_ordered 1
		.amdhsa_forward_progress 0
		.amdhsa_shared_vgpr_count 0
		.amdhsa_exception_fp_ieee_invalid_op 0
		.amdhsa_exception_fp_denorm_src 0
		.amdhsa_exception_fp_ieee_div_zero 0
		.amdhsa_exception_fp_ieee_overflow 0
		.amdhsa_exception_fp_ieee_underflow 0
		.amdhsa_exception_fp_ieee_inexact 0
		.amdhsa_exception_int_div_zero 0
	.end_amdhsa_kernel
	.section	.text._Z11wvSplitKrc_I14__hip_bfloat16Li64ELi16ELi4ELi8ELi1ELi16ELi1ELi1ELi1EEviiiiiiPKT_S3_S3_PfPiPS1_i,"axG",@progbits,_Z11wvSplitKrc_I14__hip_bfloat16Li64ELi16ELi4ELi8ELi1ELi16ELi1ELi1ELi1EEviiiiiiPKT_S3_S3_PfPiPS1_i,comdat
.Lfunc_end324:
	.size	_Z11wvSplitKrc_I14__hip_bfloat16Li64ELi16ELi4ELi8ELi1ELi16ELi1ELi1ELi1EEviiiiiiPKT_S3_S3_PfPiPS1_i, .Lfunc_end324-_Z11wvSplitKrc_I14__hip_bfloat16Li64ELi16ELi4ELi8ELi1ELi16ELi1ELi1ELi1EEviiiiiiPKT_S3_S3_PfPiPS1_i
                                        ; -- End function
	.section	.AMDGPU.csdata,"",@progbits
; Kernel info:
; codeLenInByte = 80
; NumSgprs: 36
; NumVgprs: 50
; ScratchSize: 64
; MemoryBound: 0
; FloatMode: 240
; IeeeMode: 1
; LDSByteSize: 0 bytes/workgroup (compile time only)
; SGPRBlocks: 4
; VGPRBlocks: 6
; NumSGPRsForWavesPerEU: 36
; NumVGPRsForWavesPerEU: 50
; Occupancy: 16
; WaveLimiterHint : 1
; COMPUTE_PGM_RSRC2:SCRATCH_EN: 1
; COMPUTE_PGM_RSRC2:USER_SGPR: 15
; COMPUTE_PGM_RSRC2:TRAP_HANDLER: 0
; COMPUTE_PGM_RSRC2:TGID_X_EN: 1
; COMPUTE_PGM_RSRC2:TGID_Y_EN: 0
; COMPUTE_PGM_RSRC2:TGID_Z_EN: 0
; COMPUTE_PGM_RSRC2:TIDIG_COMP_CNT: 0
	.section	.text._Z11wvSplitKrc_I14__hip_bfloat16Li64ELi16ELi4ELi8ELi1ELi16ELi1ELi1ELi0EEviiiiiiPKT_S3_S3_PfPiPS1_i,"axG",@progbits,_Z11wvSplitKrc_I14__hip_bfloat16Li64ELi16ELi4ELi8ELi1ELi16ELi1ELi1ELi0EEviiiiiiPKT_S3_S3_PfPiPS1_i,comdat
	.protected	_Z11wvSplitKrc_I14__hip_bfloat16Li64ELi16ELi4ELi8ELi1ELi16ELi1ELi1ELi0EEviiiiiiPKT_S3_S3_PfPiPS1_i ; -- Begin function _Z11wvSplitKrc_I14__hip_bfloat16Li64ELi16ELi4ELi8ELi1ELi16ELi1ELi1ELi0EEviiiiiiPKT_S3_S3_PfPiPS1_i
	.globl	_Z11wvSplitKrc_I14__hip_bfloat16Li64ELi16ELi4ELi8ELi1ELi16ELi1ELi1ELi0EEviiiiiiPKT_S3_S3_PfPiPS1_i
	.p2align	8
	.type	_Z11wvSplitKrc_I14__hip_bfloat16Li64ELi16ELi4ELi8ELi1ELi16ELi1ELi1ELi0EEviiiiiiPKT_S3_S3_PfPiPS1_i,@function
_Z11wvSplitKrc_I14__hip_bfloat16Li64ELi16ELi4ELi8ELi1ELi16ELi1ELi1ELi0EEviiiiiiPKT_S3_S3_PfPiPS1_i: ; @_Z11wvSplitKrc_I14__hip_bfloat16Li64ELi16ELi4ELi8ELi1ELi16ELi1ELi1ELi0EEviiiiiiPKT_S3_S3_PfPiPS1_i
; %bb.0:
	s_add_u32 s8, s0, 0x50
	s_addc_u32 s9, s1, 0
	s_getpc_b64 s[0:1]
	s_add_u32 s0, s0, __PRETTY_FUNCTION__._Z11wvSplitKrc_I14__hip_bfloat16Li64ELi16ELi4ELi8ELi1ELi16ELi1ELi1ELi0EEviiiiiiPKT_S3_S3_PfPiPS1_i@rel32@lo+4
	s_addc_u32 s1, s1, __PRETTY_FUNCTION__._Z11wvSplitKrc_I14__hip_bfloat16Li64ELi16ELi4ELi8ELi1ELi16ELi1ELi1ELi0EEviiiiiiPKT_S3_S3_PfPiPS1_i@rel32@hi+12
	v_dual_mov_b32 v0, 0x6c9 :: v_dual_mov_b32 v1, s0
	v_mov_b32_e32 v2, s1
	s_mov_b32 s32, 0
	s_getpc_b64 s[2:3]
	s_add_u32 s2, s2, __assert_fail@rel32@lo+4
	s_addc_u32 s3, s3, __assert_fail@rel32@hi+12
	s_delay_alu instid0(SALU_CYCLE_1)
	s_swappc_b64 s[30:31], s[2:3]
	.section	.rodata,"a",@progbits
	.p2align	6, 0x0
	.amdhsa_kernel _Z11wvSplitKrc_I14__hip_bfloat16Li64ELi16ELi4ELi8ELi1ELi16ELi1ELi1ELi0EEviiiiiiPKT_S3_S3_PfPiPS1_i
		.amdhsa_group_segment_fixed_size 0
		.amdhsa_private_segment_fixed_size 64
		.amdhsa_kernarg_size 336
		.amdhsa_user_sgpr_count 15
		.amdhsa_user_sgpr_dispatch_ptr 0
		.amdhsa_user_sgpr_queue_ptr 0
		.amdhsa_user_sgpr_kernarg_segment_ptr 1
		.amdhsa_user_sgpr_dispatch_id 0
		.amdhsa_user_sgpr_private_segment_size 0
		.amdhsa_wavefront_size32 1
		.amdhsa_uses_dynamic_stack 0
		.amdhsa_enable_private_segment 1
		.amdhsa_system_sgpr_workgroup_id_x 1
		.amdhsa_system_sgpr_workgroup_id_y 0
		.amdhsa_system_sgpr_workgroup_id_z 0
		.amdhsa_system_sgpr_workgroup_info 0
		.amdhsa_system_vgpr_workitem_id 0
		.amdhsa_next_free_vgpr 50
		.amdhsa_next_free_sgpr 34
		.amdhsa_reserve_vcc 1
		.amdhsa_float_round_mode_32 0
		.amdhsa_float_round_mode_16_64 0
		.amdhsa_float_denorm_mode_32 3
		.amdhsa_float_denorm_mode_16_64 3
		.amdhsa_dx10_clamp 1
		.amdhsa_ieee_mode 1
		.amdhsa_fp16_overflow 0
		.amdhsa_workgroup_processor_mode 1
		.amdhsa_memory_ordered 1
		.amdhsa_forward_progress 0
		.amdhsa_shared_vgpr_count 0
		.amdhsa_exception_fp_ieee_invalid_op 0
		.amdhsa_exception_fp_denorm_src 0
		.amdhsa_exception_fp_ieee_div_zero 0
		.amdhsa_exception_fp_ieee_overflow 0
		.amdhsa_exception_fp_ieee_underflow 0
		.amdhsa_exception_fp_ieee_inexact 0
		.amdhsa_exception_int_div_zero 0
	.end_amdhsa_kernel
	.section	.text._Z11wvSplitKrc_I14__hip_bfloat16Li64ELi16ELi4ELi8ELi1ELi16ELi1ELi1ELi0EEviiiiiiPKT_S3_S3_PfPiPS1_i,"axG",@progbits,_Z11wvSplitKrc_I14__hip_bfloat16Li64ELi16ELi4ELi8ELi1ELi16ELi1ELi1ELi0EEviiiiiiPKT_S3_S3_PfPiPS1_i,comdat
.Lfunc_end325:
	.size	_Z11wvSplitKrc_I14__hip_bfloat16Li64ELi16ELi4ELi8ELi1ELi16ELi1ELi1ELi0EEviiiiiiPKT_S3_S3_PfPiPS1_i, .Lfunc_end325-_Z11wvSplitKrc_I14__hip_bfloat16Li64ELi16ELi4ELi8ELi1ELi16ELi1ELi1ELi0EEviiiiiiPKT_S3_S3_PfPiPS1_i
                                        ; -- End function
	.section	.AMDGPU.csdata,"",@progbits
; Kernel info:
; codeLenInByte = 80
; NumSgprs: 36
; NumVgprs: 50
; ScratchSize: 64
; MemoryBound: 0
; FloatMode: 240
; IeeeMode: 1
; LDSByteSize: 0 bytes/workgroup (compile time only)
; SGPRBlocks: 4
; VGPRBlocks: 6
; NumSGPRsForWavesPerEU: 36
; NumVGPRsForWavesPerEU: 50
; Occupancy: 16
; WaveLimiterHint : 1
; COMPUTE_PGM_RSRC2:SCRATCH_EN: 1
; COMPUTE_PGM_RSRC2:USER_SGPR: 15
; COMPUTE_PGM_RSRC2:TRAP_HANDLER: 0
; COMPUTE_PGM_RSRC2:TGID_X_EN: 1
; COMPUTE_PGM_RSRC2:TGID_Y_EN: 0
; COMPUTE_PGM_RSRC2:TGID_Z_EN: 0
; COMPUTE_PGM_RSRC2:TIDIG_COMP_CNT: 0
	.section	.text._Z11wvSplitKrc_I14__hip_bfloat16Li64ELi16ELi4ELi8ELi1ELi32ELi2ELi2ELi1EEviiiiiiPKT_S3_S3_PfPiPS1_i,"axG",@progbits,_Z11wvSplitKrc_I14__hip_bfloat16Li64ELi16ELi4ELi8ELi1ELi32ELi2ELi2ELi1EEviiiiiiPKT_S3_S3_PfPiPS1_i,comdat
	.protected	_Z11wvSplitKrc_I14__hip_bfloat16Li64ELi16ELi4ELi8ELi1ELi32ELi2ELi2ELi1EEviiiiiiPKT_S3_S3_PfPiPS1_i ; -- Begin function _Z11wvSplitKrc_I14__hip_bfloat16Li64ELi16ELi4ELi8ELi1ELi32ELi2ELi2ELi1EEviiiiiiPKT_S3_S3_PfPiPS1_i
	.globl	_Z11wvSplitKrc_I14__hip_bfloat16Li64ELi16ELi4ELi8ELi1ELi32ELi2ELi2ELi1EEviiiiiiPKT_S3_S3_PfPiPS1_i
	.p2align	8
	.type	_Z11wvSplitKrc_I14__hip_bfloat16Li64ELi16ELi4ELi8ELi1ELi32ELi2ELi2ELi1EEviiiiiiPKT_S3_S3_PfPiPS1_i,@function
_Z11wvSplitKrc_I14__hip_bfloat16Li64ELi16ELi4ELi8ELi1ELi32ELi2ELi2ELi1EEviiiiiiPKT_S3_S3_PfPiPS1_i: ; @_Z11wvSplitKrc_I14__hip_bfloat16Li64ELi16ELi4ELi8ELi1ELi32ELi2ELi2ELi1EEviiiiiiPKT_S3_S3_PfPiPS1_i
; %bb.0:
	s_add_u32 s8, s0, 0x50
	s_addc_u32 s9, s1, 0
	s_getpc_b64 s[0:1]
	s_add_u32 s0, s0, __PRETTY_FUNCTION__._Z11wvSplitKrc_I14__hip_bfloat16Li64ELi16ELi4ELi8ELi1ELi32ELi2ELi2ELi1EEviiiiiiPKT_S3_S3_PfPiPS1_i@rel32@lo+4
	s_addc_u32 s1, s1, __PRETTY_FUNCTION__._Z11wvSplitKrc_I14__hip_bfloat16Li64ELi16ELi4ELi8ELi1ELi32ELi2ELi2ELi1EEviiiiiiPKT_S3_S3_PfPiPS1_i@rel32@hi+12
	v_dual_mov_b32 v0, 0x6c9 :: v_dual_mov_b32 v1, s0
	v_mov_b32_e32 v2, s1
	s_mov_b32 s32, 0
	s_getpc_b64 s[2:3]
	s_add_u32 s2, s2, __assert_fail@rel32@lo+4
	s_addc_u32 s3, s3, __assert_fail@rel32@hi+12
	s_delay_alu instid0(SALU_CYCLE_1)
	s_swappc_b64 s[30:31], s[2:3]
	.section	.rodata,"a",@progbits
	.p2align	6, 0x0
	.amdhsa_kernel _Z11wvSplitKrc_I14__hip_bfloat16Li64ELi16ELi4ELi8ELi1ELi32ELi2ELi2ELi1EEviiiiiiPKT_S3_S3_PfPiPS1_i
		.amdhsa_group_segment_fixed_size 0
		.amdhsa_private_segment_fixed_size 64
		.amdhsa_kernarg_size 336
		.amdhsa_user_sgpr_count 15
		.amdhsa_user_sgpr_dispatch_ptr 0
		.amdhsa_user_sgpr_queue_ptr 0
		.amdhsa_user_sgpr_kernarg_segment_ptr 1
		.amdhsa_user_sgpr_dispatch_id 0
		.amdhsa_user_sgpr_private_segment_size 0
		.amdhsa_wavefront_size32 1
		.amdhsa_uses_dynamic_stack 0
		.amdhsa_enable_private_segment 1
		.amdhsa_system_sgpr_workgroup_id_x 1
		.amdhsa_system_sgpr_workgroup_id_y 0
		.amdhsa_system_sgpr_workgroup_id_z 0
		.amdhsa_system_sgpr_workgroup_info 0
		.amdhsa_system_vgpr_workitem_id 0
		.amdhsa_next_free_vgpr 50
		.amdhsa_next_free_sgpr 34
		.amdhsa_reserve_vcc 1
		.amdhsa_float_round_mode_32 0
		.amdhsa_float_round_mode_16_64 0
		.amdhsa_float_denorm_mode_32 3
		.amdhsa_float_denorm_mode_16_64 3
		.amdhsa_dx10_clamp 1
		.amdhsa_ieee_mode 1
		.amdhsa_fp16_overflow 0
		.amdhsa_workgroup_processor_mode 1
		.amdhsa_memory_ordered 1
		.amdhsa_forward_progress 0
		.amdhsa_shared_vgpr_count 0
		.amdhsa_exception_fp_ieee_invalid_op 0
		.amdhsa_exception_fp_denorm_src 0
		.amdhsa_exception_fp_ieee_div_zero 0
		.amdhsa_exception_fp_ieee_overflow 0
		.amdhsa_exception_fp_ieee_underflow 0
		.amdhsa_exception_fp_ieee_inexact 0
		.amdhsa_exception_int_div_zero 0
	.end_amdhsa_kernel
	.section	.text._Z11wvSplitKrc_I14__hip_bfloat16Li64ELi16ELi4ELi8ELi1ELi32ELi2ELi2ELi1EEviiiiiiPKT_S3_S3_PfPiPS1_i,"axG",@progbits,_Z11wvSplitKrc_I14__hip_bfloat16Li64ELi16ELi4ELi8ELi1ELi32ELi2ELi2ELi1EEviiiiiiPKT_S3_S3_PfPiPS1_i,comdat
.Lfunc_end326:
	.size	_Z11wvSplitKrc_I14__hip_bfloat16Li64ELi16ELi4ELi8ELi1ELi32ELi2ELi2ELi1EEviiiiiiPKT_S3_S3_PfPiPS1_i, .Lfunc_end326-_Z11wvSplitKrc_I14__hip_bfloat16Li64ELi16ELi4ELi8ELi1ELi32ELi2ELi2ELi1EEviiiiiiPKT_S3_S3_PfPiPS1_i
                                        ; -- End function
	.section	.AMDGPU.csdata,"",@progbits
; Kernel info:
; codeLenInByte = 80
; NumSgprs: 36
; NumVgprs: 50
; ScratchSize: 64
; MemoryBound: 0
; FloatMode: 240
; IeeeMode: 1
; LDSByteSize: 0 bytes/workgroup (compile time only)
; SGPRBlocks: 4
; VGPRBlocks: 6
; NumSGPRsForWavesPerEU: 36
; NumVGPRsForWavesPerEU: 50
; Occupancy: 16
; WaveLimiterHint : 1
; COMPUTE_PGM_RSRC2:SCRATCH_EN: 1
; COMPUTE_PGM_RSRC2:USER_SGPR: 15
; COMPUTE_PGM_RSRC2:TRAP_HANDLER: 0
; COMPUTE_PGM_RSRC2:TGID_X_EN: 1
; COMPUTE_PGM_RSRC2:TGID_Y_EN: 0
; COMPUTE_PGM_RSRC2:TGID_Z_EN: 0
; COMPUTE_PGM_RSRC2:TIDIG_COMP_CNT: 0
	.section	.text._Z11wvSplitKrc_I14__hip_bfloat16Li64ELi16ELi4ELi8ELi1ELi32ELi2ELi2ELi0EEviiiiiiPKT_S3_S3_PfPiPS1_i,"axG",@progbits,_Z11wvSplitKrc_I14__hip_bfloat16Li64ELi16ELi4ELi8ELi1ELi32ELi2ELi2ELi0EEviiiiiiPKT_S3_S3_PfPiPS1_i,comdat
	.protected	_Z11wvSplitKrc_I14__hip_bfloat16Li64ELi16ELi4ELi8ELi1ELi32ELi2ELi2ELi0EEviiiiiiPKT_S3_S3_PfPiPS1_i ; -- Begin function _Z11wvSplitKrc_I14__hip_bfloat16Li64ELi16ELi4ELi8ELi1ELi32ELi2ELi2ELi0EEviiiiiiPKT_S3_S3_PfPiPS1_i
	.globl	_Z11wvSplitKrc_I14__hip_bfloat16Li64ELi16ELi4ELi8ELi1ELi32ELi2ELi2ELi0EEviiiiiiPKT_S3_S3_PfPiPS1_i
	.p2align	8
	.type	_Z11wvSplitKrc_I14__hip_bfloat16Li64ELi16ELi4ELi8ELi1ELi32ELi2ELi2ELi0EEviiiiiiPKT_S3_S3_PfPiPS1_i,@function
_Z11wvSplitKrc_I14__hip_bfloat16Li64ELi16ELi4ELi8ELi1ELi32ELi2ELi2ELi0EEviiiiiiPKT_S3_S3_PfPiPS1_i: ; @_Z11wvSplitKrc_I14__hip_bfloat16Li64ELi16ELi4ELi8ELi1ELi32ELi2ELi2ELi0EEviiiiiiPKT_S3_S3_PfPiPS1_i
; %bb.0:
	s_add_u32 s8, s0, 0x50
	s_addc_u32 s9, s1, 0
	s_getpc_b64 s[0:1]
	s_add_u32 s0, s0, __PRETTY_FUNCTION__._Z11wvSplitKrc_I14__hip_bfloat16Li64ELi16ELi4ELi8ELi1ELi32ELi2ELi2ELi0EEviiiiiiPKT_S3_S3_PfPiPS1_i@rel32@lo+4
	s_addc_u32 s1, s1, __PRETTY_FUNCTION__._Z11wvSplitKrc_I14__hip_bfloat16Li64ELi16ELi4ELi8ELi1ELi32ELi2ELi2ELi0EEviiiiiiPKT_S3_S3_PfPiPS1_i@rel32@hi+12
	v_dual_mov_b32 v0, 0x6c9 :: v_dual_mov_b32 v1, s0
	v_mov_b32_e32 v2, s1
	s_mov_b32 s32, 0
	s_getpc_b64 s[2:3]
	s_add_u32 s2, s2, __assert_fail@rel32@lo+4
	s_addc_u32 s3, s3, __assert_fail@rel32@hi+12
	s_delay_alu instid0(SALU_CYCLE_1)
	s_swappc_b64 s[30:31], s[2:3]
	.section	.rodata,"a",@progbits
	.p2align	6, 0x0
	.amdhsa_kernel _Z11wvSplitKrc_I14__hip_bfloat16Li64ELi16ELi4ELi8ELi1ELi32ELi2ELi2ELi0EEviiiiiiPKT_S3_S3_PfPiPS1_i
		.amdhsa_group_segment_fixed_size 0
		.amdhsa_private_segment_fixed_size 64
		.amdhsa_kernarg_size 336
		.amdhsa_user_sgpr_count 15
		.amdhsa_user_sgpr_dispatch_ptr 0
		.amdhsa_user_sgpr_queue_ptr 0
		.amdhsa_user_sgpr_kernarg_segment_ptr 1
		.amdhsa_user_sgpr_dispatch_id 0
		.amdhsa_user_sgpr_private_segment_size 0
		.amdhsa_wavefront_size32 1
		.amdhsa_uses_dynamic_stack 0
		.amdhsa_enable_private_segment 1
		.amdhsa_system_sgpr_workgroup_id_x 1
		.amdhsa_system_sgpr_workgroup_id_y 0
		.amdhsa_system_sgpr_workgroup_id_z 0
		.amdhsa_system_sgpr_workgroup_info 0
		.amdhsa_system_vgpr_workitem_id 0
		.amdhsa_next_free_vgpr 50
		.amdhsa_next_free_sgpr 34
		.amdhsa_reserve_vcc 1
		.amdhsa_float_round_mode_32 0
		.amdhsa_float_round_mode_16_64 0
		.amdhsa_float_denorm_mode_32 3
		.amdhsa_float_denorm_mode_16_64 3
		.amdhsa_dx10_clamp 1
		.amdhsa_ieee_mode 1
		.amdhsa_fp16_overflow 0
		.amdhsa_workgroup_processor_mode 1
		.amdhsa_memory_ordered 1
		.amdhsa_forward_progress 0
		.amdhsa_shared_vgpr_count 0
		.amdhsa_exception_fp_ieee_invalid_op 0
		.amdhsa_exception_fp_denorm_src 0
		.amdhsa_exception_fp_ieee_div_zero 0
		.amdhsa_exception_fp_ieee_overflow 0
		.amdhsa_exception_fp_ieee_underflow 0
		.amdhsa_exception_fp_ieee_inexact 0
		.amdhsa_exception_int_div_zero 0
	.end_amdhsa_kernel
	.section	.text._Z11wvSplitKrc_I14__hip_bfloat16Li64ELi16ELi4ELi8ELi1ELi32ELi2ELi2ELi0EEviiiiiiPKT_S3_S3_PfPiPS1_i,"axG",@progbits,_Z11wvSplitKrc_I14__hip_bfloat16Li64ELi16ELi4ELi8ELi1ELi32ELi2ELi2ELi0EEviiiiiiPKT_S3_S3_PfPiPS1_i,comdat
.Lfunc_end327:
	.size	_Z11wvSplitKrc_I14__hip_bfloat16Li64ELi16ELi4ELi8ELi1ELi32ELi2ELi2ELi0EEviiiiiiPKT_S3_S3_PfPiPS1_i, .Lfunc_end327-_Z11wvSplitKrc_I14__hip_bfloat16Li64ELi16ELi4ELi8ELi1ELi32ELi2ELi2ELi0EEviiiiiiPKT_S3_S3_PfPiPS1_i
                                        ; -- End function
	.section	.AMDGPU.csdata,"",@progbits
; Kernel info:
; codeLenInByte = 80
; NumSgprs: 36
; NumVgprs: 50
; ScratchSize: 64
; MemoryBound: 0
; FloatMode: 240
; IeeeMode: 1
; LDSByteSize: 0 bytes/workgroup (compile time only)
; SGPRBlocks: 4
; VGPRBlocks: 6
; NumSGPRsForWavesPerEU: 36
; NumVGPRsForWavesPerEU: 50
; Occupancy: 16
; WaveLimiterHint : 1
; COMPUTE_PGM_RSRC2:SCRATCH_EN: 1
; COMPUTE_PGM_RSRC2:USER_SGPR: 15
; COMPUTE_PGM_RSRC2:TRAP_HANDLER: 0
; COMPUTE_PGM_RSRC2:TGID_X_EN: 1
; COMPUTE_PGM_RSRC2:TGID_Y_EN: 0
; COMPUTE_PGM_RSRC2:TGID_Z_EN: 0
; COMPUTE_PGM_RSRC2:TIDIG_COMP_CNT: 0
	.section	.text._Z11wvSplitKrc_I14__hip_bfloat16Li64ELi16ELi4ELi8ELi1ELi32ELi2ELi1ELi1EEviiiiiiPKT_S3_S3_PfPiPS1_i,"axG",@progbits,_Z11wvSplitKrc_I14__hip_bfloat16Li64ELi16ELi4ELi8ELi1ELi32ELi2ELi1ELi1EEviiiiiiPKT_S3_S3_PfPiPS1_i,comdat
	.protected	_Z11wvSplitKrc_I14__hip_bfloat16Li64ELi16ELi4ELi8ELi1ELi32ELi2ELi1ELi1EEviiiiiiPKT_S3_S3_PfPiPS1_i ; -- Begin function _Z11wvSplitKrc_I14__hip_bfloat16Li64ELi16ELi4ELi8ELi1ELi32ELi2ELi1ELi1EEviiiiiiPKT_S3_S3_PfPiPS1_i
	.globl	_Z11wvSplitKrc_I14__hip_bfloat16Li64ELi16ELi4ELi8ELi1ELi32ELi2ELi1ELi1EEviiiiiiPKT_S3_S3_PfPiPS1_i
	.p2align	8
	.type	_Z11wvSplitKrc_I14__hip_bfloat16Li64ELi16ELi4ELi8ELi1ELi32ELi2ELi1ELi1EEviiiiiiPKT_S3_S3_PfPiPS1_i,@function
_Z11wvSplitKrc_I14__hip_bfloat16Li64ELi16ELi4ELi8ELi1ELi32ELi2ELi1ELi1EEviiiiiiPKT_S3_S3_PfPiPS1_i: ; @_Z11wvSplitKrc_I14__hip_bfloat16Li64ELi16ELi4ELi8ELi1ELi32ELi2ELi1ELi1EEviiiiiiPKT_S3_S3_PfPiPS1_i
; %bb.0:
	s_add_u32 s8, s0, 0x50
	s_addc_u32 s9, s1, 0
	s_getpc_b64 s[0:1]
	s_add_u32 s0, s0, __PRETTY_FUNCTION__._Z11wvSplitKrc_I14__hip_bfloat16Li64ELi16ELi4ELi8ELi1ELi32ELi2ELi1ELi1EEviiiiiiPKT_S3_S3_PfPiPS1_i@rel32@lo+4
	s_addc_u32 s1, s1, __PRETTY_FUNCTION__._Z11wvSplitKrc_I14__hip_bfloat16Li64ELi16ELi4ELi8ELi1ELi32ELi2ELi1ELi1EEviiiiiiPKT_S3_S3_PfPiPS1_i@rel32@hi+12
	v_dual_mov_b32 v0, 0x6c9 :: v_dual_mov_b32 v1, s0
	v_mov_b32_e32 v2, s1
	s_mov_b32 s32, 0
	s_getpc_b64 s[2:3]
	s_add_u32 s2, s2, __assert_fail@rel32@lo+4
	s_addc_u32 s3, s3, __assert_fail@rel32@hi+12
	s_delay_alu instid0(SALU_CYCLE_1)
	s_swappc_b64 s[30:31], s[2:3]
	.section	.rodata,"a",@progbits
	.p2align	6, 0x0
	.amdhsa_kernel _Z11wvSplitKrc_I14__hip_bfloat16Li64ELi16ELi4ELi8ELi1ELi32ELi2ELi1ELi1EEviiiiiiPKT_S3_S3_PfPiPS1_i
		.amdhsa_group_segment_fixed_size 0
		.amdhsa_private_segment_fixed_size 64
		.amdhsa_kernarg_size 336
		.amdhsa_user_sgpr_count 15
		.amdhsa_user_sgpr_dispatch_ptr 0
		.amdhsa_user_sgpr_queue_ptr 0
		.amdhsa_user_sgpr_kernarg_segment_ptr 1
		.amdhsa_user_sgpr_dispatch_id 0
		.amdhsa_user_sgpr_private_segment_size 0
		.amdhsa_wavefront_size32 1
		.amdhsa_uses_dynamic_stack 0
		.amdhsa_enable_private_segment 1
		.amdhsa_system_sgpr_workgroup_id_x 1
		.amdhsa_system_sgpr_workgroup_id_y 0
		.amdhsa_system_sgpr_workgroup_id_z 0
		.amdhsa_system_sgpr_workgroup_info 0
		.amdhsa_system_vgpr_workitem_id 0
		.amdhsa_next_free_vgpr 50
		.amdhsa_next_free_sgpr 34
		.amdhsa_reserve_vcc 1
		.amdhsa_float_round_mode_32 0
		.amdhsa_float_round_mode_16_64 0
		.amdhsa_float_denorm_mode_32 3
		.amdhsa_float_denorm_mode_16_64 3
		.amdhsa_dx10_clamp 1
		.amdhsa_ieee_mode 1
		.amdhsa_fp16_overflow 0
		.amdhsa_workgroup_processor_mode 1
		.amdhsa_memory_ordered 1
		.amdhsa_forward_progress 0
		.amdhsa_shared_vgpr_count 0
		.amdhsa_exception_fp_ieee_invalid_op 0
		.amdhsa_exception_fp_denorm_src 0
		.amdhsa_exception_fp_ieee_div_zero 0
		.amdhsa_exception_fp_ieee_overflow 0
		.amdhsa_exception_fp_ieee_underflow 0
		.amdhsa_exception_fp_ieee_inexact 0
		.amdhsa_exception_int_div_zero 0
	.end_amdhsa_kernel
	.section	.text._Z11wvSplitKrc_I14__hip_bfloat16Li64ELi16ELi4ELi8ELi1ELi32ELi2ELi1ELi1EEviiiiiiPKT_S3_S3_PfPiPS1_i,"axG",@progbits,_Z11wvSplitKrc_I14__hip_bfloat16Li64ELi16ELi4ELi8ELi1ELi32ELi2ELi1ELi1EEviiiiiiPKT_S3_S3_PfPiPS1_i,comdat
.Lfunc_end328:
	.size	_Z11wvSplitKrc_I14__hip_bfloat16Li64ELi16ELi4ELi8ELi1ELi32ELi2ELi1ELi1EEviiiiiiPKT_S3_S3_PfPiPS1_i, .Lfunc_end328-_Z11wvSplitKrc_I14__hip_bfloat16Li64ELi16ELi4ELi8ELi1ELi32ELi2ELi1ELi1EEviiiiiiPKT_S3_S3_PfPiPS1_i
                                        ; -- End function
	.section	.AMDGPU.csdata,"",@progbits
; Kernel info:
; codeLenInByte = 80
; NumSgprs: 36
; NumVgprs: 50
; ScratchSize: 64
; MemoryBound: 0
; FloatMode: 240
; IeeeMode: 1
; LDSByteSize: 0 bytes/workgroup (compile time only)
; SGPRBlocks: 4
; VGPRBlocks: 6
; NumSGPRsForWavesPerEU: 36
; NumVGPRsForWavesPerEU: 50
; Occupancy: 16
; WaveLimiterHint : 1
; COMPUTE_PGM_RSRC2:SCRATCH_EN: 1
; COMPUTE_PGM_RSRC2:USER_SGPR: 15
; COMPUTE_PGM_RSRC2:TRAP_HANDLER: 0
; COMPUTE_PGM_RSRC2:TGID_X_EN: 1
; COMPUTE_PGM_RSRC2:TGID_Y_EN: 0
; COMPUTE_PGM_RSRC2:TGID_Z_EN: 0
; COMPUTE_PGM_RSRC2:TIDIG_COMP_CNT: 0
	.section	.text._Z11wvSplitKrc_I14__hip_bfloat16Li64ELi16ELi4ELi8ELi1ELi32ELi2ELi1ELi0EEviiiiiiPKT_S3_S3_PfPiPS1_i,"axG",@progbits,_Z11wvSplitKrc_I14__hip_bfloat16Li64ELi16ELi4ELi8ELi1ELi32ELi2ELi1ELi0EEviiiiiiPKT_S3_S3_PfPiPS1_i,comdat
	.protected	_Z11wvSplitKrc_I14__hip_bfloat16Li64ELi16ELi4ELi8ELi1ELi32ELi2ELi1ELi0EEviiiiiiPKT_S3_S3_PfPiPS1_i ; -- Begin function _Z11wvSplitKrc_I14__hip_bfloat16Li64ELi16ELi4ELi8ELi1ELi32ELi2ELi1ELi0EEviiiiiiPKT_S3_S3_PfPiPS1_i
	.globl	_Z11wvSplitKrc_I14__hip_bfloat16Li64ELi16ELi4ELi8ELi1ELi32ELi2ELi1ELi0EEviiiiiiPKT_S3_S3_PfPiPS1_i
	.p2align	8
	.type	_Z11wvSplitKrc_I14__hip_bfloat16Li64ELi16ELi4ELi8ELi1ELi32ELi2ELi1ELi0EEviiiiiiPKT_S3_S3_PfPiPS1_i,@function
_Z11wvSplitKrc_I14__hip_bfloat16Li64ELi16ELi4ELi8ELi1ELi32ELi2ELi1ELi0EEviiiiiiPKT_S3_S3_PfPiPS1_i: ; @_Z11wvSplitKrc_I14__hip_bfloat16Li64ELi16ELi4ELi8ELi1ELi32ELi2ELi1ELi0EEviiiiiiPKT_S3_S3_PfPiPS1_i
; %bb.0:
	s_add_u32 s8, s0, 0x50
	s_addc_u32 s9, s1, 0
	s_getpc_b64 s[0:1]
	s_add_u32 s0, s0, __PRETTY_FUNCTION__._Z11wvSplitKrc_I14__hip_bfloat16Li64ELi16ELi4ELi8ELi1ELi32ELi2ELi1ELi0EEviiiiiiPKT_S3_S3_PfPiPS1_i@rel32@lo+4
	s_addc_u32 s1, s1, __PRETTY_FUNCTION__._Z11wvSplitKrc_I14__hip_bfloat16Li64ELi16ELi4ELi8ELi1ELi32ELi2ELi1ELi0EEviiiiiiPKT_S3_S3_PfPiPS1_i@rel32@hi+12
	v_dual_mov_b32 v0, 0x6c9 :: v_dual_mov_b32 v1, s0
	v_mov_b32_e32 v2, s1
	s_mov_b32 s32, 0
	s_getpc_b64 s[2:3]
	s_add_u32 s2, s2, __assert_fail@rel32@lo+4
	s_addc_u32 s3, s3, __assert_fail@rel32@hi+12
	s_delay_alu instid0(SALU_CYCLE_1)
	s_swappc_b64 s[30:31], s[2:3]
	.section	.rodata,"a",@progbits
	.p2align	6, 0x0
	.amdhsa_kernel _Z11wvSplitKrc_I14__hip_bfloat16Li64ELi16ELi4ELi8ELi1ELi32ELi2ELi1ELi0EEviiiiiiPKT_S3_S3_PfPiPS1_i
		.amdhsa_group_segment_fixed_size 0
		.amdhsa_private_segment_fixed_size 64
		.amdhsa_kernarg_size 336
		.amdhsa_user_sgpr_count 15
		.amdhsa_user_sgpr_dispatch_ptr 0
		.amdhsa_user_sgpr_queue_ptr 0
		.amdhsa_user_sgpr_kernarg_segment_ptr 1
		.amdhsa_user_sgpr_dispatch_id 0
		.amdhsa_user_sgpr_private_segment_size 0
		.amdhsa_wavefront_size32 1
		.amdhsa_uses_dynamic_stack 0
		.amdhsa_enable_private_segment 1
		.amdhsa_system_sgpr_workgroup_id_x 1
		.amdhsa_system_sgpr_workgroup_id_y 0
		.amdhsa_system_sgpr_workgroup_id_z 0
		.amdhsa_system_sgpr_workgroup_info 0
		.amdhsa_system_vgpr_workitem_id 0
		.amdhsa_next_free_vgpr 50
		.amdhsa_next_free_sgpr 34
		.amdhsa_reserve_vcc 1
		.amdhsa_float_round_mode_32 0
		.amdhsa_float_round_mode_16_64 0
		.amdhsa_float_denorm_mode_32 3
		.amdhsa_float_denorm_mode_16_64 3
		.amdhsa_dx10_clamp 1
		.amdhsa_ieee_mode 1
		.amdhsa_fp16_overflow 0
		.amdhsa_workgroup_processor_mode 1
		.amdhsa_memory_ordered 1
		.amdhsa_forward_progress 0
		.amdhsa_shared_vgpr_count 0
		.amdhsa_exception_fp_ieee_invalid_op 0
		.amdhsa_exception_fp_denorm_src 0
		.amdhsa_exception_fp_ieee_div_zero 0
		.amdhsa_exception_fp_ieee_overflow 0
		.amdhsa_exception_fp_ieee_underflow 0
		.amdhsa_exception_fp_ieee_inexact 0
		.amdhsa_exception_int_div_zero 0
	.end_amdhsa_kernel
	.section	.text._Z11wvSplitKrc_I14__hip_bfloat16Li64ELi16ELi4ELi8ELi1ELi32ELi2ELi1ELi0EEviiiiiiPKT_S3_S3_PfPiPS1_i,"axG",@progbits,_Z11wvSplitKrc_I14__hip_bfloat16Li64ELi16ELi4ELi8ELi1ELi32ELi2ELi1ELi0EEviiiiiiPKT_S3_S3_PfPiPS1_i,comdat
.Lfunc_end329:
	.size	_Z11wvSplitKrc_I14__hip_bfloat16Li64ELi16ELi4ELi8ELi1ELi32ELi2ELi1ELi0EEviiiiiiPKT_S3_S3_PfPiPS1_i, .Lfunc_end329-_Z11wvSplitKrc_I14__hip_bfloat16Li64ELi16ELi4ELi8ELi1ELi32ELi2ELi1ELi0EEviiiiiiPKT_S3_S3_PfPiPS1_i
                                        ; -- End function
	.section	.AMDGPU.csdata,"",@progbits
; Kernel info:
; codeLenInByte = 80
; NumSgprs: 36
; NumVgprs: 50
; ScratchSize: 64
; MemoryBound: 0
; FloatMode: 240
; IeeeMode: 1
; LDSByteSize: 0 bytes/workgroup (compile time only)
; SGPRBlocks: 4
; VGPRBlocks: 6
; NumSGPRsForWavesPerEU: 36
; NumVGPRsForWavesPerEU: 50
; Occupancy: 16
; WaveLimiterHint : 1
; COMPUTE_PGM_RSRC2:SCRATCH_EN: 1
; COMPUTE_PGM_RSRC2:USER_SGPR: 15
; COMPUTE_PGM_RSRC2:TRAP_HANDLER: 0
; COMPUTE_PGM_RSRC2:TGID_X_EN: 1
; COMPUTE_PGM_RSRC2:TGID_Y_EN: 0
; COMPUTE_PGM_RSRC2:TGID_Z_EN: 0
; COMPUTE_PGM_RSRC2:TIDIG_COMP_CNT: 0
	.section	.text._Z11wvSplitKrc_I14__hip_bfloat16Li64ELi16ELi4ELi8ELi1ELi64ELi4ELi2ELi1EEviiiiiiPKT_S3_S3_PfPiPS1_i,"axG",@progbits,_Z11wvSplitKrc_I14__hip_bfloat16Li64ELi16ELi4ELi8ELi1ELi64ELi4ELi2ELi1EEviiiiiiPKT_S3_S3_PfPiPS1_i,comdat
	.protected	_Z11wvSplitKrc_I14__hip_bfloat16Li64ELi16ELi4ELi8ELi1ELi64ELi4ELi2ELi1EEviiiiiiPKT_S3_S3_PfPiPS1_i ; -- Begin function _Z11wvSplitKrc_I14__hip_bfloat16Li64ELi16ELi4ELi8ELi1ELi64ELi4ELi2ELi1EEviiiiiiPKT_S3_S3_PfPiPS1_i
	.globl	_Z11wvSplitKrc_I14__hip_bfloat16Li64ELi16ELi4ELi8ELi1ELi64ELi4ELi2ELi1EEviiiiiiPKT_S3_S3_PfPiPS1_i
	.p2align	8
	.type	_Z11wvSplitKrc_I14__hip_bfloat16Li64ELi16ELi4ELi8ELi1ELi64ELi4ELi2ELi1EEviiiiiiPKT_S3_S3_PfPiPS1_i,@function
_Z11wvSplitKrc_I14__hip_bfloat16Li64ELi16ELi4ELi8ELi1ELi64ELi4ELi2ELi1EEviiiiiiPKT_S3_S3_PfPiPS1_i: ; @_Z11wvSplitKrc_I14__hip_bfloat16Li64ELi16ELi4ELi8ELi1ELi64ELi4ELi2ELi1EEviiiiiiPKT_S3_S3_PfPiPS1_i
; %bb.0:
	s_add_u32 s8, s0, 0x50
	s_addc_u32 s9, s1, 0
	s_getpc_b64 s[0:1]
	s_add_u32 s0, s0, __PRETTY_FUNCTION__._Z11wvSplitKrc_I14__hip_bfloat16Li64ELi16ELi4ELi8ELi1ELi64ELi4ELi2ELi1EEviiiiiiPKT_S3_S3_PfPiPS1_i@rel32@lo+4
	s_addc_u32 s1, s1, __PRETTY_FUNCTION__._Z11wvSplitKrc_I14__hip_bfloat16Li64ELi16ELi4ELi8ELi1ELi64ELi4ELi2ELi1EEviiiiiiPKT_S3_S3_PfPiPS1_i@rel32@hi+12
	v_dual_mov_b32 v0, 0x6c9 :: v_dual_mov_b32 v1, s0
	v_mov_b32_e32 v2, s1
	s_mov_b32 s32, 0
	s_getpc_b64 s[2:3]
	s_add_u32 s2, s2, __assert_fail@rel32@lo+4
	s_addc_u32 s3, s3, __assert_fail@rel32@hi+12
	s_delay_alu instid0(SALU_CYCLE_1)
	s_swappc_b64 s[30:31], s[2:3]
	.section	.rodata,"a",@progbits
	.p2align	6, 0x0
	.amdhsa_kernel _Z11wvSplitKrc_I14__hip_bfloat16Li64ELi16ELi4ELi8ELi1ELi64ELi4ELi2ELi1EEviiiiiiPKT_S3_S3_PfPiPS1_i
		.amdhsa_group_segment_fixed_size 0
		.amdhsa_private_segment_fixed_size 64
		.amdhsa_kernarg_size 336
		.amdhsa_user_sgpr_count 15
		.amdhsa_user_sgpr_dispatch_ptr 0
		.amdhsa_user_sgpr_queue_ptr 0
		.amdhsa_user_sgpr_kernarg_segment_ptr 1
		.amdhsa_user_sgpr_dispatch_id 0
		.amdhsa_user_sgpr_private_segment_size 0
		.amdhsa_wavefront_size32 1
		.amdhsa_uses_dynamic_stack 0
		.amdhsa_enable_private_segment 1
		.amdhsa_system_sgpr_workgroup_id_x 1
		.amdhsa_system_sgpr_workgroup_id_y 0
		.amdhsa_system_sgpr_workgroup_id_z 0
		.amdhsa_system_sgpr_workgroup_info 0
		.amdhsa_system_vgpr_workitem_id 0
		.amdhsa_next_free_vgpr 50
		.amdhsa_next_free_sgpr 34
		.amdhsa_reserve_vcc 1
		.amdhsa_float_round_mode_32 0
		.amdhsa_float_round_mode_16_64 0
		.amdhsa_float_denorm_mode_32 3
		.amdhsa_float_denorm_mode_16_64 3
		.amdhsa_dx10_clamp 1
		.amdhsa_ieee_mode 1
		.amdhsa_fp16_overflow 0
		.amdhsa_workgroup_processor_mode 1
		.amdhsa_memory_ordered 1
		.amdhsa_forward_progress 0
		.amdhsa_shared_vgpr_count 0
		.amdhsa_exception_fp_ieee_invalid_op 0
		.amdhsa_exception_fp_denorm_src 0
		.amdhsa_exception_fp_ieee_div_zero 0
		.amdhsa_exception_fp_ieee_overflow 0
		.amdhsa_exception_fp_ieee_underflow 0
		.amdhsa_exception_fp_ieee_inexact 0
		.amdhsa_exception_int_div_zero 0
	.end_amdhsa_kernel
	.section	.text._Z11wvSplitKrc_I14__hip_bfloat16Li64ELi16ELi4ELi8ELi1ELi64ELi4ELi2ELi1EEviiiiiiPKT_S3_S3_PfPiPS1_i,"axG",@progbits,_Z11wvSplitKrc_I14__hip_bfloat16Li64ELi16ELi4ELi8ELi1ELi64ELi4ELi2ELi1EEviiiiiiPKT_S3_S3_PfPiPS1_i,comdat
.Lfunc_end330:
	.size	_Z11wvSplitKrc_I14__hip_bfloat16Li64ELi16ELi4ELi8ELi1ELi64ELi4ELi2ELi1EEviiiiiiPKT_S3_S3_PfPiPS1_i, .Lfunc_end330-_Z11wvSplitKrc_I14__hip_bfloat16Li64ELi16ELi4ELi8ELi1ELi64ELi4ELi2ELi1EEviiiiiiPKT_S3_S3_PfPiPS1_i
                                        ; -- End function
	.section	.AMDGPU.csdata,"",@progbits
; Kernel info:
; codeLenInByte = 80
; NumSgprs: 36
; NumVgprs: 50
; ScratchSize: 64
; MemoryBound: 0
; FloatMode: 240
; IeeeMode: 1
; LDSByteSize: 0 bytes/workgroup (compile time only)
; SGPRBlocks: 4
; VGPRBlocks: 6
; NumSGPRsForWavesPerEU: 36
; NumVGPRsForWavesPerEU: 50
; Occupancy: 16
; WaveLimiterHint : 1
; COMPUTE_PGM_RSRC2:SCRATCH_EN: 1
; COMPUTE_PGM_RSRC2:USER_SGPR: 15
; COMPUTE_PGM_RSRC2:TRAP_HANDLER: 0
; COMPUTE_PGM_RSRC2:TGID_X_EN: 1
; COMPUTE_PGM_RSRC2:TGID_Y_EN: 0
; COMPUTE_PGM_RSRC2:TGID_Z_EN: 0
; COMPUTE_PGM_RSRC2:TIDIG_COMP_CNT: 0
	.section	.text._Z11wvSplitKrc_I14__hip_bfloat16Li64ELi16ELi4ELi8ELi1ELi64ELi4ELi2ELi0EEviiiiiiPKT_S3_S3_PfPiPS1_i,"axG",@progbits,_Z11wvSplitKrc_I14__hip_bfloat16Li64ELi16ELi4ELi8ELi1ELi64ELi4ELi2ELi0EEviiiiiiPKT_S3_S3_PfPiPS1_i,comdat
	.protected	_Z11wvSplitKrc_I14__hip_bfloat16Li64ELi16ELi4ELi8ELi1ELi64ELi4ELi2ELi0EEviiiiiiPKT_S3_S3_PfPiPS1_i ; -- Begin function _Z11wvSplitKrc_I14__hip_bfloat16Li64ELi16ELi4ELi8ELi1ELi64ELi4ELi2ELi0EEviiiiiiPKT_S3_S3_PfPiPS1_i
	.globl	_Z11wvSplitKrc_I14__hip_bfloat16Li64ELi16ELi4ELi8ELi1ELi64ELi4ELi2ELi0EEviiiiiiPKT_S3_S3_PfPiPS1_i
	.p2align	8
	.type	_Z11wvSplitKrc_I14__hip_bfloat16Li64ELi16ELi4ELi8ELi1ELi64ELi4ELi2ELi0EEviiiiiiPKT_S3_S3_PfPiPS1_i,@function
_Z11wvSplitKrc_I14__hip_bfloat16Li64ELi16ELi4ELi8ELi1ELi64ELi4ELi2ELi0EEviiiiiiPKT_S3_S3_PfPiPS1_i: ; @_Z11wvSplitKrc_I14__hip_bfloat16Li64ELi16ELi4ELi8ELi1ELi64ELi4ELi2ELi0EEviiiiiiPKT_S3_S3_PfPiPS1_i
; %bb.0:
	s_add_u32 s8, s0, 0x50
	s_addc_u32 s9, s1, 0
	s_getpc_b64 s[0:1]
	s_add_u32 s0, s0, __PRETTY_FUNCTION__._Z11wvSplitKrc_I14__hip_bfloat16Li64ELi16ELi4ELi8ELi1ELi64ELi4ELi2ELi0EEviiiiiiPKT_S3_S3_PfPiPS1_i@rel32@lo+4
	s_addc_u32 s1, s1, __PRETTY_FUNCTION__._Z11wvSplitKrc_I14__hip_bfloat16Li64ELi16ELi4ELi8ELi1ELi64ELi4ELi2ELi0EEviiiiiiPKT_S3_S3_PfPiPS1_i@rel32@hi+12
	v_dual_mov_b32 v0, 0x6c9 :: v_dual_mov_b32 v1, s0
	v_mov_b32_e32 v2, s1
	s_mov_b32 s32, 0
	s_getpc_b64 s[2:3]
	s_add_u32 s2, s2, __assert_fail@rel32@lo+4
	s_addc_u32 s3, s3, __assert_fail@rel32@hi+12
	s_delay_alu instid0(SALU_CYCLE_1)
	s_swappc_b64 s[30:31], s[2:3]
	.section	.rodata,"a",@progbits
	.p2align	6, 0x0
	.amdhsa_kernel _Z11wvSplitKrc_I14__hip_bfloat16Li64ELi16ELi4ELi8ELi1ELi64ELi4ELi2ELi0EEviiiiiiPKT_S3_S3_PfPiPS1_i
		.amdhsa_group_segment_fixed_size 0
		.amdhsa_private_segment_fixed_size 64
		.amdhsa_kernarg_size 336
		.amdhsa_user_sgpr_count 15
		.amdhsa_user_sgpr_dispatch_ptr 0
		.amdhsa_user_sgpr_queue_ptr 0
		.amdhsa_user_sgpr_kernarg_segment_ptr 1
		.amdhsa_user_sgpr_dispatch_id 0
		.amdhsa_user_sgpr_private_segment_size 0
		.amdhsa_wavefront_size32 1
		.amdhsa_uses_dynamic_stack 0
		.amdhsa_enable_private_segment 1
		.amdhsa_system_sgpr_workgroup_id_x 1
		.amdhsa_system_sgpr_workgroup_id_y 0
		.amdhsa_system_sgpr_workgroup_id_z 0
		.amdhsa_system_sgpr_workgroup_info 0
		.amdhsa_system_vgpr_workitem_id 0
		.amdhsa_next_free_vgpr 50
		.amdhsa_next_free_sgpr 34
		.amdhsa_reserve_vcc 1
		.amdhsa_float_round_mode_32 0
		.amdhsa_float_round_mode_16_64 0
		.amdhsa_float_denorm_mode_32 3
		.amdhsa_float_denorm_mode_16_64 3
		.amdhsa_dx10_clamp 1
		.amdhsa_ieee_mode 1
		.amdhsa_fp16_overflow 0
		.amdhsa_workgroup_processor_mode 1
		.amdhsa_memory_ordered 1
		.amdhsa_forward_progress 0
		.amdhsa_shared_vgpr_count 0
		.amdhsa_exception_fp_ieee_invalid_op 0
		.amdhsa_exception_fp_denorm_src 0
		.amdhsa_exception_fp_ieee_div_zero 0
		.amdhsa_exception_fp_ieee_overflow 0
		.amdhsa_exception_fp_ieee_underflow 0
		.amdhsa_exception_fp_ieee_inexact 0
		.amdhsa_exception_int_div_zero 0
	.end_amdhsa_kernel
	.section	.text._Z11wvSplitKrc_I14__hip_bfloat16Li64ELi16ELi4ELi8ELi1ELi64ELi4ELi2ELi0EEviiiiiiPKT_S3_S3_PfPiPS1_i,"axG",@progbits,_Z11wvSplitKrc_I14__hip_bfloat16Li64ELi16ELi4ELi8ELi1ELi64ELi4ELi2ELi0EEviiiiiiPKT_S3_S3_PfPiPS1_i,comdat
.Lfunc_end331:
	.size	_Z11wvSplitKrc_I14__hip_bfloat16Li64ELi16ELi4ELi8ELi1ELi64ELi4ELi2ELi0EEviiiiiiPKT_S3_S3_PfPiPS1_i, .Lfunc_end331-_Z11wvSplitKrc_I14__hip_bfloat16Li64ELi16ELi4ELi8ELi1ELi64ELi4ELi2ELi0EEviiiiiiPKT_S3_S3_PfPiPS1_i
                                        ; -- End function
	.section	.AMDGPU.csdata,"",@progbits
; Kernel info:
; codeLenInByte = 80
; NumSgprs: 36
; NumVgprs: 50
; ScratchSize: 64
; MemoryBound: 0
; FloatMode: 240
; IeeeMode: 1
; LDSByteSize: 0 bytes/workgroup (compile time only)
; SGPRBlocks: 4
; VGPRBlocks: 6
; NumSGPRsForWavesPerEU: 36
; NumVGPRsForWavesPerEU: 50
; Occupancy: 16
; WaveLimiterHint : 1
; COMPUTE_PGM_RSRC2:SCRATCH_EN: 1
; COMPUTE_PGM_RSRC2:USER_SGPR: 15
; COMPUTE_PGM_RSRC2:TRAP_HANDLER: 0
; COMPUTE_PGM_RSRC2:TGID_X_EN: 1
; COMPUTE_PGM_RSRC2:TGID_Y_EN: 0
; COMPUTE_PGM_RSRC2:TGID_Z_EN: 0
; COMPUTE_PGM_RSRC2:TIDIG_COMP_CNT: 0
	.section	.text._Z11wvSplitKrc_I14__hip_bfloat16Li64ELi16ELi4ELi8ELi1ELi64ELi4ELi1ELi1EEviiiiiiPKT_S3_S3_PfPiPS1_i,"axG",@progbits,_Z11wvSplitKrc_I14__hip_bfloat16Li64ELi16ELi4ELi8ELi1ELi64ELi4ELi1ELi1EEviiiiiiPKT_S3_S3_PfPiPS1_i,comdat
	.protected	_Z11wvSplitKrc_I14__hip_bfloat16Li64ELi16ELi4ELi8ELi1ELi64ELi4ELi1ELi1EEviiiiiiPKT_S3_S3_PfPiPS1_i ; -- Begin function _Z11wvSplitKrc_I14__hip_bfloat16Li64ELi16ELi4ELi8ELi1ELi64ELi4ELi1ELi1EEviiiiiiPKT_S3_S3_PfPiPS1_i
	.globl	_Z11wvSplitKrc_I14__hip_bfloat16Li64ELi16ELi4ELi8ELi1ELi64ELi4ELi1ELi1EEviiiiiiPKT_S3_S3_PfPiPS1_i
	.p2align	8
	.type	_Z11wvSplitKrc_I14__hip_bfloat16Li64ELi16ELi4ELi8ELi1ELi64ELi4ELi1ELi1EEviiiiiiPKT_S3_S3_PfPiPS1_i,@function
_Z11wvSplitKrc_I14__hip_bfloat16Li64ELi16ELi4ELi8ELi1ELi64ELi4ELi1ELi1EEviiiiiiPKT_S3_S3_PfPiPS1_i: ; @_Z11wvSplitKrc_I14__hip_bfloat16Li64ELi16ELi4ELi8ELi1ELi64ELi4ELi1ELi1EEviiiiiiPKT_S3_S3_PfPiPS1_i
; %bb.0:
	s_add_u32 s8, s0, 0x50
	s_addc_u32 s9, s1, 0
	s_getpc_b64 s[0:1]
	s_add_u32 s0, s0, __PRETTY_FUNCTION__._Z11wvSplitKrc_I14__hip_bfloat16Li64ELi16ELi4ELi8ELi1ELi64ELi4ELi1ELi1EEviiiiiiPKT_S3_S3_PfPiPS1_i@rel32@lo+4
	s_addc_u32 s1, s1, __PRETTY_FUNCTION__._Z11wvSplitKrc_I14__hip_bfloat16Li64ELi16ELi4ELi8ELi1ELi64ELi4ELi1ELi1EEviiiiiiPKT_S3_S3_PfPiPS1_i@rel32@hi+12
	v_dual_mov_b32 v0, 0x6c9 :: v_dual_mov_b32 v1, s0
	v_mov_b32_e32 v2, s1
	s_mov_b32 s32, 0
	s_getpc_b64 s[2:3]
	s_add_u32 s2, s2, __assert_fail@rel32@lo+4
	s_addc_u32 s3, s3, __assert_fail@rel32@hi+12
	s_delay_alu instid0(SALU_CYCLE_1)
	s_swappc_b64 s[30:31], s[2:3]
	.section	.rodata,"a",@progbits
	.p2align	6, 0x0
	.amdhsa_kernel _Z11wvSplitKrc_I14__hip_bfloat16Li64ELi16ELi4ELi8ELi1ELi64ELi4ELi1ELi1EEviiiiiiPKT_S3_S3_PfPiPS1_i
		.amdhsa_group_segment_fixed_size 0
		.amdhsa_private_segment_fixed_size 64
		.amdhsa_kernarg_size 336
		.amdhsa_user_sgpr_count 15
		.amdhsa_user_sgpr_dispatch_ptr 0
		.amdhsa_user_sgpr_queue_ptr 0
		.amdhsa_user_sgpr_kernarg_segment_ptr 1
		.amdhsa_user_sgpr_dispatch_id 0
		.amdhsa_user_sgpr_private_segment_size 0
		.amdhsa_wavefront_size32 1
		.amdhsa_uses_dynamic_stack 0
		.amdhsa_enable_private_segment 1
		.amdhsa_system_sgpr_workgroup_id_x 1
		.amdhsa_system_sgpr_workgroup_id_y 0
		.amdhsa_system_sgpr_workgroup_id_z 0
		.amdhsa_system_sgpr_workgroup_info 0
		.amdhsa_system_vgpr_workitem_id 0
		.amdhsa_next_free_vgpr 50
		.amdhsa_next_free_sgpr 34
		.amdhsa_reserve_vcc 1
		.amdhsa_float_round_mode_32 0
		.amdhsa_float_round_mode_16_64 0
		.amdhsa_float_denorm_mode_32 3
		.amdhsa_float_denorm_mode_16_64 3
		.amdhsa_dx10_clamp 1
		.amdhsa_ieee_mode 1
		.amdhsa_fp16_overflow 0
		.amdhsa_workgroup_processor_mode 1
		.amdhsa_memory_ordered 1
		.amdhsa_forward_progress 0
		.amdhsa_shared_vgpr_count 0
		.amdhsa_exception_fp_ieee_invalid_op 0
		.amdhsa_exception_fp_denorm_src 0
		.amdhsa_exception_fp_ieee_div_zero 0
		.amdhsa_exception_fp_ieee_overflow 0
		.amdhsa_exception_fp_ieee_underflow 0
		.amdhsa_exception_fp_ieee_inexact 0
		.amdhsa_exception_int_div_zero 0
	.end_amdhsa_kernel
	.section	.text._Z11wvSplitKrc_I14__hip_bfloat16Li64ELi16ELi4ELi8ELi1ELi64ELi4ELi1ELi1EEviiiiiiPKT_S3_S3_PfPiPS1_i,"axG",@progbits,_Z11wvSplitKrc_I14__hip_bfloat16Li64ELi16ELi4ELi8ELi1ELi64ELi4ELi1ELi1EEviiiiiiPKT_S3_S3_PfPiPS1_i,comdat
.Lfunc_end332:
	.size	_Z11wvSplitKrc_I14__hip_bfloat16Li64ELi16ELi4ELi8ELi1ELi64ELi4ELi1ELi1EEviiiiiiPKT_S3_S3_PfPiPS1_i, .Lfunc_end332-_Z11wvSplitKrc_I14__hip_bfloat16Li64ELi16ELi4ELi8ELi1ELi64ELi4ELi1ELi1EEviiiiiiPKT_S3_S3_PfPiPS1_i
                                        ; -- End function
	.section	.AMDGPU.csdata,"",@progbits
; Kernel info:
; codeLenInByte = 80
; NumSgprs: 36
; NumVgprs: 50
; ScratchSize: 64
; MemoryBound: 0
; FloatMode: 240
; IeeeMode: 1
; LDSByteSize: 0 bytes/workgroup (compile time only)
; SGPRBlocks: 4
; VGPRBlocks: 6
; NumSGPRsForWavesPerEU: 36
; NumVGPRsForWavesPerEU: 50
; Occupancy: 16
; WaveLimiterHint : 1
; COMPUTE_PGM_RSRC2:SCRATCH_EN: 1
; COMPUTE_PGM_RSRC2:USER_SGPR: 15
; COMPUTE_PGM_RSRC2:TRAP_HANDLER: 0
; COMPUTE_PGM_RSRC2:TGID_X_EN: 1
; COMPUTE_PGM_RSRC2:TGID_Y_EN: 0
; COMPUTE_PGM_RSRC2:TGID_Z_EN: 0
; COMPUTE_PGM_RSRC2:TIDIG_COMP_CNT: 0
	.section	.text._Z11wvSplitKrc_I14__hip_bfloat16Li64ELi16ELi4ELi8ELi1ELi64ELi4ELi1ELi0EEviiiiiiPKT_S3_S3_PfPiPS1_i,"axG",@progbits,_Z11wvSplitKrc_I14__hip_bfloat16Li64ELi16ELi4ELi8ELi1ELi64ELi4ELi1ELi0EEviiiiiiPKT_S3_S3_PfPiPS1_i,comdat
	.protected	_Z11wvSplitKrc_I14__hip_bfloat16Li64ELi16ELi4ELi8ELi1ELi64ELi4ELi1ELi0EEviiiiiiPKT_S3_S3_PfPiPS1_i ; -- Begin function _Z11wvSplitKrc_I14__hip_bfloat16Li64ELi16ELi4ELi8ELi1ELi64ELi4ELi1ELi0EEviiiiiiPKT_S3_S3_PfPiPS1_i
	.globl	_Z11wvSplitKrc_I14__hip_bfloat16Li64ELi16ELi4ELi8ELi1ELi64ELi4ELi1ELi0EEviiiiiiPKT_S3_S3_PfPiPS1_i
	.p2align	8
	.type	_Z11wvSplitKrc_I14__hip_bfloat16Li64ELi16ELi4ELi8ELi1ELi64ELi4ELi1ELi0EEviiiiiiPKT_S3_S3_PfPiPS1_i,@function
_Z11wvSplitKrc_I14__hip_bfloat16Li64ELi16ELi4ELi8ELi1ELi64ELi4ELi1ELi0EEviiiiiiPKT_S3_S3_PfPiPS1_i: ; @_Z11wvSplitKrc_I14__hip_bfloat16Li64ELi16ELi4ELi8ELi1ELi64ELi4ELi1ELi0EEviiiiiiPKT_S3_S3_PfPiPS1_i
; %bb.0:
	s_add_u32 s8, s0, 0x50
	s_addc_u32 s9, s1, 0
	s_getpc_b64 s[0:1]
	s_add_u32 s0, s0, __PRETTY_FUNCTION__._Z11wvSplitKrc_I14__hip_bfloat16Li64ELi16ELi4ELi8ELi1ELi64ELi4ELi1ELi0EEviiiiiiPKT_S3_S3_PfPiPS1_i@rel32@lo+4
	s_addc_u32 s1, s1, __PRETTY_FUNCTION__._Z11wvSplitKrc_I14__hip_bfloat16Li64ELi16ELi4ELi8ELi1ELi64ELi4ELi1ELi0EEviiiiiiPKT_S3_S3_PfPiPS1_i@rel32@hi+12
	v_dual_mov_b32 v0, 0x6c9 :: v_dual_mov_b32 v1, s0
	v_mov_b32_e32 v2, s1
	s_mov_b32 s32, 0
	s_getpc_b64 s[2:3]
	s_add_u32 s2, s2, __assert_fail@rel32@lo+4
	s_addc_u32 s3, s3, __assert_fail@rel32@hi+12
	s_delay_alu instid0(SALU_CYCLE_1)
	s_swappc_b64 s[30:31], s[2:3]
	.section	.rodata,"a",@progbits
	.p2align	6, 0x0
	.amdhsa_kernel _Z11wvSplitKrc_I14__hip_bfloat16Li64ELi16ELi4ELi8ELi1ELi64ELi4ELi1ELi0EEviiiiiiPKT_S3_S3_PfPiPS1_i
		.amdhsa_group_segment_fixed_size 0
		.amdhsa_private_segment_fixed_size 64
		.amdhsa_kernarg_size 336
		.amdhsa_user_sgpr_count 15
		.amdhsa_user_sgpr_dispatch_ptr 0
		.amdhsa_user_sgpr_queue_ptr 0
		.amdhsa_user_sgpr_kernarg_segment_ptr 1
		.amdhsa_user_sgpr_dispatch_id 0
		.amdhsa_user_sgpr_private_segment_size 0
		.amdhsa_wavefront_size32 1
		.amdhsa_uses_dynamic_stack 0
		.amdhsa_enable_private_segment 1
		.amdhsa_system_sgpr_workgroup_id_x 1
		.amdhsa_system_sgpr_workgroup_id_y 0
		.amdhsa_system_sgpr_workgroup_id_z 0
		.amdhsa_system_sgpr_workgroup_info 0
		.amdhsa_system_vgpr_workitem_id 0
		.amdhsa_next_free_vgpr 50
		.amdhsa_next_free_sgpr 34
		.amdhsa_reserve_vcc 1
		.amdhsa_float_round_mode_32 0
		.amdhsa_float_round_mode_16_64 0
		.amdhsa_float_denorm_mode_32 3
		.amdhsa_float_denorm_mode_16_64 3
		.amdhsa_dx10_clamp 1
		.amdhsa_ieee_mode 1
		.amdhsa_fp16_overflow 0
		.amdhsa_workgroup_processor_mode 1
		.amdhsa_memory_ordered 1
		.amdhsa_forward_progress 0
		.amdhsa_shared_vgpr_count 0
		.amdhsa_exception_fp_ieee_invalid_op 0
		.amdhsa_exception_fp_denorm_src 0
		.amdhsa_exception_fp_ieee_div_zero 0
		.amdhsa_exception_fp_ieee_overflow 0
		.amdhsa_exception_fp_ieee_underflow 0
		.amdhsa_exception_fp_ieee_inexact 0
		.amdhsa_exception_int_div_zero 0
	.end_amdhsa_kernel
	.section	.text._Z11wvSplitKrc_I14__hip_bfloat16Li64ELi16ELi4ELi8ELi1ELi64ELi4ELi1ELi0EEviiiiiiPKT_S3_S3_PfPiPS1_i,"axG",@progbits,_Z11wvSplitKrc_I14__hip_bfloat16Li64ELi16ELi4ELi8ELi1ELi64ELi4ELi1ELi0EEviiiiiiPKT_S3_S3_PfPiPS1_i,comdat
.Lfunc_end333:
	.size	_Z11wvSplitKrc_I14__hip_bfloat16Li64ELi16ELi4ELi8ELi1ELi64ELi4ELi1ELi0EEviiiiiiPKT_S3_S3_PfPiPS1_i, .Lfunc_end333-_Z11wvSplitKrc_I14__hip_bfloat16Li64ELi16ELi4ELi8ELi1ELi64ELi4ELi1ELi0EEviiiiiiPKT_S3_S3_PfPiPS1_i
                                        ; -- End function
	.section	.AMDGPU.csdata,"",@progbits
; Kernel info:
; codeLenInByte = 80
; NumSgprs: 36
; NumVgprs: 50
; ScratchSize: 64
; MemoryBound: 0
; FloatMode: 240
; IeeeMode: 1
; LDSByteSize: 0 bytes/workgroup (compile time only)
; SGPRBlocks: 4
; VGPRBlocks: 6
; NumSGPRsForWavesPerEU: 36
; NumVGPRsForWavesPerEU: 50
; Occupancy: 16
; WaveLimiterHint : 1
; COMPUTE_PGM_RSRC2:SCRATCH_EN: 1
; COMPUTE_PGM_RSRC2:USER_SGPR: 15
; COMPUTE_PGM_RSRC2:TRAP_HANDLER: 0
; COMPUTE_PGM_RSRC2:TGID_X_EN: 1
; COMPUTE_PGM_RSRC2:TGID_Y_EN: 0
; COMPUTE_PGM_RSRC2:TGID_Z_EN: 0
; COMPUTE_PGM_RSRC2:TIDIG_COMP_CNT: 0
	.section	.text._Z11wvSplitKrc_I14__hip_bfloat16Li64ELi16ELi4ELi8ELi1ELi128ELi4ELi2ELi1EEviiiiiiPKT_S3_S3_PfPiPS1_i,"axG",@progbits,_Z11wvSplitKrc_I14__hip_bfloat16Li64ELi16ELi4ELi8ELi1ELi128ELi4ELi2ELi1EEviiiiiiPKT_S3_S3_PfPiPS1_i,comdat
	.protected	_Z11wvSplitKrc_I14__hip_bfloat16Li64ELi16ELi4ELi8ELi1ELi128ELi4ELi2ELi1EEviiiiiiPKT_S3_S3_PfPiPS1_i ; -- Begin function _Z11wvSplitKrc_I14__hip_bfloat16Li64ELi16ELi4ELi8ELi1ELi128ELi4ELi2ELi1EEviiiiiiPKT_S3_S3_PfPiPS1_i
	.globl	_Z11wvSplitKrc_I14__hip_bfloat16Li64ELi16ELi4ELi8ELi1ELi128ELi4ELi2ELi1EEviiiiiiPKT_S3_S3_PfPiPS1_i
	.p2align	8
	.type	_Z11wvSplitKrc_I14__hip_bfloat16Li64ELi16ELi4ELi8ELi1ELi128ELi4ELi2ELi1EEviiiiiiPKT_S3_S3_PfPiPS1_i,@function
_Z11wvSplitKrc_I14__hip_bfloat16Li64ELi16ELi4ELi8ELi1ELi128ELi4ELi2ELi1EEviiiiiiPKT_S3_S3_PfPiPS1_i: ; @_Z11wvSplitKrc_I14__hip_bfloat16Li64ELi16ELi4ELi8ELi1ELi128ELi4ELi2ELi1EEviiiiiiPKT_S3_S3_PfPiPS1_i
; %bb.0:
	s_add_u32 s8, s0, 0x50
	s_addc_u32 s9, s1, 0
	s_getpc_b64 s[0:1]
	s_add_u32 s0, s0, __PRETTY_FUNCTION__._Z11wvSplitKrc_I14__hip_bfloat16Li64ELi16ELi4ELi8ELi1ELi128ELi4ELi2ELi1EEviiiiiiPKT_S3_S3_PfPiPS1_i@rel32@lo+4
	s_addc_u32 s1, s1, __PRETTY_FUNCTION__._Z11wvSplitKrc_I14__hip_bfloat16Li64ELi16ELi4ELi8ELi1ELi128ELi4ELi2ELi1EEviiiiiiPKT_S3_S3_PfPiPS1_i@rel32@hi+12
	v_dual_mov_b32 v0, 0x6c9 :: v_dual_mov_b32 v1, s0
	v_mov_b32_e32 v2, s1
	s_mov_b32 s32, 0
	s_getpc_b64 s[2:3]
	s_add_u32 s2, s2, __assert_fail@rel32@lo+4
	s_addc_u32 s3, s3, __assert_fail@rel32@hi+12
	s_delay_alu instid0(SALU_CYCLE_1)
	s_swappc_b64 s[30:31], s[2:3]
	.section	.rodata,"a",@progbits
	.p2align	6, 0x0
	.amdhsa_kernel _Z11wvSplitKrc_I14__hip_bfloat16Li64ELi16ELi4ELi8ELi1ELi128ELi4ELi2ELi1EEviiiiiiPKT_S3_S3_PfPiPS1_i
		.amdhsa_group_segment_fixed_size 0
		.amdhsa_private_segment_fixed_size 64
		.amdhsa_kernarg_size 336
		.amdhsa_user_sgpr_count 15
		.amdhsa_user_sgpr_dispatch_ptr 0
		.amdhsa_user_sgpr_queue_ptr 0
		.amdhsa_user_sgpr_kernarg_segment_ptr 1
		.amdhsa_user_sgpr_dispatch_id 0
		.amdhsa_user_sgpr_private_segment_size 0
		.amdhsa_wavefront_size32 1
		.amdhsa_uses_dynamic_stack 0
		.amdhsa_enable_private_segment 1
		.amdhsa_system_sgpr_workgroup_id_x 1
		.amdhsa_system_sgpr_workgroup_id_y 0
		.amdhsa_system_sgpr_workgroup_id_z 0
		.amdhsa_system_sgpr_workgroup_info 0
		.amdhsa_system_vgpr_workitem_id 0
		.amdhsa_next_free_vgpr 50
		.amdhsa_next_free_sgpr 34
		.amdhsa_reserve_vcc 1
		.amdhsa_float_round_mode_32 0
		.amdhsa_float_round_mode_16_64 0
		.amdhsa_float_denorm_mode_32 3
		.amdhsa_float_denorm_mode_16_64 3
		.amdhsa_dx10_clamp 1
		.amdhsa_ieee_mode 1
		.amdhsa_fp16_overflow 0
		.amdhsa_workgroup_processor_mode 1
		.amdhsa_memory_ordered 1
		.amdhsa_forward_progress 0
		.amdhsa_shared_vgpr_count 0
		.amdhsa_exception_fp_ieee_invalid_op 0
		.amdhsa_exception_fp_denorm_src 0
		.amdhsa_exception_fp_ieee_div_zero 0
		.amdhsa_exception_fp_ieee_overflow 0
		.amdhsa_exception_fp_ieee_underflow 0
		.amdhsa_exception_fp_ieee_inexact 0
		.amdhsa_exception_int_div_zero 0
	.end_amdhsa_kernel
	.section	.text._Z11wvSplitKrc_I14__hip_bfloat16Li64ELi16ELi4ELi8ELi1ELi128ELi4ELi2ELi1EEviiiiiiPKT_S3_S3_PfPiPS1_i,"axG",@progbits,_Z11wvSplitKrc_I14__hip_bfloat16Li64ELi16ELi4ELi8ELi1ELi128ELi4ELi2ELi1EEviiiiiiPKT_S3_S3_PfPiPS1_i,comdat
.Lfunc_end334:
	.size	_Z11wvSplitKrc_I14__hip_bfloat16Li64ELi16ELi4ELi8ELi1ELi128ELi4ELi2ELi1EEviiiiiiPKT_S3_S3_PfPiPS1_i, .Lfunc_end334-_Z11wvSplitKrc_I14__hip_bfloat16Li64ELi16ELi4ELi8ELi1ELi128ELi4ELi2ELi1EEviiiiiiPKT_S3_S3_PfPiPS1_i
                                        ; -- End function
	.section	.AMDGPU.csdata,"",@progbits
; Kernel info:
; codeLenInByte = 80
; NumSgprs: 36
; NumVgprs: 50
; ScratchSize: 64
; MemoryBound: 0
; FloatMode: 240
; IeeeMode: 1
; LDSByteSize: 0 bytes/workgroup (compile time only)
; SGPRBlocks: 4
; VGPRBlocks: 6
; NumSGPRsForWavesPerEU: 36
; NumVGPRsForWavesPerEU: 50
; Occupancy: 16
; WaveLimiterHint : 1
; COMPUTE_PGM_RSRC2:SCRATCH_EN: 1
; COMPUTE_PGM_RSRC2:USER_SGPR: 15
; COMPUTE_PGM_RSRC2:TRAP_HANDLER: 0
; COMPUTE_PGM_RSRC2:TGID_X_EN: 1
; COMPUTE_PGM_RSRC2:TGID_Y_EN: 0
; COMPUTE_PGM_RSRC2:TGID_Z_EN: 0
; COMPUTE_PGM_RSRC2:TIDIG_COMP_CNT: 0
	.section	.text._Z11wvSplitKrc_I14__hip_bfloat16Li64ELi16ELi4ELi8ELi1ELi128ELi4ELi2ELi0EEviiiiiiPKT_S3_S3_PfPiPS1_i,"axG",@progbits,_Z11wvSplitKrc_I14__hip_bfloat16Li64ELi16ELi4ELi8ELi1ELi128ELi4ELi2ELi0EEviiiiiiPKT_S3_S3_PfPiPS1_i,comdat
	.protected	_Z11wvSplitKrc_I14__hip_bfloat16Li64ELi16ELi4ELi8ELi1ELi128ELi4ELi2ELi0EEviiiiiiPKT_S3_S3_PfPiPS1_i ; -- Begin function _Z11wvSplitKrc_I14__hip_bfloat16Li64ELi16ELi4ELi8ELi1ELi128ELi4ELi2ELi0EEviiiiiiPKT_S3_S3_PfPiPS1_i
	.globl	_Z11wvSplitKrc_I14__hip_bfloat16Li64ELi16ELi4ELi8ELi1ELi128ELi4ELi2ELi0EEviiiiiiPKT_S3_S3_PfPiPS1_i
	.p2align	8
	.type	_Z11wvSplitKrc_I14__hip_bfloat16Li64ELi16ELi4ELi8ELi1ELi128ELi4ELi2ELi0EEviiiiiiPKT_S3_S3_PfPiPS1_i,@function
_Z11wvSplitKrc_I14__hip_bfloat16Li64ELi16ELi4ELi8ELi1ELi128ELi4ELi2ELi0EEviiiiiiPKT_S3_S3_PfPiPS1_i: ; @_Z11wvSplitKrc_I14__hip_bfloat16Li64ELi16ELi4ELi8ELi1ELi128ELi4ELi2ELi0EEviiiiiiPKT_S3_S3_PfPiPS1_i
; %bb.0:
	s_add_u32 s8, s0, 0x50
	s_addc_u32 s9, s1, 0
	s_getpc_b64 s[0:1]
	s_add_u32 s0, s0, __PRETTY_FUNCTION__._Z11wvSplitKrc_I14__hip_bfloat16Li64ELi16ELi4ELi8ELi1ELi128ELi4ELi2ELi0EEviiiiiiPKT_S3_S3_PfPiPS1_i@rel32@lo+4
	s_addc_u32 s1, s1, __PRETTY_FUNCTION__._Z11wvSplitKrc_I14__hip_bfloat16Li64ELi16ELi4ELi8ELi1ELi128ELi4ELi2ELi0EEviiiiiiPKT_S3_S3_PfPiPS1_i@rel32@hi+12
	v_dual_mov_b32 v0, 0x6c9 :: v_dual_mov_b32 v1, s0
	v_mov_b32_e32 v2, s1
	s_mov_b32 s32, 0
	s_getpc_b64 s[2:3]
	s_add_u32 s2, s2, __assert_fail@rel32@lo+4
	s_addc_u32 s3, s3, __assert_fail@rel32@hi+12
	s_delay_alu instid0(SALU_CYCLE_1)
	s_swappc_b64 s[30:31], s[2:3]
	.section	.rodata,"a",@progbits
	.p2align	6, 0x0
	.amdhsa_kernel _Z11wvSplitKrc_I14__hip_bfloat16Li64ELi16ELi4ELi8ELi1ELi128ELi4ELi2ELi0EEviiiiiiPKT_S3_S3_PfPiPS1_i
		.amdhsa_group_segment_fixed_size 0
		.amdhsa_private_segment_fixed_size 64
		.amdhsa_kernarg_size 336
		.amdhsa_user_sgpr_count 15
		.amdhsa_user_sgpr_dispatch_ptr 0
		.amdhsa_user_sgpr_queue_ptr 0
		.amdhsa_user_sgpr_kernarg_segment_ptr 1
		.amdhsa_user_sgpr_dispatch_id 0
		.amdhsa_user_sgpr_private_segment_size 0
		.amdhsa_wavefront_size32 1
		.amdhsa_uses_dynamic_stack 0
		.amdhsa_enable_private_segment 1
		.amdhsa_system_sgpr_workgroup_id_x 1
		.amdhsa_system_sgpr_workgroup_id_y 0
		.amdhsa_system_sgpr_workgroup_id_z 0
		.amdhsa_system_sgpr_workgroup_info 0
		.amdhsa_system_vgpr_workitem_id 0
		.amdhsa_next_free_vgpr 50
		.amdhsa_next_free_sgpr 34
		.amdhsa_reserve_vcc 1
		.amdhsa_float_round_mode_32 0
		.amdhsa_float_round_mode_16_64 0
		.amdhsa_float_denorm_mode_32 3
		.amdhsa_float_denorm_mode_16_64 3
		.amdhsa_dx10_clamp 1
		.amdhsa_ieee_mode 1
		.amdhsa_fp16_overflow 0
		.amdhsa_workgroup_processor_mode 1
		.amdhsa_memory_ordered 1
		.amdhsa_forward_progress 0
		.amdhsa_shared_vgpr_count 0
		.amdhsa_exception_fp_ieee_invalid_op 0
		.amdhsa_exception_fp_denorm_src 0
		.amdhsa_exception_fp_ieee_div_zero 0
		.amdhsa_exception_fp_ieee_overflow 0
		.amdhsa_exception_fp_ieee_underflow 0
		.amdhsa_exception_fp_ieee_inexact 0
		.amdhsa_exception_int_div_zero 0
	.end_amdhsa_kernel
	.section	.text._Z11wvSplitKrc_I14__hip_bfloat16Li64ELi16ELi4ELi8ELi1ELi128ELi4ELi2ELi0EEviiiiiiPKT_S3_S3_PfPiPS1_i,"axG",@progbits,_Z11wvSplitKrc_I14__hip_bfloat16Li64ELi16ELi4ELi8ELi1ELi128ELi4ELi2ELi0EEviiiiiiPKT_S3_S3_PfPiPS1_i,comdat
.Lfunc_end335:
	.size	_Z11wvSplitKrc_I14__hip_bfloat16Li64ELi16ELi4ELi8ELi1ELi128ELi4ELi2ELi0EEviiiiiiPKT_S3_S3_PfPiPS1_i, .Lfunc_end335-_Z11wvSplitKrc_I14__hip_bfloat16Li64ELi16ELi4ELi8ELi1ELi128ELi4ELi2ELi0EEviiiiiiPKT_S3_S3_PfPiPS1_i
                                        ; -- End function
	.section	.AMDGPU.csdata,"",@progbits
; Kernel info:
; codeLenInByte = 80
; NumSgprs: 36
; NumVgprs: 50
; ScratchSize: 64
; MemoryBound: 0
; FloatMode: 240
; IeeeMode: 1
; LDSByteSize: 0 bytes/workgroup (compile time only)
; SGPRBlocks: 4
; VGPRBlocks: 6
; NumSGPRsForWavesPerEU: 36
; NumVGPRsForWavesPerEU: 50
; Occupancy: 16
; WaveLimiterHint : 1
; COMPUTE_PGM_RSRC2:SCRATCH_EN: 1
; COMPUTE_PGM_RSRC2:USER_SGPR: 15
; COMPUTE_PGM_RSRC2:TRAP_HANDLER: 0
; COMPUTE_PGM_RSRC2:TGID_X_EN: 1
; COMPUTE_PGM_RSRC2:TGID_Y_EN: 0
; COMPUTE_PGM_RSRC2:TGID_Z_EN: 0
; COMPUTE_PGM_RSRC2:TIDIG_COMP_CNT: 0
	.section	.text._Z11wvSplitKrc_I14__hip_bfloat16Li64ELi16ELi4ELi8ELi1ELi128ELi4ELi1ELi1EEviiiiiiPKT_S3_S3_PfPiPS1_i,"axG",@progbits,_Z11wvSplitKrc_I14__hip_bfloat16Li64ELi16ELi4ELi8ELi1ELi128ELi4ELi1ELi1EEviiiiiiPKT_S3_S3_PfPiPS1_i,comdat
	.protected	_Z11wvSplitKrc_I14__hip_bfloat16Li64ELi16ELi4ELi8ELi1ELi128ELi4ELi1ELi1EEviiiiiiPKT_S3_S3_PfPiPS1_i ; -- Begin function _Z11wvSplitKrc_I14__hip_bfloat16Li64ELi16ELi4ELi8ELi1ELi128ELi4ELi1ELi1EEviiiiiiPKT_S3_S3_PfPiPS1_i
	.globl	_Z11wvSplitKrc_I14__hip_bfloat16Li64ELi16ELi4ELi8ELi1ELi128ELi4ELi1ELi1EEviiiiiiPKT_S3_S3_PfPiPS1_i
	.p2align	8
	.type	_Z11wvSplitKrc_I14__hip_bfloat16Li64ELi16ELi4ELi8ELi1ELi128ELi4ELi1ELi1EEviiiiiiPKT_S3_S3_PfPiPS1_i,@function
_Z11wvSplitKrc_I14__hip_bfloat16Li64ELi16ELi4ELi8ELi1ELi128ELi4ELi1ELi1EEviiiiiiPKT_S3_S3_PfPiPS1_i: ; @_Z11wvSplitKrc_I14__hip_bfloat16Li64ELi16ELi4ELi8ELi1ELi128ELi4ELi1ELi1EEviiiiiiPKT_S3_S3_PfPiPS1_i
; %bb.0:
	s_add_u32 s8, s0, 0x50
	s_addc_u32 s9, s1, 0
	s_getpc_b64 s[0:1]
	s_add_u32 s0, s0, __PRETTY_FUNCTION__._Z11wvSplitKrc_I14__hip_bfloat16Li64ELi16ELi4ELi8ELi1ELi128ELi4ELi1ELi1EEviiiiiiPKT_S3_S3_PfPiPS1_i@rel32@lo+4
	s_addc_u32 s1, s1, __PRETTY_FUNCTION__._Z11wvSplitKrc_I14__hip_bfloat16Li64ELi16ELi4ELi8ELi1ELi128ELi4ELi1ELi1EEviiiiiiPKT_S3_S3_PfPiPS1_i@rel32@hi+12
	v_dual_mov_b32 v0, 0x6c9 :: v_dual_mov_b32 v1, s0
	v_mov_b32_e32 v2, s1
	s_mov_b32 s32, 0
	s_getpc_b64 s[2:3]
	s_add_u32 s2, s2, __assert_fail@rel32@lo+4
	s_addc_u32 s3, s3, __assert_fail@rel32@hi+12
	s_delay_alu instid0(SALU_CYCLE_1)
	s_swappc_b64 s[30:31], s[2:3]
	.section	.rodata,"a",@progbits
	.p2align	6, 0x0
	.amdhsa_kernel _Z11wvSplitKrc_I14__hip_bfloat16Li64ELi16ELi4ELi8ELi1ELi128ELi4ELi1ELi1EEviiiiiiPKT_S3_S3_PfPiPS1_i
		.amdhsa_group_segment_fixed_size 0
		.amdhsa_private_segment_fixed_size 64
		.amdhsa_kernarg_size 336
		.amdhsa_user_sgpr_count 15
		.amdhsa_user_sgpr_dispatch_ptr 0
		.amdhsa_user_sgpr_queue_ptr 0
		.amdhsa_user_sgpr_kernarg_segment_ptr 1
		.amdhsa_user_sgpr_dispatch_id 0
		.amdhsa_user_sgpr_private_segment_size 0
		.amdhsa_wavefront_size32 1
		.amdhsa_uses_dynamic_stack 0
		.amdhsa_enable_private_segment 1
		.amdhsa_system_sgpr_workgroup_id_x 1
		.amdhsa_system_sgpr_workgroup_id_y 0
		.amdhsa_system_sgpr_workgroup_id_z 0
		.amdhsa_system_sgpr_workgroup_info 0
		.amdhsa_system_vgpr_workitem_id 0
		.amdhsa_next_free_vgpr 50
		.amdhsa_next_free_sgpr 34
		.amdhsa_reserve_vcc 1
		.amdhsa_float_round_mode_32 0
		.amdhsa_float_round_mode_16_64 0
		.amdhsa_float_denorm_mode_32 3
		.amdhsa_float_denorm_mode_16_64 3
		.amdhsa_dx10_clamp 1
		.amdhsa_ieee_mode 1
		.amdhsa_fp16_overflow 0
		.amdhsa_workgroup_processor_mode 1
		.amdhsa_memory_ordered 1
		.amdhsa_forward_progress 0
		.amdhsa_shared_vgpr_count 0
		.amdhsa_exception_fp_ieee_invalid_op 0
		.amdhsa_exception_fp_denorm_src 0
		.amdhsa_exception_fp_ieee_div_zero 0
		.amdhsa_exception_fp_ieee_overflow 0
		.amdhsa_exception_fp_ieee_underflow 0
		.amdhsa_exception_fp_ieee_inexact 0
		.amdhsa_exception_int_div_zero 0
	.end_amdhsa_kernel
	.section	.text._Z11wvSplitKrc_I14__hip_bfloat16Li64ELi16ELi4ELi8ELi1ELi128ELi4ELi1ELi1EEviiiiiiPKT_S3_S3_PfPiPS1_i,"axG",@progbits,_Z11wvSplitKrc_I14__hip_bfloat16Li64ELi16ELi4ELi8ELi1ELi128ELi4ELi1ELi1EEviiiiiiPKT_S3_S3_PfPiPS1_i,comdat
.Lfunc_end336:
	.size	_Z11wvSplitKrc_I14__hip_bfloat16Li64ELi16ELi4ELi8ELi1ELi128ELi4ELi1ELi1EEviiiiiiPKT_S3_S3_PfPiPS1_i, .Lfunc_end336-_Z11wvSplitKrc_I14__hip_bfloat16Li64ELi16ELi4ELi8ELi1ELi128ELi4ELi1ELi1EEviiiiiiPKT_S3_S3_PfPiPS1_i
                                        ; -- End function
	.section	.AMDGPU.csdata,"",@progbits
; Kernel info:
; codeLenInByte = 80
; NumSgprs: 36
; NumVgprs: 50
; ScratchSize: 64
; MemoryBound: 0
; FloatMode: 240
; IeeeMode: 1
; LDSByteSize: 0 bytes/workgroup (compile time only)
; SGPRBlocks: 4
; VGPRBlocks: 6
; NumSGPRsForWavesPerEU: 36
; NumVGPRsForWavesPerEU: 50
; Occupancy: 16
; WaveLimiterHint : 1
; COMPUTE_PGM_RSRC2:SCRATCH_EN: 1
; COMPUTE_PGM_RSRC2:USER_SGPR: 15
; COMPUTE_PGM_RSRC2:TRAP_HANDLER: 0
; COMPUTE_PGM_RSRC2:TGID_X_EN: 1
; COMPUTE_PGM_RSRC2:TGID_Y_EN: 0
; COMPUTE_PGM_RSRC2:TGID_Z_EN: 0
; COMPUTE_PGM_RSRC2:TIDIG_COMP_CNT: 0
	.section	.text._Z11wvSplitKrc_I14__hip_bfloat16Li64ELi16ELi4ELi8ELi1ELi128ELi4ELi1ELi0EEviiiiiiPKT_S3_S3_PfPiPS1_i,"axG",@progbits,_Z11wvSplitKrc_I14__hip_bfloat16Li64ELi16ELi4ELi8ELi1ELi128ELi4ELi1ELi0EEviiiiiiPKT_S3_S3_PfPiPS1_i,comdat
	.protected	_Z11wvSplitKrc_I14__hip_bfloat16Li64ELi16ELi4ELi8ELi1ELi128ELi4ELi1ELi0EEviiiiiiPKT_S3_S3_PfPiPS1_i ; -- Begin function _Z11wvSplitKrc_I14__hip_bfloat16Li64ELi16ELi4ELi8ELi1ELi128ELi4ELi1ELi0EEviiiiiiPKT_S3_S3_PfPiPS1_i
	.globl	_Z11wvSplitKrc_I14__hip_bfloat16Li64ELi16ELi4ELi8ELi1ELi128ELi4ELi1ELi0EEviiiiiiPKT_S3_S3_PfPiPS1_i
	.p2align	8
	.type	_Z11wvSplitKrc_I14__hip_bfloat16Li64ELi16ELi4ELi8ELi1ELi128ELi4ELi1ELi0EEviiiiiiPKT_S3_S3_PfPiPS1_i,@function
_Z11wvSplitKrc_I14__hip_bfloat16Li64ELi16ELi4ELi8ELi1ELi128ELi4ELi1ELi0EEviiiiiiPKT_S3_S3_PfPiPS1_i: ; @_Z11wvSplitKrc_I14__hip_bfloat16Li64ELi16ELi4ELi8ELi1ELi128ELi4ELi1ELi0EEviiiiiiPKT_S3_S3_PfPiPS1_i
; %bb.0:
	s_add_u32 s8, s0, 0x50
	s_addc_u32 s9, s1, 0
	s_getpc_b64 s[0:1]
	s_add_u32 s0, s0, __PRETTY_FUNCTION__._Z11wvSplitKrc_I14__hip_bfloat16Li64ELi16ELi4ELi8ELi1ELi128ELi4ELi1ELi0EEviiiiiiPKT_S3_S3_PfPiPS1_i@rel32@lo+4
	s_addc_u32 s1, s1, __PRETTY_FUNCTION__._Z11wvSplitKrc_I14__hip_bfloat16Li64ELi16ELi4ELi8ELi1ELi128ELi4ELi1ELi0EEviiiiiiPKT_S3_S3_PfPiPS1_i@rel32@hi+12
	v_dual_mov_b32 v0, 0x6c9 :: v_dual_mov_b32 v1, s0
	v_mov_b32_e32 v2, s1
	s_mov_b32 s32, 0
	s_getpc_b64 s[2:3]
	s_add_u32 s2, s2, __assert_fail@rel32@lo+4
	s_addc_u32 s3, s3, __assert_fail@rel32@hi+12
	s_delay_alu instid0(SALU_CYCLE_1)
	s_swappc_b64 s[30:31], s[2:3]
	.section	.rodata,"a",@progbits
	.p2align	6, 0x0
	.amdhsa_kernel _Z11wvSplitKrc_I14__hip_bfloat16Li64ELi16ELi4ELi8ELi1ELi128ELi4ELi1ELi0EEviiiiiiPKT_S3_S3_PfPiPS1_i
		.amdhsa_group_segment_fixed_size 0
		.amdhsa_private_segment_fixed_size 64
		.amdhsa_kernarg_size 336
		.amdhsa_user_sgpr_count 15
		.amdhsa_user_sgpr_dispatch_ptr 0
		.amdhsa_user_sgpr_queue_ptr 0
		.amdhsa_user_sgpr_kernarg_segment_ptr 1
		.amdhsa_user_sgpr_dispatch_id 0
		.amdhsa_user_sgpr_private_segment_size 0
		.amdhsa_wavefront_size32 1
		.amdhsa_uses_dynamic_stack 0
		.amdhsa_enable_private_segment 1
		.amdhsa_system_sgpr_workgroup_id_x 1
		.amdhsa_system_sgpr_workgroup_id_y 0
		.amdhsa_system_sgpr_workgroup_id_z 0
		.amdhsa_system_sgpr_workgroup_info 0
		.amdhsa_system_vgpr_workitem_id 0
		.amdhsa_next_free_vgpr 50
		.amdhsa_next_free_sgpr 34
		.amdhsa_reserve_vcc 1
		.amdhsa_float_round_mode_32 0
		.amdhsa_float_round_mode_16_64 0
		.amdhsa_float_denorm_mode_32 3
		.amdhsa_float_denorm_mode_16_64 3
		.amdhsa_dx10_clamp 1
		.amdhsa_ieee_mode 1
		.amdhsa_fp16_overflow 0
		.amdhsa_workgroup_processor_mode 1
		.amdhsa_memory_ordered 1
		.amdhsa_forward_progress 0
		.amdhsa_shared_vgpr_count 0
		.amdhsa_exception_fp_ieee_invalid_op 0
		.amdhsa_exception_fp_denorm_src 0
		.amdhsa_exception_fp_ieee_div_zero 0
		.amdhsa_exception_fp_ieee_overflow 0
		.amdhsa_exception_fp_ieee_underflow 0
		.amdhsa_exception_fp_ieee_inexact 0
		.amdhsa_exception_int_div_zero 0
	.end_amdhsa_kernel
	.section	.text._Z11wvSplitKrc_I14__hip_bfloat16Li64ELi16ELi4ELi8ELi1ELi128ELi4ELi1ELi0EEviiiiiiPKT_S3_S3_PfPiPS1_i,"axG",@progbits,_Z11wvSplitKrc_I14__hip_bfloat16Li64ELi16ELi4ELi8ELi1ELi128ELi4ELi1ELi0EEviiiiiiPKT_S3_S3_PfPiPS1_i,comdat
.Lfunc_end337:
	.size	_Z11wvSplitKrc_I14__hip_bfloat16Li64ELi16ELi4ELi8ELi1ELi128ELi4ELi1ELi0EEviiiiiiPKT_S3_S3_PfPiPS1_i, .Lfunc_end337-_Z11wvSplitKrc_I14__hip_bfloat16Li64ELi16ELi4ELi8ELi1ELi128ELi4ELi1ELi0EEviiiiiiPKT_S3_S3_PfPiPS1_i
                                        ; -- End function
	.section	.AMDGPU.csdata,"",@progbits
; Kernel info:
; codeLenInByte = 80
; NumSgprs: 36
; NumVgprs: 50
; ScratchSize: 64
; MemoryBound: 0
; FloatMode: 240
; IeeeMode: 1
; LDSByteSize: 0 bytes/workgroup (compile time only)
; SGPRBlocks: 4
; VGPRBlocks: 6
; NumSGPRsForWavesPerEU: 36
; NumVGPRsForWavesPerEU: 50
; Occupancy: 16
; WaveLimiterHint : 1
; COMPUTE_PGM_RSRC2:SCRATCH_EN: 1
; COMPUTE_PGM_RSRC2:USER_SGPR: 15
; COMPUTE_PGM_RSRC2:TRAP_HANDLER: 0
; COMPUTE_PGM_RSRC2:TGID_X_EN: 1
; COMPUTE_PGM_RSRC2:TGID_Y_EN: 0
; COMPUTE_PGM_RSRC2:TGID_Z_EN: 0
; COMPUTE_PGM_RSRC2:TIDIG_COMP_CNT: 0
	.section	.text._Z17wvSplitKQ_hf_sml_I6__halfN3c1013Float8_e4m3fnELi32ELi2ELi16ELi16ELi2ELi1EEviiiiiiPKT0_S5_PKT_PS6_PKfSB_ii,"axG",@progbits,_Z17wvSplitKQ_hf_sml_I6__halfN3c1013Float8_e4m3fnELi32ELi2ELi16ELi16ELi2ELi1EEviiiiiiPKT0_S5_PKT_PS6_PKfSB_ii,comdat
	.protected	_Z17wvSplitKQ_hf_sml_I6__halfN3c1013Float8_e4m3fnELi32ELi2ELi16ELi16ELi2ELi1EEviiiiiiPKT0_S5_PKT_PS6_PKfSB_ii ; -- Begin function _Z17wvSplitKQ_hf_sml_I6__halfN3c1013Float8_e4m3fnELi32ELi2ELi16ELi16ELi2ELi1EEviiiiiiPKT0_S5_PKT_PS6_PKfSB_ii
	.globl	_Z17wvSplitKQ_hf_sml_I6__halfN3c1013Float8_e4m3fnELi32ELi2ELi16ELi16ELi2ELi1EEviiiiiiPKT0_S5_PKT_PS6_PKfSB_ii
	.p2align	8
	.type	_Z17wvSplitKQ_hf_sml_I6__halfN3c1013Float8_e4m3fnELi32ELi2ELi16ELi16ELi2ELi1EEviiiiiiPKT0_S5_PKT_PS6_PKfSB_ii,@function
_Z17wvSplitKQ_hf_sml_I6__halfN3c1013Float8_e4m3fnELi32ELi2ELi16ELi16ELi2ELi1EEviiiiiiPKT0_S5_PKT_PS6_PKfSB_ii: ; @_Z17wvSplitKQ_hf_sml_I6__halfN3c1013Float8_e4m3fnELi32ELi2ELi16ELi16ELi2ELi1EEviiiiiiPKT0_S5_PKT_PS6_PKfSB_ii
; %bb.0:
	s_add_u32 s8, s0, 0x50
	s_addc_u32 s9, s1, 0
	s_getpc_b64 s[0:1]
	s_add_u32 s0, s0, __PRETTY_FUNCTION__._Z17wvSplitKQ_hf_sml_I6__halfN3c1013Float8_e4m3fnELi32ELi2ELi16ELi16ELi2ELi1EEviiiiiiPKT0_S5_PKT_PS6_PKfSB_ii@rel32@lo+4
	s_addc_u32 s1, s1, __PRETTY_FUNCTION__._Z17wvSplitKQ_hf_sml_I6__halfN3c1013Float8_e4m3fnELi32ELi2ELi16ELi16ELi2ELi1EEviiiiiiPKT0_S5_PKT_PS6_PKfSB_ii@rel32@hi+12
	v_dual_mov_b32 v0, 0x7fa :: v_dual_mov_b32 v1, s0
	v_mov_b32_e32 v2, s1
	s_mov_b32 s32, 0
	s_getpc_b64 s[2:3]
	s_add_u32 s2, s2, __assert_fail@rel32@lo+4
	s_addc_u32 s3, s3, __assert_fail@rel32@hi+12
	s_delay_alu instid0(SALU_CYCLE_1)
	s_swappc_b64 s[30:31], s[2:3]
	.section	.rodata,"a",@progbits
	.p2align	6, 0x0
	.amdhsa_kernel _Z17wvSplitKQ_hf_sml_I6__halfN3c1013Float8_e4m3fnELi32ELi2ELi16ELi16ELi2ELi1EEviiiiiiPKT0_S5_PKT_PS6_PKfSB_ii
		.amdhsa_group_segment_fixed_size 0
		.amdhsa_private_segment_fixed_size 64
		.amdhsa_kernarg_size 336
		.amdhsa_user_sgpr_count 15
		.amdhsa_user_sgpr_dispatch_ptr 0
		.amdhsa_user_sgpr_queue_ptr 0
		.amdhsa_user_sgpr_kernarg_segment_ptr 1
		.amdhsa_user_sgpr_dispatch_id 0
		.amdhsa_user_sgpr_private_segment_size 0
		.amdhsa_wavefront_size32 1
		.amdhsa_uses_dynamic_stack 0
		.amdhsa_enable_private_segment 1
		.amdhsa_system_sgpr_workgroup_id_x 1
		.amdhsa_system_sgpr_workgroup_id_y 0
		.amdhsa_system_sgpr_workgroup_id_z 0
		.amdhsa_system_sgpr_workgroup_info 0
		.amdhsa_system_vgpr_workitem_id 0
		.amdhsa_next_free_vgpr 50
		.amdhsa_next_free_sgpr 34
		.amdhsa_reserve_vcc 1
		.amdhsa_float_round_mode_32 0
		.amdhsa_float_round_mode_16_64 0
		.amdhsa_float_denorm_mode_32 3
		.amdhsa_float_denorm_mode_16_64 3
		.amdhsa_dx10_clamp 1
		.amdhsa_ieee_mode 1
		.amdhsa_fp16_overflow 0
		.amdhsa_workgroup_processor_mode 1
		.amdhsa_memory_ordered 1
		.amdhsa_forward_progress 0
		.amdhsa_shared_vgpr_count 0
		.amdhsa_exception_fp_ieee_invalid_op 0
		.amdhsa_exception_fp_denorm_src 0
		.amdhsa_exception_fp_ieee_div_zero 0
		.amdhsa_exception_fp_ieee_overflow 0
		.amdhsa_exception_fp_ieee_underflow 0
		.amdhsa_exception_fp_ieee_inexact 0
		.amdhsa_exception_int_div_zero 0
	.end_amdhsa_kernel
	.section	.text._Z17wvSplitKQ_hf_sml_I6__halfN3c1013Float8_e4m3fnELi32ELi2ELi16ELi16ELi2ELi1EEviiiiiiPKT0_S5_PKT_PS6_PKfSB_ii,"axG",@progbits,_Z17wvSplitKQ_hf_sml_I6__halfN3c1013Float8_e4m3fnELi32ELi2ELi16ELi16ELi2ELi1EEviiiiiiPKT0_S5_PKT_PS6_PKfSB_ii,comdat
.Lfunc_end338:
	.size	_Z17wvSplitKQ_hf_sml_I6__halfN3c1013Float8_e4m3fnELi32ELi2ELi16ELi16ELi2ELi1EEviiiiiiPKT0_S5_PKT_PS6_PKfSB_ii, .Lfunc_end338-_Z17wvSplitKQ_hf_sml_I6__halfN3c1013Float8_e4m3fnELi32ELi2ELi16ELi16ELi2ELi1EEviiiiiiPKT0_S5_PKT_PS6_PKfSB_ii
                                        ; -- End function
	.section	.AMDGPU.csdata,"",@progbits
; Kernel info:
; codeLenInByte = 80
; NumSgprs: 36
; NumVgprs: 50
; ScratchSize: 64
; MemoryBound: 0
; FloatMode: 240
; IeeeMode: 1
; LDSByteSize: 0 bytes/workgroup (compile time only)
; SGPRBlocks: 4
; VGPRBlocks: 6
; NumSGPRsForWavesPerEU: 36
; NumVGPRsForWavesPerEU: 50
; Occupancy: 16
; WaveLimiterHint : 1
; COMPUTE_PGM_RSRC2:SCRATCH_EN: 1
; COMPUTE_PGM_RSRC2:USER_SGPR: 15
; COMPUTE_PGM_RSRC2:TRAP_HANDLER: 0
; COMPUTE_PGM_RSRC2:TGID_X_EN: 1
; COMPUTE_PGM_RSRC2:TGID_Y_EN: 0
; COMPUTE_PGM_RSRC2:TGID_Z_EN: 0
; COMPUTE_PGM_RSRC2:TIDIG_COMP_CNT: 0
	.section	.text._Z13wvSplitKQ_hf_I6__halfN3c1013Float8_e4m3fnELi32ELi2ELi16ELi16ELi2ELi1EEviiiiiiPKT0_S5_PKT_PS6_PKfSB_ii,"axG",@progbits,_Z13wvSplitKQ_hf_I6__halfN3c1013Float8_e4m3fnELi32ELi2ELi16ELi16ELi2ELi1EEviiiiiiPKT0_S5_PKT_PS6_PKfSB_ii,comdat
	.protected	_Z13wvSplitKQ_hf_I6__halfN3c1013Float8_e4m3fnELi32ELi2ELi16ELi16ELi2ELi1EEviiiiiiPKT0_S5_PKT_PS6_PKfSB_ii ; -- Begin function _Z13wvSplitKQ_hf_I6__halfN3c1013Float8_e4m3fnELi32ELi2ELi16ELi16ELi2ELi1EEviiiiiiPKT0_S5_PKT_PS6_PKfSB_ii
	.globl	_Z13wvSplitKQ_hf_I6__halfN3c1013Float8_e4m3fnELi32ELi2ELi16ELi16ELi2ELi1EEviiiiiiPKT0_S5_PKT_PS6_PKfSB_ii
	.p2align	8
	.type	_Z13wvSplitKQ_hf_I6__halfN3c1013Float8_e4m3fnELi32ELi2ELi16ELi16ELi2ELi1EEviiiiiiPKT0_S5_PKT_PS6_PKfSB_ii,@function
_Z13wvSplitKQ_hf_I6__halfN3c1013Float8_e4m3fnELi32ELi2ELi16ELi16ELi2ELi1EEviiiiiiPKT0_S5_PKT_PS6_PKfSB_ii: ; @_Z13wvSplitKQ_hf_I6__halfN3c1013Float8_e4m3fnELi32ELi2ELi16ELi16ELi2ELi1EEviiiiiiPKT0_S5_PKT_PS6_PKfSB_ii
; %bb.0:
	s_add_u32 s8, s0, 0x50
	s_addc_u32 s9, s1, 0
	s_getpc_b64 s[0:1]
	s_add_u32 s0, s0, __PRETTY_FUNCTION__._Z13wvSplitKQ_hf_I6__halfN3c1013Float8_e4m3fnELi32ELi2ELi16ELi16ELi2ELi1EEviiiiiiPKT0_S5_PKT_PS6_PKfSB_ii@rel32@lo+4
	s_addc_u32 s1, s1, __PRETTY_FUNCTION__._Z13wvSplitKQ_hf_I6__halfN3c1013Float8_e4m3fnELi32ELi2ELi16ELi16ELi2ELi1EEviiiiiiPKT0_S5_PKT_PS6_PKfSB_ii@rel32@hi+12
	v_dual_mov_b32 v0, 0x8bf :: v_dual_mov_b32 v1, s0
	v_mov_b32_e32 v2, s1
	s_mov_b32 s32, 0
	s_getpc_b64 s[2:3]
	s_add_u32 s2, s2, __assert_fail@rel32@lo+4
	s_addc_u32 s3, s3, __assert_fail@rel32@hi+12
	s_delay_alu instid0(SALU_CYCLE_1)
	s_swappc_b64 s[30:31], s[2:3]
	.section	.rodata,"a",@progbits
	.p2align	6, 0x0
	.amdhsa_kernel _Z13wvSplitKQ_hf_I6__halfN3c1013Float8_e4m3fnELi32ELi2ELi16ELi16ELi2ELi1EEviiiiiiPKT0_S5_PKT_PS6_PKfSB_ii
		.amdhsa_group_segment_fixed_size 0
		.amdhsa_private_segment_fixed_size 64
		.amdhsa_kernarg_size 336
		.amdhsa_user_sgpr_count 15
		.amdhsa_user_sgpr_dispatch_ptr 0
		.amdhsa_user_sgpr_queue_ptr 0
		.amdhsa_user_sgpr_kernarg_segment_ptr 1
		.amdhsa_user_sgpr_dispatch_id 0
		.amdhsa_user_sgpr_private_segment_size 0
		.amdhsa_wavefront_size32 1
		.amdhsa_uses_dynamic_stack 0
		.amdhsa_enable_private_segment 1
		.amdhsa_system_sgpr_workgroup_id_x 1
		.amdhsa_system_sgpr_workgroup_id_y 0
		.amdhsa_system_sgpr_workgroup_id_z 0
		.amdhsa_system_sgpr_workgroup_info 0
		.amdhsa_system_vgpr_workitem_id 0
		.amdhsa_next_free_vgpr 50
		.amdhsa_next_free_sgpr 34
		.amdhsa_reserve_vcc 1
		.amdhsa_float_round_mode_32 0
		.amdhsa_float_round_mode_16_64 0
		.amdhsa_float_denorm_mode_32 3
		.amdhsa_float_denorm_mode_16_64 3
		.amdhsa_dx10_clamp 1
		.amdhsa_ieee_mode 1
		.amdhsa_fp16_overflow 0
		.amdhsa_workgroup_processor_mode 1
		.amdhsa_memory_ordered 1
		.amdhsa_forward_progress 0
		.amdhsa_shared_vgpr_count 0
		.amdhsa_exception_fp_ieee_invalid_op 0
		.amdhsa_exception_fp_denorm_src 0
		.amdhsa_exception_fp_ieee_div_zero 0
		.amdhsa_exception_fp_ieee_overflow 0
		.amdhsa_exception_fp_ieee_underflow 0
		.amdhsa_exception_fp_ieee_inexact 0
		.amdhsa_exception_int_div_zero 0
	.end_amdhsa_kernel
	.section	.text._Z13wvSplitKQ_hf_I6__halfN3c1013Float8_e4m3fnELi32ELi2ELi16ELi16ELi2ELi1EEviiiiiiPKT0_S5_PKT_PS6_PKfSB_ii,"axG",@progbits,_Z13wvSplitKQ_hf_I6__halfN3c1013Float8_e4m3fnELi32ELi2ELi16ELi16ELi2ELi1EEviiiiiiPKT0_S5_PKT_PS6_PKfSB_ii,comdat
.Lfunc_end339:
	.size	_Z13wvSplitKQ_hf_I6__halfN3c1013Float8_e4m3fnELi32ELi2ELi16ELi16ELi2ELi1EEviiiiiiPKT0_S5_PKT_PS6_PKfSB_ii, .Lfunc_end339-_Z13wvSplitKQ_hf_I6__halfN3c1013Float8_e4m3fnELi32ELi2ELi16ELi16ELi2ELi1EEviiiiiiPKT0_S5_PKT_PS6_PKfSB_ii
                                        ; -- End function
	.section	.AMDGPU.csdata,"",@progbits
; Kernel info:
; codeLenInByte = 80
; NumSgprs: 36
; NumVgprs: 50
; ScratchSize: 64
; MemoryBound: 0
; FloatMode: 240
; IeeeMode: 1
; LDSByteSize: 0 bytes/workgroup (compile time only)
; SGPRBlocks: 4
; VGPRBlocks: 6
; NumSGPRsForWavesPerEU: 36
; NumVGPRsForWavesPerEU: 50
; Occupancy: 16
; WaveLimiterHint : 1
; COMPUTE_PGM_RSRC2:SCRATCH_EN: 1
; COMPUTE_PGM_RSRC2:USER_SGPR: 15
; COMPUTE_PGM_RSRC2:TRAP_HANDLER: 0
; COMPUTE_PGM_RSRC2:TGID_X_EN: 1
; COMPUTE_PGM_RSRC2:TGID_Y_EN: 0
; COMPUTE_PGM_RSRC2:TGID_Z_EN: 0
; COMPUTE_PGM_RSRC2:TIDIG_COMP_CNT: 0
	.section	.text._Z17wvSplitKQ_hf_sml_I6__halfN3c1013Float8_e4m3fnELi64ELi2ELi16ELi16ELi2ELi1EEviiiiiiPKT0_S5_PKT_PS6_PKfSB_ii,"axG",@progbits,_Z17wvSplitKQ_hf_sml_I6__halfN3c1013Float8_e4m3fnELi64ELi2ELi16ELi16ELi2ELi1EEviiiiiiPKT0_S5_PKT_PS6_PKfSB_ii,comdat
	.protected	_Z17wvSplitKQ_hf_sml_I6__halfN3c1013Float8_e4m3fnELi64ELi2ELi16ELi16ELi2ELi1EEviiiiiiPKT0_S5_PKT_PS6_PKfSB_ii ; -- Begin function _Z17wvSplitKQ_hf_sml_I6__halfN3c1013Float8_e4m3fnELi64ELi2ELi16ELi16ELi2ELi1EEviiiiiiPKT0_S5_PKT_PS6_PKfSB_ii
	.globl	_Z17wvSplitKQ_hf_sml_I6__halfN3c1013Float8_e4m3fnELi64ELi2ELi16ELi16ELi2ELi1EEviiiiiiPKT0_S5_PKT_PS6_PKfSB_ii
	.p2align	8
	.type	_Z17wvSplitKQ_hf_sml_I6__halfN3c1013Float8_e4m3fnELi64ELi2ELi16ELi16ELi2ELi1EEviiiiiiPKT0_S5_PKT_PS6_PKfSB_ii,@function
_Z17wvSplitKQ_hf_sml_I6__halfN3c1013Float8_e4m3fnELi64ELi2ELi16ELi16ELi2ELi1EEviiiiiiPKT0_S5_PKT_PS6_PKfSB_ii: ; @_Z17wvSplitKQ_hf_sml_I6__halfN3c1013Float8_e4m3fnELi64ELi2ELi16ELi16ELi2ELi1EEviiiiiiPKT0_S5_PKT_PS6_PKfSB_ii
; %bb.0:
	s_add_u32 s8, s0, 0x50
	s_addc_u32 s9, s1, 0
	s_getpc_b64 s[0:1]
	s_add_u32 s0, s0, __PRETTY_FUNCTION__._Z17wvSplitKQ_hf_sml_I6__halfN3c1013Float8_e4m3fnELi64ELi2ELi16ELi16ELi2ELi1EEviiiiiiPKT0_S5_PKT_PS6_PKfSB_ii@rel32@lo+4
	s_addc_u32 s1, s1, __PRETTY_FUNCTION__._Z17wvSplitKQ_hf_sml_I6__halfN3c1013Float8_e4m3fnELi64ELi2ELi16ELi16ELi2ELi1EEviiiiiiPKT0_S5_PKT_PS6_PKfSB_ii@rel32@hi+12
	v_dual_mov_b32 v0, 0x7fa :: v_dual_mov_b32 v1, s0
	v_mov_b32_e32 v2, s1
	s_mov_b32 s32, 0
	s_getpc_b64 s[2:3]
	s_add_u32 s2, s2, __assert_fail@rel32@lo+4
	s_addc_u32 s3, s3, __assert_fail@rel32@hi+12
	s_delay_alu instid0(SALU_CYCLE_1)
	s_swappc_b64 s[30:31], s[2:3]
	.section	.rodata,"a",@progbits
	.p2align	6, 0x0
	.amdhsa_kernel _Z17wvSplitKQ_hf_sml_I6__halfN3c1013Float8_e4m3fnELi64ELi2ELi16ELi16ELi2ELi1EEviiiiiiPKT0_S5_PKT_PS6_PKfSB_ii
		.amdhsa_group_segment_fixed_size 0
		.amdhsa_private_segment_fixed_size 64
		.amdhsa_kernarg_size 336
		.amdhsa_user_sgpr_count 15
		.amdhsa_user_sgpr_dispatch_ptr 0
		.amdhsa_user_sgpr_queue_ptr 0
		.amdhsa_user_sgpr_kernarg_segment_ptr 1
		.amdhsa_user_sgpr_dispatch_id 0
		.amdhsa_user_sgpr_private_segment_size 0
		.amdhsa_wavefront_size32 1
		.amdhsa_uses_dynamic_stack 0
		.amdhsa_enable_private_segment 1
		.amdhsa_system_sgpr_workgroup_id_x 1
		.amdhsa_system_sgpr_workgroup_id_y 0
		.amdhsa_system_sgpr_workgroup_id_z 0
		.amdhsa_system_sgpr_workgroup_info 0
		.amdhsa_system_vgpr_workitem_id 0
		.amdhsa_next_free_vgpr 50
		.amdhsa_next_free_sgpr 34
		.amdhsa_reserve_vcc 1
		.amdhsa_float_round_mode_32 0
		.amdhsa_float_round_mode_16_64 0
		.amdhsa_float_denorm_mode_32 3
		.amdhsa_float_denorm_mode_16_64 3
		.amdhsa_dx10_clamp 1
		.amdhsa_ieee_mode 1
		.amdhsa_fp16_overflow 0
		.amdhsa_workgroup_processor_mode 1
		.amdhsa_memory_ordered 1
		.amdhsa_forward_progress 0
		.amdhsa_shared_vgpr_count 0
		.amdhsa_exception_fp_ieee_invalid_op 0
		.amdhsa_exception_fp_denorm_src 0
		.amdhsa_exception_fp_ieee_div_zero 0
		.amdhsa_exception_fp_ieee_overflow 0
		.amdhsa_exception_fp_ieee_underflow 0
		.amdhsa_exception_fp_ieee_inexact 0
		.amdhsa_exception_int_div_zero 0
	.end_amdhsa_kernel
	.section	.text._Z17wvSplitKQ_hf_sml_I6__halfN3c1013Float8_e4m3fnELi64ELi2ELi16ELi16ELi2ELi1EEviiiiiiPKT0_S5_PKT_PS6_PKfSB_ii,"axG",@progbits,_Z17wvSplitKQ_hf_sml_I6__halfN3c1013Float8_e4m3fnELi64ELi2ELi16ELi16ELi2ELi1EEviiiiiiPKT0_S5_PKT_PS6_PKfSB_ii,comdat
.Lfunc_end340:
	.size	_Z17wvSplitKQ_hf_sml_I6__halfN3c1013Float8_e4m3fnELi64ELi2ELi16ELi16ELi2ELi1EEviiiiiiPKT0_S5_PKT_PS6_PKfSB_ii, .Lfunc_end340-_Z17wvSplitKQ_hf_sml_I6__halfN3c1013Float8_e4m3fnELi64ELi2ELi16ELi16ELi2ELi1EEviiiiiiPKT0_S5_PKT_PS6_PKfSB_ii
                                        ; -- End function
	.section	.AMDGPU.csdata,"",@progbits
; Kernel info:
; codeLenInByte = 80
; NumSgprs: 36
; NumVgprs: 50
; ScratchSize: 64
; MemoryBound: 0
; FloatMode: 240
; IeeeMode: 1
; LDSByteSize: 0 bytes/workgroup (compile time only)
; SGPRBlocks: 4
; VGPRBlocks: 6
; NumSGPRsForWavesPerEU: 36
; NumVGPRsForWavesPerEU: 50
; Occupancy: 16
; WaveLimiterHint : 1
; COMPUTE_PGM_RSRC2:SCRATCH_EN: 1
; COMPUTE_PGM_RSRC2:USER_SGPR: 15
; COMPUTE_PGM_RSRC2:TRAP_HANDLER: 0
; COMPUTE_PGM_RSRC2:TGID_X_EN: 1
; COMPUTE_PGM_RSRC2:TGID_Y_EN: 0
; COMPUTE_PGM_RSRC2:TGID_Z_EN: 0
; COMPUTE_PGM_RSRC2:TIDIG_COMP_CNT: 0
	.section	.text._Z13wvSplitKQ_hf_I6__halfN3c1013Float8_e4m3fnELi64ELi2ELi16ELi16ELi2ELi1EEviiiiiiPKT0_S5_PKT_PS6_PKfSB_ii,"axG",@progbits,_Z13wvSplitKQ_hf_I6__halfN3c1013Float8_e4m3fnELi64ELi2ELi16ELi16ELi2ELi1EEviiiiiiPKT0_S5_PKT_PS6_PKfSB_ii,comdat
	.protected	_Z13wvSplitKQ_hf_I6__halfN3c1013Float8_e4m3fnELi64ELi2ELi16ELi16ELi2ELi1EEviiiiiiPKT0_S5_PKT_PS6_PKfSB_ii ; -- Begin function _Z13wvSplitKQ_hf_I6__halfN3c1013Float8_e4m3fnELi64ELi2ELi16ELi16ELi2ELi1EEviiiiiiPKT0_S5_PKT_PS6_PKfSB_ii
	.globl	_Z13wvSplitKQ_hf_I6__halfN3c1013Float8_e4m3fnELi64ELi2ELi16ELi16ELi2ELi1EEviiiiiiPKT0_S5_PKT_PS6_PKfSB_ii
	.p2align	8
	.type	_Z13wvSplitKQ_hf_I6__halfN3c1013Float8_e4m3fnELi64ELi2ELi16ELi16ELi2ELi1EEviiiiiiPKT0_S5_PKT_PS6_PKfSB_ii,@function
_Z13wvSplitKQ_hf_I6__halfN3c1013Float8_e4m3fnELi64ELi2ELi16ELi16ELi2ELi1EEviiiiiiPKT0_S5_PKT_PS6_PKfSB_ii: ; @_Z13wvSplitKQ_hf_I6__halfN3c1013Float8_e4m3fnELi64ELi2ELi16ELi16ELi2ELi1EEviiiiiiPKT0_S5_PKT_PS6_PKfSB_ii
; %bb.0:
	s_add_u32 s8, s0, 0x50
	s_addc_u32 s9, s1, 0
	s_getpc_b64 s[0:1]
	s_add_u32 s0, s0, __PRETTY_FUNCTION__._Z13wvSplitKQ_hf_I6__halfN3c1013Float8_e4m3fnELi64ELi2ELi16ELi16ELi2ELi1EEviiiiiiPKT0_S5_PKT_PS6_PKfSB_ii@rel32@lo+4
	s_addc_u32 s1, s1, __PRETTY_FUNCTION__._Z13wvSplitKQ_hf_I6__halfN3c1013Float8_e4m3fnELi64ELi2ELi16ELi16ELi2ELi1EEviiiiiiPKT0_S5_PKT_PS6_PKfSB_ii@rel32@hi+12
	v_dual_mov_b32 v0, 0x8bf :: v_dual_mov_b32 v1, s0
	v_mov_b32_e32 v2, s1
	s_mov_b32 s32, 0
	s_getpc_b64 s[2:3]
	s_add_u32 s2, s2, __assert_fail@rel32@lo+4
	s_addc_u32 s3, s3, __assert_fail@rel32@hi+12
	s_delay_alu instid0(SALU_CYCLE_1)
	s_swappc_b64 s[30:31], s[2:3]
	.section	.rodata,"a",@progbits
	.p2align	6, 0x0
	.amdhsa_kernel _Z13wvSplitKQ_hf_I6__halfN3c1013Float8_e4m3fnELi64ELi2ELi16ELi16ELi2ELi1EEviiiiiiPKT0_S5_PKT_PS6_PKfSB_ii
		.amdhsa_group_segment_fixed_size 0
		.amdhsa_private_segment_fixed_size 64
		.amdhsa_kernarg_size 336
		.amdhsa_user_sgpr_count 15
		.amdhsa_user_sgpr_dispatch_ptr 0
		.amdhsa_user_sgpr_queue_ptr 0
		.amdhsa_user_sgpr_kernarg_segment_ptr 1
		.amdhsa_user_sgpr_dispatch_id 0
		.amdhsa_user_sgpr_private_segment_size 0
		.amdhsa_wavefront_size32 1
		.amdhsa_uses_dynamic_stack 0
		.amdhsa_enable_private_segment 1
		.amdhsa_system_sgpr_workgroup_id_x 1
		.amdhsa_system_sgpr_workgroup_id_y 0
		.amdhsa_system_sgpr_workgroup_id_z 0
		.amdhsa_system_sgpr_workgroup_info 0
		.amdhsa_system_vgpr_workitem_id 0
		.amdhsa_next_free_vgpr 50
		.amdhsa_next_free_sgpr 34
		.amdhsa_reserve_vcc 1
		.amdhsa_float_round_mode_32 0
		.amdhsa_float_round_mode_16_64 0
		.amdhsa_float_denorm_mode_32 3
		.amdhsa_float_denorm_mode_16_64 3
		.amdhsa_dx10_clamp 1
		.amdhsa_ieee_mode 1
		.amdhsa_fp16_overflow 0
		.amdhsa_workgroup_processor_mode 1
		.amdhsa_memory_ordered 1
		.amdhsa_forward_progress 0
		.amdhsa_shared_vgpr_count 0
		.amdhsa_exception_fp_ieee_invalid_op 0
		.amdhsa_exception_fp_denorm_src 0
		.amdhsa_exception_fp_ieee_div_zero 0
		.amdhsa_exception_fp_ieee_overflow 0
		.amdhsa_exception_fp_ieee_underflow 0
		.amdhsa_exception_fp_ieee_inexact 0
		.amdhsa_exception_int_div_zero 0
	.end_amdhsa_kernel
	.section	.text._Z13wvSplitKQ_hf_I6__halfN3c1013Float8_e4m3fnELi64ELi2ELi16ELi16ELi2ELi1EEviiiiiiPKT0_S5_PKT_PS6_PKfSB_ii,"axG",@progbits,_Z13wvSplitKQ_hf_I6__halfN3c1013Float8_e4m3fnELi64ELi2ELi16ELi16ELi2ELi1EEviiiiiiPKT0_S5_PKT_PS6_PKfSB_ii,comdat
.Lfunc_end341:
	.size	_Z13wvSplitKQ_hf_I6__halfN3c1013Float8_e4m3fnELi64ELi2ELi16ELi16ELi2ELi1EEviiiiiiPKT0_S5_PKT_PS6_PKfSB_ii, .Lfunc_end341-_Z13wvSplitKQ_hf_I6__halfN3c1013Float8_e4m3fnELi64ELi2ELi16ELi16ELi2ELi1EEviiiiiiPKT0_S5_PKT_PS6_PKfSB_ii
                                        ; -- End function
	.section	.AMDGPU.csdata,"",@progbits
; Kernel info:
; codeLenInByte = 80
; NumSgprs: 36
; NumVgprs: 50
; ScratchSize: 64
; MemoryBound: 0
; FloatMode: 240
; IeeeMode: 1
; LDSByteSize: 0 bytes/workgroup (compile time only)
; SGPRBlocks: 4
; VGPRBlocks: 6
; NumSGPRsForWavesPerEU: 36
; NumVGPRsForWavesPerEU: 50
; Occupancy: 16
; WaveLimiterHint : 1
; COMPUTE_PGM_RSRC2:SCRATCH_EN: 1
; COMPUTE_PGM_RSRC2:USER_SGPR: 15
; COMPUTE_PGM_RSRC2:TRAP_HANDLER: 0
; COMPUTE_PGM_RSRC2:TGID_X_EN: 1
; COMPUTE_PGM_RSRC2:TGID_Y_EN: 0
; COMPUTE_PGM_RSRC2:TGID_Z_EN: 0
; COMPUTE_PGM_RSRC2:TIDIG_COMP_CNT: 0
	.section	.text._Z17wvSplitKQ_hf_sml_I6__halfN3c1013Float8_e4m3fnELi32ELi2ELi16ELi16ELi2ELi2EEviiiiiiPKT0_S5_PKT_PS6_PKfSB_ii,"axG",@progbits,_Z17wvSplitKQ_hf_sml_I6__halfN3c1013Float8_e4m3fnELi32ELi2ELi16ELi16ELi2ELi2EEviiiiiiPKT0_S5_PKT_PS6_PKfSB_ii,comdat
	.protected	_Z17wvSplitKQ_hf_sml_I6__halfN3c1013Float8_e4m3fnELi32ELi2ELi16ELi16ELi2ELi2EEviiiiiiPKT0_S5_PKT_PS6_PKfSB_ii ; -- Begin function _Z17wvSplitKQ_hf_sml_I6__halfN3c1013Float8_e4m3fnELi32ELi2ELi16ELi16ELi2ELi2EEviiiiiiPKT0_S5_PKT_PS6_PKfSB_ii
	.globl	_Z17wvSplitKQ_hf_sml_I6__halfN3c1013Float8_e4m3fnELi32ELi2ELi16ELi16ELi2ELi2EEviiiiiiPKT0_S5_PKT_PS6_PKfSB_ii
	.p2align	8
	.type	_Z17wvSplitKQ_hf_sml_I6__halfN3c1013Float8_e4m3fnELi32ELi2ELi16ELi16ELi2ELi2EEviiiiiiPKT0_S5_PKT_PS6_PKfSB_ii,@function
_Z17wvSplitKQ_hf_sml_I6__halfN3c1013Float8_e4m3fnELi32ELi2ELi16ELi16ELi2ELi2EEviiiiiiPKT0_S5_PKT_PS6_PKfSB_ii: ; @_Z17wvSplitKQ_hf_sml_I6__halfN3c1013Float8_e4m3fnELi32ELi2ELi16ELi16ELi2ELi2EEviiiiiiPKT0_S5_PKT_PS6_PKfSB_ii
; %bb.0:
	s_add_u32 s8, s0, 0x50
	s_addc_u32 s9, s1, 0
	s_getpc_b64 s[0:1]
	s_add_u32 s0, s0, __PRETTY_FUNCTION__._Z17wvSplitKQ_hf_sml_I6__halfN3c1013Float8_e4m3fnELi32ELi2ELi16ELi16ELi2ELi2EEviiiiiiPKT0_S5_PKT_PS6_PKfSB_ii@rel32@lo+4
	s_addc_u32 s1, s1, __PRETTY_FUNCTION__._Z17wvSplitKQ_hf_sml_I6__halfN3c1013Float8_e4m3fnELi32ELi2ELi16ELi16ELi2ELi2EEviiiiiiPKT0_S5_PKT_PS6_PKfSB_ii@rel32@hi+12
	v_dual_mov_b32 v0, 0x7fa :: v_dual_mov_b32 v1, s0
	v_mov_b32_e32 v2, s1
	s_mov_b32 s32, 0
	s_getpc_b64 s[2:3]
	s_add_u32 s2, s2, __assert_fail@rel32@lo+4
	s_addc_u32 s3, s3, __assert_fail@rel32@hi+12
	s_delay_alu instid0(SALU_CYCLE_1)
	s_swappc_b64 s[30:31], s[2:3]
	.section	.rodata,"a",@progbits
	.p2align	6, 0x0
	.amdhsa_kernel _Z17wvSplitKQ_hf_sml_I6__halfN3c1013Float8_e4m3fnELi32ELi2ELi16ELi16ELi2ELi2EEviiiiiiPKT0_S5_PKT_PS6_PKfSB_ii
		.amdhsa_group_segment_fixed_size 0
		.amdhsa_private_segment_fixed_size 64
		.amdhsa_kernarg_size 336
		.amdhsa_user_sgpr_count 15
		.amdhsa_user_sgpr_dispatch_ptr 0
		.amdhsa_user_sgpr_queue_ptr 0
		.amdhsa_user_sgpr_kernarg_segment_ptr 1
		.amdhsa_user_sgpr_dispatch_id 0
		.amdhsa_user_sgpr_private_segment_size 0
		.amdhsa_wavefront_size32 1
		.amdhsa_uses_dynamic_stack 0
		.amdhsa_enable_private_segment 1
		.amdhsa_system_sgpr_workgroup_id_x 1
		.amdhsa_system_sgpr_workgroup_id_y 0
		.amdhsa_system_sgpr_workgroup_id_z 0
		.amdhsa_system_sgpr_workgroup_info 0
		.amdhsa_system_vgpr_workitem_id 0
		.amdhsa_next_free_vgpr 50
		.amdhsa_next_free_sgpr 34
		.amdhsa_reserve_vcc 1
		.amdhsa_float_round_mode_32 0
		.amdhsa_float_round_mode_16_64 0
		.amdhsa_float_denorm_mode_32 3
		.amdhsa_float_denorm_mode_16_64 3
		.amdhsa_dx10_clamp 1
		.amdhsa_ieee_mode 1
		.amdhsa_fp16_overflow 0
		.amdhsa_workgroup_processor_mode 1
		.amdhsa_memory_ordered 1
		.amdhsa_forward_progress 0
		.amdhsa_shared_vgpr_count 0
		.amdhsa_exception_fp_ieee_invalid_op 0
		.amdhsa_exception_fp_denorm_src 0
		.amdhsa_exception_fp_ieee_div_zero 0
		.amdhsa_exception_fp_ieee_overflow 0
		.amdhsa_exception_fp_ieee_underflow 0
		.amdhsa_exception_fp_ieee_inexact 0
		.amdhsa_exception_int_div_zero 0
	.end_amdhsa_kernel
	.section	.text._Z17wvSplitKQ_hf_sml_I6__halfN3c1013Float8_e4m3fnELi32ELi2ELi16ELi16ELi2ELi2EEviiiiiiPKT0_S5_PKT_PS6_PKfSB_ii,"axG",@progbits,_Z17wvSplitKQ_hf_sml_I6__halfN3c1013Float8_e4m3fnELi32ELi2ELi16ELi16ELi2ELi2EEviiiiiiPKT0_S5_PKT_PS6_PKfSB_ii,comdat
.Lfunc_end342:
	.size	_Z17wvSplitKQ_hf_sml_I6__halfN3c1013Float8_e4m3fnELi32ELi2ELi16ELi16ELi2ELi2EEviiiiiiPKT0_S5_PKT_PS6_PKfSB_ii, .Lfunc_end342-_Z17wvSplitKQ_hf_sml_I6__halfN3c1013Float8_e4m3fnELi32ELi2ELi16ELi16ELi2ELi2EEviiiiiiPKT0_S5_PKT_PS6_PKfSB_ii
                                        ; -- End function
	.section	.AMDGPU.csdata,"",@progbits
; Kernel info:
; codeLenInByte = 80
; NumSgprs: 36
; NumVgprs: 50
; ScratchSize: 64
; MemoryBound: 0
; FloatMode: 240
; IeeeMode: 1
; LDSByteSize: 0 bytes/workgroup (compile time only)
; SGPRBlocks: 4
; VGPRBlocks: 6
; NumSGPRsForWavesPerEU: 36
; NumVGPRsForWavesPerEU: 50
; Occupancy: 16
; WaveLimiterHint : 1
; COMPUTE_PGM_RSRC2:SCRATCH_EN: 1
; COMPUTE_PGM_RSRC2:USER_SGPR: 15
; COMPUTE_PGM_RSRC2:TRAP_HANDLER: 0
; COMPUTE_PGM_RSRC2:TGID_X_EN: 1
; COMPUTE_PGM_RSRC2:TGID_Y_EN: 0
; COMPUTE_PGM_RSRC2:TGID_Z_EN: 0
; COMPUTE_PGM_RSRC2:TIDIG_COMP_CNT: 0
	.section	.text._Z13wvSplitKQ_hf_I6__halfN3c1013Float8_e4m3fnELi32ELi2ELi16ELi16ELi2ELi2EEviiiiiiPKT0_S5_PKT_PS6_PKfSB_ii,"axG",@progbits,_Z13wvSplitKQ_hf_I6__halfN3c1013Float8_e4m3fnELi32ELi2ELi16ELi16ELi2ELi2EEviiiiiiPKT0_S5_PKT_PS6_PKfSB_ii,comdat
	.protected	_Z13wvSplitKQ_hf_I6__halfN3c1013Float8_e4m3fnELi32ELi2ELi16ELi16ELi2ELi2EEviiiiiiPKT0_S5_PKT_PS6_PKfSB_ii ; -- Begin function _Z13wvSplitKQ_hf_I6__halfN3c1013Float8_e4m3fnELi32ELi2ELi16ELi16ELi2ELi2EEviiiiiiPKT0_S5_PKT_PS6_PKfSB_ii
	.globl	_Z13wvSplitKQ_hf_I6__halfN3c1013Float8_e4m3fnELi32ELi2ELi16ELi16ELi2ELi2EEviiiiiiPKT0_S5_PKT_PS6_PKfSB_ii
	.p2align	8
	.type	_Z13wvSplitKQ_hf_I6__halfN3c1013Float8_e4m3fnELi32ELi2ELi16ELi16ELi2ELi2EEviiiiiiPKT0_S5_PKT_PS6_PKfSB_ii,@function
_Z13wvSplitKQ_hf_I6__halfN3c1013Float8_e4m3fnELi32ELi2ELi16ELi16ELi2ELi2EEviiiiiiPKT0_S5_PKT_PS6_PKfSB_ii: ; @_Z13wvSplitKQ_hf_I6__halfN3c1013Float8_e4m3fnELi32ELi2ELi16ELi16ELi2ELi2EEviiiiiiPKT0_S5_PKT_PS6_PKfSB_ii
; %bb.0:
	s_add_u32 s8, s0, 0x50
	s_addc_u32 s9, s1, 0
	s_getpc_b64 s[0:1]
	s_add_u32 s0, s0, __PRETTY_FUNCTION__._Z13wvSplitKQ_hf_I6__halfN3c1013Float8_e4m3fnELi32ELi2ELi16ELi16ELi2ELi2EEviiiiiiPKT0_S5_PKT_PS6_PKfSB_ii@rel32@lo+4
	s_addc_u32 s1, s1, __PRETTY_FUNCTION__._Z13wvSplitKQ_hf_I6__halfN3c1013Float8_e4m3fnELi32ELi2ELi16ELi16ELi2ELi2EEviiiiiiPKT0_S5_PKT_PS6_PKfSB_ii@rel32@hi+12
	v_dual_mov_b32 v0, 0x8bf :: v_dual_mov_b32 v1, s0
	v_mov_b32_e32 v2, s1
	s_mov_b32 s32, 0
	s_getpc_b64 s[2:3]
	s_add_u32 s2, s2, __assert_fail@rel32@lo+4
	s_addc_u32 s3, s3, __assert_fail@rel32@hi+12
	s_delay_alu instid0(SALU_CYCLE_1)
	s_swappc_b64 s[30:31], s[2:3]
	.section	.rodata,"a",@progbits
	.p2align	6, 0x0
	.amdhsa_kernel _Z13wvSplitKQ_hf_I6__halfN3c1013Float8_e4m3fnELi32ELi2ELi16ELi16ELi2ELi2EEviiiiiiPKT0_S5_PKT_PS6_PKfSB_ii
		.amdhsa_group_segment_fixed_size 0
		.amdhsa_private_segment_fixed_size 64
		.amdhsa_kernarg_size 336
		.amdhsa_user_sgpr_count 15
		.amdhsa_user_sgpr_dispatch_ptr 0
		.amdhsa_user_sgpr_queue_ptr 0
		.amdhsa_user_sgpr_kernarg_segment_ptr 1
		.amdhsa_user_sgpr_dispatch_id 0
		.amdhsa_user_sgpr_private_segment_size 0
		.amdhsa_wavefront_size32 1
		.amdhsa_uses_dynamic_stack 0
		.amdhsa_enable_private_segment 1
		.amdhsa_system_sgpr_workgroup_id_x 1
		.amdhsa_system_sgpr_workgroup_id_y 0
		.amdhsa_system_sgpr_workgroup_id_z 0
		.amdhsa_system_sgpr_workgroup_info 0
		.amdhsa_system_vgpr_workitem_id 0
		.amdhsa_next_free_vgpr 50
		.amdhsa_next_free_sgpr 34
		.amdhsa_reserve_vcc 1
		.amdhsa_float_round_mode_32 0
		.amdhsa_float_round_mode_16_64 0
		.amdhsa_float_denorm_mode_32 3
		.amdhsa_float_denorm_mode_16_64 3
		.amdhsa_dx10_clamp 1
		.amdhsa_ieee_mode 1
		.amdhsa_fp16_overflow 0
		.amdhsa_workgroup_processor_mode 1
		.amdhsa_memory_ordered 1
		.amdhsa_forward_progress 0
		.amdhsa_shared_vgpr_count 0
		.amdhsa_exception_fp_ieee_invalid_op 0
		.amdhsa_exception_fp_denorm_src 0
		.amdhsa_exception_fp_ieee_div_zero 0
		.amdhsa_exception_fp_ieee_overflow 0
		.amdhsa_exception_fp_ieee_underflow 0
		.amdhsa_exception_fp_ieee_inexact 0
		.amdhsa_exception_int_div_zero 0
	.end_amdhsa_kernel
	.section	.text._Z13wvSplitKQ_hf_I6__halfN3c1013Float8_e4m3fnELi32ELi2ELi16ELi16ELi2ELi2EEviiiiiiPKT0_S5_PKT_PS6_PKfSB_ii,"axG",@progbits,_Z13wvSplitKQ_hf_I6__halfN3c1013Float8_e4m3fnELi32ELi2ELi16ELi16ELi2ELi2EEviiiiiiPKT0_S5_PKT_PS6_PKfSB_ii,comdat
.Lfunc_end343:
	.size	_Z13wvSplitKQ_hf_I6__halfN3c1013Float8_e4m3fnELi32ELi2ELi16ELi16ELi2ELi2EEviiiiiiPKT0_S5_PKT_PS6_PKfSB_ii, .Lfunc_end343-_Z13wvSplitKQ_hf_I6__halfN3c1013Float8_e4m3fnELi32ELi2ELi16ELi16ELi2ELi2EEviiiiiiPKT0_S5_PKT_PS6_PKfSB_ii
                                        ; -- End function
	.section	.AMDGPU.csdata,"",@progbits
; Kernel info:
; codeLenInByte = 80
; NumSgprs: 36
; NumVgprs: 50
; ScratchSize: 64
; MemoryBound: 0
; FloatMode: 240
; IeeeMode: 1
; LDSByteSize: 0 bytes/workgroup (compile time only)
; SGPRBlocks: 4
; VGPRBlocks: 6
; NumSGPRsForWavesPerEU: 36
; NumVGPRsForWavesPerEU: 50
; Occupancy: 16
; WaveLimiterHint : 1
; COMPUTE_PGM_RSRC2:SCRATCH_EN: 1
; COMPUTE_PGM_RSRC2:USER_SGPR: 15
; COMPUTE_PGM_RSRC2:TRAP_HANDLER: 0
; COMPUTE_PGM_RSRC2:TGID_X_EN: 1
; COMPUTE_PGM_RSRC2:TGID_Y_EN: 0
; COMPUTE_PGM_RSRC2:TGID_Z_EN: 0
; COMPUTE_PGM_RSRC2:TIDIG_COMP_CNT: 0
	.section	.text._Z17wvSplitKQ_hf_sml_I6__halfN3c1013Float8_e4m3fnELi64ELi2ELi16ELi16ELi2ELi2EEviiiiiiPKT0_S5_PKT_PS6_PKfSB_ii,"axG",@progbits,_Z17wvSplitKQ_hf_sml_I6__halfN3c1013Float8_e4m3fnELi64ELi2ELi16ELi16ELi2ELi2EEviiiiiiPKT0_S5_PKT_PS6_PKfSB_ii,comdat
	.protected	_Z17wvSplitKQ_hf_sml_I6__halfN3c1013Float8_e4m3fnELi64ELi2ELi16ELi16ELi2ELi2EEviiiiiiPKT0_S5_PKT_PS6_PKfSB_ii ; -- Begin function _Z17wvSplitKQ_hf_sml_I6__halfN3c1013Float8_e4m3fnELi64ELi2ELi16ELi16ELi2ELi2EEviiiiiiPKT0_S5_PKT_PS6_PKfSB_ii
	.globl	_Z17wvSplitKQ_hf_sml_I6__halfN3c1013Float8_e4m3fnELi64ELi2ELi16ELi16ELi2ELi2EEviiiiiiPKT0_S5_PKT_PS6_PKfSB_ii
	.p2align	8
	.type	_Z17wvSplitKQ_hf_sml_I6__halfN3c1013Float8_e4m3fnELi64ELi2ELi16ELi16ELi2ELi2EEviiiiiiPKT0_S5_PKT_PS6_PKfSB_ii,@function
_Z17wvSplitKQ_hf_sml_I6__halfN3c1013Float8_e4m3fnELi64ELi2ELi16ELi16ELi2ELi2EEviiiiiiPKT0_S5_PKT_PS6_PKfSB_ii: ; @_Z17wvSplitKQ_hf_sml_I6__halfN3c1013Float8_e4m3fnELi64ELi2ELi16ELi16ELi2ELi2EEviiiiiiPKT0_S5_PKT_PS6_PKfSB_ii
; %bb.0:
	s_add_u32 s8, s0, 0x50
	s_addc_u32 s9, s1, 0
	s_getpc_b64 s[0:1]
	s_add_u32 s0, s0, __PRETTY_FUNCTION__._Z17wvSplitKQ_hf_sml_I6__halfN3c1013Float8_e4m3fnELi64ELi2ELi16ELi16ELi2ELi2EEviiiiiiPKT0_S5_PKT_PS6_PKfSB_ii@rel32@lo+4
	s_addc_u32 s1, s1, __PRETTY_FUNCTION__._Z17wvSplitKQ_hf_sml_I6__halfN3c1013Float8_e4m3fnELi64ELi2ELi16ELi16ELi2ELi2EEviiiiiiPKT0_S5_PKT_PS6_PKfSB_ii@rel32@hi+12
	v_dual_mov_b32 v0, 0x7fa :: v_dual_mov_b32 v1, s0
	v_mov_b32_e32 v2, s1
	s_mov_b32 s32, 0
	s_getpc_b64 s[2:3]
	s_add_u32 s2, s2, __assert_fail@rel32@lo+4
	s_addc_u32 s3, s3, __assert_fail@rel32@hi+12
	s_delay_alu instid0(SALU_CYCLE_1)
	s_swappc_b64 s[30:31], s[2:3]
	.section	.rodata,"a",@progbits
	.p2align	6, 0x0
	.amdhsa_kernel _Z17wvSplitKQ_hf_sml_I6__halfN3c1013Float8_e4m3fnELi64ELi2ELi16ELi16ELi2ELi2EEviiiiiiPKT0_S5_PKT_PS6_PKfSB_ii
		.amdhsa_group_segment_fixed_size 0
		.amdhsa_private_segment_fixed_size 64
		.amdhsa_kernarg_size 336
		.amdhsa_user_sgpr_count 15
		.amdhsa_user_sgpr_dispatch_ptr 0
		.amdhsa_user_sgpr_queue_ptr 0
		.amdhsa_user_sgpr_kernarg_segment_ptr 1
		.amdhsa_user_sgpr_dispatch_id 0
		.amdhsa_user_sgpr_private_segment_size 0
		.amdhsa_wavefront_size32 1
		.amdhsa_uses_dynamic_stack 0
		.amdhsa_enable_private_segment 1
		.amdhsa_system_sgpr_workgroup_id_x 1
		.amdhsa_system_sgpr_workgroup_id_y 0
		.amdhsa_system_sgpr_workgroup_id_z 0
		.amdhsa_system_sgpr_workgroup_info 0
		.amdhsa_system_vgpr_workitem_id 0
		.amdhsa_next_free_vgpr 50
		.amdhsa_next_free_sgpr 34
		.amdhsa_reserve_vcc 1
		.amdhsa_float_round_mode_32 0
		.amdhsa_float_round_mode_16_64 0
		.amdhsa_float_denorm_mode_32 3
		.amdhsa_float_denorm_mode_16_64 3
		.amdhsa_dx10_clamp 1
		.amdhsa_ieee_mode 1
		.amdhsa_fp16_overflow 0
		.amdhsa_workgroup_processor_mode 1
		.amdhsa_memory_ordered 1
		.amdhsa_forward_progress 0
		.amdhsa_shared_vgpr_count 0
		.amdhsa_exception_fp_ieee_invalid_op 0
		.amdhsa_exception_fp_denorm_src 0
		.amdhsa_exception_fp_ieee_div_zero 0
		.amdhsa_exception_fp_ieee_overflow 0
		.amdhsa_exception_fp_ieee_underflow 0
		.amdhsa_exception_fp_ieee_inexact 0
		.amdhsa_exception_int_div_zero 0
	.end_amdhsa_kernel
	.section	.text._Z17wvSplitKQ_hf_sml_I6__halfN3c1013Float8_e4m3fnELi64ELi2ELi16ELi16ELi2ELi2EEviiiiiiPKT0_S5_PKT_PS6_PKfSB_ii,"axG",@progbits,_Z17wvSplitKQ_hf_sml_I6__halfN3c1013Float8_e4m3fnELi64ELi2ELi16ELi16ELi2ELi2EEviiiiiiPKT0_S5_PKT_PS6_PKfSB_ii,comdat
.Lfunc_end344:
	.size	_Z17wvSplitKQ_hf_sml_I6__halfN3c1013Float8_e4m3fnELi64ELi2ELi16ELi16ELi2ELi2EEviiiiiiPKT0_S5_PKT_PS6_PKfSB_ii, .Lfunc_end344-_Z17wvSplitKQ_hf_sml_I6__halfN3c1013Float8_e4m3fnELi64ELi2ELi16ELi16ELi2ELi2EEviiiiiiPKT0_S5_PKT_PS6_PKfSB_ii
                                        ; -- End function
	.section	.AMDGPU.csdata,"",@progbits
; Kernel info:
; codeLenInByte = 80
; NumSgprs: 36
; NumVgprs: 50
; ScratchSize: 64
; MemoryBound: 0
; FloatMode: 240
; IeeeMode: 1
; LDSByteSize: 0 bytes/workgroup (compile time only)
; SGPRBlocks: 4
; VGPRBlocks: 6
; NumSGPRsForWavesPerEU: 36
; NumVGPRsForWavesPerEU: 50
; Occupancy: 16
; WaveLimiterHint : 1
; COMPUTE_PGM_RSRC2:SCRATCH_EN: 1
; COMPUTE_PGM_RSRC2:USER_SGPR: 15
; COMPUTE_PGM_RSRC2:TRAP_HANDLER: 0
; COMPUTE_PGM_RSRC2:TGID_X_EN: 1
; COMPUTE_PGM_RSRC2:TGID_Y_EN: 0
; COMPUTE_PGM_RSRC2:TGID_Z_EN: 0
; COMPUTE_PGM_RSRC2:TIDIG_COMP_CNT: 0
	.section	.text._Z13wvSplitKQ_hf_I6__halfN3c1013Float8_e4m3fnELi64ELi2ELi16ELi16ELi2ELi2EEviiiiiiPKT0_S5_PKT_PS6_PKfSB_ii,"axG",@progbits,_Z13wvSplitKQ_hf_I6__halfN3c1013Float8_e4m3fnELi64ELi2ELi16ELi16ELi2ELi2EEviiiiiiPKT0_S5_PKT_PS6_PKfSB_ii,comdat
	.protected	_Z13wvSplitKQ_hf_I6__halfN3c1013Float8_e4m3fnELi64ELi2ELi16ELi16ELi2ELi2EEviiiiiiPKT0_S5_PKT_PS6_PKfSB_ii ; -- Begin function _Z13wvSplitKQ_hf_I6__halfN3c1013Float8_e4m3fnELi64ELi2ELi16ELi16ELi2ELi2EEviiiiiiPKT0_S5_PKT_PS6_PKfSB_ii
	.globl	_Z13wvSplitKQ_hf_I6__halfN3c1013Float8_e4m3fnELi64ELi2ELi16ELi16ELi2ELi2EEviiiiiiPKT0_S5_PKT_PS6_PKfSB_ii
	.p2align	8
	.type	_Z13wvSplitKQ_hf_I6__halfN3c1013Float8_e4m3fnELi64ELi2ELi16ELi16ELi2ELi2EEviiiiiiPKT0_S5_PKT_PS6_PKfSB_ii,@function
_Z13wvSplitKQ_hf_I6__halfN3c1013Float8_e4m3fnELi64ELi2ELi16ELi16ELi2ELi2EEviiiiiiPKT0_S5_PKT_PS6_PKfSB_ii: ; @_Z13wvSplitKQ_hf_I6__halfN3c1013Float8_e4m3fnELi64ELi2ELi16ELi16ELi2ELi2EEviiiiiiPKT0_S5_PKT_PS6_PKfSB_ii
; %bb.0:
	s_add_u32 s8, s0, 0x50
	s_addc_u32 s9, s1, 0
	s_getpc_b64 s[0:1]
	s_add_u32 s0, s0, __PRETTY_FUNCTION__._Z13wvSplitKQ_hf_I6__halfN3c1013Float8_e4m3fnELi64ELi2ELi16ELi16ELi2ELi2EEviiiiiiPKT0_S5_PKT_PS6_PKfSB_ii@rel32@lo+4
	s_addc_u32 s1, s1, __PRETTY_FUNCTION__._Z13wvSplitKQ_hf_I6__halfN3c1013Float8_e4m3fnELi64ELi2ELi16ELi16ELi2ELi2EEviiiiiiPKT0_S5_PKT_PS6_PKfSB_ii@rel32@hi+12
	v_dual_mov_b32 v0, 0x8bf :: v_dual_mov_b32 v1, s0
	v_mov_b32_e32 v2, s1
	s_mov_b32 s32, 0
	s_getpc_b64 s[2:3]
	s_add_u32 s2, s2, __assert_fail@rel32@lo+4
	s_addc_u32 s3, s3, __assert_fail@rel32@hi+12
	s_delay_alu instid0(SALU_CYCLE_1)
	s_swappc_b64 s[30:31], s[2:3]
	.section	.rodata,"a",@progbits
	.p2align	6, 0x0
	.amdhsa_kernel _Z13wvSplitKQ_hf_I6__halfN3c1013Float8_e4m3fnELi64ELi2ELi16ELi16ELi2ELi2EEviiiiiiPKT0_S5_PKT_PS6_PKfSB_ii
		.amdhsa_group_segment_fixed_size 0
		.amdhsa_private_segment_fixed_size 64
		.amdhsa_kernarg_size 336
		.amdhsa_user_sgpr_count 15
		.amdhsa_user_sgpr_dispatch_ptr 0
		.amdhsa_user_sgpr_queue_ptr 0
		.amdhsa_user_sgpr_kernarg_segment_ptr 1
		.amdhsa_user_sgpr_dispatch_id 0
		.amdhsa_user_sgpr_private_segment_size 0
		.amdhsa_wavefront_size32 1
		.amdhsa_uses_dynamic_stack 0
		.amdhsa_enable_private_segment 1
		.amdhsa_system_sgpr_workgroup_id_x 1
		.amdhsa_system_sgpr_workgroup_id_y 0
		.amdhsa_system_sgpr_workgroup_id_z 0
		.amdhsa_system_sgpr_workgroup_info 0
		.amdhsa_system_vgpr_workitem_id 0
		.amdhsa_next_free_vgpr 50
		.amdhsa_next_free_sgpr 34
		.amdhsa_reserve_vcc 1
		.amdhsa_float_round_mode_32 0
		.amdhsa_float_round_mode_16_64 0
		.amdhsa_float_denorm_mode_32 3
		.amdhsa_float_denorm_mode_16_64 3
		.amdhsa_dx10_clamp 1
		.amdhsa_ieee_mode 1
		.amdhsa_fp16_overflow 0
		.amdhsa_workgroup_processor_mode 1
		.amdhsa_memory_ordered 1
		.amdhsa_forward_progress 0
		.amdhsa_shared_vgpr_count 0
		.amdhsa_exception_fp_ieee_invalid_op 0
		.amdhsa_exception_fp_denorm_src 0
		.amdhsa_exception_fp_ieee_div_zero 0
		.amdhsa_exception_fp_ieee_overflow 0
		.amdhsa_exception_fp_ieee_underflow 0
		.amdhsa_exception_fp_ieee_inexact 0
		.amdhsa_exception_int_div_zero 0
	.end_amdhsa_kernel
	.section	.text._Z13wvSplitKQ_hf_I6__halfN3c1013Float8_e4m3fnELi64ELi2ELi16ELi16ELi2ELi2EEviiiiiiPKT0_S5_PKT_PS6_PKfSB_ii,"axG",@progbits,_Z13wvSplitKQ_hf_I6__halfN3c1013Float8_e4m3fnELi64ELi2ELi16ELi16ELi2ELi2EEviiiiiiPKT0_S5_PKT_PS6_PKfSB_ii,comdat
.Lfunc_end345:
	.size	_Z13wvSplitKQ_hf_I6__halfN3c1013Float8_e4m3fnELi64ELi2ELi16ELi16ELi2ELi2EEviiiiiiPKT0_S5_PKT_PS6_PKfSB_ii, .Lfunc_end345-_Z13wvSplitKQ_hf_I6__halfN3c1013Float8_e4m3fnELi64ELi2ELi16ELi16ELi2ELi2EEviiiiiiPKT0_S5_PKT_PS6_PKfSB_ii
                                        ; -- End function
	.section	.AMDGPU.csdata,"",@progbits
; Kernel info:
; codeLenInByte = 80
; NumSgprs: 36
; NumVgprs: 50
; ScratchSize: 64
; MemoryBound: 0
; FloatMode: 240
; IeeeMode: 1
; LDSByteSize: 0 bytes/workgroup (compile time only)
; SGPRBlocks: 4
; VGPRBlocks: 6
; NumSGPRsForWavesPerEU: 36
; NumVGPRsForWavesPerEU: 50
; Occupancy: 16
; WaveLimiterHint : 1
; COMPUTE_PGM_RSRC2:SCRATCH_EN: 1
; COMPUTE_PGM_RSRC2:USER_SGPR: 15
; COMPUTE_PGM_RSRC2:TRAP_HANDLER: 0
; COMPUTE_PGM_RSRC2:TGID_X_EN: 1
; COMPUTE_PGM_RSRC2:TGID_Y_EN: 0
; COMPUTE_PGM_RSRC2:TGID_Z_EN: 0
; COMPUTE_PGM_RSRC2:TIDIG_COMP_CNT: 0
	.section	.text._Z17wvSplitKQ_hf_sml_I6__halfN3c1013Float8_e4m3fnELi32ELi2ELi16ELi16ELi1ELi3EEviiiiiiPKT0_S5_PKT_PS6_PKfSB_ii,"axG",@progbits,_Z17wvSplitKQ_hf_sml_I6__halfN3c1013Float8_e4m3fnELi32ELi2ELi16ELi16ELi1ELi3EEviiiiiiPKT0_S5_PKT_PS6_PKfSB_ii,comdat
	.protected	_Z17wvSplitKQ_hf_sml_I6__halfN3c1013Float8_e4m3fnELi32ELi2ELi16ELi16ELi1ELi3EEviiiiiiPKT0_S5_PKT_PS6_PKfSB_ii ; -- Begin function _Z17wvSplitKQ_hf_sml_I6__halfN3c1013Float8_e4m3fnELi32ELi2ELi16ELi16ELi1ELi3EEviiiiiiPKT0_S5_PKT_PS6_PKfSB_ii
	.globl	_Z17wvSplitKQ_hf_sml_I6__halfN3c1013Float8_e4m3fnELi32ELi2ELi16ELi16ELi1ELi3EEviiiiiiPKT0_S5_PKT_PS6_PKfSB_ii
	.p2align	8
	.type	_Z17wvSplitKQ_hf_sml_I6__halfN3c1013Float8_e4m3fnELi32ELi2ELi16ELi16ELi1ELi3EEviiiiiiPKT0_S5_PKT_PS6_PKfSB_ii,@function
_Z17wvSplitKQ_hf_sml_I6__halfN3c1013Float8_e4m3fnELi32ELi2ELi16ELi16ELi1ELi3EEviiiiiiPKT0_S5_PKT_PS6_PKfSB_ii: ; @_Z17wvSplitKQ_hf_sml_I6__halfN3c1013Float8_e4m3fnELi32ELi2ELi16ELi16ELi1ELi3EEviiiiiiPKT0_S5_PKT_PS6_PKfSB_ii
; %bb.0:
	s_add_u32 s8, s0, 0x50
	s_addc_u32 s9, s1, 0
	s_getpc_b64 s[0:1]
	s_add_u32 s0, s0, __PRETTY_FUNCTION__._Z17wvSplitKQ_hf_sml_I6__halfN3c1013Float8_e4m3fnELi32ELi2ELi16ELi16ELi1ELi3EEviiiiiiPKT0_S5_PKT_PS6_PKfSB_ii@rel32@lo+4
	s_addc_u32 s1, s1, __PRETTY_FUNCTION__._Z17wvSplitKQ_hf_sml_I6__halfN3c1013Float8_e4m3fnELi32ELi2ELi16ELi16ELi1ELi3EEviiiiiiPKT0_S5_PKT_PS6_PKfSB_ii@rel32@hi+12
	v_dual_mov_b32 v0, 0x7fa :: v_dual_mov_b32 v1, s0
	v_mov_b32_e32 v2, s1
	s_mov_b32 s32, 0
	s_getpc_b64 s[2:3]
	s_add_u32 s2, s2, __assert_fail@rel32@lo+4
	s_addc_u32 s3, s3, __assert_fail@rel32@hi+12
	s_delay_alu instid0(SALU_CYCLE_1)
	s_swappc_b64 s[30:31], s[2:3]
	.section	.rodata,"a",@progbits
	.p2align	6, 0x0
	.amdhsa_kernel _Z17wvSplitKQ_hf_sml_I6__halfN3c1013Float8_e4m3fnELi32ELi2ELi16ELi16ELi1ELi3EEviiiiiiPKT0_S5_PKT_PS6_PKfSB_ii
		.amdhsa_group_segment_fixed_size 0
		.amdhsa_private_segment_fixed_size 64
		.amdhsa_kernarg_size 336
		.amdhsa_user_sgpr_count 15
		.amdhsa_user_sgpr_dispatch_ptr 0
		.amdhsa_user_sgpr_queue_ptr 0
		.amdhsa_user_sgpr_kernarg_segment_ptr 1
		.amdhsa_user_sgpr_dispatch_id 0
		.amdhsa_user_sgpr_private_segment_size 0
		.amdhsa_wavefront_size32 1
		.amdhsa_uses_dynamic_stack 0
		.amdhsa_enable_private_segment 1
		.amdhsa_system_sgpr_workgroup_id_x 1
		.amdhsa_system_sgpr_workgroup_id_y 0
		.amdhsa_system_sgpr_workgroup_id_z 0
		.amdhsa_system_sgpr_workgroup_info 0
		.amdhsa_system_vgpr_workitem_id 0
		.amdhsa_next_free_vgpr 50
		.amdhsa_next_free_sgpr 34
		.amdhsa_reserve_vcc 1
		.amdhsa_float_round_mode_32 0
		.amdhsa_float_round_mode_16_64 0
		.amdhsa_float_denorm_mode_32 3
		.amdhsa_float_denorm_mode_16_64 3
		.amdhsa_dx10_clamp 1
		.amdhsa_ieee_mode 1
		.amdhsa_fp16_overflow 0
		.amdhsa_workgroup_processor_mode 1
		.amdhsa_memory_ordered 1
		.amdhsa_forward_progress 0
		.amdhsa_shared_vgpr_count 0
		.amdhsa_exception_fp_ieee_invalid_op 0
		.amdhsa_exception_fp_denorm_src 0
		.amdhsa_exception_fp_ieee_div_zero 0
		.amdhsa_exception_fp_ieee_overflow 0
		.amdhsa_exception_fp_ieee_underflow 0
		.amdhsa_exception_fp_ieee_inexact 0
		.amdhsa_exception_int_div_zero 0
	.end_amdhsa_kernel
	.section	.text._Z17wvSplitKQ_hf_sml_I6__halfN3c1013Float8_e4m3fnELi32ELi2ELi16ELi16ELi1ELi3EEviiiiiiPKT0_S5_PKT_PS6_PKfSB_ii,"axG",@progbits,_Z17wvSplitKQ_hf_sml_I6__halfN3c1013Float8_e4m3fnELi32ELi2ELi16ELi16ELi1ELi3EEviiiiiiPKT0_S5_PKT_PS6_PKfSB_ii,comdat
.Lfunc_end346:
	.size	_Z17wvSplitKQ_hf_sml_I6__halfN3c1013Float8_e4m3fnELi32ELi2ELi16ELi16ELi1ELi3EEviiiiiiPKT0_S5_PKT_PS6_PKfSB_ii, .Lfunc_end346-_Z17wvSplitKQ_hf_sml_I6__halfN3c1013Float8_e4m3fnELi32ELi2ELi16ELi16ELi1ELi3EEviiiiiiPKT0_S5_PKT_PS6_PKfSB_ii
                                        ; -- End function
	.section	.AMDGPU.csdata,"",@progbits
; Kernel info:
; codeLenInByte = 80
; NumSgprs: 36
; NumVgprs: 50
; ScratchSize: 64
; MemoryBound: 0
; FloatMode: 240
; IeeeMode: 1
; LDSByteSize: 0 bytes/workgroup (compile time only)
; SGPRBlocks: 4
; VGPRBlocks: 6
; NumSGPRsForWavesPerEU: 36
; NumVGPRsForWavesPerEU: 50
; Occupancy: 16
; WaveLimiterHint : 1
; COMPUTE_PGM_RSRC2:SCRATCH_EN: 1
; COMPUTE_PGM_RSRC2:USER_SGPR: 15
; COMPUTE_PGM_RSRC2:TRAP_HANDLER: 0
; COMPUTE_PGM_RSRC2:TGID_X_EN: 1
; COMPUTE_PGM_RSRC2:TGID_Y_EN: 0
; COMPUTE_PGM_RSRC2:TGID_Z_EN: 0
; COMPUTE_PGM_RSRC2:TIDIG_COMP_CNT: 0
	.section	.text._Z13wvSplitKQ_hf_I6__halfN3c1013Float8_e4m3fnELi32ELi2ELi16ELi16ELi1ELi3EEviiiiiiPKT0_S5_PKT_PS6_PKfSB_ii,"axG",@progbits,_Z13wvSplitKQ_hf_I6__halfN3c1013Float8_e4m3fnELi32ELi2ELi16ELi16ELi1ELi3EEviiiiiiPKT0_S5_PKT_PS6_PKfSB_ii,comdat
	.protected	_Z13wvSplitKQ_hf_I6__halfN3c1013Float8_e4m3fnELi32ELi2ELi16ELi16ELi1ELi3EEviiiiiiPKT0_S5_PKT_PS6_PKfSB_ii ; -- Begin function _Z13wvSplitKQ_hf_I6__halfN3c1013Float8_e4m3fnELi32ELi2ELi16ELi16ELi1ELi3EEviiiiiiPKT0_S5_PKT_PS6_PKfSB_ii
	.globl	_Z13wvSplitKQ_hf_I6__halfN3c1013Float8_e4m3fnELi32ELi2ELi16ELi16ELi1ELi3EEviiiiiiPKT0_S5_PKT_PS6_PKfSB_ii
	.p2align	8
	.type	_Z13wvSplitKQ_hf_I6__halfN3c1013Float8_e4m3fnELi32ELi2ELi16ELi16ELi1ELi3EEviiiiiiPKT0_S5_PKT_PS6_PKfSB_ii,@function
_Z13wvSplitKQ_hf_I6__halfN3c1013Float8_e4m3fnELi32ELi2ELi16ELi16ELi1ELi3EEviiiiiiPKT0_S5_PKT_PS6_PKfSB_ii: ; @_Z13wvSplitKQ_hf_I6__halfN3c1013Float8_e4m3fnELi32ELi2ELi16ELi16ELi1ELi3EEviiiiiiPKT0_S5_PKT_PS6_PKfSB_ii
; %bb.0:
	s_add_u32 s8, s0, 0x50
	s_addc_u32 s9, s1, 0
	s_getpc_b64 s[0:1]
	s_add_u32 s0, s0, __PRETTY_FUNCTION__._Z13wvSplitKQ_hf_I6__halfN3c1013Float8_e4m3fnELi32ELi2ELi16ELi16ELi1ELi3EEviiiiiiPKT0_S5_PKT_PS6_PKfSB_ii@rel32@lo+4
	s_addc_u32 s1, s1, __PRETTY_FUNCTION__._Z13wvSplitKQ_hf_I6__halfN3c1013Float8_e4m3fnELi32ELi2ELi16ELi16ELi1ELi3EEviiiiiiPKT0_S5_PKT_PS6_PKfSB_ii@rel32@hi+12
	v_dual_mov_b32 v0, 0x8bf :: v_dual_mov_b32 v1, s0
	v_mov_b32_e32 v2, s1
	s_mov_b32 s32, 0
	s_getpc_b64 s[2:3]
	s_add_u32 s2, s2, __assert_fail@rel32@lo+4
	s_addc_u32 s3, s3, __assert_fail@rel32@hi+12
	s_delay_alu instid0(SALU_CYCLE_1)
	s_swappc_b64 s[30:31], s[2:3]
	.section	.rodata,"a",@progbits
	.p2align	6, 0x0
	.amdhsa_kernel _Z13wvSplitKQ_hf_I6__halfN3c1013Float8_e4m3fnELi32ELi2ELi16ELi16ELi1ELi3EEviiiiiiPKT0_S5_PKT_PS6_PKfSB_ii
		.amdhsa_group_segment_fixed_size 0
		.amdhsa_private_segment_fixed_size 64
		.amdhsa_kernarg_size 336
		.amdhsa_user_sgpr_count 15
		.amdhsa_user_sgpr_dispatch_ptr 0
		.amdhsa_user_sgpr_queue_ptr 0
		.amdhsa_user_sgpr_kernarg_segment_ptr 1
		.amdhsa_user_sgpr_dispatch_id 0
		.amdhsa_user_sgpr_private_segment_size 0
		.amdhsa_wavefront_size32 1
		.amdhsa_uses_dynamic_stack 0
		.amdhsa_enable_private_segment 1
		.amdhsa_system_sgpr_workgroup_id_x 1
		.amdhsa_system_sgpr_workgroup_id_y 0
		.amdhsa_system_sgpr_workgroup_id_z 0
		.amdhsa_system_sgpr_workgroup_info 0
		.amdhsa_system_vgpr_workitem_id 0
		.amdhsa_next_free_vgpr 50
		.amdhsa_next_free_sgpr 34
		.amdhsa_reserve_vcc 1
		.amdhsa_float_round_mode_32 0
		.amdhsa_float_round_mode_16_64 0
		.amdhsa_float_denorm_mode_32 3
		.amdhsa_float_denorm_mode_16_64 3
		.amdhsa_dx10_clamp 1
		.amdhsa_ieee_mode 1
		.amdhsa_fp16_overflow 0
		.amdhsa_workgroup_processor_mode 1
		.amdhsa_memory_ordered 1
		.amdhsa_forward_progress 0
		.amdhsa_shared_vgpr_count 0
		.amdhsa_exception_fp_ieee_invalid_op 0
		.amdhsa_exception_fp_denorm_src 0
		.amdhsa_exception_fp_ieee_div_zero 0
		.amdhsa_exception_fp_ieee_overflow 0
		.amdhsa_exception_fp_ieee_underflow 0
		.amdhsa_exception_fp_ieee_inexact 0
		.amdhsa_exception_int_div_zero 0
	.end_amdhsa_kernel
	.section	.text._Z13wvSplitKQ_hf_I6__halfN3c1013Float8_e4m3fnELi32ELi2ELi16ELi16ELi1ELi3EEviiiiiiPKT0_S5_PKT_PS6_PKfSB_ii,"axG",@progbits,_Z13wvSplitKQ_hf_I6__halfN3c1013Float8_e4m3fnELi32ELi2ELi16ELi16ELi1ELi3EEviiiiiiPKT0_S5_PKT_PS6_PKfSB_ii,comdat
.Lfunc_end347:
	.size	_Z13wvSplitKQ_hf_I6__halfN3c1013Float8_e4m3fnELi32ELi2ELi16ELi16ELi1ELi3EEviiiiiiPKT0_S5_PKT_PS6_PKfSB_ii, .Lfunc_end347-_Z13wvSplitKQ_hf_I6__halfN3c1013Float8_e4m3fnELi32ELi2ELi16ELi16ELi1ELi3EEviiiiiiPKT0_S5_PKT_PS6_PKfSB_ii
                                        ; -- End function
	.section	.AMDGPU.csdata,"",@progbits
; Kernel info:
; codeLenInByte = 80
; NumSgprs: 36
; NumVgprs: 50
; ScratchSize: 64
; MemoryBound: 0
; FloatMode: 240
; IeeeMode: 1
; LDSByteSize: 0 bytes/workgroup (compile time only)
; SGPRBlocks: 4
; VGPRBlocks: 6
; NumSGPRsForWavesPerEU: 36
; NumVGPRsForWavesPerEU: 50
; Occupancy: 16
; WaveLimiterHint : 1
; COMPUTE_PGM_RSRC2:SCRATCH_EN: 1
; COMPUTE_PGM_RSRC2:USER_SGPR: 15
; COMPUTE_PGM_RSRC2:TRAP_HANDLER: 0
; COMPUTE_PGM_RSRC2:TGID_X_EN: 1
; COMPUTE_PGM_RSRC2:TGID_Y_EN: 0
; COMPUTE_PGM_RSRC2:TGID_Z_EN: 0
; COMPUTE_PGM_RSRC2:TIDIG_COMP_CNT: 0
	.section	.text._Z17wvSplitKQ_hf_sml_I6__halfN3c1013Float8_e4m3fnELi64ELi2ELi16ELi16ELi1ELi3EEviiiiiiPKT0_S5_PKT_PS6_PKfSB_ii,"axG",@progbits,_Z17wvSplitKQ_hf_sml_I6__halfN3c1013Float8_e4m3fnELi64ELi2ELi16ELi16ELi1ELi3EEviiiiiiPKT0_S5_PKT_PS6_PKfSB_ii,comdat
	.protected	_Z17wvSplitKQ_hf_sml_I6__halfN3c1013Float8_e4m3fnELi64ELi2ELi16ELi16ELi1ELi3EEviiiiiiPKT0_S5_PKT_PS6_PKfSB_ii ; -- Begin function _Z17wvSplitKQ_hf_sml_I6__halfN3c1013Float8_e4m3fnELi64ELi2ELi16ELi16ELi1ELi3EEviiiiiiPKT0_S5_PKT_PS6_PKfSB_ii
	.globl	_Z17wvSplitKQ_hf_sml_I6__halfN3c1013Float8_e4m3fnELi64ELi2ELi16ELi16ELi1ELi3EEviiiiiiPKT0_S5_PKT_PS6_PKfSB_ii
	.p2align	8
	.type	_Z17wvSplitKQ_hf_sml_I6__halfN3c1013Float8_e4m3fnELi64ELi2ELi16ELi16ELi1ELi3EEviiiiiiPKT0_S5_PKT_PS6_PKfSB_ii,@function
_Z17wvSplitKQ_hf_sml_I6__halfN3c1013Float8_e4m3fnELi64ELi2ELi16ELi16ELi1ELi3EEviiiiiiPKT0_S5_PKT_PS6_PKfSB_ii: ; @_Z17wvSplitKQ_hf_sml_I6__halfN3c1013Float8_e4m3fnELi64ELi2ELi16ELi16ELi1ELi3EEviiiiiiPKT0_S5_PKT_PS6_PKfSB_ii
; %bb.0:
	s_add_u32 s8, s0, 0x50
	s_addc_u32 s9, s1, 0
	s_getpc_b64 s[0:1]
	s_add_u32 s0, s0, __PRETTY_FUNCTION__._Z17wvSplitKQ_hf_sml_I6__halfN3c1013Float8_e4m3fnELi64ELi2ELi16ELi16ELi1ELi3EEviiiiiiPKT0_S5_PKT_PS6_PKfSB_ii@rel32@lo+4
	s_addc_u32 s1, s1, __PRETTY_FUNCTION__._Z17wvSplitKQ_hf_sml_I6__halfN3c1013Float8_e4m3fnELi64ELi2ELi16ELi16ELi1ELi3EEviiiiiiPKT0_S5_PKT_PS6_PKfSB_ii@rel32@hi+12
	v_dual_mov_b32 v0, 0x7fa :: v_dual_mov_b32 v1, s0
	v_mov_b32_e32 v2, s1
	s_mov_b32 s32, 0
	s_getpc_b64 s[2:3]
	s_add_u32 s2, s2, __assert_fail@rel32@lo+4
	s_addc_u32 s3, s3, __assert_fail@rel32@hi+12
	s_delay_alu instid0(SALU_CYCLE_1)
	s_swappc_b64 s[30:31], s[2:3]
	.section	.rodata,"a",@progbits
	.p2align	6, 0x0
	.amdhsa_kernel _Z17wvSplitKQ_hf_sml_I6__halfN3c1013Float8_e4m3fnELi64ELi2ELi16ELi16ELi1ELi3EEviiiiiiPKT0_S5_PKT_PS6_PKfSB_ii
		.amdhsa_group_segment_fixed_size 0
		.amdhsa_private_segment_fixed_size 64
		.amdhsa_kernarg_size 336
		.amdhsa_user_sgpr_count 15
		.amdhsa_user_sgpr_dispatch_ptr 0
		.amdhsa_user_sgpr_queue_ptr 0
		.amdhsa_user_sgpr_kernarg_segment_ptr 1
		.amdhsa_user_sgpr_dispatch_id 0
		.amdhsa_user_sgpr_private_segment_size 0
		.amdhsa_wavefront_size32 1
		.amdhsa_uses_dynamic_stack 0
		.amdhsa_enable_private_segment 1
		.amdhsa_system_sgpr_workgroup_id_x 1
		.amdhsa_system_sgpr_workgroup_id_y 0
		.amdhsa_system_sgpr_workgroup_id_z 0
		.amdhsa_system_sgpr_workgroup_info 0
		.amdhsa_system_vgpr_workitem_id 0
		.amdhsa_next_free_vgpr 50
		.amdhsa_next_free_sgpr 34
		.amdhsa_reserve_vcc 1
		.amdhsa_float_round_mode_32 0
		.amdhsa_float_round_mode_16_64 0
		.amdhsa_float_denorm_mode_32 3
		.amdhsa_float_denorm_mode_16_64 3
		.amdhsa_dx10_clamp 1
		.amdhsa_ieee_mode 1
		.amdhsa_fp16_overflow 0
		.amdhsa_workgroup_processor_mode 1
		.amdhsa_memory_ordered 1
		.amdhsa_forward_progress 0
		.amdhsa_shared_vgpr_count 0
		.amdhsa_exception_fp_ieee_invalid_op 0
		.amdhsa_exception_fp_denorm_src 0
		.amdhsa_exception_fp_ieee_div_zero 0
		.amdhsa_exception_fp_ieee_overflow 0
		.amdhsa_exception_fp_ieee_underflow 0
		.amdhsa_exception_fp_ieee_inexact 0
		.amdhsa_exception_int_div_zero 0
	.end_amdhsa_kernel
	.section	.text._Z17wvSplitKQ_hf_sml_I6__halfN3c1013Float8_e4m3fnELi64ELi2ELi16ELi16ELi1ELi3EEviiiiiiPKT0_S5_PKT_PS6_PKfSB_ii,"axG",@progbits,_Z17wvSplitKQ_hf_sml_I6__halfN3c1013Float8_e4m3fnELi64ELi2ELi16ELi16ELi1ELi3EEviiiiiiPKT0_S5_PKT_PS6_PKfSB_ii,comdat
.Lfunc_end348:
	.size	_Z17wvSplitKQ_hf_sml_I6__halfN3c1013Float8_e4m3fnELi64ELi2ELi16ELi16ELi1ELi3EEviiiiiiPKT0_S5_PKT_PS6_PKfSB_ii, .Lfunc_end348-_Z17wvSplitKQ_hf_sml_I6__halfN3c1013Float8_e4m3fnELi64ELi2ELi16ELi16ELi1ELi3EEviiiiiiPKT0_S5_PKT_PS6_PKfSB_ii
                                        ; -- End function
	.section	.AMDGPU.csdata,"",@progbits
; Kernel info:
; codeLenInByte = 80
; NumSgprs: 36
; NumVgprs: 50
; ScratchSize: 64
; MemoryBound: 0
; FloatMode: 240
; IeeeMode: 1
; LDSByteSize: 0 bytes/workgroup (compile time only)
; SGPRBlocks: 4
; VGPRBlocks: 6
; NumSGPRsForWavesPerEU: 36
; NumVGPRsForWavesPerEU: 50
; Occupancy: 16
; WaveLimiterHint : 1
; COMPUTE_PGM_RSRC2:SCRATCH_EN: 1
; COMPUTE_PGM_RSRC2:USER_SGPR: 15
; COMPUTE_PGM_RSRC2:TRAP_HANDLER: 0
; COMPUTE_PGM_RSRC2:TGID_X_EN: 1
; COMPUTE_PGM_RSRC2:TGID_Y_EN: 0
; COMPUTE_PGM_RSRC2:TGID_Z_EN: 0
; COMPUTE_PGM_RSRC2:TIDIG_COMP_CNT: 0
	.section	.text._Z13wvSplitKQ_hf_I6__halfN3c1013Float8_e4m3fnELi64ELi2ELi16ELi16ELi1ELi3EEviiiiiiPKT0_S5_PKT_PS6_PKfSB_ii,"axG",@progbits,_Z13wvSplitKQ_hf_I6__halfN3c1013Float8_e4m3fnELi64ELi2ELi16ELi16ELi1ELi3EEviiiiiiPKT0_S5_PKT_PS6_PKfSB_ii,comdat
	.protected	_Z13wvSplitKQ_hf_I6__halfN3c1013Float8_e4m3fnELi64ELi2ELi16ELi16ELi1ELi3EEviiiiiiPKT0_S5_PKT_PS6_PKfSB_ii ; -- Begin function _Z13wvSplitKQ_hf_I6__halfN3c1013Float8_e4m3fnELi64ELi2ELi16ELi16ELi1ELi3EEviiiiiiPKT0_S5_PKT_PS6_PKfSB_ii
	.globl	_Z13wvSplitKQ_hf_I6__halfN3c1013Float8_e4m3fnELi64ELi2ELi16ELi16ELi1ELi3EEviiiiiiPKT0_S5_PKT_PS6_PKfSB_ii
	.p2align	8
	.type	_Z13wvSplitKQ_hf_I6__halfN3c1013Float8_e4m3fnELi64ELi2ELi16ELi16ELi1ELi3EEviiiiiiPKT0_S5_PKT_PS6_PKfSB_ii,@function
_Z13wvSplitKQ_hf_I6__halfN3c1013Float8_e4m3fnELi64ELi2ELi16ELi16ELi1ELi3EEviiiiiiPKT0_S5_PKT_PS6_PKfSB_ii: ; @_Z13wvSplitKQ_hf_I6__halfN3c1013Float8_e4m3fnELi64ELi2ELi16ELi16ELi1ELi3EEviiiiiiPKT0_S5_PKT_PS6_PKfSB_ii
; %bb.0:
	s_add_u32 s8, s0, 0x50
	s_addc_u32 s9, s1, 0
	s_getpc_b64 s[0:1]
	s_add_u32 s0, s0, __PRETTY_FUNCTION__._Z13wvSplitKQ_hf_I6__halfN3c1013Float8_e4m3fnELi64ELi2ELi16ELi16ELi1ELi3EEviiiiiiPKT0_S5_PKT_PS6_PKfSB_ii@rel32@lo+4
	s_addc_u32 s1, s1, __PRETTY_FUNCTION__._Z13wvSplitKQ_hf_I6__halfN3c1013Float8_e4m3fnELi64ELi2ELi16ELi16ELi1ELi3EEviiiiiiPKT0_S5_PKT_PS6_PKfSB_ii@rel32@hi+12
	v_dual_mov_b32 v0, 0x8bf :: v_dual_mov_b32 v1, s0
	v_mov_b32_e32 v2, s1
	s_mov_b32 s32, 0
	s_getpc_b64 s[2:3]
	s_add_u32 s2, s2, __assert_fail@rel32@lo+4
	s_addc_u32 s3, s3, __assert_fail@rel32@hi+12
	s_delay_alu instid0(SALU_CYCLE_1)
	s_swappc_b64 s[30:31], s[2:3]
	.section	.rodata,"a",@progbits
	.p2align	6, 0x0
	.amdhsa_kernel _Z13wvSplitKQ_hf_I6__halfN3c1013Float8_e4m3fnELi64ELi2ELi16ELi16ELi1ELi3EEviiiiiiPKT0_S5_PKT_PS6_PKfSB_ii
		.amdhsa_group_segment_fixed_size 0
		.amdhsa_private_segment_fixed_size 64
		.amdhsa_kernarg_size 336
		.amdhsa_user_sgpr_count 15
		.amdhsa_user_sgpr_dispatch_ptr 0
		.amdhsa_user_sgpr_queue_ptr 0
		.amdhsa_user_sgpr_kernarg_segment_ptr 1
		.amdhsa_user_sgpr_dispatch_id 0
		.amdhsa_user_sgpr_private_segment_size 0
		.amdhsa_wavefront_size32 1
		.amdhsa_uses_dynamic_stack 0
		.amdhsa_enable_private_segment 1
		.amdhsa_system_sgpr_workgroup_id_x 1
		.amdhsa_system_sgpr_workgroup_id_y 0
		.amdhsa_system_sgpr_workgroup_id_z 0
		.amdhsa_system_sgpr_workgroup_info 0
		.amdhsa_system_vgpr_workitem_id 0
		.amdhsa_next_free_vgpr 50
		.amdhsa_next_free_sgpr 34
		.amdhsa_reserve_vcc 1
		.amdhsa_float_round_mode_32 0
		.amdhsa_float_round_mode_16_64 0
		.amdhsa_float_denorm_mode_32 3
		.amdhsa_float_denorm_mode_16_64 3
		.amdhsa_dx10_clamp 1
		.amdhsa_ieee_mode 1
		.amdhsa_fp16_overflow 0
		.amdhsa_workgroup_processor_mode 1
		.amdhsa_memory_ordered 1
		.amdhsa_forward_progress 0
		.amdhsa_shared_vgpr_count 0
		.amdhsa_exception_fp_ieee_invalid_op 0
		.amdhsa_exception_fp_denorm_src 0
		.amdhsa_exception_fp_ieee_div_zero 0
		.amdhsa_exception_fp_ieee_overflow 0
		.amdhsa_exception_fp_ieee_underflow 0
		.amdhsa_exception_fp_ieee_inexact 0
		.amdhsa_exception_int_div_zero 0
	.end_amdhsa_kernel
	.section	.text._Z13wvSplitKQ_hf_I6__halfN3c1013Float8_e4m3fnELi64ELi2ELi16ELi16ELi1ELi3EEviiiiiiPKT0_S5_PKT_PS6_PKfSB_ii,"axG",@progbits,_Z13wvSplitKQ_hf_I6__halfN3c1013Float8_e4m3fnELi64ELi2ELi16ELi16ELi1ELi3EEviiiiiiPKT0_S5_PKT_PS6_PKfSB_ii,comdat
.Lfunc_end349:
	.size	_Z13wvSplitKQ_hf_I6__halfN3c1013Float8_e4m3fnELi64ELi2ELi16ELi16ELi1ELi3EEviiiiiiPKT0_S5_PKT_PS6_PKfSB_ii, .Lfunc_end349-_Z13wvSplitKQ_hf_I6__halfN3c1013Float8_e4m3fnELi64ELi2ELi16ELi16ELi1ELi3EEviiiiiiPKT0_S5_PKT_PS6_PKfSB_ii
                                        ; -- End function
	.section	.AMDGPU.csdata,"",@progbits
; Kernel info:
; codeLenInByte = 80
; NumSgprs: 36
; NumVgprs: 50
; ScratchSize: 64
; MemoryBound: 0
; FloatMode: 240
; IeeeMode: 1
; LDSByteSize: 0 bytes/workgroup (compile time only)
; SGPRBlocks: 4
; VGPRBlocks: 6
; NumSGPRsForWavesPerEU: 36
; NumVGPRsForWavesPerEU: 50
; Occupancy: 16
; WaveLimiterHint : 1
; COMPUTE_PGM_RSRC2:SCRATCH_EN: 1
; COMPUTE_PGM_RSRC2:USER_SGPR: 15
; COMPUTE_PGM_RSRC2:TRAP_HANDLER: 0
; COMPUTE_PGM_RSRC2:TGID_X_EN: 1
; COMPUTE_PGM_RSRC2:TGID_Y_EN: 0
; COMPUTE_PGM_RSRC2:TGID_Z_EN: 0
; COMPUTE_PGM_RSRC2:TIDIG_COMP_CNT: 0
	.section	.text._Z17wvSplitKQ_hf_sml_I6__halfN3c1013Float8_e4m3fnELi32ELi2ELi16ELi16ELi1ELi4EEviiiiiiPKT0_S5_PKT_PS6_PKfSB_ii,"axG",@progbits,_Z17wvSplitKQ_hf_sml_I6__halfN3c1013Float8_e4m3fnELi32ELi2ELi16ELi16ELi1ELi4EEviiiiiiPKT0_S5_PKT_PS6_PKfSB_ii,comdat
	.protected	_Z17wvSplitKQ_hf_sml_I6__halfN3c1013Float8_e4m3fnELi32ELi2ELi16ELi16ELi1ELi4EEviiiiiiPKT0_S5_PKT_PS6_PKfSB_ii ; -- Begin function _Z17wvSplitKQ_hf_sml_I6__halfN3c1013Float8_e4m3fnELi32ELi2ELi16ELi16ELi1ELi4EEviiiiiiPKT0_S5_PKT_PS6_PKfSB_ii
	.globl	_Z17wvSplitKQ_hf_sml_I6__halfN3c1013Float8_e4m3fnELi32ELi2ELi16ELi16ELi1ELi4EEviiiiiiPKT0_S5_PKT_PS6_PKfSB_ii
	.p2align	8
	.type	_Z17wvSplitKQ_hf_sml_I6__halfN3c1013Float8_e4m3fnELi32ELi2ELi16ELi16ELi1ELi4EEviiiiiiPKT0_S5_PKT_PS6_PKfSB_ii,@function
_Z17wvSplitKQ_hf_sml_I6__halfN3c1013Float8_e4m3fnELi32ELi2ELi16ELi16ELi1ELi4EEviiiiiiPKT0_S5_PKT_PS6_PKfSB_ii: ; @_Z17wvSplitKQ_hf_sml_I6__halfN3c1013Float8_e4m3fnELi32ELi2ELi16ELi16ELi1ELi4EEviiiiiiPKT0_S5_PKT_PS6_PKfSB_ii
; %bb.0:
	s_add_u32 s8, s0, 0x50
	s_addc_u32 s9, s1, 0
	s_getpc_b64 s[0:1]
	s_add_u32 s0, s0, __PRETTY_FUNCTION__._Z17wvSplitKQ_hf_sml_I6__halfN3c1013Float8_e4m3fnELi32ELi2ELi16ELi16ELi1ELi4EEviiiiiiPKT0_S5_PKT_PS6_PKfSB_ii@rel32@lo+4
	s_addc_u32 s1, s1, __PRETTY_FUNCTION__._Z17wvSplitKQ_hf_sml_I6__halfN3c1013Float8_e4m3fnELi32ELi2ELi16ELi16ELi1ELi4EEviiiiiiPKT0_S5_PKT_PS6_PKfSB_ii@rel32@hi+12
	v_dual_mov_b32 v0, 0x7fa :: v_dual_mov_b32 v1, s0
	v_mov_b32_e32 v2, s1
	s_mov_b32 s32, 0
	s_getpc_b64 s[2:3]
	s_add_u32 s2, s2, __assert_fail@rel32@lo+4
	s_addc_u32 s3, s3, __assert_fail@rel32@hi+12
	s_delay_alu instid0(SALU_CYCLE_1)
	s_swappc_b64 s[30:31], s[2:3]
	.section	.rodata,"a",@progbits
	.p2align	6, 0x0
	.amdhsa_kernel _Z17wvSplitKQ_hf_sml_I6__halfN3c1013Float8_e4m3fnELi32ELi2ELi16ELi16ELi1ELi4EEviiiiiiPKT0_S5_PKT_PS6_PKfSB_ii
		.amdhsa_group_segment_fixed_size 0
		.amdhsa_private_segment_fixed_size 64
		.amdhsa_kernarg_size 336
		.amdhsa_user_sgpr_count 15
		.amdhsa_user_sgpr_dispatch_ptr 0
		.amdhsa_user_sgpr_queue_ptr 0
		.amdhsa_user_sgpr_kernarg_segment_ptr 1
		.amdhsa_user_sgpr_dispatch_id 0
		.amdhsa_user_sgpr_private_segment_size 0
		.amdhsa_wavefront_size32 1
		.amdhsa_uses_dynamic_stack 0
		.amdhsa_enable_private_segment 1
		.amdhsa_system_sgpr_workgroup_id_x 1
		.amdhsa_system_sgpr_workgroup_id_y 0
		.amdhsa_system_sgpr_workgroup_id_z 0
		.amdhsa_system_sgpr_workgroup_info 0
		.amdhsa_system_vgpr_workitem_id 0
		.amdhsa_next_free_vgpr 50
		.amdhsa_next_free_sgpr 34
		.amdhsa_reserve_vcc 1
		.amdhsa_float_round_mode_32 0
		.amdhsa_float_round_mode_16_64 0
		.amdhsa_float_denorm_mode_32 3
		.amdhsa_float_denorm_mode_16_64 3
		.amdhsa_dx10_clamp 1
		.amdhsa_ieee_mode 1
		.amdhsa_fp16_overflow 0
		.amdhsa_workgroup_processor_mode 1
		.amdhsa_memory_ordered 1
		.amdhsa_forward_progress 0
		.amdhsa_shared_vgpr_count 0
		.amdhsa_exception_fp_ieee_invalid_op 0
		.amdhsa_exception_fp_denorm_src 0
		.amdhsa_exception_fp_ieee_div_zero 0
		.amdhsa_exception_fp_ieee_overflow 0
		.amdhsa_exception_fp_ieee_underflow 0
		.amdhsa_exception_fp_ieee_inexact 0
		.amdhsa_exception_int_div_zero 0
	.end_amdhsa_kernel
	.section	.text._Z17wvSplitKQ_hf_sml_I6__halfN3c1013Float8_e4m3fnELi32ELi2ELi16ELi16ELi1ELi4EEviiiiiiPKT0_S5_PKT_PS6_PKfSB_ii,"axG",@progbits,_Z17wvSplitKQ_hf_sml_I6__halfN3c1013Float8_e4m3fnELi32ELi2ELi16ELi16ELi1ELi4EEviiiiiiPKT0_S5_PKT_PS6_PKfSB_ii,comdat
.Lfunc_end350:
	.size	_Z17wvSplitKQ_hf_sml_I6__halfN3c1013Float8_e4m3fnELi32ELi2ELi16ELi16ELi1ELi4EEviiiiiiPKT0_S5_PKT_PS6_PKfSB_ii, .Lfunc_end350-_Z17wvSplitKQ_hf_sml_I6__halfN3c1013Float8_e4m3fnELi32ELi2ELi16ELi16ELi1ELi4EEviiiiiiPKT0_S5_PKT_PS6_PKfSB_ii
                                        ; -- End function
	.section	.AMDGPU.csdata,"",@progbits
; Kernel info:
; codeLenInByte = 80
; NumSgprs: 36
; NumVgprs: 50
; ScratchSize: 64
; MemoryBound: 0
; FloatMode: 240
; IeeeMode: 1
; LDSByteSize: 0 bytes/workgroup (compile time only)
; SGPRBlocks: 4
; VGPRBlocks: 6
; NumSGPRsForWavesPerEU: 36
; NumVGPRsForWavesPerEU: 50
; Occupancy: 16
; WaveLimiterHint : 1
; COMPUTE_PGM_RSRC2:SCRATCH_EN: 1
; COMPUTE_PGM_RSRC2:USER_SGPR: 15
; COMPUTE_PGM_RSRC2:TRAP_HANDLER: 0
; COMPUTE_PGM_RSRC2:TGID_X_EN: 1
; COMPUTE_PGM_RSRC2:TGID_Y_EN: 0
; COMPUTE_PGM_RSRC2:TGID_Z_EN: 0
; COMPUTE_PGM_RSRC2:TIDIG_COMP_CNT: 0
	.section	.text._Z13wvSplitKQ_hf_I6__halfN3c1013Float8_e4m3fnELi32ELi2ELi16ELi16ELi1ELi4EEviiiiiiPKT0_S5_PKT_PS6_PKfSB_ii,"axG",@progbits,_Z13wvSplitKQ_hf_I6__halfN3c1013Float8_e4m3fnELi32ELi2ELi16ELi16ELi1ELi4EEviiiiiiPKT0_S5_PKT_PS6_PKfSB_ii,comdat
	.protected	_Z13wvSplitKQ_hf_I6__halfN3c1013Float8_e4m3fnELi32ELi2ELi16ELi16ELi1ELi4EEviiiiiiPKT0_S5_PKT_PS6_PKfSB_ii ; -- Begin function _Z13wvSplitKQ_hf_I6__halfN3c1013Float8_e4m3fnELi32ELi2ELi16ELi16ELi1ELi4EEviiiiiiPKT0_S5_PKT_PS6_PKfSB_ii
	.globl	_Z13wvSplitKQ_hf_I6__halfN3c1013Float8_e4m3fnELi32ELi2ELi16ELi16ELi1ELi4EEviiiiiiPKT0_S5_PKT_PS6_PKfSB_ii
	.p2align	8
	.type	_Z13wvSplitKQ_hf_I6__halfN3c1013Float8_e4m3fnELi32ELi2ELi16ELi16ELi1ELi4EEviiiiiiPKT0_S5_PKT_PS6_PKfSB_ii,@function
_Z13wvSplitKQ_hf_I6__halfN3c1013Float8_e4m3fnELi32ELi2ELi16ELi16ELi1ELi4EEviiiiiiPKT0_S5_PKT_PS6_PKfSB_ii: ; @_Z13wvSplitKQ_hf_I6__halfN3c1013Float8_e4m3fnELi32ELi2ELi16ELi16ELi1ELi4EEviiiiiiPKT0_S5_PKT_PS6_PKfSB_ii
; %bb.0:
	s_add_u32 s8, s0, 0x50
	s_addc_u32 s9, s1, 0
	s_getpc_b64 s[0:1]
	s_add_u32 s0, s0, __PRETTY_FUNCTION__._Z13wvSplitKQ_hf_I6__halfN3c1013Float8_e4m3fnELi32ELi2ELi16ELi16ELi1ELi4EEviiiiiiPKT0_S5_PKT_PS6_PKfSB_ii@rel32@lo+4
	s_addc_u32 s1, s1, __PRETTY_FUNCTION__._Z13wvSplitKQ_hf_I6__halfN3c1013Float8_e4m3fnELi32ELi2ELi16ELi16ELi1ELi4EEviiiiiiPKT0_S5_PKT_PS6_PKfSB_ii@rel32@hi+12
	v_dual_mov_b32 v0, 0x8bf :: v_dual_mov_b32 v1, s0
	v_mov_b32_e32 v2, s1
	s_mov_b32 s32, 0
	s_getpc_b64 s[2:3]
	s_add_u32 s2, s2, __assert_fail@rel32@lo+4
	s_addc_u32 s3, s3, __assert_fail@rel32@hi+12
	s_delay_alu instid0(SALU_CYCLE_1)
	s_swappc_b64 s[30:31], s[2:3]
	.section	.rodata,"a",@progbits
	.p2align	6, 0x0
	.amdhsa_kernel _Z13wvSplitKQ_hf_I6__halfN3c1013Float8_e4m3fnELi32ELi2ELi16ELi16ELi1ELi4EEviiiiiiPKT0_S5_PKT_PS6_PKfSB_ii
		.amdhsa_group_segment_fixed_size 0
		.amdhsa_private_segment_fixed_size 64
		.amdhsa_kernarg_size 336
		.amdhsa_user_sgpr_count 15
		.amdhsa_user_sgpr_dispatch_ptr 0
		.amdhsa_user_sgpr_queue_ptr 0
		.amdhsa_user_sgpr_kernarg_segment_ptr 1
		.amdhsa_user_sgpr_dispatch_id 0
		.amdhsa_user_sgpr_private_segment_size 0
		.amdhsa_wavefront_size32 1
		.amdhsa_uses_dynamic_stack 0
		.amdhsa_enable_private_segment 1
		.amdhsa_system_sgpr_workgroup_id_x 1
		.amdhsa_system_sgpr_workgroup_id_y 0
		.amdhsa_system_sgpr_workgroup_id_z 0
		.amdhsa_system_sgpr_workgroup_info 0
		.amdhsa_system_vgpr_workitem_id 0
		.amdhsa_next_free_vgpr 50
		.amdhsa_next_free_sgpr 34
		.amdhsa_reserve_vcc 1
		.amdhsa_float_round_mode_32 0
		.amdhsa_float_round_mode_16_64 0
		.amdhsa_float_denorm_mode_32 3
		.amdhsa_float_denorm_mode_16_64 3
		.amdhsa_dx10_clamp 1
		.amdhsa_ieee_mode 1
		.amdhsa_fp16_overflow 0
		.amdhsa_workgroup_processor_mode 1
		.amdhsa_memory_ordered 1
		.amdhsa_forward_progress 0
		.amdhsa_shared_vgpr_count 0
		.amdhsa_exception_fp_ieee_invalid_op 0
		.amdhsa_exception_fp_denorm_src 0
		.amdhsa_exception_fp_ieee_div_zero 0
		.amdhsa_exception_fp_ieee_overflow 0
		.amdhsa_exception_fp_ieee_underflow 0
		.amdhsa_exception_fp_ieee_inexact 0
		.amdhsa_exception_int_div_zero 0
	.end_amdhsa_kernel
	.section	.text._Z13wvSplitKQ_hf_I6__halfN3c1013Float8_e4m3fnELi32ELi2ELi16ELi16ELi1ELi4EEviiiiiiPKT0_S5_PKT_PS6_PKfSB_ii,"axG",@progbits,_Z13wvSplitKQ_hf_I6__halfN3c1013Float8_e4m3fnELi32ELi2ELi16ELi16ELi1ELi4EEviiiiiiPKT0_S5_PKT_PS6_PKfSB_ii,comdat
.Lfunc_end351:
	.size	_Z13wvSplitKQ_hf_I6__halfN3c1013Float8_e4m3fnELi32ELi2ELi16ELi16ELi1ELi4EEviiiiiiPKT0_S5_PKT_PS6_PKfSB_ii, .Lfunc_end351-_Z13wvSplitKQ_hf_I6__halfN3c1013Float8_e4m3fnELi32ELi2ELi16ELi16ELi1ELi4EEviiiiiiPKT0_S5_PKT_PS6_PKfSB_ii
                                        ; -- End function
	.section	.AMDGPU.csdata,"",@progbits
; Kernel info:
; codeLenInByte = 80
; NumSgprs: 36
; NumVgprs: 50
; ScratchSize: 64
; MemoryBound: 0
; FloatMode: 240
; IeeeMode: 1
; LDSByteSize: 0 bytes/workgroup (compile time only)
; SGPRBlocks: 4
; VGPRBlocks: 6
; NumSGPRsForWavesPerEU: 36
; NumVGPRsForWavesPerEU: 50
; Occupancy: 16
; WaveLimiterHint : 1
; COMPUTE_PGM_RSRC2:SCRATCH_EN: 1
; COMPUTE_PGM_RSRC2:USER_SGPR: 15
; COMPUTE_PGM_RSRC2:TRAP_HANDLER: 0
; COMPUTE_PGM_RSRC2:TGID_X_EN: 1
; COMPUTE_PGM_RSRC2:TGID_Y_EN: 0
; COMPUTE_PGM_RSRC2:TGID_Z_EN: 0
; COMPUTE_PGM_RSRC2:TIDIG_COMP_CNT: 0
	.section	.text._Z17wvSplitKQ_hf_sml_I6__halfN3c1013Float8_e4m3fnELi64ELi2ELi16ELi16ELi1ELi4EEviiiiiiPKT0_S5_PKT_PS6_PKfSB_ii,"axG",@progbits,_Z17wvSplitKQ_hf_sml_I6__halfN3c1013Float8_e4m3fnELi64ELi2ELi16ELi16ELi1ELi4EEviiiiiiPKT0_S5_PKT_PS6_PKfSB_ii,comdat
	.protected	_Z17wvSplitKQ_hf_sml_I6__halfN3c1013Float8_e4m3fnELi64ELi2ELi16ELi16ELi1ELi4EEviiiiiiPKT0_S5_PKT_PS6_PKfSB_ii ; -- Begin function _Z17wvSplitKQ_hf_sml_I6__halfN3c1013Float8_e4m3fnELi64ELi2ELi16ELi16ELi1ELi4EEviiiiiiPKT0_S5_PKT_PS6_PKfSB_ii
	.globl	_Z17wvSplitKQ_hf_sml_I6__halfN3c1013Float8_e4m3fnELi64ELi2ELi16ELi16ELi1ELi4EEviiiiiiPKT0_S5_PKT_PS6_PKfSB_ii
	.p2align	8
	.type	_Z17wvSplitKQ_hf_sml_I6__halfN3c1013Float8_e4m3fnELi64ELi2ELi16ELi16ELi1ELi4EEviiiiiiPKT0_S5_PKT_PS6_PKfSB_ii,@function
_Z17wvSplitKQ_hf_sml_I6__halfN3c1013Float8_e4m3fnELi64ELi2ELi16ELi16ELi1ELi4EEviiiiiiPKT0_S5_PKT_PS6_PKfSB_ii: ; @_Z17wvSplitKQ_hf_sml_I6__halfN3c1013Float8_e4m3fnELi64ELi2ELi16ELi16ELi1ELi4EEviiiiiiPKT0_S5_PKT_PS6_PKfSB_ii
; %bb.0:
	s_add_u32 s8, s0, 0x50
	s_addc_u32 s9, s1, 0
	s_getpc_b64 s[0:1]
	s_add_u32 s0, s0, __PRETTY_FUNCTION__._Z17wvSplitKQ_hf_sml_I6__halfN3c1013Float8_e4m3fnELi64ELi2ELi16ELi16ELi1ELi4EEviiiiiiPKT0_S5_PKT_PS6_PKfSB_ii@rel32@lo+4
	s_addc_u32 s1, s1, __PRETTY_FUNCTION__._Z17wvSplitKQ_hf_sml_I6__halfN3c1013Float8_e4m3fnELi64ELi2ELi16ELi16ELi1ELi4EEviiiiiiPKT0_S5_PKT_PS6_PKfSB_ii@rel32@hi+12
	v_dual_mov_b32 v0, 0x7fa :: v_dual_mov_b32 v1, s0
	v_mov_b32_e32 v2, s1
	s_mov_b32 s32, 0
	s_getpc_b64 s[2:3]
	s_add_u32 s2, s2, __assert_fail@rel32@lo+4
	s_addc_u32 s3, s3, __assert_fail@rel32@hi+12
	s_delay_alu instid0(SALU_CYCLE_1)
	s_swappc_b64 s[30:31], s[2:3]
	.section	.rodata,"a",@progbits
	.p2align	6, 0x0
	.amdhsa_kernel _Z17wvSplitKQ_hf_sml_I6__halfN3c1013Float8_e4m3fnELi64ELi2ELi16ELi16ELi1ELi4EEviiiiiiPKT0_S5_PKT_PS6_PKfSB_ii
		.amdhsa_group_segment_fixed_size 0
		.amdhsa_private_segment_fixed_size 64
		.amdhsa_kernarg_size 336
		.amdhsa_user_sgpr_count 15
		.amdhsa_user_sgpr_dispatch_ptr 0
		.amdhsa_user_sgpr_queue_ptr 0
		.amdhsa_user_sgpr_kernarg_segment_ptr 1
		.amdhsa_user_sgpr_dispatch_id 0
		.amdhsa_user_sgpr_private_segment_size 0
		.amdhsa_wavefront_size32 1
		.amdhsa_uses_dynamic_stack 0
		.amdhsa_enable_private_segment 1
		.amdhsa_system_sgpr_workgroup_id_x 1
		.amdhsa_system_sgpr_workgroup_id_y 0
		.amdhsa_system_sgpr_workgroup_id_z 0
		.amdhsa_system_sgpr_workgroup_info 0
		.amdhsa_system_vgpr_workitem_id 0
		.amdhsa_next_free_vgpr 50
		.amdhsa_next_free_sgpr 34
		.amdhsa_reserve_vcc 1
		.amdhsa_float_round_mode_32 0
		.amdhsa_float_round_mode_16_64 0
		.amdhsa_float_denorm_mode_32 3
		.amdhsa_float_denorm_mode_16_64 3
		.amdhsa_dx10_clamp 1
		.amdhsa_ieee_mode 1
		.amdhsa_fp16_overflow 0
		.amdhsa_workgroup_processor_mode 1
		.amdhsa_memory_ordered 1
		.amdhsa_forward_progress 0
		.amdhsa_shared_vgpr_count 0
		.amdhsa_exception_fp_ieee_invalid_op 0
		.amdhsa_exception_fp_denorm_src 0
		.amdhsa_exception_fp_ieee_div_zero 0
		.amdhsa_exception_fp_ieee_overflow 0
		.amdhsa_exception_fp_ieee_underflow 0
		.amdhsa_exception_fp_ieee_inexact 0
		.amdhsa_exception_int_div_zero 0
	.end_amdhsa_kernel
	.section	.text._Z17wvSplitKQ_hf_sml_I6__halfN3c1013Float8_e4m3fnELi64ELi2ELi16ELi16ELi1ELi4EEviiiiiiPKT0_S5_PKT_PS6_PKfSB_ii,"axG",@progbits,_Z17wvSplitKQ_hf_sml_I6__halfN3c1013Float8_e4m3fnELi64ELi2ELi16ELi16ELi1ELi4EEviiiiiiPKT0_S5_PKT_PS6_PKfSB_ii,comdat
.Lfunc_end352:
	.size	_Z17wvSplitKQ_hf_sml_I6__halfN3c1013Float8_e4m3fnELi64ELi2ELi16ELi16ELi1ELi4EEviiiiiiPKT0_S5_PKT_PS6_PKfSB_ii, .Lfunc_end352-_Z17wvSplitKQ_hf_sml_I6__halfN3c1013Float8_e4m3fnELi64ELi2ELi16ELi16ELi1ELi4EEviiiiiiPKT0_S5_PKT_PS6_PKfSB_ii
                                        ; -- End function
	.section	.AMDGPU.csdata,"",@progbits
; Kernel info:
; codeLenInByte = 80
; NumSgprs: 36
; NumVgprs: 50
; ScratchSize: 64
; MemoryBound: 0
; FloatMode: 240
; IeeeMode: 1
; LDSByteSize: 0 bytes/workgroup (compile time only)
; SGPRBlocks: 4
; VGPRBlocks: 6
; NumSGPRsForWavesPerEU: 36
; NumVGPRsForWavesPerEU: 50
; Occupancy: 16
; WaveLimiterHint : 1
; COMPUTE_PGM_RSRC2:SCRATCH_EN: 1
; COMPUTE_PGM_RSRC2:USER_SGPR: 15
; COMPUTE_PGM_RSRC2:TRAP_HANDLER: 0
; COMPUTE_PGM_RSRC2:TGID_X_EN: 1
; COMPUTE_PGM_RSRC2:TGID_Y_EN: 0
; COMPUTE_PGM_RSRC2:TGID_Z_EN: 0
; COMPUTE_PGM_RSRC2:TIDIG_COMP_CNT: 0
	.section	.text._Z13wvSplitKQ_hf_I6__halfN3c1013Float8_e4m3fnELi64ELi2ELi16ELi16ELi1ELi4EEviiiiiiPKT0_S5_PKT_PS6_PKfSB_ii,"axG",@progbits,_Z13wvSplitKQ_hf_I6__halfN3c1013Float8_e4m3fnELi64ELi2ELi16ELi16ELi1ELi4EEviiiiiiPKT0_S5_PKT_PS6_PKfSB_ii,comdat
	.protected	_Z13wvSplitKQ_hf_I6__halfN3c1013Float8_e4m3fnELi64ELi2ELi16ELi16ELi1ELi4EEviiiiiiPKT0_S5_PKT_PS6_PKfSB_ii ; -- Begin function _Z13wvSplitKQ_hf_I6__halfN3c1013Float8_e4m3fnELi64ELi2ELi16ELi16ELi1ELi4EEviiiiiiPKT0_S5_PKT_PS6_PKfSB_ii
	.globl	_Z13wvSplitKQ_hf_I6__halfN3c1013Float8_e4m3fnELi64ELi2ELi16ELi16ELi1ELi4EEviiiiiiPKT0_S5_PKT_PS6_PKfSB_ii
	.p2align	8
	.type	_Z13wvSplitKQ_hf_I6__halfN3c1013Float8_e4m3fnELi64ELi2ELi16ELi16ELi1ELi4EEviiiiiiPKT0_S5_PKT_PS6_PKfSB_ii,@function
_Z13wvSplitKQ_hf_I6__halfN3c1013Float8_e4m3fnELi64ELi2ELi16ELi16ELi1ELi4EEviiiiiiPKT0_S5_PKT_PS6_PKfSB_ii: ; @_Z13wvSplitKQ_hf_I6__halfN3c1013Float8_e4m3fnELi64ELi2ELi16ELi16ELi1ELi4EEviiiiiiPKT0_S5_PKT_PS6_PKfSB_ii
; %bb.0:
	s_add_u32 s8, s0, 0x50
	s_addc_u32 s9, s1, 0
	s_getpc_b64 s[0:1]
	s_add_u32 s0, s0, __PRETTY_FUNCTION__._Z13wvSplitKQ_hf_I6__halfN3c1013Float8_e4m3fnELi64ELi2ELi16ELi16ELi1ELi4EEviiiiiiPKT0_S5_PKT_PS6_PKfSB_ii@rel32@lo+4
	s_addc_u32 s1, s1, __PRETTY_FUNCTION__._Z13wvSplitKQ_hf_I6__halfN3c1013Float8_e4m3fnELi64ELi2ELi16ELi16ELi1ELi4EEviiiiiiPKT0_S5_PKT_PS6_PKfSB_ii@rel32@hi+12
	v_dual_mov_b32 v0, 0x8bf :: v_dual_mov_b32 v1, s0
	v_mov_b32_e32 v2, s1
	s_mov_b32 s32, 0
	s_getpc_b64 s[2:3]
	s_add_u32 s2, s2, __assert_fail@rel32@lo+4
	s_addc_u32 s3, s3, __assert_fail@rel32@hi+12
	s_delay_alu instid0(SALU_CYCLE_1)
	s_swappc_b64 s[30:31], s[2:3]
	.section	.rodata,"a",@progbits
	.p2align	6, 0x0
	.amdhsa_kernel _Z13wvSplitKQ_hf_I6__halfN3c1013Float8_e4m3fnELi64ELi2ELi16ELi16ELi1ELi4EEviiiiiiPKT0_S5_PKT_PS6_PKfSB_ii
		.amdhsa_group_segment_fixed_size 0
		.amdhsa_private_segment_fixed_size 64
		.amdhsa_kernarg_size 336
		.amdhsa_user_sgpr_count 15
		.amdhsa_user_sgpr_dispatch_ptr 0
		.amdhsa_user_sgpr_queue_ptr 0
		.amdhsa_user_sgpr_kernarg_segment_ptr 1
		.amdhsa_user_sgpr_dispatch_id 0
		.amdhsa_user_sgpr_private_segment_size 0
		.amdhsa_wavefront_size32 1
		.amdhsa_uses_dynamic_stack 0
		.amdhsa_enable_private_segment 1
		.amdhsa_system_sgpr_workgroup_id_x 1
		.amdhsa_system_sgpr_workgroup_id_y 0
		.amdhsa_system_sgpr_workgroup_id_z 0
		.amdhsa_system_sgpr_workgroup_info 0
		.amdhsa_system_vgpr_workitem_id 0
		.amdhsa_next_free_vgpr 50
		.amdhsa_next_free_sgpr 34
		.amdhsa_reserve_vcc 1
		.amdhsa_float_round_mode_32 0
		.amdhsa_float_round_mode_16_64 0
		.amdhsa_float_denorm_mode_32 3
		.amdhsa_float_denorm_mode_16_64 3
		.amdhsa_dx10_clamp 1
		.amdhsa_ieee_mode 1
		.amdhsa_fp16_overflow 0
		.amdhsa_workgroup_processor_mode 1
		.amdhsa_memory_ordered 1
		.amdhsa_forward_progress 0
		.amdhsa_shared_vgpr_count 0
		.amdhsa_exception_fp_ieee_invalid_op 0
		.amdhsa_exception_fp_denorm_src 0
		.amdhsa_exception_fp_ieee_div_zero 0
		.amdhsa_exception_fp_ieee_overflow 0
		.amdhsa_exception_fp_ieee_underflow 0
		.amdhsa_exception_fp_ieee_inexact 0
		.amdhsa_exception_int_div_zero 0
	.end_amdhsa_kernel
	.section	.text._Z13wvSplitKQ_hf_I6__halfN3c1013Float8_e4m3fnELi64ELi2ELi16ELi16ELi1ELi4EEviiiiiiPKT0_S5_PKT_PS6_PKfSB_ii,"axG",@progbits,_Z13wvSplitKQ_hf_I6__halfN3c1013Float8_e4m3fnELi64ELi2ELi16ELi16ELi1ELi4EEviiiiiiPKT0_S5_PKT_PS6_PKfSB_ii,comdat
.Lfunc_end353:
	.size	_Z13wvSplitKQ_hf_I6__halfN3c1013Float8_e4m3fnELi64ELi2ELi16ELi16ELi1ELi4EEviiiiiiPKT0_S5_PKT_PS6_PKfSB_ii, .Lfunc_end353-_Z13wvSplitKQ_hf_I6__halfN3c1013Float8_e4m3fnELi64ELi2ELi16ELi16ELi1ELi4EEviiiiiiPKT0_S5_PKT_PS6_PKfSB_ii
                                        ; -- End function
	.section	.AMDGPU.csdata,"",@progbits
; Kernel info:
; codeLenInByte = 80
; NumSgprs: 36
; NumVgprs: 50
; ScratchSize: 64
; MemoryBound: 0
; FloatMode: 240
; IeeeMode: 1
; LDSByteSize: 0 bytes/workgroup (compile time only)
; SGPRBlocks: 4
; VGPRBlocks: 6
; NumSGPRsForWavesPerEU: 36
; NumVGPRsForWavesPerEU: 50
; Occupancy: 16
; WaveLimiterHint : 1
; COMPUTE_PGM_RSRC2:SCRATCH_EN: 1
; COMPUTE_PGM_RSRC2:USER_SGPR: 15
; COMPUTE_PGM_RSRC2:TRAP_HANDLER: 0
; COMPUTE_PGM_RSRC2:TGID_X_EN: 1
; COMPUTE_PGM_RSRC2:TGID_Y_EN: 0
; COMPUTE_PGM_RSRC2:TGID_Z_EN: 0
; COMPUTE_PGM_RSRC2:TIDIG_COMP_CNT: 0
	.section	.text._Z17wvSplitKQ_hf_sml_I6__halfN3c1015Float8_e4m3fnuzELi32ELi2ELi16ELi16ELi2ELi1EEviiiiiiPKT0_S5_PKT_PS6_PKfSB_ii,"axG",@progbits,_Z17wvSplitKQ_hf_sml_I6__halfN3c1015Float8_e4m3fnuzELi32ELi2ELi16ELi16ELi2ELi1EEviiiiiiPKT0_S5_PKT_PS6_PKfSB_ii,comdat
	.protected	_Z17wvSplitKQ_hf_sml_I6__halfN3c1015Float8_e4m3fnuzELi32ELi2ELi16ELi16ELi2ELi1EEviiiiiiPKT0_S5_PKT_PS6_PKfSB_ii ; -- Begin function _Z17wvSplitKQ_hf_sml_I6__halfN3c1015Float8_e4m3fnuzELi32ELi2ELi16ELi16ELi2ELi1EEviiiiiiPKT0_S5_PKT_PS6_PKfSB_ii
	.globl	_Z17wvSplitKQ_hf_sml_I6__halfN3c1015Float8_e4m3fnuzELi32ELi2ELi16ELi16ELi2ELi1EEviiiiiiPKT0_S5_PKT_PS6_PKfSB_ii
	.p2align	8
	.type	_Z17wvSplitKQ_hf_sml_I6__halfN3c1015Float8_e4m3fnuzELi32ELi2ELi16ELi16ELi2ELi1EEviiiiiiPKT0_S5_PKT_PS6_PKfSB_ii,@function
_Z17wvSplitKQ_hf_sml_I6__halfN3c1015Float8_e4m3fnuzELi32ELi2ELi16ELi16ELi2ELi1EEviiiiiiPKT0_S5_PKT_PS6_PKfSB_ii: ; @_Z17wvSplitKQ_hf_sml_I6__halfN3c1015Float8_e4m3fnuzELi32ELi2ELi16ELi16ELi2ELi1EEviiiiiiPKT0_S5_PKT_PS6_PKfSB_ii
; %bb.0:
	s_add_u32 s8, s0, 0x50
	s_addc_u32 s9, s1, 0
	s_getpc_b64 s[0:1]
	s_add_u32 s0, s0, __PRETTY_FUNCTION__._Z17wvSplitKQ_hf_sml_I6__halfN3c1015Float8_e4m3fnuzELi32ELi2ELi16ELi16ELi2ELi1EEviiiiiiPKT0_S5_PKT_PS6_PKfSB_ii@rel32@lo+4
	s_addc_u32 s1, s1, __PRETTY_FUNCTION__._Z17wvSplitKQ_hf_sml_I6__halfN3c1015Float8_e4m3fnuzELi32ELi2ELi16ELi16ELi2ELi1EEviiiiiiPKT0_S5_PKT_PS6_PKfSB_ii@rel32@hi+12
	v_dual_mov_b32 v0, 0x7fa :: v_dual_mov_b32 v1, s0
	v_mov_b32_e32 v2, s1
	s_mov_b32 s32, 0
	s_getpc_b64 s[2:3]
	s_add_u32 s2, s2, __assert_fail@rel32@lo+4
	s_addc_u32 s3, s3, __assert_fail@rel32@hi+12
	s_delay_alu instid0(SALU_CYCLE_1)
	s_swappc_b64 s[30:31], s[2:3]
	.section	.rodata,"a",@progbits
	.p2align	6, 0x0
	.amdhsa_kernel _Z17wvSplitKQ_hf_sml_I6__halfN3c1015Float8_e4m3fnuzELi32ELi2ELi16ELi16ELi2ELi1EEviiiiiiPKT0_S5_PKT_PS6_PKfSB_ii
		.amdhsa_group_segment_fixed_size 0
		.amdhsa_private_segment_fixed_size 64
		.amdhsa_kernarg_size 336
		.amdhsa_user_sgpr_count 15
		.amdhsa_user_sgpr_dispatch_ptr 0
		.amdhsa_user_sgpr_queue_ptr 0
		.amdhsa_user_sgpr_kernarg_segment_ptr 1
		.amdhsa_user_sgpr_dispatch_id 0
		.amdhsa_user_sgpr_private_segment_size 0
		.amdhsa_wavefront_size32 1
		.amdhsa_uses_dynamic_stack 0
		.amdhsa_enable_private_segment 1
		.amdhsa_system_sgpr_workgroup_id_x 1
		.amdhsa_system_sgpr_workgroup_id_y 0
		.amdhsa_system_sgpr_workgroup_id_z 0
		.amdhsa_system_sgpr_workgroup_info 0
		.amdhsa_system_vgpr_workitem_id 0
		.amdhsa_next_free_vgpr 50
		.amdhsa_next_free_sgpr 34
		.amdhsa_reserve_vcc 1
		.amdhsa_float_round_mode_32 0
		.amdhsa_float_round_mode_16_64 0
		.amdhsa_float_denorm_mode_32 3
		.amdhsa_float_denorm_mode_16_64 3
		.amdhsa_dx10_clamp 1
		.amdhsa_ieee_mode 1
		.amdhsa_fp16_overflow 0
		.amdhsa_workgroup_processor_mode 1
		.amdhsa_memory_ordered 1
		.amdhsa_forward_progress 0
		.amdhsa_shared_vgpr_count 0
		.amdhsa_exception_fp_ieee_invalid_op 0
		.amdhsa_exception_fp_denorm_src 0
		.amdhsa_exception_fp_ieee_div_zero 0
		.amdhsa_exception_fp_ieee_overflow 0
		.amdhsa_exception_fp_ieee_underflow 0
		.amdhsa_exception_fp_ieee_inexact 0
		.amdhsa_exception_int_div_zero 0
	.end_amdhsa_kernel
	.section	.text._Z17wvSplitKQ_hf_sml_I6__halfN3c1015Float8_e4m3fnuzELi32ELi2ELi16ELi16ELi2ELi1EEviiiiiiPKT0_S5_PKT_PS6_PKfSB_ii,"axG",@progbits,_Z17wvSplitKQ_hf_sml_I6__halfN3c1015Float8_e4m3fnuzELi32ELi2ELi16ELi16ELi2ELi1EEviiiiiiPKT0_S5_PKT_PS6_PKfSB_ii,comdat
.Lfunc_end354:
	.size	_Z17wvSplitKQ_hf_sml_I6__halfN3c1015Float8_e4m3fnuzELi32ELi2ELi16ELi16ELi2ELi1EEviiiiiiPKT0_S5_PKT_PS6_PKfSB_ii, .Lfunc_end354-_Z17wvSplitKQ_hf_sml_I6__halfN3c1015Float8_e4m3fnuzELi32ELi2ELi16ELi16ELi2ELi1EEviiiiiiPKT0_S5_PKT_PS6_PKfSB_ii
                                        ; -- End function
	.section	.AMDGPU.csdata,"",@progbits
; Kernel info:
; codeLenInByte = 80
; NumSgprs: 36
; NumVgprs: 50
; ScratchSize: 64
; MemoryBound: 0
; FloatMode: 240
; IeeeMode: 1
; LDSByteSize: 0 bytes/workgroup (compile time only)
; SGPRBlocks: 4
; VGPRBlocks: 6
; NumSGPRsForWavesPerEU: 36
; NumVGPRsForWavesPerEU: 50
; Occupancy: 16
; WaveLimiterHint : 1
; COMPUTE_PGM_RSRC2:SCRATCH_EN: 1
; COMPUTE_PGM_RSRC2:USER_SGPR: 15
; COMPUTE_PGM_RSRC2:TRAP_HANDLER: 0
; COMPUTE_PGM_RSRC2:TGID_X_EN: 1
; COMPUTE_PGM_RSRC2:TGID_Y_EN: 0
; COMPUTE_PGM_RSRC2:TGID_Z_EN: 0
; COMPUTE_PGM_RSRC2:TIDIG_COMP_CNT: 0
	.section	.text._Z13wvSplitKQ_hf_I6__halfN3c1015Float8_e4m3fnuzELi32ELi2ELi16ELi16ELi2ELi1EEviiiiiiPKT0_S5_PKT_PS6_PKfSB_ii,"axG",@progbits,_Z13wvSplitKQ_hf_I6__halfN3c1015Float8_e4m3fnuzELi32ELi2ELi16ELi16ELi2ELi1EEviiiiiiPKT0_S5_PKT_PS6_PKfSB_ii,comdat
	.protected	_Z13wvSplitKQ_hf_I6__halfN3c1015Float8_e4m3fnuzELi32ELi2ELi16ELi16ELi2ELi1EEviiiiiiPKT0_S5_PKT_PS6_PKfSB_ii ; -- Begin function _Z13wvSplitKQ_hf_I6__halfN3c1015Float8_e4m3fnuzELi32ELi2ELi16ELi16ELi2ELi1EEviiiiiiPKT0_S5_PKT_PS6_PKfSB_ii
	.globl	_Z13wvSplitKQ_hf_I6__halfN3c1015Float8_e4m3fnuzELi32ELi2ELi16ELi16ELi2ELi1EEviiiiiiPKT0_S5_PKT_PS6_PKfSB_ii
	.p2align	8
	.type	_Z13wvSplitKQ_hf_I6__halfN3c1015Float8_e4m3fnuzELi32ELi2ELi16ELi16ELi2ELi1EEviiiiiiPKT0_S5_PKT_PS6_PKfSB_ii,@function
_Z13wvSplitKQ_hf_I6__halfN3c1015Float8_e4m3fnuzELi32ELi2ELi16ELi16ELi2ELi1EEviiiiiiPKT0_S5_PKT_PS6_PKfSB_ii: ; @_Z13wvSplitKQ_hf_I6__halfN3c1015Float8_e4m3fnuzELi32ELi2ELi16ELi16ELi2ELi1EEviiiiiiPKT0_S5_PKT_PS6_PKfSB_ii
; %bb.0:
	s_add_u32 s8, s0, 0x50
	s_addc_u32 s9, s1, 0
	s_getpc_b64 s[0:1]
	s_add_u32 s0, s0, __PRETTY_FUNCTION__._Z13wvSplitKQ_hf_I6__halfN3c1015Float8_e4m3fnuzELi32ELi2ELi16ELi16ELi2ELi1EEviiiiiiPKT0_S5_PKT_PS6_PKfSB_ii@rel32@lo+4
	s_addc_u32 s1, s1, __PRETTY_FUNCTION__._Z13wvSplitKQ_hf_I6__halfN3c1015Float8_e4m3fnuzELi32ELi2ELi16ELi16ELi2ELi1EEviiiiiiPKT0_S5_PKT_PS6_PKfSB_ii@rel32@hi+12
	v_dual_mov_b32 v0, 0x8bf :: v_dual_mov_b32 v1, s0
	v_mov_b32_e32 v2, s1
	s_mov_b32 s32, 0
	s_getpc_b64 s[2:3]
	s_add_u32 s2, s2, __assert_fail@rel32@lo+4
	s_addc_u32 s3, s3, __assert_fail@rel32@hi+12
	s_delay_alu instid0(SALU_CYCLE_1)
	s_swappc_b64 s[30:31], s[2:3]
	.section	.rodata,"a",@progbits
	.p2align	6, 0x0
	.amdhsa_kernel _Z13wvSplitKQ_hf_I6__halfN3c1015Float8_e4m3fnuzELi32ELi2ELi16ELi16ELi2ELi1EEviiiiiiPKT0_S5_PKT_PS6_PKfSB_ii
		.amdhsa_group_segment_fixed_size 0
		.amdhsa_private_segment_fixed_size 64
		.amdhsa_kernarg_size 336
		.amdhsa_user_sgpr_count 15
		.amdhsa_user_sgpr_dispatch_ptr 0
		.amdhsa_user_sgpr_queue_ptr 0
		.amdhsa_user_sgpr_kernarg_segment_ptr 1
		.amdhsa_user_sgpr_dispatch_id 0
		.amdhsa_user_sgpr_private_segment_size 0
		.amdhsa_wavefront_size32 1
		.amdhsa_uses_dynamic_stack 0
		.amdhsa_enable_private_segment 1
		.amdhsa_system_sgpr_workgroup_id_x 1
		.amdhsa_system_sgpr_workgroup_id_y 0
		.amdhsa_system_sgpr_workgroup_id_z 0
		.amdhsa_system_sgpr_workgroup_info 0
		.amdhsa_system_vgpr_workitem_id 0
		.amdhsa_next_free_vgpr 50
		.amdhsa_next_free_sgpr 34
		.amdhsa_reserve_vcc 1
		.amdhsa_float_round_mode_32 0
		.amdhsa_float_round_mode_16_64 0
		.amdhsa_float_denorm_mode_32 3
		.amdhsa_float_denorm_mode_16_64 3
		.amdhsa_dx10_clamp 1
		.amdhsa_ieee_mode 1
		.amdhsa_fp16_overflow 0
		.amdhsa_workgroup_processor_mode 1
		.amdhsa_memory_ordered 1
		.amdhsa_forward_progress 0
		.amdhsa_shared_vgpr_count 0
		.amdhsa_exception_fp_ieee_invalid_op 0
		.amdhsa_exception_fp_denorm_src 0
		.amdhsa_exception_fp_ieee_div_zero 0
		.amdhsa_exception_fp_ieee_overflow 0
		.amdhsa_exception_fp_ieee_underflow 0
		.amdhsa_exception_fp_ieee_inexact 0
		.amdhsa_exception_int_div_zero 0
	.end_amdhsa_kernel
	.section	.text._Z13wvSplitKQ_hf_I6__halfN3c1015Float8_e4m3fnuzELi32ELi2ELi16ELi16ELi2ELi1EEviiiiiiPKT0_S5_PKT_PS6_PKfSB_ii,"axG",@progbits,_Z13wvSplitKQ_hf_I6__halfN3c1015Float8_e4m3fnuzELi32ELi2ELi16ELi16ELi2ELi1EEviiiiiiPKT0_S5_PKT_PS6_PKfSB_ii,comdat
.Lfunc_end355:
	.size	_Z13wvSplitKQ_hf_I6__halfN3c1015Float8_e4m3fnuzELi32ELi2ELi16ELi16ELi2ELi1EEviiiiiiPKT0_S5_PKT_PS6_PKfSB_ii, .Lfunc_end355-_Z13wvSplitKQ_hf_I6__halfN3c1015Float8_e4m3fnuzELi32ELi2ELi16ELi16ELi2ELi1EEviiiiiiPKT0_S5_PKT_PS6_PKfSB_ii
                                        ; -- End function
	.section	.AMDGPU.csdata,"",@progbits
; Kernel info:
; codeLenInByte = 80
; NumSgprs: 36
; NumVgprs: 50
; ScratchSize: 64
; MemoryBound: 0
; FloatMode: 240
; IeeeMode: 1
; LDSByteSize: 0 bytes/workgroup (compile time only)
; SGPRBlocks: 4
; VGPRBlocks: 6
; NumSGPRsForWavesPerEU: 36
; NumVGPRsForWavesPerEU: 50
; Occupancy: 16
; WaveLimiterHint : 1
; COMPUTE_PGM_RSRC2:SCRATCH_EN: 1
; COMPUTE_PGM_RSRC2:USER_SGPR: 15
; COMPUTE_PGM_RSRC2:TRAP_HANDLER: 0
; COMPUTE_PGM_RSRC2:TGID_X_EN: 1
; COMPUTE_PGM_RSRC2:TGID_Y_EN: 0
; COMPUTE_PGM_RSRC2:TGID_Z_EN: 0
; COMPUTE_PGM_RSRC2:TIDIG_COMP_CNT: 0
	.section	.text._Z17wvSplitKQ_hf_sml_I6__halfN3c1015Float8_e4m3fnuzELi64ELi2ELi16ELi16ELi2ELi1EEviiiiiiPKT0_S5_PKT_PS6_PKfSB_ii,"axG",@progbits,_Z17wvSplitKQ_hf_sml_I6__halfN3c1015Float8_e4m3fnuzELi64ELi2ELi16ELi16ELi2ELi1EEviiiiiiPKT0_S5_PKT_PS6_PKfSB_ii,comdat
	.protected	_Z17wvSplitKQ_hf_sml_I6__halfN3c1015Float8_e4m3fnuzELi64ELi2ELi16ELi16ELi2ELi1EEviiiiiiPKT0_S5_PKT_PS6_PKfSB_ii ; -- Begin function _Z17wvSplitKQ_hf_sml_I6__halfN3c1015Float8_e4m3fnuzELi64ELi2ELi16ELi16ELi2ELi1EEviiiiiiPKT0_S5_PKT_PS6_PKfSB_ii
	.globl	_Z17wvSplitKQ_hf_sml_I6__halfN3c1015Float8_e4m3fnuzELi64ELi2ELi16ELi16ELi2ELi1EEviiiiiiPKT0_S5_PKT_PS6_PKfSB_ii
	.p2align	8
	.type	_Z17wvSplitKQ_hf_sml_I6__halfN3c1015Float8_e4m3fnuzELi64ELi2ELi16ELi16ELi2ELi1EEviiiiiiPKT0_S5_PKT_PS6_PKfSB_ii,@function
_Z17wvSplitKQ_hf_sml_I6__halfN3c1015Float8_e4m3fnuzELi64ELi2ELi16ELi16ELi2ELi1EEviiiiiiPKT0_S5_PKT_PS6_PKfSB_ii: ; @_Z17wvSplitKQ_hf_sml_I6__halfN3c1015Float8_e4m3fnuzELi64ELi2ELi16ELi16ELi2ELi1EEviiiiiiPKT0_S5_PKT_PS6_PKfSB_ii
; %bb.0:
	s_add_u32 s8, s0, 0x50
	s_addc_u32 s9, s1, 0
	s_getpc_b64 s[0:1]
	s_add_u32 s0, s0, __PRETTY_FUNCTION__._Z17wvSplitKQ_hf_sml_I6__halfN3c1015Float8_e4m3fnuzELi64ELi2ELi16ELi16ELi2ELi1EEviiiiiiPKT0_S5_PKT_PS6_PKfSB_ii@rel32@lo+4
	s_addc_u32 s1, s1, __PRETTY_FUNCTION__._Z17wvSplitKQ_hf_sml_I6__halfN3c1015Float8_e4m3fnuzELi64ELi2ELi16ELi16ELi2ELi1EEviiiiiiPKT0_S5_PKT_PS6_PKfSB_ii@rel32@hi+12
	v_dual_mov_b32 v0, 0x7fa :: v_dual_mov_b32 v1, s0
	v_mov_b32_e32 v2, s1
	s_mov_b32 s32, 0
	s_getpc_b64 s[2:3]
	s_add_u32 s2, s2, __assert_fail@rel32@lo+4
	s_addc_u32 s3, s3, __assert_fail@rel32@hi+12
	s_delay_alu instid0(SALU_CYCLE_1)
	s_swappc_b64 s[30:31], s[2:3]
	.section	.rodata,"a",@progbits
	.p2align	6, 0x0
	.amdhsa_kernel _Z17wvSplitKQ_hf_sml_I6__halfN3c1015Float8_e4m3fnuzELi64ELi2ELi16ELi16ELi2ELi1EEviiiiiiPKT0_S5_PKT_PS6_PKfSB_ii
		.amdhsa_group_segment_fixed_size 0
		.amdhsa_private_segment_fixed_size 64
		.amdhsa_kernarg_size 336
		.amdhsa_user_sgpr_count 15
		.amdhsa_user_sgpr_dispatch_ptr 0
		.amdhsa_user_sgpr_queue_ptr 0
		.amdhsa_user_sgpr_kernarg_segment_ptr 1
		.amdhsa_user_sgpr_dispatch_id 0
		.amdhsa_user_sgpr_private_segment_size 0
		.amdhsa_wavefront_size32 1
		.amdhsa_uses_dynamic_stack 0
		.amdhsa_enable_private_segment 1
		.amdhsa_system_sgpr_workgroup_id_x 1
		.amdhsa_system_sgpr_workgroup_id_y 0
		.amdhsa_system_sgpr_workgroup_id_z 0
		.amdhsa_system_sgpr_workgroup_info 0
		.amdhsa_system_vgpr_workitem_id 0
		.amdhsa_next_free_vgpr 50
		.amdhsa_next_free_sgpr 34
		.amdhsa_reserve_vcc 1
		.amdhsa_float_round_mode_32 0
		.amdhsa_float_round_mode_16_64 0
		.amdhsa_float_denorm_mode_32 3
		.amdhsa_float_denorm_mode_16_64 3
		.amdhsa_dx10_clamp 1
		.amdhsa_ieee_mode 1
		.amdhsa_fp16_overflow 0
		.amdhsa_workgroup_processor_mode 1
		.amdhsa_memory_ordered 1
		.amdhsa_forward_progress 0
		.amdhsa_shared_vgpr_count 0
		.amdhsa_exception_fp_ieee_invalid_op 0
		.amdhsa_exception_fp_denorm_src 0
		.amdhsa_exception_fp_ieee_div_zero 0
		.amdhsa_exception_fp_ieee_overflow 0
		.amdhsa_exception_fp_ieee_underflow 0
		.amdhsa_exception_fp_ieee_inexact 0
		.amdhsa_exception_int_div_zero 0
	.end_amdhsa_kernel
	.section	.text._Z17wvSplitKQ_hf_sml_I6__halfN3c1015Float8_e4m3fnuzELi64ELi2ELi16ELi16ELi2ELi1EEviiiiiiPKT0_S5_PKT_PS6_PKfSB_ii,"axG",@progbits,_Z17wvSplitKQ_hf_sml_I6__halfN3c1015Float8_e4m3fnuzELi64ELi2ELi16ELi16ELi2ELi1EEviiiiiiPKT0_S5_PKT_PS6_PKfSB_ii,comdat
.Lfunc_end356:
	.size	_Z17wvSplitKQ_hf_sml_I6__halfN3c1015Float8_e4m3fnuzELi64ELi2ELi16ELi16ELi2ELi1EEviiiiiiPKT0_S5_PKT_PS6_PKfSB_ii, .Lfunc_end356-_Z17wvSplitKQ_hf_sml_I6__halfN3c1015Float8_e4m3fnuzELi64ELi2ELi16ELi16ELi2ELi1EEviiiiiiPKT0_S5_PKT_PS6_PKfSB_ii
                                        ; -- End function
	.section	.AMDGPU.csdata,"",@progbits
; Kernel info:
; codeLenInByte = 80
; NumSgprs: 36
; NumVgprs: 50
; ScratchSize: 64
; MemoryBound: 0
; FloatMode: 240
; IeeeMode: 1
; LDSByteSize: 0 bytes/workgroup (compile time only)
; SGPRBlocks: 4
; VGPRBlocks: 6
; NumSGPRsForWavesPerEU: 36
; NumVGPRsForWavesPerEU: 50
; Occupancy: 16
; WaveLimiterHint : 1
; COMPUTE_PGM_RSRC2:SCRATCH_EN: 1
; COMPUTE_PGM_RSRC2:USER_SGPR: 15
; COMPUTE_PGM_RSRC2:TRAP_HANDLER: 0
; COMPUTE_PGM_RSRC2:TGID_X_EN: 1
; COMPUTE_PGM_RSRC2:TGID_Y_EN: 0
; COMPUTE_PGM_RSRC2:TGID_Z_EN: 0
; COMPUTE_PGM_RSRC2:TIDIG_COMP_CNT: 0
	.section	.text._Z13wvSplitKQ_hf_I6__halfN3c1015Float8_e4m3fnuzELi64ELi2ELi16ELi16ELi2ELi1EEviiiiiiPKT0_S5_PKT_PS6_PKfSB_ii,"axG",@progbits,_Z13wvSplitKQ_hf_I6__halfN3c1015Float8_e4m3fnuzELi64ELi2ELi16ELi16ELi2ELi1EEviiiiiiPKT0_S5_PKT_PS6_PKfSB_ii,comdat
	.protected	_Z13wvSplitKQ_hf_I6__halfN3c1015Float8_e4m3fnuzELi64ELi2ELi16ELi16ELi2ELi1EEviiiiiiPKT0_S5_PKT_PS6_PKfSB_ii ; -- Begin function _Z13wvSplitKQ_hf_I6__halfN3c1015Float8_e4m3fnuzELi64ELi2ELi16ELi16ELi2ELi1EEviiiiiiPKT0_S5_PKT_PS6_PKfSB_ii
	.globl	_Z13wvSplitKQ_hf_I6__halfN3c1015Float8_e4m3fnuzELi64ELi2ELi16ELi16ELi2ELi1EEviiiiiiPKT0_S5_PKT_PS6_PKfSB_ii
	.p2align	8
	.type	_Z13wvSplitKQ_hf_I6__halfN3c1015Float8_e4m3fnuzELi64ELi2ELi16ELi16ELi2ELi1EEviiiiiiPKT0_S5_PKT_PS6_PKfSB_ii,@function
_Z13wvSplitKQ_hf_I6__halfN3c1015Float8_e4m3fnuzELi64ELi2ELi16ELi16ELi2ELi1EEviiiiiiPKT0_S5_PKT_PS6_PKfSB_ii: ; @_Z13wvSplitKQ_hf_I6__halfN3c1015Float8_e4m3fnuzELi64ELi2ELi16ELi16ELi2ELi1EEviiiiiiPKT0_S5_PKT_PS6_PKfSB_ii
; %bb.0:
	s_add_u32 s8, s0, 0x50
	s_addc_u32 s9, s1, 0
	s_getpc_b64 s[0:1]
	s_add_u32 s0, s0, __PRETTY_FUNCTION__._Z13wvSplitKQ_hf_I6__halfN3c1015Float8_e4m3fnuzELi64ELi2ELi16ELi16ELi2ELi1EEviiiiiiPKT0_S5_PKT_PS6_PKfSB_ii@rel32@lo+4
	s_addc_u32 s1, s1, __PRETTY_FUNCTION__._Z13wvSplitKQ_hf_I6__halfN3c1015Float8_e4m3fnuzELi64ELi2ELi16ELi16ELi2ELi1EEviiiiiiPKT0_S5_PKT_PS6_PKfSB_ii@rel32@hi+12
	v_dual_mov_b32 v0, 0x8bf :: v_dual_mov_b32 v1, s0
	v_mov_b32_e32 v2, s1
	s_mov_b32 s32, 0
	s_getpc_b64 s[2:3]
	s_add_u32 s2, s2, __assert_fail@rel32@lo+4
	s_addc_u32 s3, s3, __assert_fail@rel32@hi+12
	s_delay_alu instid0(SALU_CYCLE_1)
	s_swappc_b64 s[30:31], s[2:3]
	.section	.rodata,"a",@progbits
	.p2align	6, 0x0
	.amdhsa_kernel _Z13wvSplitKQ_hf_I6__halfN3c1015Float8_e4m3fnuzELi64ELi2ELi16ELi16ELi2ELi1EEviiiiiiPKT0_S5_PKT_PS6_PKfSB_ii
		.amdhsa_group_segment_fixed_size 0
		.amdhsa_private_segment_fixed_size 64
		.amdhsa_kernarg_size 336
		.amdhsa_user_sgpr_count 15
		.amdhsa_user_sgpr_dispatch_ptr 0
		.amdhsa_user_sgpr_queue_ptr 0
		.amdhsa_user_sgpr_kernarg_segment_ptr 1
		.amdhsa_user_sgpr_dispatch_id 0
		.amdhsa_user_sgpr_private_segment_size 0
		.amdhsa_wavefront_size32 1
		.amdhsa_uses_dynamic_stack 0
		.amdhsa_enable_private_segment 1
		.amdhsa_system_sgpr_workgroup_id_x 1
		.amdhsa_system_sgpr_workgroup_id_y 0
		.amdhsa_system_sgpr_workgroup_id_z 0
		.amdhsa_system_sgpr_workgroup_info 0
		.amdhsa_system_vgpr_workitem_id 0
		.amdhsa_next_free_vgpr 50
		.amdhsa_next_free_sgpr 34
		.amdhsa_reserve_vcc 1
		.amdhsa_float_round_mode_32 0
		.amdhsa_float_round_mode_16_64 0
		.amdhsa_float_denorm_mode_32 3
		.amdhsa_float_denorm_mode_16_64 3
		.amdhsa_dx10_clamp 1
		.amdhsa_ieee_mode 1
		.amdhsa_fp16_overflow 0
		.amdhsa_workgroup_processor_mode 1
		.amdhsa_memory_ordered 1
		.amdhsa_forward_progress 0
		.amdhsa_shared_vgpr_count 0
		.amdhsa_exception_fp_ieee_invalid_op 0
		.amdhsa_exception_fp_denorm_src 0
		.amdhsa_exception_fp_ieee_div_zero 0
		.amdhsa_exception_fp_ieee_overflow 0
		.amdhsa_exception_fp_ieee_underflow 0
		.amdhsa_exception_fp_ieee_inexact 0
		.amdhsa_exception_int_div_zero 0
	.end_amdhsa_kernel
	.section	.text._Z13wvSplitKQ_hf_I6__halfN3c1015Float8_e4m3fnuzELi64ELi2ELi16ELi16ELi2ELi1EEviiiiiiPKT0_S5_PKT_PS6_PKfSB_ii,"axG",@progbits,_Z13wvSplitKQ_hf_I6__halfN3c1015Float8_e4m3fnuzELi64ELi2ELi16ELi16ELi2ELi1EEviiiiiiPKT0_S5_PKT_PS6_PKfSB_ii,comdat
.Lfunc_end357:
	.size	_Z13wvSplitKQ_hf_I6__halfN3c1015Float8_e4m3fnuzELi64ELi2ELi16ELi16ELi2ELi1EEviiiiiiPKT0_S5_PKT_PS6_PKfSB_ii, .Lfunc_end357-_Z13wvSplitKQ_hf_I6__halfN3c1015Float8_e4m3fnuzELi64ELi2ELi16ELi16ELi2ELi1EEviiiiiiPKT0_S5_PKT_PS6_PKfSB_ii
                                        ; -- End function
	.section	.AMDGPU.csdata,"",@progbits
; Kernel info:
; codeLenInByte = 80
; NumSgprs: 36
; NumVgprs: 50
; ScratchSize: 64
; MemoryBound: 0
; FloatMode: 240
; IeeeMode: 1
; LDSByteSize: 0 bytes/workgroup (compile time only)
; SGPRBlocks: 4
; VGPRBlocks: 6
; NumSGPRsForWavesPerEU: 36
; NumVGPRsForWavesPerEU: 50
; Occupancy: 16
; WaveLimiterHint : 1
; COMPUTE_PGM_RSRC2:SCRATCH_EN: 1
; COMPUTE_PGM_RSRC2:USER_SGPR: 15
; COMPUTE_PGM_RSRC2:TRAP_HANDLER: 0
; COMPUTE_PGM_RSRC2:TGID_X_EN: 1
; COMPUTE_PGM_RSRC2:TGID_Y_EN: 0
; COMPUTE_PGM_RSRC2:TGID_Z_EN: 0
; COMPUTE_PGM_RSRC2:TIDIG_COMP_CNT: 0
	.section	.text._Z17wvSplitKQ_hf_sml_I6__halfN3c1015Float8_e4m3fnuzELi32ELi2ELi16ELi16ELi2ELi2EEviiiiiiPKT0_S5_PKT_PS6_PKfSB_ii,"axG",@progbits,_Z17wvSplitKQ_hf_sml_I6__halfN3c1015Float8_e4m3fnuzELi32ELi2ELi16ELi16ELi2ELi2EEviiiiiiPKT0_S5_PKT_PS6_PKfSB_ii,comdat
	.protected	_Z17wvSplitKQ_hf_sml_I6__halfN3c1015Float8_e4m3fnuzELi32ELi2ELi16ELi16ELi2ELi2EEviiiiiiPKT0_S5_PKT_PS6_PKfSB_ii ; -- Begin function _Z17wvSplitKQ_hf_sml_I6__halfN3c1015Float8_e4m3fnuzELi32ELi2ELi16ELi16ELi2ELi2EEviiiiiiPKT0_S5_PKT_PS6_PKfSB_ii
	.globl	_Z17wvSplitKQ_hf_sml_I6__halfN3c1015Float8_e4m3fnuzELi32ELi2ELi16ELi16ELi2ELi2EEviiiiiiPKT0_S5_PKT_PS6_PKfSB_ii
	.p2align	8
	.type	_Z17wvSplitKQ_hf_sml_I6__halfN3c1015Float8_e4m3fnuzELi32ELi2ELi16ELi16ELi2ELi2EEviiiiiiPKT0_S5_PKT_PS6_PKfSB_ii,@function
_Z17wvSplitKQ_hf_sml_I6__halfN3c1015Float8_e4m3fnuzELi32ELi2ELi16ELi16ELi2ELi2EEviiiiiiPKT0_S5_PKT_PS6_PKfSB_ii: ; @_Z17wvSplitKQ_hf_sml_I6__halfN3c1015Float8_e4m3fnuzELi32ELi2ELi16ELi16ELi2ELi2EEviiiiiiPKT0_S5_PKT_PS6_PKfSB_ii
; %bb.0:
	s_add_u32 s8, s0, 0x50
	s_addc_u32 s9, s1, 0
	s_getpc_b64 s[0:1]
	s_add_u32 s0, s0, __PRETTY_FUNCTION__._Z17wvSplitKQ_hf_sml_I6__halfN3c1015Float8_e4m3fnuzELi32ELi2ELi16ELi16ELi2ELi2EEviiiiiiPKT0_S5_PKT_PS6_PKfSB_ii@rel32@lo+4
	s_addc_u32 s1, s1, __PRETTY_FUNCTION__._Z17wvSplitKQ_hf_sml_I6__halfN3c1015Float8_e4m3fnuzELi32ELi2ELi16ELi16ELi2ELi2EEviiiiiiPKT0_S5_PKT_PS6_PKfSB_ii@rel32@hi+12
	v_dual_mov_b32 v0, 0x7fa :: v_dual_mov_b32 v1, s0
	v_mov_b32_e32 v2, s1
	s_mov_b32 s32, 0
	s_getpc_b64 s[2:3]
	s_add_u32 s2, s2, __assert_fail@rel32@lo+4
	s_addc_u32 s3, s3, __assert_fail@rel32@hi+12
	s_delay_alu instid0(SALU_CYCLE_1)
	s_swappc_b64 s[30:31], s[2:3]
	.section	.rodata,"a",@progbits
	.p2align	6, 0x0
	.amdhsa_kernel _Z17wvSplitKQ_hf_sml_I6__halfN3c1015Float8_e4m3fnuzELi32ELi2ELi16ELi16ELi2ELi2EEviiiiiiPKT0_S5_PKT_PS6_PKfSB_ii
		.amdhsa_group_segment_fixed_size 0
		.amdhsa_private_segment_fixed_size 64
		.amdhsa_kernarg_size 336
		.amdhsa_user_sgpr_count 15
		.amdhsa_user_sgpr_dispatch_ptr 0
		.amdhsa_user_sgpr_queue_ptr 0
		.amdhsa_user_sgpr_kernarg_segment_ptr 1
		.amdhsa_user_sgpr_dispatch_id 0
		.amdhsa_user_sgpr_private_segment_size 0
		.amdhsa_wavefront_size32 1
		.amdhsa_uses_dynamic_stack 0
		.amdhsa_enable_private_segment 1
		.amdhsa_system_sgpr_workgroup_id_x 1
		.amdhsa_system_sgpr_workgroup_id_y 0
		.amdhsa_system_sgpr_workgroup_id_z 0
		.amdhsa_system_sgpr_workgroup_info 0
		.amdhsa_system_vgpr_workitem_id 0
		.amdhsa_next_free_vgpr 50
		.amdhsa_next_free_sgpr 34
		.amdhsa_reserve_vcc 1
		.amdhsa_float_round_mode_32 0
		.amdhsa_float_round_mode_16_64 0
		.amdhsa_float_denorm_mode_32 3
		.amdhsa_float_denorm_mode_16_64 3
		.amdhsa_dx10_clamp 1
		.amdhsa_ieee_mode 1
		.amdhsa_fp16_overflow 0
		.amdhsa_workgroup_processor_mode 1
		.amdhsa_memory_ordered 1
		.amdhsa_forward_progress 0
		.amdhsa_shared_vgpr_count 0
		.amdhsa_exception_fp_ieee_invalid_op 0
		.amdhsa_exception_fp_denorm_src 0
		.amdhsa_exception_fp_ieee_div_zero 0
		.amdhsa_exception_fp_ieee_overflow 0
		.amdhsa_exception_fp_ieee_underflow 0
		.amdhsa_exception_fp_ieee_inexact 0
		.amdhsa_exception_int_div_zero 0
	.end_amdhsa_kernel
	.section	.text._Z17wvSplitKQ_hf_sml_I6__halfN3c1015Float8_e4m3fnuzELi32ELi2ELi16ELi16ELi2ELi2EEviiiiiiPKT0_S5_PKT_PS6_PKfSB_ii,"axG",@progbits,_Z17wvSplitKQ_hf_sml_I6__halfN3c1015Float8_e4m3fnuzELi32ELi2ELi16ELi16ELi2ELi2EEviiiiiiPKT0_S5_PKT_PS6_PKfSB_ii,comdat
.Lfunc_end358:
	.size	_Z17wvSplitKQ_hf_sml_I6__halfN3c1015Float8_e4m3fnuzELi32ELi2ELi16ELi16ELi2ELi2EEviiiiiiPKT0_S5_PKT_PS6_PKfSB_ii, .Lfunc_end358-_Z17wvSplitKQ_hf_sml_I6__halfN3c1015Float8_e4m3fnuzELi32ELi2ELi16ELi16ELi2ELi2EEviiiiiiPKT0_S5_PKT_PS6_PKfSB_ii
                                        ; -- End function
	.section	.AMDGPU.csdata,"",@progbits
; Kernel info:
; codeLenInByte = 80
; NumSgprs: 36
; NumVgprs: 50
; ScratchSize: 64
; MemoryBound: 0
; FloatMode: 240
; IeeeMode: 1
; LDSByteSize: 0 bytes/workgroup (compile time only)
; SGPRBlocks: 4
; VGPRBlocks: 6
; NumSGPRsForWavesPerEU: 36
; NumVGPRsForWavesPerEU: 50
; Occupancy: 16
; WaveLimiterHint : 1
; COMPUTE_PGM_RSRC2:SCRATCH_EN: 1
; COMPUTE_PGM_RSRC2:USER_SGPR: 15
; COMPUTE_PGM_RSRC2:TRAP_HANDLER: 0
; COMPUTE_PGM_RSRC2:TGID_X_EN: 1
; COMPUTE_PGM_RSRC2:TGID_Y_EN: 0
; COMPUTE_PGM_RSRC2:TGID_Z_EN: 0
; COMPUTE_PGM_RSRC2:TIDIG_COMP_CNT: 0
	.section	.text._Z13wvSplitKQ_hf_I6__halfN3c1015Float8_e4m3fnuzELi32ELi2ELi16ELi16ELi2ELi2EEviiiiiiPKT0_S5_PKT_PS6_PKfSB_ii,"axG",@progbits,_Z13wvSplitKQ_hf_I6__halfN3c1015Float8_e4m3fnuzELi32ELi2ELi16ELi16ELi2ELi2EEviiiiiiPKT0_S5_PKT_PS6_PKfSB_ii,comdat
	.protected	_Z13wvSplitKQ_hf_I6__halfN3c1015Float8_e4m3fnuzELi32ELi2ELi16ELi16ELi2ELi2EEviiiiiiPKT0_S5_PKT_PS6_PKfSB_ii ; -- Begin function _Z13wvSplitKQ_hf_I6__halfN3c1015Float8_e4m3fnuzELi32ELi2ELi16ELi16ELi2ELi2EEviiiiiiPKT0_S5_PKT_PS6_PKfSB_ii
	.globl	_Z13wvSplitKQ_hf_I6__halfN3c1015Float8_e4m3fnuzELi32ELi2ELi16ELi16ELi2ELi2EEviiiiiiPKT0_S5_PKT_PS6_PKfSB_ii
	.p2align	8
	.type	_Z13wvSplitKQ_hf_I6__halfN3c1015Float8_e4m3fnuzELi32ELi2ELi16ELi16ELi2ELi2EEviiiiiiPKT0_S5_PKT_PS6_PKfSB_ii,@function
_Z13wvSplitKQ_hf_I6__halfN3c1015Float8_e4m3fnuzELi32ELi2ELi16ELi16ELi2ELi2EEviiiiiiPKT0_S5_PKT_PS6_PKfSB_ii: ; @_Z13wvSplitKQ_hf_I6__halfN3c1015Float8_e4m3fnuzELi32ELi2ELi16ELi16ELi2ELi2EEviiiiiiPKT0_S5_PKT_PS6_PKfSB_ii
; %bb.0:
	s_add_u32 s8, s0, 0x50
	s_addc_u32 s9, s1, 0
	s_getpc_b64 s[0:1]
	s_add_u32 s0, s0, __PRETTY_FUNCTION__._Z13wvSplitKQ_hf_I6__halfN3c1015Float8_e4m3fnuzELi32ELi2ELi16ELi16ELi2ELi2EEviiiiiiPKT0_S5_PKT_PS6_PKfSB_ii@rel32@lo+4
	s_addc_u32 s1, s1, __PRETTY_FUNCTION__._Z13wvSplitKQ_hf_I6__halfN3c1015Float8_e4m3fnuzELi32ELi2ELi16ELi16ELi2ELi2EEviiiiiiPKT0_S5_PKT_PS6_PKfSB_ii@rel32@hi+12
	v_dual_mov_b32 v0, 0x8bf :: v_dual_mov_b32 v1, s0
	v_mov_b32_e32 v2, s1
	s_mov_b32 s32, 0
	s_getpc_b64 s[2:3]
	s_add_u32 s2, s2, __assert_fail@rel32@lo+4
	s_addc_u32 s3, s3, __assert_fail@rel32@hi+12
	s_delay_alu instid0(SALU_CYCLE_1)
	s_swappc_b64 s[30:31], s[2:3]
	.section	.rodata,"a",@progbits
	.p2align	6, 0x0
	.amdhsa_kernel _Z13wvSplitKQ_hf_I6__halfN3c1015Float8_e4m3fnuzELi32ELi2ELi16ELi16ELi2ELi2EEviiiiiiPKT0_S5_PKT_PS6_PKfSB_ii
		.amdhsa_group_segment_fixed_size 0
		.amdhsa_private_segment_fixed_size 64
		.amdhsa_kernarg_size 336
		.amdhsa_user_sgpr_count 15
		.amdhsa_user_sgpr_dispatch_ptr 0
		.amdhsa_user_sgpr_queue_ptr 0
		.amdhsa_user_sgpr_kernarg_segment_ptr 1
		.amdhsa_user_sgpr_dispatch_id 0
		.amdhsa_user_sgpr_private_segment_size 0
		.amdhsa_wavefront_size32 1
		.amdhsa_uses_dynamic_stack 0
		.amdhsa_enable_private_segment 1
		.amdhsa_system_sgpr_workgroup_id_x 1
		.amdhsa_system_sgpr_workgroup_id_y 0
		.amdhsa_system_sgpr_workgroup_id_z 0
		.amdhsa_system_sgpr_workgroup_info 0
		.amdhsa_system_vgpr_workitem_id 0
		.amdhsa_next_free_vgpr 50
		.amdhsa_next_free_sgpr 34
		.amdhsa_reserve_vcc 1
		.amdhsa_float_round_mode_32 0
		.amdhsa_float_round_mode_16_64 0
		.amdhsa_float_denorm_mode_32 3
		.amdhsa_float_denorm_mode_16_64 3
		.amdhsa_dx10_clamp 1
		.amdhsa_ieee_mode 1
		.amdhsa_fp16_overflow 0
		.amdhsa_workgroup_processor_mode 1
		.amdhsa_memory_ordered 1
		.amdhsa_forward_progress 0
		.amdhsa_shared_vgpr_count 0
		.amdhsa_exception_fp_ieee_invalid_op 0
		.amdhsa_exception_fp_denorm_src 0
		.amdhsa_exception_fp_ieee_div_zero 0
		.amdhsa_exception_fp_ieee_overflow 0
		.amdhsa_exception_fp_ieee_underflow 0
		.amdhsa_exception_fp_ieee_inexact 0
		.amdhsa_exception_int_div_zero 0
	.end_amdhsa_kernel
	.section	.text._Z13wvSplitKQ_hf_I6__halfN3c1015Float8_e4m3fnuzELi32ELi2ELi16ELi16ELi2ELi2EEviiiiiiPKT0_S5_PKT_PS6_PKfSB_ii,"axG",@progbits,_Z13wvSplitKQ_hf_I6__halfN3c1015Float8_e4m3fnuzELi32ELi2ELi16ELi16ELi2ELi2EEviiiiiiPKT0_S5_PKT_PS6_PKfSB_ii,comdat
.Lfunc_end359:
	.size	_Z13wvSplitKQ_hf_I6__halfN3c1015Float8_e4m3fnuzELi32ELi2ELi16ELi16ELi2ELi2EEviiiiiiPKT0_S5_PKT_PS6_PKfSB_ii, .Lfunc_end359-_Z13wvSplitKQ_hf_I6__halfN3c1015Float8_e4m3fnuzELi32ELi2ELi16ELi16ELi2ELi2EEviiiiiiPKT0_S5_PKT_PS6_PKfSB_ii
                                        ; -- End function
	.section	.AMDGPU.csdata,"",@progbits
; Kernel info:
; codeLenInByte = 80
; NumSgprs: 36
; NumVgprs: 50
; ScratchSize: 64
; MemoryBound: 0
; FloatMode: 240
; IeeeMode: 1
; LDSByteSize: 0 bytes/workgroup (compile time only)
; SGPRBlocks: 4
; VGPRBlocks: 6
; NumSGPRsForWavesPerEU: 36
; NumVGPRsForWavesPerEU: 50
; Occupancy: 16
; WaveLimiterHint : 1
; COMPUTE_PGM_RSRC2:SCRATCH_EN: 1
; COMPUTE_PGM_RSRC2:USER_SGPR: 15
; COMPUTE_PGM_RSRC2:TRAP_HANDLER: 0
; COMPUTE_PGM_RSRC2:TGID_X_EN: 1
; COMPUTE_PGM_RSRC2:TGID_Y_EN: 0
; COMPUTE_PGM_RSRC2:TGID_Z_EN: 0
; COMPUTE_PGM_RSRC2:TIDIG_COMP_CNT: 0
	.section	.text._Z17wvSplitKQ_hf_sml_I6__halfN3c1015Float8_e4m3fnuzELi64ELi2ELi16ELi16ELi2ELi2EEviiiiiiPKT0_S5_PKT_PS6_PKfSB_ii,"axG",@progbits,_Z17wvSplitKQ_hf_sml_I6__halfN3c1015Float8_e4m3fnuzELi64ELi2ELi16ELi16ELi2ELi2EEviiiiiiPKT0_S5_PKT_PS6_PKfSB_ii,comdat
	.protected	_Z17wvSplitKQ_hf_sml_I6__halfN3c1015Float8_e4m3fnuzELi64ELi2ELi16ELi16ELi2ELi2EEviiiiiiPKT0_S5_PKT_PS6_PKfSB_ii ; -- Begin function _Z17wvSplitKQ_hf_sml_I6__halfN3c1015Float8_e4m3fnuzELi64ELi2ELi16ELi16ELi2ELi2EEviiiiiiPKT0_S5_PKT_PS6_PKfSB_ii
	.globl	_Z17wvSplitKQ_hf_sml_I6__halfN3c1015Float8_e4m3fnuzELi64ELi2ELi16ELi16ELi2ELi2EEviiiiiiPKT0_S5_PKT_PS6_PKfSB_ii
	.p2align	8
	.type	_Z17wvSplitKQ_hf_sml_I6__halfN3c1015Float8_e4m3fnuzELi64ELi2ELi16ELi16ELi2ELi2EEviiiiiiPKT0_S5_PKT_PS6_PKfSB_ii,@function
_Z17wvSplitKQ_hf_sml_I6__halfN3c1015Float8_e4m3fnuzELi64ELi2ELi16ELi16ELi2ELi2EEviiiiiiPKT0_S5_PKT_PS6_PKfSB_ii: ; @_Z17wvSplitKQ_hf_sml_I6__halfN3c1015Float8_e4m3fnuzELi64ELi2ELi16ELi16ELi2ELi2EEviiiiiiPKT0_S5_PKT_PS6_PKfSB_ii
; %bb.0:
	s_add_u32 s8, s0, 0x50
	s_addc_u32 s9, s1, 0
	s_getpc_b64 s[0:1]
	s_add_u32 s0, s0, __PRETTY_FUNCTION__._Z17wvSplitKQ_hf_sml_I6__halfN3c1015Float8_e4m3fnuzELi64ELi2ELi16ELi16ELi2ELi2EEviiiiiiPKT0_S5_PKT_PS6_PKfSB_ii@rel32@lo+4
	s_addc_u32 s1, s1, __PRETTY_FUNCTION__._Z17wvSplitKQ_hf_sml_I6__halfN3c1015Float8_e4m3fnuzELi64ELi2ELi16ELi16ELi2ELi2EEviiiiiiPKT0_S5_PKT_PS6_PKfSB_ii@rel32@hi+12
	v_dual_mov_b32 v0, 0x7fa :: v_dual_mov_b32 v1, s0
	v_mov_b32_e32 v2, s1
	s_mov_b32 s32, 0
	s_getpc_b64 s[2:3]
	s_add_u32 s2, s2, __assert_fail@rel32@lo+4
	s_addc_u32 s3, s3, __assert_fail@rel32@hi+12
	s_delay_alu instid0(SALU_CYCLE_1)
	s_swappc_b64 s[30:31], s[2:3]
	.section	.rodata,"a",@progbits
	.p2align	6, 0x0
	.amdhsa_kernel _Z17wvSplitKQ_hf_sml_I6__halfN3c1015Float8_e4m3fnuzELi64ELi2ELi16ELi16ELi2ELi2EEviiiiiiPKT0_S5_PKT_PS6_PKfSB_ii
		.amdhsa_group_segment_fixed_size 0
		.amdhsa_private_segment_fixed_size 64
		.amdhsa_kernarg_size 336
		.amdhsa_user_sgpr_count 15
		.amdhsa_user_sgpr_dispatch_ptr 0
		.amdhsa_user_sgpr_queue_ptr 0
		.amdhsa_user_sgpr_kernarg_segment_ptr 1
		.amdhsa_user_sgpr_dispatch_id 0
		.amdhsa_user_sgpr_private_segment_size 0
		.amdhsa_wavefront_size32 1
		.amdhsa_uses_dynamic_stack 0
		.amdhsa_enable_private_segment 1
		.amdhsa_system_sgpr_workgroup_id_x 1
		.amdhsa_system_sgpr_workgroup_id_y 0
		.amdhsa_system_sgpr_workgroup_id_z 0
		.amdhsa_system_sgpr_workgroup_info 0
		.amdhsa_system_vgpr_workitem_id 0
		.amdhsa_next_free_vgpr 50
		.amdhsa_next_free_sgpr 34
		.amdhsa_reserve_vcc 1
		.amdhsa_float_round_mode_32 0
		.amdhsa_float_round_mode_16_64 0
		.amdhsa_float_denorm_mode_32 3
		.amdhsa_float_denorm_mode_16_64 3
		.amdhsa_dx10_clamp 1
		.amdhsa_ieee_mode 1
		.amdhsa_fp16_overflow 0
		.amdhsa_workgroup_processor_mode 1
		.amdhsa_memory_ordered 1
		.amdhsa_forward_progress 0
		.amdhsa_shared_vgpr_count 0
		.amdhsa_exception_fp_ieee_invalid_op 0
		.amdhsa_exception_fp_denorm_src 0
		.amdhsa_exception_fp_ieee_div_zero 0
		.amdhsa_exception_fp_ieee_overflow 0
		.amdhsa_exception_fp_ieee_underflow 0
		.amdhsa_exception_fp_ieee_inexact 0
		.amdhsa_exception_int_div_zero 0
	.end_amdhsa_kernel
	.section	.text._Z17wvSplitKQ_hf_sml_I6__halfN3c1015Float8_e4m3fnuzELi64ELi2ELi16ELi16ELi2ELi2EEviiiiiiPKT0_S5_PKT_PS6_PKfSB_ii,"axG",@progbits,_Z17wvSplitKQ_hf_sml_I6__halfN3c1015Float8_e4m3fnuzELi64ELi2ELi16ELi16ELi2ELi2EEviiiiiiPKT0_S5_PKT_PS6_PKfSB_ii,comdat
.Lfunc_end360:
	.size	_Z17wvSplitKQ_hf_sml_I6__halfN3c1015Float8_e4m3fnuzELi64ELi2ELi16ELi16ELi2ELi2EEviiiiiiPKT0_S5_PKT_PS6_PKfSB_ii, .Lfunc_end360-_Z17wvSplitKQ_hf_sml_I6__halfN3c1015Float8_e4m3fnuzELi64ELi2ELi16ELi16ELi2ELi2EEviiiiiiPKT0_S5_PKT_PS6_PKfSB_ii
                                        ; -- End function
	.section	.AMDGPU.csdata,"",@progbits
; Kernel info:
; codeLenInByte = 80
; NumSgprs: 36
; NumVgprs: 50
; ScratchSize: 64
; MemoryBound: 0
; FloatMode: 240
; IeeeMode: 1
; LDSByteSize: 0 bytes/workgroup (compile time only)
; SGPRBlocks: 4
; VGPRBlocks: 6
; NumSGPRsForWavesPerEU: 36
; NumVGPRsForWavesPerEU: 50
; Occupancy: 16
; WaveLimiterHint : 1
; COMPUTE_PGM_RSRC2:SCRATCH_EN: 1
; COMPUTE_PGM_RSRC2:USER_SGPR: 15
; COMPUTE_PGM_RSRC2:TRAP_HANDLER: 0
; COMPUTE_PGM_RSRC2:TGID_X_EN: 1
; COMPUTE_PGM_RSRC2:TGID_Y_EN: 0
; COMPUTE_PGM_RSRC2:TGID_Z_EN: 0
; COMPUTE_PGM_RSRC2:TIDIG_COMP_CNT: 0
	.section	.text._Z13wvSplitKQ_hf_I6__halfN3c1015Float8_e4m3fnuzELi64ELi2ELi16ELi16ELi2ELi2EEviiiiiiPKT0_S5_PKT_PS6_PKfSB_ii,"axG",@progbits,_Z13wvSplitKQ_hf_I6__halfN3c1015Float8_e4m3fnuzELi64ELi2ELi16ELi16ELi2ELi2EEviiiiiiPKT0_S5_PKT_PS6_PKfSB_ii,comdat
	.protected	_Z13wvSplitKQ_hf_I6__halfN3c1015Float8_e4m3fnuzELi64ELi2ELi16ELi16ELi2ELi2EEviiiiiiPKT0_S5_PKT_PS6_PKfSB_ii ; -- Begin function _Z13wvSplitKQ_hf_I6__halfN3c1015Float8_e4m3fnuzELi64ELi2ELi16ELi16ELi2ELi2EEviiiiiiPKT0_S5_PKT_PS6_PKfSB_ii
	.globl	_Z13wvSplitKQ_hf_I6__halfN3c1015Float8_e4m3fnuzELi64ELi2ELi16ELi16ELi2ELi2EEviiiiiiPKT0_S5_PKT_PS6_PKfSB_ii
	.p2align	8
	.type	_Z13wvSplitKQ_hf_I6__halfN3c1015Float8_e4m3fnuzELi64ELi2ELi16ELi16ELi2ELi2EEviiiiiiPKT0_S5_PKT_PS6_PKfSB_ii,@function
_Z13wvSplitKQ_hf_I6__halfN3c1015Float8_e4m3fnuzELi64ELi2ELi16ELi16ELi2ELi2EEviiiiiiPKT0_S5_PKT_PS6_PKfSB_ii: ; @_Z13wvSplitKQ_hf_I6__halfN3c1015Float8_e4m3fnuzELi64ELi2ELi16ELi16ELi2ELi2EEviiiiiiPKT0_S5_PKT_PS6_PKfSB_ii
; %bb.0:
	s_add_u32 s8, s0, 0x50
	s_addc_u32 s9, s1, 0
	s_getpc_b64 s[0:1]
	s_add_u32 s0, s0, __PRETTY_FUNCTION__._Z13wvSplitKQ_hf_I6__halfN3c1015Float8_e4m3fnuzELi64ELi2ELi16ELi16ELi2ELi2EEviiiiiiPKT0_S5_PKT_PS6_PKfSB_ii@rel32@lo+4
	s_addc_u32 s1, s1, __PRETTY_FUNCTION__._Z13wvSplitKQ_hf_I6__halfN3c1015Float8_e4m3fnuzELi64ELi2ELi16ELi16ELi2ELi2EEviiiiiiPKT0_S5_PKT_PS6_PKfSB_ii@rel32@hi+12
	v_dual_mov_b32 v0, 0x8bf :: v_dual_mov_b32 v1, s0
	v_mov_b32_e32 v2, s1
	s_mov_b32 s32, 0
	s_getpc_b64 s[2:3]
	s_add_u32 s2, s2, __assert_fail@rel32@lo+4
	s_addc_u32 s3, s3, __assert_fail@rel32@hi+12
	s_delay_alu instid0(SALU_CYCLE_1)
	s_swappc_b64 s[30:31], s[2:3]
	.section	.rodata,"a",@progbits
	.p2align	6, 0x0
	.amdhsa_kernel _Z13wvSplitKQ_hf_I6__halfN3c1015Float8_e4m3fnuzELi64ELi2ELi16ELi16ELi2ELi2EEviiiiiiPKT0_S5_PKT_PS6_PKfSB_ii
		.amdhsa_group_segment_fixed_size 0
		.amdhsa_private_segment_fixed_size 64
		.amdhsa_kernarg_size 336
		.amdhsa_user_sgpr_count 15
		.amdhsa_user_sgpr_dispatch_ptr 0
		.amdhsa_user_sgpr_queue_ptr 0
		.amdhsa_user_sgpr_kernarg_segment_ptr 1
		.amdhsa_user_sgpr_dispatch_id 0
		.amdhsa_user_sgpr_private_segment_size 0
		.amdhsa_wavefront_size32 1
		.amdhsa_uses_dynamic_stack 0
		.amdhsa_enable_private_segment 1
		.amdhsa_system_sgpr_workgroup_id_x 1
		.amdhsa_system_sgpr_workgroup_id_y 0
		.amdhsa_system_sgpr_workgroup_id_z 0
		.amdhsa_system_sgpr_workgroup_info 0
		.amdhsa_system_vgpr_workitem_id 0
		.amdhsa_next_free_vgpr 50
		.amdhsa_next_free_sgpr 34
		.amdhsa_reserve_vcc 1
		.amdhsa_float_round_mode_32 0
		.amdhsa_float_round_mode_16_64 0
		.amdhsa_float_denorm_mode_32 3
		.amdhsa_float_denorm_mode_16_64 3
		.amdhsa_dx10_clamp 1
		.amdhsa_ieee_mode 1
		.amdhsa_fp16_overflow 0
		.amdhsa_workgroup_processor_mode 1
		.amdhsa_memory_ordered 1
		.amdhsa_forward_progress 0
		.amdhsa_shared_vgpr_count 0
		.amdhsa_exception_fp_ieee_invalid_op 0
		.amdhsa_exception_fp_denorm_src 0
		.amdhsa_exception_fp_ieee_div_zero 0
		.amdhsa_exception_fp_ieee_overflow 0
		.amdhsa_exception_fp_ieee_underflow 0
		.amdhsa_exception_fp_ieee_inexact 0
		.amdhsa_exception_int_div_zero 0
	.end_amdhsa_kernel
	.section	.text._Z13wvSplitKQ_hf_I6__halfN3c1015Float8_e4m3fnuzELi64ELi2ELi16ELi16ELi2ELi2EEviiiiiiPKT0_S5_PKT_PS6_PKfSB_ii,"axG",@progbits,_Z13wvSplitKQ_hf_I6__halfN3c1015Float8_e4m3fnuzELi64ELi2ELi16ELi16ELi2ELi2EEviiiiiiPKT0_S5_PKT_PS6_PKfSB_ii,comdat
.Lfunc_end361:
	.size	_Z13wvSplitKQ_hf_I6__halfN3c1015Float8_e4m3fnuzELi64ELi2ELi16ELi16ELi2ELi2EEviiiiiiPKT0_S5_PKT_PS6_PKfSB_ii, .Lfunc_end361-_Z13wvSplitKQ_hf_I6__halfN3c1015Float8_e4m3fnuzELi64ELi2ELi16ELi16ELi2ELi2EEviiiiiiPKT0_S5_PKT_PS6_PKfSB_ii
                                        ; -- End function
	.section	.AMDGPU.csdata,"",@progbits
; Kernel info:
; codeLenInByte = 80
; NumSgprs: 36
; NumVgprs: 50
; ScratchSize: 64
; MemoryBound: 0
; FloatMode: 240
; IeeeMode: 1
; LDSByteSize: 0 bytes/workgroup (compile time only)
; SGPRBlocks: 4
; VGPRBlocks: 6
; NumSGPRsForWavesPerEU: 36
; NumVGPRsForWavesPerEU: 50
; Occupancy: 16
; WaveLimiterHint : 1
; COMPUTE_PGM_RSRC2:SCRATCH_EN: 1
; COMPUTE_PGM_RSRC2:USER_SGPR: 15
; COMPUTE_PGM_RSRC2:TRAP_HANDLER: 0
; COMPUTE_PGM_RSRC2:TGID_X_EN: 1
; COMPUTE_PGM_RSRC2:TGID_Y_EN: 0
; COMPUTE_PGM_RSRC2:TGID_Z_EN: 0
; COMPUTE_PGM_RSRC2:TIDIG_COMP_CNT: 0
	.section	.text._Z17wvSplitKQ_hf_sml_I6__halfN3c1015Float8_e4m3fnuzELi32ELi2ELi16ELi16ELi1ELi3EEviiiiiiPKT0_S5_PKT_PS6_PKfSB_ii,"axG",@progbits,_Z17wvSplitKQ_hf_sml_I6__halfN3c1015Float8_e4m3fnuzELi32ELi2ELi16ELi16ELi1ELi3EEviiiiiiPKT0_S5_PKT_PS6_PKfSB_ii,comdat
	.protected	_Z17wvSplitKQ_hf_sml_I6__halfN3c1015Float8_e4m3fnuzELi32ELi2ELi16ELi16ELi1ELi3EEviiiiiiPKT0_S5_PKT_PS6_PKfSB_ii ; -- Begin function _Z17wvSplitKQ_hf_sml_I6__halfN3c1015Float8_e4m3fnuzELi32ELi2ELi16ELi16ELi1ELi3EEviiiiiiPKT0_S5_PKT_PS6_PKfSB_ii
	.globl	_Z17wvSplitKQ_hf_sml_I6__halfN3c1015Float8_e4m3fnuzELi32ELi2ELi16ELi16ELi1ELi3EEviiiiiiPKT0_S5_PKT_PS6_PKfSB_ii
	.p2align	8
	.type	_Z17wvSplitKQ_hf_sml_I6__halfN3c1015Float8_e4m3fnuzELi32ELi2ELi16ELi16ELi1ELi3EEviiiiiiPKT0_S5_PKT_PS6_PKfSB_ii,@function
_Z17wvSplitKQ_hf_sml_I6__halfN3c1015Float8_e4m3fnuzELi32ELi2ELi16ELi16ELi1ELi3EEviiiiiiPKT0_S5_PKT_PS6_PKfSB_ii: ; @_Z17wvSplitKQ_hf_sml_I6__halfN3c1015Float8_e4m3fnuzELi32ELi2ELi16ELi16ELi1ELi3EEviiiiiiPKT0_S5_PKT_PS6_PKfSB_ii
; %bb.0:
	s_add_u32 s8, s0, 0x50
	s_addc_u32 s9, s1, 0
	s_getpc_b64 s[0:1]
	s_add_u32 s0, s0, __PRETTY_FUNCTION__._Z17wvSplitKQ_hf_sml_I6__halfN3c1015Float8_e4m3fnuzELi32ELi2ELi16ELi16ELi1ELi3EEviiiiiiPKT0_S5_PKT_PS6_PKfSB_ii@rel32@lo+4
	s_addc_u32 s1, s1, __PRETTY_FUNCTION__._Z17wvSplitKQ_hf_sml_I6__halfN3c1015Float8_e4m3fnuzELi32ELi2ELi16ELi16ELi1ELi3EEviiiiiiPKT0_S5_PKT_PS6_PKfSB_ii@rel32@hi+12
	v_dual_mov_b32 v0, 0x7fa :: v_dual_mov_b32 v1, s0
	v_mov_b32_e32 v2, s1
	s_mov_b32 s32, 0
	s_getpc_b64 s[2:3]
	s_add_u32 s2, s2, __assert_fail@rel32@lo+4
	s_addc_u32 s3, s3, __assert_fail@rel32@hi+12
	s_delay_alu instid0(SALU_CYCLE_1)
	s_swappc_b64 s[30:31], s[2:3]
	.section	.rodata,"a",@progbits
	.p2align	6, 0x0
	.amdhsa_kernel _Z17wvSplitKQ_hf_sml_I6__halfN3c1015Float8_e4m3fnuzELi32ELi2ELi16ELi16ELi1ELi3EEviiiiiiPKT0_S5_PKT_PS6_PKfSB_ii
		.amdhsa_group_segment_fixed_size 0
		.amdhsa_private_segment_fixed_size 64
		.amdhsa_kernarg_size 336
		.amdhsa_user_sgpr_count 15
		.amdhsa_user_sgpr_dispatch_ptr 0
		.amdhsa_user_sgpr_queue_ptr 0
		.amdhsa_user_sgpr_kernarg_segment_ptr 1
		.amdhsa_user_sgpr_dispatch_id 0
		.amdhsa_user_sgpr_private_segment_size 0
		.amdhsa_wavefront_size32 1
		.amdhsa_uses_dynamic_stack 0
		.amdhsa_enable_private_segment 1
		.amdhsa_system_sgpr_workgroup_id_x 1
		.amdhsa_system_sgpr_workgroup_id_y 0
		.amdhsa_system_sgpr_workgroup_id_z 0
		.amdhsa_system_sgpr_workgroup_info 0
		.amdhsa_system_vgpr_workitem_id 0
		.amdhsa_next_free_vgpr 50
		.amdhsa_next_free_sgpr 34
		.amdhsa_reserve_vcc 1
		.amdhsa_float_round_mode_32 0
		.amdhsa_float_round_mode_16_64 0
		.amdhsa_float_denorm_mode_32 3
		.amdhsa_float_denorm_mode_16_64 3
		.amdhsa_dx10_clamp 1
		.amdhsa_ieee_mode 1
		.amdhsa_fp16_overflow 0
		.amdhsa_workgroup_processor_mode 1
		.amdhsa_memory_ordered 1
		.amdhsa_forward_progress 0
		.amdhsa_shared_vgpr_count 0
		.amdhsa_exception_fp_ieee_invalid_op 0
		.amdhsa_exception_fp_denorm_src 0
		.amdhsa_exception_fp_ieee_div_zero 0
		.amdhsa_exception_fp_ieee_overflow 0
		.amdhsa_exception_fp_ieee_underflow 0
		.amdhsa_exception_fp_ieee_inexact 0
		.amdhsa_exception_int_div_zero 0
	.end_amdhsa_kernel
	.section	.text._Z17wvSplitKQ_hf_sml_I6__halfN3c1015Float8_e4m3fnuzELi32ELi2ELi16ELi16ELi1ELi3EEviiiiiiPKT0_S5_PKT_PS6_PKfSB_ii,"axG",@progbits,_Z17wvSplitKQ_hf_sml_I6__halfN3c1015Float8_e4m3fnuzELi32ELi2ELi16ELi16ELi1ELi3EEviiiiiiPKT0_S5_PKT_PS6_PKfSB_ii,comdat
.Lfunc_end362:
	.size	_Z17wvSplitKQ_hf_sml_I6__halfN3c1015Float8_e4m3fnuzELi32ELi2ELi16ELi16ELi1ELi3EEviiiiiiPKT0_S5_PKT_PS6_PKfSB_ii, .Lfunc_end362-_Z17wvSplitKQ_hf_sml_I6__halfN3c1015Float8_e4m3fnuzELi32ELi2ELi16ELi16ELi1ELi3EEviiiiiiPKT0_S5_PKT_PS6_PKfSB_ii
                                        ; -- End function
	.section	.AMDGPU.csdata,"",@progbits
; Kernel info:
; codeLenInByte = 80
; NumSgprs: 36
; NumVgprs: 50
; ScratchSize: 64
; MemoryBound: 0
; FloatMode: 240
; IeeeMode: 1
; LDSByteSize: 0 bytes/workgroup (compile time only)
; SGPRBlocks: 4
; VGPRBlocks: 6
; NumSGPRsForWavesPerEU: 36
; NumVGPRsForWavesPerEU: 50
; Occupancy: 16
; WaveLimiterHint : 1
; COMPUTE_PGM_RSRC2:SCRATCH_EN: 1
; COMPUTE_PGM_RSRC2:USER_SGPR: 15
; COMPUTE_PGM_RSRC2:TRAP_HANDLER: 0
; COMPUTE_PGM_RSRC2:TGID_X_EN: 1
; COMPUTE_PGM_RSRC2:TGID_Y_EN: 0
; COMPUTE_PGM_RSRC2:TGID_Z_EN: 0
; COMPUTE_PGM_RSRC2:TIDIG_COMP_CNT: 0
	.section	.text._Z13wvSplitKQ_hf_I6__halfN3c1015Float8_e4m3fnuzELi32ELi2ELi16ELi16ELi1ELi3EEviiiiiiPKT0_S5_PKT_PS6_PKfSB_ii,"axG",@progbits,_Z13wvSplitKQ_hf_I6__halfN3c1015Float8_e4m3fnuzELi32ELi2ELi16ELi16ELi1ELi3EEviiiiiiPKT0_S5_PKT_PS6_PKfSB_ii,comdat
	.protected	_Z13wvSplitKQ_hf_I6__halfN3c1015Float8_e4m3fnuzELi32ELi2ELi16ELi16ELi1ELi3EEviiiiiiPKT0_S5_PKT_PS6_PKfSB_ii ; -- Begin function _Z13wvSplitKQ_hf_I6__halfN3c1015Float8_e4m3fnuzELi32ELi2ELi16ELi16ELi1ELi3EEviiiiiiPKT0_S5_PKT_PS6_PKfSB_ii
	.globl	_Z13wvSplitKQ_hf_I6__halfN3c1015Float8_e4m3fnuzELi32ELi2ELi16ELi16ELi1ELi3EEviiiiiiPKT0_S5_PKT_PS6_PKfSB_ii
	.p2align	8
	.type	_Z13wvSplitKQ_hf_I6__halfN3c1015Float8_e4m3fnuzELi32ELi2ELi16ELi16ELi1ELi3EEviiiiiiPKT0_S5_PKT_PS6_PKfSB_ii,@function
_Z13wvSplitKQ_hf_I6__halfN3c1015Float8_e4m3fnuzELi32ELi2ELi16ELi16ELi1ELi3EEviiiiiiPKT0_S5_PKT_PS6_PKfSB_ii: ; @_Z13wvSplitKQ_hf_I6__halfN3c1015Float8_e4m3fnuzELi32ELi2ELi16ELi16ELi1ELi3EEviiiiiiPKT0_S5_PKT_PS6_PKfSB_ii
; %bb.0:
	s_add_u32 s8, s0, 0x50
	s_addc_u32 s9, s1, 0
	s_getpc_b64 s[0:1]
	s_add_u32 s0, s0, __PRETTY_FUNCTION__._Z13wvSplitKQ_hf_I6__halfN3c1015Float8_e4m3fnuzELi32ELi2ELi16ELi16ELi1ELi3EEviiiiiiPKT0_S5_PKT_PS6_PKfSB_ii@rel32@lo+4
	s_addc_u32 s1, s1, __PRETTY_FUNCTION__._Z13wvSplitKQ_hf_I6__halfN3c1015Float8_e4m3fnuzELi32ELi2ELi16ELi16ELi1ELi3EEviiiiiiPKT0_S5_PKT_PS6_PKfSB_ii@rel32@hi+12
	v_dual_mov_b32 v0, 0x8bf :: v_dual_mov_b32 v1, s0
	v_mov_b32_e32 v2, s1
	s_mov_b32 s32, 0
	s_getpc_b64 s[2:3]
	s_add_u32 s2, s2, __assert_fail@rel32@lo+4
	s_addc_u32 s3, s3, __assert_fail@rel32@hi+12
	s_delay_alu instid0(SALU_CYCLE_1)
	s_swappc_b64 s[30:31], s[2:3]
	.section	.rodata,"a",@progbits
	.p2align	6, 0x0
	.amdhsa_kernel _Z13wvSplitKQ_hf_I6__halfN3c1015Float8_e4m3fnuzELi32ELi2ELi16ELi16ELi1ELi3EEviiiiiiPKT0_S5_PKT_PS6_PKfSB_ii
		.amdhsa_group_segment_fixed_size 0
		.amdhsa_private_segment_fixed_size 64
		.amdhsa_kernarg_size 336
		.amdhsa_user_sgpr_count 15
		.amdhsa_user_sgpr_dispatch_ptr 0
		.amdhsa_user_sgpr_queue_ptr 0
		.amdhsa_user_sgpr_kernarg_segment_ptr 1
		.amdhsa_user_sgpr_dispatch_id 0
		.amdhsa_user_sgpr_private_segment_size 0
		.amdhsa_wavefront_size32 1
		.amdhsa_uses_dynamic_stack 0
		.amdhsa_enable_private_segment 1
		.amdhsa_system_sgpr_workgroup_id_x 1
		.amdhsa_system_sgpr_workgroup_id_y 0
		.amdhsa_system_sgpr_workgroup_id_z 0
		.amdhsa_system_sgpr_workgroup_info 0
		.amdhsa_system_vgpr_workitem_id 0
		.amdhsa_next_free_vgpr 50
		.amdhsa_next_free_sgpr 34
		.amdhsa_reserve_vcc 1
		.amdhsa_float_round_mode_32 0
		.amdhsa_float_round_mode_16_64 0
		.amdhsa_float_denorm_mode_32 3
		.amdhsa_float_denorm_mode_16_64 3
		.amdhsa_dx10_clamp 1
		.amdhsa_ieee_mode 1
		.amdhsa_fp16_overflow 0
		.amdhsa_workgroup_processor_mode 1
		.amdhsa_memory_ordered 1
		.amdhsa_forward_progress 0
		.amdhsa_shared_vgpr_count 0
		.amdhsa_exception_fp_ieee_invalid_op 0
		.amdhsa_exception_fp_denorm_src 0
		.amdhsa_exception_fp_ieee_div_zero 0
		.amdhsa_exception_fp_ieee_overflow 0
		.amdhsa_exception_fp_ieee_underflow 0
		.amdhsa_exception_fp_ieee_inexact 0
		.amdhsa_exception_int_div_zero 0
	.end_amdhsa_kernel
	.section	.text._Z13wvSplitKQ_hf_I6__halfN3c1015Float8_e4m3fnuzELi32ELi2ELi16ELi16ELi1ELi3EEviiiiiiPKT0_S5_PKT_PS6_PKfSB_ii,"axG",@progbits,_Z13wvSplitKQ_hf_I6__halfN3c1015Float8_e4m3fnuzELi32ELi2ELi16ELi16ELi1ELi3EEviiiiiiPKT0_S5_PKT_PS6_PKfSB_ii,comdat
.Lfunc_end363:
	.size	_Z13wvSplitKQ_hf_I6__halfN3c1015Float8_e4m3fnuzELi32ELi2ELi16ELi16ELi1ELi3EEviiiiiiPKT0_S5_PKT_PS6_PKfSB_ii, .Lfunc_end363-_Z13wvSplitKQ_hf_I6__halfN3c1015Float8_e4m3fnuzELi32ELi2ELi16ELi16ELi1ELi3EEviiiiiiPKT0_S5_PKT_PS6_PKfSB_ii
                                        ; -- End function
	.section	.AMDGPU.csdata,"",@progbits
; Kernel info:
; codeLenInByte = 80
; NumSgprs: 36
; NumVgprs: 50
; ScratchSize: 64
; MemoryBound: 0
; FloatMode: 240
; IeeeMode: 1
; LDSByteSize: 0 bytes/workgroup (compile time only)
; SGPRBlocks: 4
; VGPRBlocks: 6
; NumSGPRsForWavesPerEU: 36
; NumVGPRsForWavesPerEU: 50
; Occupancy: 16
; WaveLimiterHint : 1
; COMPUTE_PGM_RSRC2:SCRATCH_EN: 1
; COMPUTE_PGM_RSRC2:USER_SGPR: 15
; COMPUTE_PGM_RSRC2:TRAP_HANDLER: 0
; COMPUTE_PGM_RSRC2:TGID_X_EN: 1
; COMPUTE_PGM_RSRC2:TGID_Y_EN: 0
; COMPUTE_PGM_RSRC2:TGID_Z_EN: 0
; COMPUTE_PGM_RSRC2:TIDIG_COMP_CNT: 0
	.section	.text._Z17wvSplitKQ_hf_sml_I6__halfN3c1015Float8_e4m3fnuzELi64ELi2ELi16ELi16ELi1ELi3EEviiiiiiPKT0_S5_PKT_PS6_PKfSB_ii,"axG",@progbits,_Z17wvSplitKQ_hf_sml_I6__halfN3c1015Float8_e4m3fnuzELi64ELi2ELi16ELi16ELi1ELi3EEviiiiiiPKT0_S5_PKT_PS6_PKfSB_ii,comdat
	.protected	_Z17wvSplitKQ_hf_sml_I6__halfN3c1015Float8_e4m3fnuzELi64ELi2ELi16ELi16ELi1ELi3EEviiiiiiPKT0_S5_PKT_PS6_PKfSB_ii ; -- Begin function _Z17wvSplitKQ_hf_sml_I6__halfN3c1015Float8_e4m3fnuzELi64ELi2ELi16ELi16ELi1ELi3EEviiiiiiPKT0_S5_PKT_PS6_PKfSB_ii
	.globl	_Z17wvSplitKQ_hf_sml_I6__halfN3c1015Float8_e4m3fnuzELi64ELi2ELi16ELi16ELi1ELi3EEviiiiiiPKT0_S5_PKT_PS6_PKfSB_ii
	.p2align	8
	.type	_Z17wvSplitKQ_hf_sml_I6__halfN3c1015Float8_e4m3fnuzELi64ELi2ELi16ELi16ELi1ELi3EEviiiiiiPKT0_S5_PKT_PS6_PKfSB_ii,@function
_Z17wvSplitKQ_hf_sml_I6__halfN3c1015Float8_e4m3fnuzELi64ELi2ELi16ELi16ELi1ELi3EEviiiiiiPKT0_S5_PKT_PS6_PKfSB_ii: ; @_Z17wvSplitKQ_hf_sml_I6__halfN3c1015Float8_e4m3fnuzELi64ELi2ELi16ELi16ELi1ELi3EEviiiiiiPKT0_S5_PKT_PS6_PKfSB_ii
; %bb.0:
	s_add_u32 s8, s0, 0x50
	s_addc_u32 s9, s1, 0
	s_getpc_b64 s[0:1]
	s_add_u32 s0, s0, __PRETTY_FUNCTION__._Z17wvSplitKQ_hf_sml_I6__halfN3c1015Float8_e4m3fnuzELi64ELi2ELi16ELi16ELi1ELi3EEviiiiiiPKT0_S5_PKT_PS6_PKfSB_ii@rel32@lo+4
	s_addc_u32 s1, s1, __PRETTY_FUNCTION__._Z17wvSplitKQ_hf_sml_I6__halfN3c1015Float8_e4m3fnuzELi64ELi2ELi16ELi16ELi1ELi3EEviiiiiiPKT0_S5_PKT_PS6_PKfSB_ii@rel32@hi+12
	v_dual_mov_b32 v0, 0x7fa :: v_dual_mov_b32 v1, s0
	v_mov_b32_e32 v2, s1
	s_mov_b32 s32, 0
	s_getpc_b64 s[2:3]
	s_add_u32 s2, s2, __assert_fail@rel32@lo+4
	s_addc_u32 s3, s3, __assert_fail@rel32@hi+12
	s_delay_alu instid0(SALU_CYCLE_1)
	s_swappc_b64 s[30:31], s[2:3]
	.section	.rodata,"a",@progbits
	.p2align	6, 0x0
	.amdhsa_kernel _Z17wvSplitKQ_hf_sml_I6__halfN3c1015Float8_e4m3fnuzELi64ELi2ELi16ELi16ELi1ELi3EEviiiiiiPKT0_S5_PKT_PS6_PKfSB_ii
		.amdhsa_group_segment_fixed_size 0
		.amdhsa_private_segment_fixed_size 64
		.amdhsa_kernarg_size 336
		.amdhsa_user_sgpr_count 15
		.amdhsa_user_sgpr_dispatch_ptr 0
		.amdhsa_user_sgpr_queue_ptr 0
		.amdhsa_user_sgpr_kernarg_segment_ptr 1
		.amdhsa_user_sgpr_dispatch_id 0
		.amdhsa_user_sgpr_private_segment_size 0
		.amdhsa_wavefront_size32 1
		.amdhsa_uses_dynamic_stack 0
		.amdhsa_enable_private_segment 1
		.amdhsa_system_sgpr_workgroup_id_x 1
		.amdhsa_system_sgpr_workgroup_id_y 0
		.amdhsa_system_sgpr_workgroup_id_z 0
		.amdhsa_system_sgpr_workgroup_info 0
		.amdhsa_system_vgpr_workitem_id 0
		.amdhsa_next_free_vgpr 50
		.amdhsa_next_free_sgpr 34
		.amdhsa_reserve_vcc 1
		.amdhsa_float_round_mode_32 0
		.amdhsa_float_round_mode_16_64 0
		.amdhsa_float_denorm_mode_32 3
		.amdhsa_float_denorm_mode_16_64 3
		.amdhsa_dx10_clamp 1
		.amdhsa_ieee_mode 1
		.amdhsa_fp16_overflow 0
		.amdhsa_workgroup_processor_mode 1
		.amdhsa_memory_ordered 1
		.amdhsa_forward_progress 0
		.amdhsa_shared_vgpr_count 0
		.amdhsa_exception_fp_ieee_invalid_op 0
		.amdhsa_exception_fp_denorm_src 0
		.amdhsa_exception_fp_ieee_div_zero 0
		.amdhsa_exception_fp_ieee_overflow 0
		.amdhsa_exception_fp_ieee_underflow 0
		.amdhsa_exception_fp_ieee_inexact 0
		.amdhsa_exception_int_div_zero 0
	.end_amdhsa_kernel
	.section	.text._Z17wvSplitKQ_hf_sml_I6__halfN3c1015Float8_e4m3fnuzELi64ELi2ELi16ELi16ELi1ELi3EEviiiiiiPKT0_S5_PKT_PS6_PKfSB_ii,"axG",@progbits,_Z17wvSplitKQ_hf_sml_I6__halfN3c1015Float8_e4m3fnuzELi64ELi2ELi16ELi16ELi1ELi3EEviiiiiiPKT0_S5_PKT_PS6_PKfSB_ii,comdat
.Lfunc_end364:
	.size	_Z17wvSplitKQ_hf_sml_I6__halfN3c1015Float8_e4m3fnuzELi64ELi2ELi16ELi16ELi1ELi3EEviiiiiiPKT0_S5_PKT_PS6_PKfSB_ii, .Lfunc_end364-_Z17wvSplitKQ_hf_sml_I6__halfN3c1015Float8_e4m3fnuzELi64ELi2ELi16ELi16ELi1ELi3EEviiiiiiPKT0_S5_PKT_PS6_PKfSB_ii
                                        ; -- End function
	.section	.AMDGPU.csdata,"",@progbits
; Kernel info:
; codeLenInByte = 80
; NumSgprs: 36
; NumVgprs: 50
; ScratchSize: 64
; MemoryBound: 0
; FloatMode: 240
; IeeeMode: 1
; LDSByteSize: 0 bytes/workgroup (compile time only)
; SGPRBlocks: 4
; VGPRBlocks: 6
; NumSGPRsForWavesPerEU: 36
; NumVGPRsForWavesPerEU: 50
; Occupancy: 16
; WaveLimiterHint : 1
; COMPUTE_PGM_RSRC2:SCRATCH_EN: 1
; COMPUTE_PGM_RSRC2:USER_SGPR: 15
; COMPUTE_PGM_RSRC2:TRAP_HANDLER: 0
; COMPUTE_PGM_RSRC2:TGID_X_EN: 1
; COMPUTE_PGM_RSRC2:TGID_Y_EN: 0
; COMPUTE_PGM_RSRC2:TGID_Z_EN: 0
; COMPUTE_PGM_RSRC2:TIDIG_COMP_CNT: 0
	.section	.text._Z13wvSplitKQ_hf_I6__halfN3c1015Float8_e4m3fnuzELi64ELi2ELi16ELi16ELi1ELi3EEviiiiiiPKT0_S5_PKT_PS6_PKfSB_ii,"axG",@progbits,_Z13wvSplitKQ_hf_I6__halfN3c1015Float8_e4m3fnuzELi64ELi2ELi16ELi16ELi1ELi3EEviiiiiiPKT0_S5_PKT_PS6_PKfSB_ii,comdat
	.protected	_Z13wvSplitKQ_hf_I6__halfN3c1015Float8_e4m3fnuzELi64ELi2ELi16ELi16ELi1ELi3EEviiiiiiPKT0_S5_PKT_PS6_PKfSB_ii ; -- Begin function _Z13wvSplitKQ_hf_I6__halfN3c1015Float8_e4m3fnuzELi64ELi2ELi16ELi16ELi1ELi3EEviiiiiiPKT0_S5_PKT_PS6_PKfSB_ii
	.globl	_Z13wvSplitKQ_hf_I6__halfN3c1015Float8_e4m3fnuzELi64ELi2ELi16ELi16ELi1ELi3EEviiiiiiPKT0_S5_PKT_PS6_PKfSB_ii
	.p2align	8
	.type	_Z13wvSplitKQ_hf_I6__halfN3c1015Float8_e4m3fnuzELi64ELi2ELi16ELi16ELi1ELi3EEviiiiiiPKT0_S5_PKT_PS6_PKfSB_ii,@function
_Z13wvSplitKQ_hf_I6__halfN3c1015Float8_e4m3fnuzELi64ELi2ELi16ELi16ELi1ELi3EEviiiiiiPKT0_S5_PKT_PS6_PKfSB_ii: ; @_Z13wvSplitKQ_hf_I6__halfN3c1015Float8_e4m3fnuzELi64ELi2ELi16ELi16ELi1ELi3EEviiiiiiPKT0_S5_PKT_PS6_PKfSB_ii
; %bb.0:
	s_add_u32 s8, s0, 0x50
	s_addc_u32 s9, s1, 0
	s_getpc_b64 s[0:1]
	s_add_u32 s0, s0, __PRETTY_FUNCTION__._Z13wvSplitKQ_hf_I6__halfN3c1015Float8_e4m3fnuzELi64ELi2ELi16ELi16ELi1ELi3EEviiiiiiPKT0_S5_PKT_PS6_PKfSB_ii@rel32@lo+4
	s_addc_u32 s1, s1, __PRETTY_FUNCTION__._Z13wvSplitKQ_hf_I6__halfN3c1015Float8_e4m3fnuzELi64ELi2ELi16ELi16ELi1ELi3EEviiiiiiPKT0_S5_PKT_PS6_PKfSB_ii@rel32@hi+12
	v_dual_mov_b32 v0, 0x8bf :: v_dual_mov_b32 v1, s0
	v_mov_b32_e32 v2, s1
	s_mov_b32 s32, 0
	s_getpc_b64 s[2:3]
	s_add_u32 s2, s2, __assert_fail@rel32@lo+4
	s_addc_u32 s3, s3, __assert_fail@rel32@hi+12
	s_delay_alu instid0(SALU_CYCLE_1)
	s_swappc_b64 s[30:31], s[2:3]
	.section	.rodata,"a",@progbits
	.p2align	6, 0x0
	.amdhsa_kernel _Z13wvSplitKQ_hf_I6__halfN3c1015Float8_e4m3fnuzELi64ELi2ELi16ELi16ELi1ELi3EEviiiiiiPKT0_S5_PKT_PS6_PKfSB_ii
		.amdhsa_group_segment_fixed_size 0
		.amdhsa_private_segment_fixed_size 64
		.amdhsa_kernarg_size 336
		.amdhsa_user_sgpr_count 15
		.amdhsa_user_sgpr_dispatch_ptr 0
		.amdhsa_user_sgpr_queue_ptr 0
		.amdhsa_user_sgpr_kernarg_segment_ptr 1
		.amdhsa_user_sgpr_dispatch_id 0
		.amdhsa_user_sgpr_private_segment_size 0
		.amdhsa_wavefront_size32 1
		.amdhsa_uses_dynamic_stack 0
		.amdhsa_enable_private_segment 1
		.amdhsa_system_sgpr_workgroup_id_x 1
		.amdhsa_system_sgpr_workgroup_id_y 0
		.amdhsa_system_sgpr_workgroup_id_z 0
		.amdhsa_system_sgpr_workgroup_info 0
		.amdhsa_system_vgpr_workitem_id 0
		.amdhsa_next_free_vgpr 50
		.amdhsa_next_free_sgpr 34
		.amdhsa_reserve_vcc 1
		.amdhsa_float_round_mode_32 0
		.amdhsa_float_round_mode_16_64 0
		.amdhsa_float_denorm_mode_32 3
		.amdhsa_float_denorm_mode_16_64 3
		.amdhsa_dx10_clamp 1
		.amdhsa_ieee_mode 1
		.amdhsa_fp16_overflow 0
		.amdhsa_workgroup_processor_mode 1
		.amdhsa_memory_ordered 1
		.amdhsa_forward_progress 0
		.amdhsa_shared_vgpr_count 0
		.amdhsa_exception_fp_ieee_invalid_op 0
		.amdhsa_exception_fp_denorm_src 0
		.amdhsa_exception_fp_ieee_div_zero 0
		.amdhsa_exception_fp_ieee_overflow 0
		.amdhsa_exception_fp_ieee_underflow 0
		.amdhsa_exception_fp_ieee_inexact 0
		.amdhsa_exception_int_div_zero 0
	.end_amdhsa_kernel
	.section	.text._Z13wvSplitKQ_hf_I6__halfN3c1015Float8_e4m3fnuzELi64ELi2ELi16ELi16ELi1ELi3EEviiiiiiPKT0_S5_PKT_PS6_PKfSB_ii,"axG",@progbits,_Z13wvSplitKQ_hf_I6__halfN3c1015Float8_e4m3fnuzELi64ELi2ELi16ELi16ELi1ELi3EEviiiiiiPKT0_S5_PKT_PS6_PKfSB_ii,comdat
.Lfunc_end365:
	.size	_Z13wvSplitKQ_hf_I6__halfN3c1015Float8_e4m3fnuzELi64ELi2ELi16ELi16ELi1ELi3EEviiiiiiPKT0_S5_PKT_PS6_PKfSB_ii, .Lfunc_end365-_Z13wvSplitKQ_hf_I6__halfN3c1015Float8_e4m3fnuzELi64ELi2ELi16ELi16ELi1ELi3EEviiiiiiPKT0_S5_PKT_PS6_PKfSB_ii
                                        ; -- End function
	.section	.AMDGPU.csdata,"",@progbits
; Kernel info:
; codeLenInByte = 80
; NumSgprs: 36
; NumVgprs: 50
; ScratchSize: 64
; MemoryBound: 0
; FloatMode: 240
; IeeeMode: 1
; LDSByteSize: 0 bytes/workgroup (compile time only)
; SGPRBlocks: 4
; VGPRBlocks: 6
; NumSGPRsForWavesPerEU: 36
; NumVGPRsForWavesPerEU: 50
; Occupancy: 16
; WaveLimiterHint : 1
; COMPUTE_PGM_RSRC2:SCRATCH_EN: 1
; COMPUTE_PGM_RSRC2:USER_SGPR: 15
; COMPUTE_PGM_RSRC2:TRAP_HANDLER: 0
; COMPUTE_PGM_RSRC2:TGID_X_EN: 1
; COMPUTE_PGM_RSRC2:TGID_Y_EN: 0
; COMPUTE_PGM_RSRC2:TGID_Z_EN: 0
; COMPUTE_PGM_RSRC2:TIDIG_COMP_CNT: 0
	.section	.text._Z17wvSplitKQ_hf_sml_I6__halfN3c1015Float8_e4m3fnuzELi32ELi2ELi16ELi16ELi1ELi4EEviiiiiiPKT0_S5_PKT_PS6_PKfSB_ii,"axG",@progbits,_Z17wvSplitKQ_hf_sml_I6__halfN3c1015Float8_e4m3fnuzELi32ELi2ELi16ELi16ELi1ELi4EEviiiiiiPKT0_S5_PKT_PS6_PKfSB_ii,comdat
	.protected	_Z17wvSplitKQ_hf_sml_I6__halfN3c1015Float8_e4m3fnuzELi32ELi2ELi16ELi16ELi1ELi4EEviiiiiiPKT0_S5_PKT_PS6_PKfSB_ii ; -- Begin function _Z17wvSplitKQ_hf_sml_I6__halfN3c1015Float8_e4m3fnuzELi32ELi2ELi16ELi16ELi1ELi4EEviiiiiiPKT0_S5_PKT_PS6_PKfSB_ii
	.globl	_Z17wvSplitKQ_hf_sml_I6__halfN3c1015Float8_e4m3fnuzELi32ELi2ELi16ELi16ELi1ELi4EEviiiiiiPKT0_S5_PKT_PS6_PKfSB_ii
	.p2align	8
	.type	_Z17wvSplitKQ_hf_sml_I6__halfN3c1015Float8_e4m3fnuzELi32ELi2ELi16ELi16ELi1ELi4EEviiiiiiPKT0_S5_PKT_PS6_PKfSB_ii,@function
_Z17wvSplitKQ_hf_sml_I6__halfN3c1015Float8_e4m3fnuzELi32ELi2ELi16ELi16ELi1ELi4EEviiiiiiPKT0_S5_PKT_PS6_PKfSB_ii: ; @_Z17wvSplitKQ_hf_sml_I6__halfN3c1015Float8_e4m3fnuzELi32ELi2ELi16ELi16ELi1ELi4EEviiiiiiPKT0_S5_PKT_PS6_PKfSB_ii
; %bb.0:
	s_add_u32 s8, s0, 0x50
	s_addc_u32 s9, s1, 0
	s_getpc_b64 s[0:1]
	s_add_u32 s0, s0, __PRETTY_FUNCTION__._Z17wvSplitKQ_hf_sml_I6__halfN3c1015Float8_e4m3fnuzELi32ELi2ELi16ELi16ELi1ELi4EEviiiiiiPKT0_S5_PKT_PS6_PKfSB_ii@rel32@lo+4
	s_addc_u32 s1, s1, __PRETTY_FUNCTION__._Z17wvSplitKQ_hf_sml_I6__halfN3c1015Float8_e4m3fnuzELi32ELi2ELi16ELi16ELi1ELi4EEviiiiiiPKT0_S5_PKT_PS6_PKfSB_ii@rel32@hi+12
	v_dual_mov_b32 v0, 0x7fa :: v_dual_mov_b32 v1, s0
	v_mov_b32_e32 v2, s1
	s_mov_b32 s32, 0
	s_getpc_b64 s[2:3]
	s_add_u32 s2, s2, __assert_fail@rel32@lo+4
	s_addc_u32 s3, s3, __assert_fail@rel32@hi+12
	s_delay_alu instid0(SALU_CYCLE_1)
	s_swappc_b64 s[30:31], s[2:3]
	.section	.rodata,"a",@progbits
	.p2align	6, 0x0
	.amdhsa_kernel _Z17wvSplitKQ_hf_sml_I6__halfN3c1015Float8_e4m3fnuzELi32ELi2ELi16ELi16ELi1ELi4EEviiiiiiPKT0_S5_PKT_PS6_PKfSB_ii
		.amdhsa_group_segment_fixed_size 0
		.amdhsa_private_segment_fixed_size 64
		.amdhsa_kernarg_size 336
		.amdhsa_user_sgpr_count 15
		.amdhsa_user_sgpr_dispatch_ptr 0
		.amdhsa_user_sgpr_queue_ptr 0
		.amdhsa_user_sgpr_kernarg_segment_ptr 1
		.amdhsa_user_sgpr_dispatch_id 0
		.amdhsa_user_sgpr_private_segment_size 0
		.amdhsa_wavefront_size32 1
		.amdhsa_uses_dynamic_stack 0
		.amdhsa_enable_private_segment 1
		.amdhsa_system_sgpr_workgroup_id_x 1
		.amdhsa_system_sgpr_workgroup_id_y 0
		.amdhsa_system_sgpr_workgroup_id_z 0
		.amdhsa_system_sgpr_workgroup_info 0
		.amdhsa_system_vgpr_workitem_id 0
		.amdhsa_next_free_vgpr 50
		.amdhsa_next_free_sgpr 34
		.amdhsa_reserve_vcc 1
		.amdhsa_float_round_mode_32 0
		.amdhsa_float_round_mode_16_64 0
		.amdhsa_float_denorm_mode_32 3
		.amdhsa_float_denorm_mode_16_64 3
		.amdhsa_dx10_clamp 1
		.amdhsa_ieee_mode 1
		.amdhsa_fp16_overflow 0
		.amdhsa_workgroup_processor_mode 1
		.amdhsa_memory_ordered 1
		.amdhsa_forward_progress 0
		.amdhsa_shared_vgpr_count 0
		.amdhsa_exception_fp_ieee_invalid_op 0
		.amdhsa_exception_fp_denorm_src 0
		.amdhsa_exception_fp_ieee_div_zero 0
		.amdhsa_exception_fp_ieee_overflow 0
		.amdhsa_exception_fp_ieee_underflow 0
		.amdhsa_exception_fp_ieee_inexact 0
		.amdhsa_exception_int_div_zero 0
	.end_amdhsa_kernel
	.section	.text._Z17wvSplitKQ_hf_sml_I6__halfN3c1015Float8_e4m3fnuzELi32ELi2ELi16ELi16ELi1ELi4EEviiiiiiPKT0_S5_PKT_PS6_PKfSB_ii,"axG",@progbits,_Z17wvSplitKQ_hf_sml_I6__halfN3c1015Float8_e4m3fnuzELi32ELi2ELi16ELi16ELi1ELi4EEviiiiiiPKT0_S5_PKT_PS6_PKfSB_ii,comdat
.Lfunc_end366:
	.size	_Z17wvSplitKQ_hf_sml_I6__halfN3c1015Float8_e4m3fnuzELi32ELi2ELi16ELi16ELi1ELi4EEviiiiiiPKT0_S5_PKT_PS6_PKfSB_ii, .Lfunc_end366-_Z17wvSplitKQ_hf_sml_I6__halfN3c1015Float8_e4m3fnuzELi32ELi2ELi16ELi16ELi1ELi4EEviiiiiiPKT0_S5_PKT_PS6_PKfSB_ii
                                        ; -- End function
	.section	.AMDGPU.csdata,"",@progbits
; Kernel info:
; codeLenInByte = 80
; NumSgprs: 36
; NumVgprs: 50
; ScratchSize: 64
; MemoryBound: 0
; FloatMode: 240
; IeeeMode: 1
; LDSByteSize: 0 bytes/workgroup (compile time only)
; SGPRBlocks: 4
; VGPRBlocks: 6
; NumSGPRsForWavesPerEU: 36
; NumVGPRsForWavesPerEU: 50
; Occupancy: 16
; WaveLimiterHint : 1
; COMPUTE_PGM_RSRC2:SCRATCH_EN: 1
; COMPUTE_PGM_RSRC2:USER_SGPR: 15
; COMPUTE_PGM_RSRC2:TRAP_HANDLER: 0
; COMPUTE_PGM_RSRC2:TGID_X_EN: 1
; COMPUTE_PGM_RSRC2:TGID_Y_EN: 0
; COMPUTE_PGM_RSRC2:TGID_Z_EN: 0
; COMPUTE_PGM_RSRC2:TIDIG_COMP_CNT: 0
	.section	.text._Z13wvSplitKQ_hf_I6__halfN3c1015Float8_e4m3fnuzELi32ELi2ELi16ELi16ELi1ELi4EEviiiiiiPKT0_S5_PKT_PS6_PKfSB_ii,"axG",@progbits,_Z13wvSplitKQ_hf_I6__halfN3c1015Float8_e4m3fnuzELi32ELi2ELi16ELi16ELi1ELi4EEviiiiiiPKT0_S5_PKT_PS6_PKfSB_ii,comdat
	.protected	_Z13wvSplitKQ_hf_I6__halfN3c1015Float8_e4m3fnuzELi32ELi2ELi16ELi16ELi1ELi4EEviiiiiiPKT0_S5_PKT_PS6_PKfSB_ii ; -- Begin function _Z13wvSplitKQ_hf_I6__halfN3c1015Float8_e4m3fnuzELi32ELi2ELi16ELi16ELi1ELi4EEviiiiiiPKT0_S5_PKT_PS6_PKfSB_ii
	.globl	_Z13wvSplitKQ_hf_I6__halfN3c1015Float8_e4m3fnuzELi32ELi2ELi16ELi16ELi1ELi4EEviiiiiiPKT0_S5_PKT_PS6_PKfSB_ii
	.p2align	8
	.type	_Z13wvSplitKQ_hf_I6__halfN3c1015Float8_e4m3fnuzELi32ELi2ELi16ELi16ELi1ELi4EEviiiiiiPKT0_S5_PKT_PS6_PKfSB_ii,@function
_Z13wvSplitKQ_hf_I6__halfN3c1015Float8_e4m3fnuzELi32ELi2ELi16ELi16ELi1ELi4EEviiiiiiPKT0_S5_PKT_PS6_PKfSB_ii: ; @_Z13wvSplitKQ_hf_I6__halfN3c1015Float8_e4m3fnuzELi32ELi2ELi16ELi16ELi1ELi4EEviiiiiiPKT0_S5_PKT_PS6_PKfSB_ii
; %bb.0:
	s_add_u32 s8, s0, 0x50
	s_addc_u32 s9, s1, 0
	s_getpc_b64 s[0:1]
	s_add_u32 s0, s0, __PRETTY_FUNCTION__._Z13wvSplitKQ_hf_I6__halfN3c1015Float8_e4m3fnuzELi32ELi2ELi16ELi16ELi1ELi4EEviiiiiiPKT0_S5_PKT_PS6_PKfSB_ii@rel32@lo+4
	s_addc_u32 s1, s1, __PRETTY_FUNCTION__._Z13wvSplitKQ_hf_I6__halfN3c1015Float8_e4m3fnuzELi32ELi2ELi16ELi16ELi1ELi4EEviiiiiiPKT0_S5_PKT_PS6_PKfSB_ii@rel32@hi+12
	v_dual_mov_b32 v0, 0x8bf :: v_dual_mov_b32 v1, s0
	v_mov_b32_e32 v2, s1
	s_mov_b32 s32, 0
	s_getpc_b64 s[2:3]
	s_add_u32 s2, s2, __assert_fail@rel32@lo+4
	s_addc_u32 s3, s3, __assert_fail@rel32@hi+12
	s_delay_alu instid0(SALU_CYCLE_1)
	s_swappc_b64 s[30:31], s[2:3]
	.section	.rodata,"a",@progbits
	.p2align	6, 0x0
	.amdhsa_kernel _Z13wvSplitKQ_hf_I6__halfN3c1015Float8_e4m3fnuzELi32ELi2ELi16ELi16ELi1ELi4EEviiiiiiPKT0_S5_PKT_PS6_PKfSB_ii
		.amdhsa_group_segment_fixed_size 0
		.amdhsa_private_segment_fixed_size 64
		.amdhsa_kernarg_size 336
		.amdhsa_user_sgpr_count 15
		.amdhsa_user_sgpr_dispatch_ptr 0
		.amdhsa_user_sgpr_queue_ptr 0
		.amdhsa_user_sgpr_kernarg_segment_ptr 1
		.amdhsa_user_sgpr_dispatch_id 0
		.amdhsa_user_sgpr_private_segment_size 0
		.amdhsa_wavefront_size32 1
		.amdhsa_uses_dynamic_stack 0
		.amdhsa_enable_private_segment 1
		.amdhsa_system_sgpr_workgroup_id_x 1
		.amdhsa_system_sgpr_workgroup_id_y 0
		.amdhsa_system_sgpr_workgroup_id_z 0
		.amdhsa_system_sgpr_workgroup_info 0
		.amdhsa_system_vgpr_workitem_id 0
		.amdhsa_next_free_vgpr 50
		.amdhsa_next_free_sgpr 34
		.amdhsa_reserve_vcc 1
		.amdhsa_float_round_mode_32 0
		.amdhsa_float_round_mode_16_64 0
		.amdhsa_float_denorm_mode_32 3
		.amdhsa_float_denorm_mode_16_64 3
		.amdhsa_dx10_clamp 1
		.amdhsa_ieee_mode 1
		.amdhsa_fp16_overflow 0
		.amdhsa_workgroup_processor_mode 1
		.amdhsa_memory_ordered 1
		.amdhsa_forward_progress 0
		.amdhsa_shared_vgpr_count 0
		.amdhsa_exception_fp_ieee_invalid_op 0
		.amdhsa_exception_fp_denorm_src 0
		.amdhsa_exception_fp_ieee_div_zero 0
		.amdhsa_exception_fp_ieee_overflow 0
		.amdhsa_exception_fp_ieee_underflow 0
		.amdhsa_exception_fp_ieee_inexact 0
		.amdhsa_exception_int_div_zero 0
	.end_amdhsa_kernel
	.section	.text._Z13wvSplitKQ_hf_I6__halfN3c1015Float8_e4m3fnuzELi32ELi2ELi16ELi16ELi1ELi4EEviiiiiiPKT0_S5_PKT_PS6_PKfSB_ii,"axG",@progbits,_Z13wvSplitKQ_hf_I6__halfN3c1015Float8_e4m3fnuzELi32ELi2ELi16ELi16ELi1ELi4EEviiiiiiPKT0_S5_PKT_PS6_PKfSB_ii,comdat
.Lfunc_end367:
	.size	_Z13wvSplitKQ_hf_I6__halfN3c1015Float8_e4m3fnuzELi32ELi2ELi16ELi16ELi1ELi4EEviiiiiiPKT0_S5_PKT_PS6_PKfSB_ii, .Lfunc_end367-_Z13wvSplitKQ_hf_I6__halfN3c1015Float8_e4m3fnuzELi32ELi2ELi16ELi16ELi1ELi4EEviiiiiiPKT0_S5_PKT_PS6_PKfSB_ii
                                        ; -- End function
	.section	.AMDGPU.csdata,"",@progbits
; Kernel info:
; codeLenInByte = 80
; NumSgprs: 36
; NumVgprs: 50
; ScratchSize: 64
; MemoryBound: 0
; FloatMode: 240
; IeeeMode: 1
; LDSByteSize: 0 bytes/workgroup (compile time only)
; SGPRBlocks: 4
; VGPRBlocks: 6
; NumSGPRsForWavesPerEU: 36
; NumVGPRsForWavesPerEU: 50
; Occupancy: 16
; WaveLimiterHint : 1
; COMPUTE_PGM_RSRC2:SCRATCH_EN: 1
; COMPUTE_PGM_RSRC2:USER_SGPR: 15
; COMPUTE_PGM_RSRC2:TRAP_HANDLER: 0
; COMPUTE_PGM_RSRC2:TGID_X_EN: 1
; COMPUTE_PGM_RSRC2:TGID_Y_EN: 0
; COMPUTE_PGM_RSRC2:TGID_Z_EN: 0
; COMPUTE_PGM_RSRC2:TIDIG_COMP_CNT: 0
	.section	.text._Z17wvSplitKQ_hf_sml_I6__halfN3c1015Float8_e4m3fnuzELi64ELi2ELi16ELi16ELi1ELi4EEviiiiiiPKT0_S5_PKT_PS6_PKfSB_ii,"axG",@progbits,_Z17wvSplitKQ_hf_sml_I6__halfN3c1015Float8_e4m3fnuzELi64ELi2ELi16ELi16ELi1ELi4EEviiiiiiPKT0_S5_PKT_PS6_PKfSB_ii,comdat
	.protected	_Z17wvSplitKQ_hf_sml_I6__halfN3c1015Float8_e4m3fnuzELi64ELi2ELi16ELi16ELi1ELi4EEviiiiiiPKT0_S5_PKT_PS6_PKfSB_ii ; -- Begin function _Z17wvSplitKQ_hf_sml_I6__halfN3c1015Float8_e4m3fnuzELi64ELi2ELi16ELi16ELi1ELi4EEviiiiiiPKT0_S5_PKT_PS6_PKfSB_ii
	.globl	_Z17wvSplitKQ_hf_sml_I6__halfN3c1015Float8_e4m3fnuzELi64ELi2ELi16ELi16ELi1ELi4EEviiiiiiPKT0_S5_PKT_PS6_PKfSB_ii
	.p2align	8
	.type	_Z17wvSplitKQ_hf_sml_I6__halfN3c1015Float8_e4m3fnuzELi64ELi2ELi16ELi16ELi1ELi4EEviiiiiiPKT0_S5_PKT_PS6_PKfSB_ii,@function
_Z17wvSplitKQ_hf_sml_I6__halfN3c1015Float8_e4m3fnuzELi64ELi2ELi16ELi16ELi1ELi4EEviiiiiiPKT0_S5_PKT_PS6_PKfSB_ii: ; @_Z17wvSplitKQ_hf_sml_I6__halfN3c1015Float8_e4m3fnuzELi64ELi2ELi16ELi16ELi1ELi4EEviiiiiiPKT0_S5_PKT_PS6_PKfSB_ii
; %bb.0:
	s_add_u32 s8, s0, 0x50
	s_addc_u32 s9, s1, 0
	s_getpc_b64 s[0:1]
	s_add_u32 s0, s0, __PRETTY_FUNCTION__._Z17wvSplitKQ_hf_sml_I6__halfN3c1015Float8_e4m3fnuzELi64ELi2ELi16ELi16ELi1ELi4EEviiiiiiPKT0_S5_PKT_PS6_PKfSB_ii@rel32@lo+4
	s_addc_u32 s1, s1, __PRETTY_FUNCTION__._Z17wvSplitKQ_hf_sml_I6__halfN3c1015Float8_e4m3fnuzELi64ELi2ELi16ELi16ELi1ELi4EEviiiiiiPKT0_S5_PKT_PS6_PKfSB_ii@rel32@hi+12
	v_dual_mov_b32 v0, 0x7fa :: v_dual_mov_b32 v1, s0
	v_mov_b32_e32 v2, s1
	s_mov_b32 s32, 0
	s_getpc_b64 s[2:3]
	s_add_u32 s2, s2, __assert_fail@rel32@lo+4
	s_addc_u32 s3, s3, __assert_fail@rel32@hi+12
	s_delay_alu instid0(SALU_CYCLE_1)
	s_swappc_b64 s[30:31], s[2:3]
	.section	.rodata,"a",@progbits
	.p2align	6, 0x0
	.amdhsa_kernel _Z17wvSplitKQ_hf_sml_I6__halfN3c1015Float8_e4m3fnuzELi64ELi2ELi16ELi16ELi1ELi4EEviiiiiiPKT0_S5_PKT_PS6_PKfSB_ii
		.amdhsa_group_segment_fixed_size 0
		.amdhsa_private_segment_fixed_size 64
		.amdhsa_kernarg_size 336
		.amdhsa_user_sgpr_count 15
		.amdhsa_user_sgpr_dispatch_ptr 0
		.amdhsa_user_sgpr_queue_ptr 0
		.amdhsa_user_sgpr_kernarg_segment_ptr 1
		.amdhsa_user_sgpr_dispatch_id 0
		.amdhsa_user_sgpr_private_segment_size 0
		.amdhsa_wavefront_size32 1
		.amdhsa_uses_dynamic_stack 0
		.amdhsa_enable_private_segment 1
		.amdhsa_system_sgpr_workgroup_id_x 1
		.amdhsa_system_sgpr_workgroup_id_y 0
		.amdhsa_system_sgpr_workgroup_id_z 0
		.amdhsa_system_sgpr_workgroup_info 0
		.amdhsa_system_vgpr_workitem_id 0
		.amdhsa_next_free_vgpr 50
		.amdhsa_next_free_sgpr 34
		.amdhsa_reserve_vcc 1
		.amdhsa_float_round_mode_32 0
		.amdhsa_float_round_mode_16_64 0
		.amdhsa_float_denorm_mode_32 3
		.amdhsa_float_denorm_mode_16_64 3
		.amdhsa_dx10_clamp 1
		.amdhsa_ieee_mode 1
		.amdhsa_fp16_overflow 0
		.amdhsa_workgroup_processor_mode 1
		.amdhsa_memory_ordered 1
		.amdhsa_forward_progress 0
		.amdhsa_shared_vgpr_count 0
		.amdhsa_exception_fp_ieee_invalid_op 0
		.amdhsa_exception_fp_denorm_src 0
		.amdhsa_exception_fp_ieee_div_zero 0
		.amdhsa_exception_fp_ieee_overflow 0
		.amdhsa_exception_fp_ieee_underflow 0
		.amdhsa_exception_fp_ieee_inexact 0
		.amdhsa_exception_int_div_zero 0
	.end_amdhsa_kernel
	.section	.text._Z17wvSplitKQ_hf_sml_I6__halfN3c1015Float8_e4m3fnuzELi64ELi2ELi16ELi16ELi1ELi4EEviiiiiiPKT0_S5_PKT_PS6_PKfSB_ii,"axG",@progbits,_Z17wvSplitKQ_hf_sml_I6__halfN3c1015Float8_e4m3fnuzELi64ELi2ELi16ELi16ELi1ELi4EEviiiiiiPKT0_S5_PKT_PS6_PKfSB_ii,comdat
.Lfunc_end368:
	.size	_Z17wvSplitKQ_hf_sml_I6__halfN3c1015Float8_e4m3fnuzELi64ELi2ELi16ELi16ELi1ELi4EEviiiiiiPKT0_S5_PKT_PS6_PKfSB_ii, .Lfunc_end368-_Z17wvSplitKQ_hf_sml_I6__halfN3c1015Float8_e4m3fnuzELi64ELi2ELi16ELi16ELi1ELi4EEviiiiiiPKT0_S5_PKT_PS6_PKfSB_ii
                                        ; -- End function
	.section	.AMDGPU.csdata,"",@progbits
; Kernel info:
; codeLenInByte = 80
; NumSgprs: 36
; NumVgprs: 50
; ScratchSize: 64
; MemoryBound: 0
; FloatMode: 240
; IeeeMode: 1
; LDSByteSize: 0 bytes/workgroup (compile time only)
; SGPRBlocks: 4
; VGPRBlocks: 6
; NumSGPRsForWavesPerEU: 36
; NumVGPRsForWavesPerEU: 50
; Occupancy: 16
; WaveLimiterHint : 1
; COMPUTE_PGM_RSRC2:SCRATCH_EN: 1
; COMPUTE_PGM_RSRC2:USER_SGPR: 15
; COMPUTE_PGM_RSRC2:TRAP_HANDLER: 0
; COMPUTE_PGM_RSRC2:TGID_X_EN: 1
; COMPUTE_PGM_RSRC2:TGID_Y_EN: 0
; COMPUTE_PGM_RSRC2:TGID_Z_EN: 0
; COMPUTE_PGM_RSRC2:TIDIG_COMP_CNT: 0
	.section	.text._Z13wvSplitKQ_hf_I6__halfN3c1015Float8_e4m3fnuzELi64ELi2ELi16ELi16ELi1ELi4EEviiiiiiPKT0_S5_PKT_PS6_PKfSB_ii,"axG",@progbits,_Z13wvSplitKQ_hf_I6__halfN3c1015Float8_e4m3fnuzELi64ELi2ELi16ELi16ELi1ELi4EEviiiiiiPKT0_S5_PKT_PS6_PKfSB_ii,comdat
	.protected	_Z13wvSplitKQ_hf_I6__halfN3c1015Float8_e4m3fnuzELi64ELi2ELi16ELi16ELi1ELi4EEviiiiiiPKT0_S5_PKT_PS6_PKfSB_ii ; -- Begin function _Z13wvSplitKQ_hf_I6__halfN3c1015Float8_e4m3fnuzELi64ELi2ELi16ELi16ELi1ELi4EEviiiiiiPKT0_S5_PKT_PS6_PKfSB_ii
	.globl	_Z13wvSplitKQ_hf_I6__halfN3c1015Float8_e4m3fnuzELi64ELi2ELi16ELi16ELi1ELi4EEviiiiiiPKT0_S5_PKT_PS6_PKfSB_ii
	.p2align	8
	.type	_Z13wvSplitKQ_hf_I6__halfN3c1015Float8_e4m3fnuzELi64ELi2ELi16ELi16ELi1ELi4EEviiiiiiPKT0_S5_PKT_PS6_PKfSB_ii,@function
_Z13wvSplitKQ_hf_I6__halfN3c1015Float8_e4m3fnuzELi64ELi2ELi16ELi16ELi1ELi4EEviiiiiiPKT0_S5_PKT_PS6_PKfSB_ii: ; @_Z13wvSplitKQ_hf_I6__halfN3c1015Float8_e4m3fnuzELi64ELi2ELi16ELi16ELi1ELi4EEviiiiiiPKT0_S5_PKT_PS6_PKfSB_ii
; %bb.0:
	s_add_u32 s8, s0, 0x50
	s_addc_u32 s9, s1, 0
	s_getpc_b64 s[0:1]
	s_add_u32 s0, s0, __PRETTY_FUNCTION__._Z13wvSplitKQ_hf_I6__halfN3c1015Float8_e4m3fnuzELi64ELi2ELi16ELi16ELi1ELi4EEviiiiiiPKT0_S5_PKT_PS6_PKfSB_ii@rel32@lo+4
	s_addc_u32 s1, s1, __PRETTY_FUNCTION__._Z13wvSplitKQ_hf_I6__halfN3c1015Float8_e4m3fnuzELi64ELi2ELi16ELi16ELi1ELi4EEviiiiiiPKT0_S5_PKT_PS6_PKfSB_ii@rel32@hi+12
	v_dual_mov_b32 v0, 0x8bf :: v_dual_mov_b32 v1, s0
	v_mov_b32_e32 v2, s1
	s_mov_b32 s32, 0
	s_getpc_b64 s[2:3]
	s_add_u32 s2, s2, __assert_fail@rel32@lo+4
	s_addc_u32 s3, s3, __assert_fail@rel32@hi+12
	s_delay_alu instid0(SALU_CYCLE_1)
	s_swappc_b64 s[30:31], s[2:3]
	.section	.rodata,"a",@progbits
	.p2align	6, 0x0
	.amdhsa_kernel _Z13wvSplitKQ_hf_I6__halfN3c1015Float8_e4m3fnuzELi64ELi2ELi16ELi16ELi1ELi4EEviiiiiiPKT0_S5_PKT_PS6_PKfSB_ii
		.amdhsa_group_segment_fixed_size 0
		.amdhsa_private_segment_fixed_size 64
		.amdhsa_kernarg_size 336
		.amdhsa_user_sgpr_count 15
		.amdhsa_user_sgpr_dispatch_ptr 0
		.amdhsa_user_sgpr_queue_ptr 0
		.amdhsa_user_sgpr_kernarg_segment_ptr 1
		.amdhsa_user_sgpr_dispatch_id 0
		.amdhsa_user_sgpr_private_segment_size 0
		.amdhsa_wavefront_size32 1
		.amdhsa_uses_dynamic_stack 0
		.amdhsa_enable_private_segment 1
		.amdhsa_system_sgpr_workgroup_id_x 1
		.amdhsa_system_sgpr_workgroup_id_y 0
		.amdhsa_system_sgpr_workgroup_id_z 0
		.amdhsa_system_sgpr_workgroup_info 0
		.amdhsa_system_vgpr_workitem_id 0
		.amdhsa_next_free_vgpr 50
		.amdhsa_next_free_sgpr 34
		.amdhsa_reserve_vcc 1
		.amdhsa_float_round_mode_32 0
		.amdhsa_float_round_mode_16_64 0
		.amdhsa_float_denorm_mode_32 3
		.amdhsa_float_denorm_mode_16_64 3
		.amdhsa_dx10_clamp 1
		.amdhsa_ieee_mode 1
		.amdhsa_fp16_overflow 0
		.amdhsa_workgroup_processor_mode 1
		.amdhsa_memory_ordered 1
		.amdhsa_forward_progress 0
		.amdhsa_shared_vgpr_count 0
		.amdhsa_exception_fp_ieee_invalid_op 0
		.amdhsa_exception_fp_denorm_src 0
		.amdhsa_exception_fp_ieee_div_zero 0
		.amdhsa_exception_fp_ieee_overflow 0
		.amdhsa_exception_fp_ieee_underflow 0
		.amdhsa_exception_fp_ieee_inexact 0
		.amdhsa_exception_int_div_zero 0
	.end_amdhsa_kernel
	.section	.text._Z13wvSplitKQ_hf_I6__halfN3c1015Float8_e4m3fnuzELi64ELi2ELi16ELi16ELi1ELi4EEviiiiiiPKT0_S5_PKT_PS6_PKfSB_ii,"axG",@progbits,_Z13wvSplitKQ_hf_I6__halfN3c1015Float8_e4m3fnuzELi64ELi2ELi16ELi16ELi1ELi4EEviiiiiiPKT0_S5_PKT_PS6_PKfSB_ii,comdat
.Lfunc_end369:
	.size	_Z13wvSplitKQ_hf_I6__halfN3c1015Float8_e4m3fnuzELi64ELi2ELi16ELi16ELi1ELi4EEviiiiiiPKT0_S5_PKT_PS6_PKfSB_ii, .Lfunc_end369-_Z13wvSplitKQ_hf_I6__halfN3c1015Float8_e4m3fnuzELi64ELi2ELi16ELi16ELi1ELi4EEviiiiiiPKT0_S5_PKT_PS6_PKfSB_ii
                                        ; -- End function
	.section	.AMDGPU.csdata,"",@progbits
; Kernel info:
; codeLenInByte = 80
; NumSgprs: 36
; NumVgprs: 50
; ScratchSize: 64
; MemoryBound: 0
; FloatMode: 240
; IeeeMode: 1
; LDSByteSize: 0 bytes/workgroup (compile time only)
; SGPRBlocks: 4
; VGPRBlocks: 6
; NumSGPRsForWavesPerEU: 36
; NumVGPRsForWavesPerEU: 50
; Occupancy: 16
; WaveLimiterHint : 1
; COMPUTE_PGM_RSRC2:SCRATCH_EN: 1
; COMPUTE_PGM_RSRC2:USER_SGPR: 15
; COMPUTE_PGM_RSRC2:TRAP_HANDLER: 0
; COMPUTE_PGM_RSRC2:TGID_X_EN: 1
; COMPUTE_PGM_RSRC2:TGID_Y_EN: 0
; COMPUTE_PGM_RSRC2:TGID_Z_EN: 0
; COMPUTE_PGM_RSRC2:TIDIG_COMP_CNT: 0
	.section	.text._Z17wvSplitKQ_hf_sml_I14__hip_bfloat16N3c1013Float8_e4m3fnELi32ELi2ELi16ELi16ELi2ELi1EEviiiiiiPKT0_S5_PKT_PS6_PKfSB_ii,"axG",@progbits,_Z17wvSplitKQ_hf_sml_I14__hip_bfloat16N3c1013Float8_e4m3fnELi32ELi2ELi16ELi16ELi2ELi1EEviiiiiiPKT0_S5_PKT_PS6_PKfSB_ii,comdat
	.protected	_Z17wvSplitKQ_hf_sml_I14__hip_bfloat16N3c1013Float8_e4m3fnELi32ELi2ELi16ELi16ELi2ELi1EEviiiiiiPKT0_S5_PKT_PS6_PKfSB_ii ; -- Begin function _Z17wvSplitKQ_hf_sml_I14__hip_bfloat16N3c1013Float8_e4m3fnELi32ELi2ELi16ELi16ELi2ELi1EEviiiiiiPKT0_S5_PKT_PS6_PKfSB_ii
	.globl	_Z17wvSplitKQ_hf_sml_I14__hip_bfloat16N3c1013Float8_e4m3fnELi32ELi2ELi16ELi16ELi2ELi1EEviiiiiiPKT0_S5_PKT_PS6_PKfSB_ii
	.p2align	8
	.type	_Z17wvSplitKQ_hf_sml_I14__hip_bfloat16N3c1013Float8_e4m3fnELi32ELi2ELi16ELi16ELi2ELi1EEviiiiiiPKT0_S5_PKT_PS6_PKfSB_ii,@function
_Z17wvSplitKQ_hf_sml_I14__hip_bfloat16N3c1013Float8_e4m3fnELi32ELi2ELi16ELi16ELi2ELi1EEviiiiiiPKT0_S5_PKT_PS6_PKfSB_ii: ; @_Z17wvSplitKQ_hf_sml_I14__hip_bfloat16N3c1013Float8_e4m3fnELi32ELi2ELi16ELi16ELi2ELi1EEviiiiiiPKT0_S5_PKT_PS6_PKfSB_ii
; %bb.0:
	s_add_u32 s8, s0, 0x50
	s_addc_u32 s9, s1, 0
	s_getpc_b64 s[0:1]
	s_add_u32 s0, s0, __PRETTY_FUNCTION__._Z17wvSplitKQ_hf_sml_I14__hip_bfloat16N3c1013Float8_e4m3fnELi32ELi2ELi16ELi16ELi2ELi1EEviiiiiiPKT0_S5_PKT_PS6_PKfSB_ii@rel32@lo+4
	s_addc_u32 s1, s1, __PRETTY_FUNCTION__._Z17wvSplitKQ_hf_sml_I14__hip_bfloat16N3c1013Float8_e4m3fnELi32ELi2ELi16ELi16ELi2ELi1EEviiiiiiPKT0_S5_PKT_PS6_PKfSB_ii@rel32@hi+12
	v_dual_mov_b32 v0, 0x7fa :: v_dual_mov_b32 v1, s0
	v_mov_b32_e32 v2, s1
	s_mov_b32 s32, 0
	s_getpc_b64 s[2:3]
	s_add_u32 s2, s2, __assert_fail@rel32@lo+4
	s_addc_u32 s3, s3, __assert_fail@rel32@hi+12
	s_delay_alu instid0(SALU_CYCLE_1)
	s_swappc_b64 s[30:31], s[2:3]
	.section	.rodata,"a",@progbits
	.p2align	6, 0x0
	.amdhsa_kernel _Z17wvSplitKQ_hf_sml_I14__hip_bfloat16N3c1013Float8_e4m3fnELi32ELi2ELi16ELi16ELi2ELi1EEviiiiiiPKT0_S5_PKT_PS6_PKfSB_ii
		.amdhsa_group_segment_fixed_size 0
		.amdhsa_private_segment_fixed_size 64
		.amdhsa_kernarg_size 336
		.amdhsa_user_sgpr_count 15
		.amdhsa_user_sgpr_dispatch_ptr 0
		.amdhsa_user_sgpr_queue_ptr 0
		.amdhsa_user_sgpr_kernarg_segment_ptr 1
		.amdhsa_user_sgpr_dispatch_id 0
		.amdhsa_user_sgpr_private_segment_size 0
		.amdhsa_wavefront_size32 1
		.amdhsa_uses_dynamic_stack 0
		.amdhsa_enable_private_segment 1
		.amdhsa_system_sgpr_workgroup_id_x 1
		.amdhsa_system_sgpr_workgroup_id_y 0
		.amdhsa_system_sgpr_workgroup_id_z 0
		.amdhsa_system_sgpr_workgroup_info 0
		.amdhsa_system_vgpr_workitem_id 0
		.amdhsa_next_free_vgpr 50
		.amdhsa_next_free_sgpr 34
		.amdhsa_reserve_vcc 1
		.amdhsa_float_round_mode_32 0
		.amdhsa_float_round_mode_16_64 0
		.amdhsa_float_denorm_mode_32 3
		.amdhsa_float_denorm_mode_16_64 3
		.amdhsa_dx10_clamp 1
		.amdhsa_ieee_mode 1
		.amdhsa_fp16_overflow 0
		.amdhsa_workgroup_processor_mode 1
		.amdhsa_memory_ordered 1
		.amdhsa_forward_progress 0
		.amdhsa_shared_vgpr_count 0
		.amdhsa_exception_fp_ieee_invalid_op 0
		.amdhsa_exception_fp_denorm_src 0
		.amdhsa_exception_fp_ieee_div_zero 0
		.amdhsa_exception_fp_ieee_overflow 0
		.amdhsa_exception_fp_ieee_underflow 0
		.amdhsa_exception_fp_ieee_inexact 0
		.amdhsa_exception_int_div_zero 0
	.end_amdhsa_kernel
	.section	.text._Z17wvSplitKQ_hf_sml_I14__hip_bfloat16N3c1013Float8_e4m3fnELi32ELi2ELi16ELi16ELi2ELi1EEviiiiiiPKT0_S5_PKT_PS6_PKfSB_ii,"axG",@progbits,_Z17wvSplitKQ_hf_sml_I14__hip_bfloat16N3c1013Float8_e4m3fnELi32ELi2ELi16ELi16ELi2ELi1EEviiiiiiPKT0_S5_PKT_PS6_PKfSB_ii,comdat
.Lfunc_end370:
	.size	_Z17wvSplitKQ_hf_sml_I14__hip_bfloat16N3c1013Float8_e4m3fnELi32ELi2ELi16ELi16ELi2ELi1EEviiiiiiPKT0_S5_PKT_PS6_PKfSB_ii, .Lfunc_end370-_Z17wvSplitKQ_hf_sml_I14__hip_bfloat16N3c1013Float8_e4m3fnELi32ELi2ELi16ELi16ELi2ELi1EEviiiiiiPKT0_S5_PKT_PS6_PKfSB_ii
                                        ; -- End function
	.section	.AMDGPU.csdata,"",@progbits
; Kernel info:
; codeLenInByte = 80
; NumSgprs: 36
; NumVgprs: 50
; ScratchSize: 64
; MemoryBound: 0
; FloatMode: 240
; IeeeMode: 1
; LDSByteSize: 0 bytes/workgroup (compile time only)
; SGPRBlocks: 4
; VGPRBlocks: 6
; NumSGPRsForWavesPerEU: 36
; NumVGPRsForWavesPerEU: 50
; Occupancy: 16
; WaveLimiterHint : 1
; COMPUTE_PGM_RSRC2:SCRATCH_EN: 1
; COMPUTE_PGM_RSRC2:USER_SGPR: 15
; COMPUTE_PGM_RSRC2:TRAP_HANDLER: 0
; COMPUTE_PGM_RSRC2:TGID_X_EN: 1
; COMPUTE_PGM_RSRC2:TGID_Y_EN: 0
; COMPUTE_PGM_RSRC2:TGID_Z_EN: 0
; COMPUTE_PGM_RSRC2:TIDIG_COMP_CNT: 0
	.section	.text._Z13wvSplitKQ_hf_I14__hip_bfloat16N3c1013Float8_e4m3fnELi32ELi2ELi16ELi16ELi2ELi1EEviiiiiiPKT0_S5_PKT_PS6_PKfSB_ii,"axG",@progbits,_Z13wvSplitKQ_hf_I14__hip_bfloat16N3c1013Float8_e4m3fnELi32ELi2ELi16ELi16ELi2ELi1EEviiiiiiPKT0_S5_PKT_PS6_PKfSB_ii,comdat
	.protected	_Z13wvSplitKQ_hf_I14__hip_bfloat16N3c1013Float8_e4m3fnELi32ELi2ELi16ELi16ELi2ELi1EEviiiiiiPKT0_S5_PKT_PS6_PKfSB_ii ; -- Begin function _Z13wvSplitKQ_hf_I14__hip_bfloat16N3c1013Float8_e4m3fnELi32ELi2ELi16ELi16ELi2ELi1EEviiiiiiPKT0_S5_PKT_PS6_PKfSB_ii
	.globl	_Z13wvSplitKQ_hf_I14__hip_bfloat16N3c1013Float8_e4m3fnELi32ELi2ELi16ELi16ELi2ELi1EEviiiiiiPKT0_S5_PKT_PS6_PKfSB_ii
	.p2align	8
	.type	_Z13wvSplitKQ_hf_I14__hip_bfloat16N3c1013Float8_e4m3fnELi32ELi2ELi16ELi16ELi2ELi1EEviiiiiiPKT0_S5_PKT_PS6_PKfSB_ii,@function
_Z13wvSplitKQ_hf_I14__hip_bfloat16N3c1013Float8_e4m3fnELi32ELi2ELi16ELi16ELi2ELi1EEviiiiiiPKT0_S5_PKT_PS6_PKfSB_ii: ; @_Z13wvSplitKQ_hf_I14__hip_bfloat16N3c1013Float8_e4m3fnELi32ELi2ELi16ELi16ELi2ELi1EEviiiiiiPKT0_S5_PKT_PS6_PKfSB_ii
; %bb.0:
	s_add_u32 s8, s0, 0x50
	s_addc_u32 s9, s1, 0
	s_getpc_b64 s[0:1]
	s_add_u32 s0, s0, __PRETTY_FUNCTION__._Z13wvSplitKQ_hf_I14__hip_bfloat16N3c1013Float8_e4m3fnELi32ELi2ELi16ELi16ELi2ELi1EEviiiiiiPKT0_S5_PKT_PS6_PKfSB_ii@rel32@lo+4
	s_addc_u32 s1, s1, __PRETTY_FUNCTION__._Z13wvSplitKQ_hf_I14__hip_bfloat16N3c1013Float8_e4m3fnELi32ELi2ELi16ELi16ELi2ELi1EEviiiiiiPKT0_S5_PKT_PS6_PKfSB_ii@rel32@hi+12
	v_dual_mov_b32 v0, 0x8bf :: v_dual_mov_b32 v1, s0
	v_mov_b32_e32 v2, s1
	s_mov_b32 s32, 0
	s_getpc_b64 s[2:3]
	s_add_u32 s2, s2, __assert_fail@rel32@lo+4
	s_addc_u32 s3, s3, __assert_fail@rel32@hi+12
	s_delay_alu instid0(SALU_CYCLE_1)
	s_swappc_b64 s[30:31], s[2:3]
	.section	.rodata,"a",@progbits
	.p2align	6, 0x0
	.amdhsa_kernel _Z13wvSplitKQ_hf_I14__hip_bfloat16N3c1013Float8_e4m3fnELi32ELi2ELi16ELi16ELi2ELi1EEviiiiiiPKT0_S5_PKT_PS6_PKfSB_ii
		.amdhsa_group_segment_fixed_size 0
		.amdhsa_private_segment_fixed_size 64
		.amdhsa_kernarg_size 336
		.amdhsa_user_sgpr_count 15
		.amdhsa_user_sgpr_dispatch_ptr 0
		.amdhsa_user_sgpr_queue_ptr 0
		.amdhsa_user_sgpr_kernarg_segment_ptr 1
		.amdhsa_user_sgpr_dispatch_id 0
		.amdhsa_user_sgpr_private_segment_size 0
		.amdhsa_wavefront_size32 1
		.amdhsa_uses_dynamic_stack 0
		.amdhsa_enable_private_segment 1
		.amdhsa_system_sgpr_workgroup_id_x 1
		.amdhsa_system_sgpr_workgroup_id_y 0
		.amdhsa_system_sgpr_workgroup_id_z 0
		.amdhsa_system_sgpr_workgroup_info 0
		.amdhsa_system_vgpr_workitem_id 0
		.amdhsa_next_free_vgpr 50
		.amdhsa_next_free_sgpr 34
		.amdhsa_reserve_vcc 1
		.amdhsa_float_round_mode_32 0
		.amdhsa_float_round_mode_16_64 0
		.amdhsa_float_denorm_mode_32 3
		.amdhsa_float_denorm_mode_16_64 3
		.amdhsa_dx10_clamp 1
		.amdhsa_ieee_mode 1
		.amdhsa_fp16_overflow 0
		.amdhsa_workgroup_processor_mode 1
		.amdhsa_memory_ordered 1
		.amdhsa_forward_progress 0
		.amdhsa_shared_vgpr_count 0
		.amdhsa_exception_fp_ieee_invalid_op 0
		.amdhsa_exception_fp_denorm_src 0
		.amdhsa_exception_fp_ieee_div_zero 0
		.amdhsa_exception_fp_ieee_overflow 0
		.amdhsa_exception_fp_ieee_underflow 0
		.amdhsa_exception_fp_ieee_inexact 0
		.amdhsa_exception_int_div_zero 0
	.end_amdhsa_kernel
	.section	.text._Z13wvSplitKQ_hf_I14__hip_bfloat16N3c1013Float8_e4m3fnELi32ELi2ELi16ELi16ELi2ELi1EEviiiiiiPKT0_S5_PKT_PS6_PKfSB_ii,"axG",@progbits,_Z13wvSplitKQ_hf_I14__hip_bfloat16N3c1013Float8_e4m3fnELi32ELi2ELi16ELi16ELi2ELi1EEviiiiiiPKT0_S5_PKT_PS6_PKfSB_ii,comdat
.Lfunc_end371:
	.size	_Z13wvSplitKQ_hf_I14__hip_bfloat16N3c1013Float8_e4m3fnELi32ELi2ELi16ELi16ELi2ELi1EEviiiiiiPKT0_S5_PKT_PS6_PKfSB_ii, .Lfunc_end371-_Z13wvSplitKQ_hf_I14__hip_bfloat16N3c1013Float8_e4m3fnELi32ELi2ELi16ELi16ELi2ELi1EEviiiiiiPKT0_S5_PKT_PS6_PKfSB_ii
                                        ; -- End function
	.section	.AMDGPU.csdata,"",@progbits
; Kernel info:
; codeLenInByte = 80
; NumSgprs: 36
; NumVgprs: 50
; ScratchSize: 64
; MemoryBound: 0
; FloatMode: 240
; IeeeMode: 1
; LDSByteSize: 0 bytes/workgroup (compile time only)
; SGPRBlocks: 4
; VGPRBlocks: 6
; NumSGPRsForWavesPerEU: 36
; NumVGPRsForWavesPerEU: 50
; Occupancy: 16
; WaveLimiterHint : 1
; COMPUTE_PGM_RSRC2:SCRATCH_EN: 1
; COMPUTE_PGM_RSRC2:USER_SGPR: 15
; COMPUTE_PGM_RSRC2:TRAP_HANDLER: 0
; COMPUTE_PGM_RSRC2:TGID_X_EN: 1
; COMPUTE_PGM_RSRC2:TGID_Y_EN: 0
; COMPUTE_PGM_RSRC2:TGID_Z_EN: 0
; COMPUTE_PGM_RSRC2:TIDIG_COMP_CNT: 0
	.section	.text._Z17wvSplitKQ_hf_sml_I14__hip_bfloat16N3c1013Float8_e4m3fnELi64ELi2ELi16ELi16ELi2ELi1EEviiiiiiPKT0_S5_PKT_PS6_PKfSB_ii,"axG",@progbits,_Z17wvSplitKQ_hf_sml_I14__hip_bfloat16N3c1013Float8_e4m3fnELi64ELi2ELi16ELi16ELi2ELi1EEviiiiiiPKT0_S5_PKT_PS6_PKfSB_ii,comdat
	.protected	_Z17wvSplitKQ_hf_sml_I14__hip_bfloat16N3c1013Float8_e4m3fnELi64ELi2ELi16ELi16ELi2ELi1EEviiiiiiPKT0_S5_PKT_PS6_PKfSB_ii ; -- Begin function _Z17wvSplitKQ_hf_sml_I14__hip_bfloat16N3c1013Float8_e4m3fnELi64ELi2ELi16ELi16ELi2ELi1EEviiiiiiPKT0_S5_PKT_PS6_PKfSB_ii
	.globl	_Z17wvSplitKQ_hf_sml_I14__hip_bfloat16N3c1013Float8_e4m3fnELi64ELi2ELi16ELi16ELi2ELi1EEviiiiiiPKT0_S5_PKT_PS6_PKfSB_ii
	.p2align	8
	.type	_Z17wvSplitKQ_hf_sml_I14__hip_bfloat16N3c1013Float8_e4m3fnELi64ELi2ELi16ELi16ELi2ELi1EEviiiiiiPKT0_S5_PKT_PS6_PKfSB_ii,@function
_Z17wvSplitKQ_hf_sml_I14__hip_bfloat16N3c1013Float8_e4m3fnELi64ELi2ELi16ELi16ELi2ELi1EEviiiiiiPKT0_S5_PKT_PS6_PKfSB_ii: ; @_Z17wvSplitKQ_hf_sml_I14__hip_bfloat16N3c1013Float8_e4m3fnELi64ELi2ELi16ELi16ELi2ELi1EEviiiiiiPKT0_S5_PKT_PS6_PKfSB_ii
; %bb.0:
	s_add_u32 s8, s0, 0x50
	s_addc_u32 s9, s1, 0
	s_getpc_b64 s[0:1]
	s_add_u32 s0, s0, __PRETTY_FUNCTION__._Z17wvSplitKQ_hf_sml_I14__hip_bfloat16N3c1013Float8_e4m3fnELi64ELi2ELi16ELi16ELi2ELi1EEviiiiiiPKT0_S5_PKT_PS6_PKfSB_ii@rel32@lo+4
	s_addc_u32 s1, s1, __PRETTY_FUNCTION__._Z17wvSplitKQ_hf_sml_I14__hip_bfloat16N3c1013Float8_e4m3fnELi64ELi2ELi16ELi16ELi2ELi1EEviiiiiiPKT0_S5_PKT_PS6_PKfSB_ii@rel32@hi+12
	v_dual_mov_b32 v0, 0x7fa :: v_dual_mov_b32 v1, s0
	v_mov_b32_e32 v2, s1
	s_mov_b32 s32, 0
	s_getpc_b64 s[2:3]
	s_add_u32 s2, s2, __assert_fail@rel32@lo+4
	s_addc_u32 s3, s3, __assert_fail@rel32@hi+12
	s_delay_alu instid0(SALU_CYCLE_1)
	s_swappc_b64 s[30:31], s[2:3]
	.section	.rodata,"a",@progbits
	.p2align	6, 0x0
	.amdhsa_kernel _Z17wvSplitKQ_hf_sml_I14__hip_bfloat16N3c1013Float8_e4m3fnELi64ELi2ELi16ELi16ELi2ELi1EEviiiiiiPKT0_S5_PKT_PS6_PKfSB_ii
		.amdhsa_group_segment_fixed_size 0
		.amdhsa_private_segment_fixed_size 64
		.amdhsa_kernarg_size 336
		.amdhsa_user_sgpr_count 15
		.amdhsa_user_sgpr_dispatch_ptr 0
		.amdhsa_user_sgpr_queue_ptr 0
		.amdhsa_user_sgpr_kernarg_segment_ptr 1
		.amdhsa_user_sgpr_dispatch_id 0
		.amdhsa_user_sgpr_private_segment_size 0
		.amdhsa_wavefront_size32 1
		.amdhsa_uses_dynamic_stack 0
		.amdhsa_enable_private_segment 1
		.amdhsa_system_sgpr_workgroup_id_x 1
		.amdhsa_system_sgpr_workgroup_id_y 0
		.amdhsa_system_sgpr_workgroup_id_z 0
		.amdhsa_system_sgpr_workgroup_info 0
		.amdhsa_system_vgpr_workitem_id 0
		.amdhsa_next_free_vgpr 50
		.amdhsa_next_free_sgpr 34
		.amdhsa_reserve_vcc 1
		.amdhsa_float_round_mode_32 0
		.amdhsa_float_round_mode_16_64 0
		.amdhsa_float_denorm_mode_32 3
		.amdhsa_float_denorm_mode_16_64 3
		.amdhsa_dx10_clamp 1
		.amdhsa_ieee_mode 1
		.amdhsa_fp16_overflow 0
		.amdhsa_workgroup_processor_mode 1
		.amdhsa_memory_ordered 1
		.amdhsa_forward_progress 0
		.amdhsa_shared_vgpr_count 0
		.amdhsa_exception_fp_ieee_invalid_op 0
		.amdhsa_exception_fp_denorm_src 0
		.amdhsa_exception_fp_ieee_div_zero 0
		.amdhsa_exception_fp_ieee_overflow 0
		.amdhsa_exception_fp_ieee_underflow 0
		.amdhsa_exception_fp_ieee_inexact 0
		.amdhsa_exception_int_div_zero 0
	.end_amdhsa_kernel
	.section	.text._Z17wvSplitKQ_hf_sml_I14__hip_bfloat16N3c1013Float8_e4m3fnELi64ELi2ELi16ELi16ELi2ELi1EEviiiiiiPKT0_S5_PKT_PS6_PKfSB_ii,"axG",@progbits,_Z17wvSplitKQ_hf_sml_I14__hip_bfloat16N3c1013Float8_e4m3fnELi64ELi2ELi16ELi16ELi2ELi1EEviiiiiiPKT0_S5_PKT_PS6_PKfSB_ii,comdat
.Lfunc_end372:
	.size	_Z17wvSplitKQ_hf_sml_I14__hip_bfloat16N3c1013Float8_e4m3fnELi64ELi2ELi16ELi16ELi2ELi1EEviiiiiiPKT0_S5_PKT_PS6_PKfSB_ii, .Lfunc_end372-_Z17wvSplitKQ_hf_sml_I14__hip_bfloat16N3c1013Float8_e4m3fnELi64ELi2ELi16ELi16ELi2ELi1EEviiiiiiPKT0_S5_PKT_PS6_PKfSB_ii
                                        ; -- End function
	.section	.AMDGPU.csdata,"",@progbits
; Kernel info:
; codeLenInByte = 80
; NumSgprs: 36
; NumVgprs: 50
; ScratchSize: 64
; MemoryBound: 0
; FloatMode: 240
; IeeeMode: 1
; LDSByteSize: 0 bytes/workgroup (compile time only)
; SGPRBlocks: 4
; VGPRBlocks: 6
; NumSGPRsForWavesPerEU: 36
; NumVGPRsForWavesPerEU: 50
; Occupancy: 16
; WaveLimiterHint : 1
; COMPUTE_PGM_RSRC2:SCRATCH_EN: 1
; COMPUTE_PGM_RSRC2:USER_SGPR: 15
; COMPUTE_PGM_RSRC2:TRAP_HANDLER: 0
; COMPUTE_PGM_RSRC2:TGID_X_EN: 1
; COMPUTE_PGM_RSRC2:TGID_Y_EN: 0
; COMPUTE_PGM_RSRC2:TGID_Z_EN: 0
; COMPUTE_PGM_RSRC2:TIDIG_COMP_CNT: 0
	.section	.text._Z13wvSplitKQ_hf_I14__hip_bfloat16N3c1013Float8_e4m3fnELi64ELi2ELi16ELi16ELi2ELi1EEviiiiiiPKT0_S5_PKT_PS6_PKfSB_ii,"axG",@progbits,_Z13wvSplitKQ_hf_I14__hip_bfloat16N3c1013Float8_e4m3fnELi64ELi2ELi16ELi16ELi2ELi1EEviiiiiiPKT0_S5_PKT_PS6_PKfSB_ii,comdat
	.protected	_Z13wvSplitKQ_hf_I14__hip_bfloat16N3c1013Float8_e4m3fnELi64ELi2ELi16ELi16ELi2ELi1EEviiiiiiPKT0_S5_PKT_PS6_PKfSB_ii ; -- Begin function _Z13wvSplitKQ_hf_I14__hip_bfloat16N3c1013Float8_e4m3fnELi64ELi2ELi16ELi16ELi2ELi1EEviiiiiiPKT0_S5_PKT_PS6_PKfSB_ii
	.globl	_Z13wvSplitKQ_hf_I14__hip_bfloat16N3c1013Float8_e4m3fnELi64ELi2ELi16ELi16ELi2ELi1EEviiiiiiPKT0_S5_PKT_PS6_PKfSB_ii
	.p2align	8
	.type	_Z13wvSplitKQ_hf_I14__hip_bfloat16N3c1013Float8_e4m3fnELi64ELi2ELi16ELi16ELi2ELi1EEviiiiiiPKT0_S5_PKT_PS6_PKfSB_ii,@function
_Z13wvSplitKQ_hf_I14__hip_bfloat16N3c1013Float8_e4m3fnELi64ELi2ELi16ELi16ELi2ELi1EEviiiiiiPKT0_S5_PKT_PS6_PKfSB_ii: ; @_Z13wvSplitKQ_hf_I14__hip_bfloat16N3c1013Float8_e4m3fnELi64ELi2ELi16ELi16ELi2ELi1EEviiiiiiPKT0_S5_PKT_PS6_PKfSB_ii
; %bb.0:
	s_add_u32 s8, s0, 0x50
	s_addc_u32 s9, s1, 0
	s_getpc_b64 s[0:1]
	s_add_u32 s0, s0, __PRETTY_FUNCTION__._Z13wvSplitKQ_hf_I14__hip_bfloat16N3c1013Float8_e4m3fnELi64ELi2ELi16ELi16ELi2ELi1EEviiiiiiPKT0_S5_PKT_PS6_PKfSB_ii@rel32@lo+4
	s_addc_u32 s1, s1, __PRETTY_FUNCTION__._Z13wvSplitKQ_hf_I14__hip_bfloat16N3c1013Float8_e4m3fnELi64ELi2ELi16ELi16ELi2ELi1EEviiiiiiPKT0_S5_PKT_PS6_PKfSB_ii@rel32@hi+12
	v_dual_mov_b32 v0, 0x8bf :: v_dual_mov_b32 v1, s0
	v_mov_b32_e32 v2, s1
	s_mov_b32 s32, 0
	s_getpc_b64 s[2:3]
	s_add_u32 s2, s2, __assert_fail@rel32@lo+4
	s_addc_u32 s3, s3, __assert_fail@rel32@hi+12
	s_delay_alu instid0(SALU_CYCLE_1)
	s_swappc_b64 s[30:31], s[2:3]
	.section	.rodata,"a",@progbits
	.p2align	6, 0x0
	.amdhsa_kernel _Z13wvSplitKQ_hf_I14__hip_bfloat16N3c1013Float8_e4m3fnELi64ELi2ELi16ELi16ELi2ELi1EEviiiiiiPKT0_S5_PKT_PS6_PKfSB_ii
		.amdhsa_group_segment_fixed_size 0
		.amdhsa_private_segment_fixed_size 64
		.amdhsa_kernarg_size 336
		.amdhsa_user_sgpr_count 15
		.amdhsa_user_sgpr_dispatch_ptr 0
		.amdhsa_user_sgpr_queue_ptr 0
		.amdhsa_user_sgpr_kernarg_segment_ptr 1
		.amdhsa_user_sgpr_dispatch_id 0
		.amdhsa_user_sgpr_private_segment_size 0
		.amdhsa_wavefront_size32 1
		.amdhsa_uses_dynamic_stack 0
		.amdhsa_enable_private_segment 1
		.amdhsa_system_sgpr_workgroup_id_x 1
		.amdhsa_system_sgpr_workgroup_id_y 0
		.amdhsa_system_sgpr_workgroup_id_z 0
		.amdhsa_system_sgpr_workgroup_info 0
		.amdhsa_system_vgpr_workitem_id 0
		.amdhsa_next_free_vgpr 50
		.amdhsa_next_free_sgpr 34
		.amdhsa_reserve_vcc 1
		.amdhsa_float_round_mode_32 0
		.amdhsa_float_round_mode_16_64 0
		.amdhsa_float_denorm_mode_32 3
		.amdhsa_float_denorm_mode_16_64 3
		.amdhsa_dx10_clamp 1
		.amdhsa_ieee_mode 1
		.amdhsa_fp16_overflow 0
		.amdhsa_workgroup_processor_mode 1
		.amdhsa_memory_ordered 1
		.amdhsa_forward_progress 0
		.amdhsa_shared_vgpr_count 0
		.amdhsa_exception_fp_ieee_invalid_op 0
		.amdhsa_exception_fp_denorm_src 0
		.amdhsa_exception_fp_ieee_div_zero 0
		.amdhsa_exception_fp_ieee_overflow 0
		.amdhsa_exception_fp_ieee_underflow 0
		.amdhsa_exception_fp_ieee_inexact 0
		.amdhsa_exception_int_div_zero 0
	.end_amdhsa_kernel
	.section	.text._Z13wvSplitKQ_hf_I14__hip_bfloat16N3c1013Float8_e4m3fnELi64ELi2ELi16ELi16ELi2ELi1EEviiiiiiPKT0_S5_PKT_PS6_PKfSB_ii,"axG",@progbits,_Z13wvSplitKQ_hf_I14__hip_bfloat16N3c1013Float8_e4m3fnELi64ELi2ELi16ELi16ELi2ELi1EEviiiiiiPKT0_S5_PKT_PS6_PKfSB_ii,comdat
.Lfunc_end373:
	.size	_Z13wvSplitKQ_hf_I14__hip_bfloat16N3c1013Float8_e4m3fnELi64ELi2ELi16ELi16ELi2ELi1EEviiiiiiPKT0_S5_PKT_PS6_PKfSB_ii, .Lfunc_end373-_Z13wvSplitKQ_hf_I14__hip_bfloat16N3c1013Float8_e4m3fnELi64ELi2ELi16ELi16ELi2ELi1EEviiiiiiPKT0_S5_PKT_PS6_PKfSB_ii
                                        ; -- End function
	.section	.AMDGPU.csdata,"",@progbits
; Kernel info:
; codeLenInByte = 80
; NumSgprs: 36
; NumVgprs: 50
; ScratchSize: 64
; MemoryBound: 0
; FloatMode: 240
; IeeeMode: 1
; LDSByteSize: 0 bytes/workgroup (compile time only)
; SGPRBlocks: 4
; VGPRBlocks: 6
; NumSGPRsForWavesPerEU: 36
; NumVGPRsForWavesPerEU: 50
; Occupancy: 16
; WaveLimiterHint : 1
; COMPUTE_PGM_RSRC2:SCRATCH_EN: 1
; COMPUTE_PGM_RSRC2:USER_SGPR: 15
; COMPUTE_PGM_RSRC2:TRAP_HANDLER: 0
; COMPUTE_PGM_RSRC2:TGID_X_EN: 1
; COMPUTE_PGM_RSRC2:TGID_Y_EN: 0
; COMPUTE_PGM_RSRC2:TGID_Z_EN: 0
; COMPUTE_PGM_RSRC2:TIDIG_COMP_CNT: 0
	.section	.text._Z17wvSplitKQ_hf_sml_I14__hip_bfloat16N3c1013Float8_e4m3fnELi32ELi2ELi16ELi16ELi2ELi2EEviiiiiiPKT0_S5_PKT_PS6_PKfSB_ii,"axG",@progbits,_Z17wvSplitKQ_hf_sml_I14__hip_bfloat16N3c1013Float8_e4m3fnELi32ELi2ELi16ELi16ELi2ELi2EEviiiiiiPKT0_S5_PKT_PS6_PKfSB_ii,comdat
	.protected	_Z17wvSplitKQ_hf_sml_I14__hip_bfloat16N3c1013Float8_e4m3fnELi32ELi2ELi16ELi16ELi2ELi2EEviiiiiiPKT0_S5_PKT_PS6_PKfSB_ii ; -- Begin function _Z17wvSplitKQ_hf_sml_I14__hip_bfloat16N3c1013Float8_e4m3fnELi32ELi2ELi16ELi16ELi2ELi2EEviiiiiiPKT0_S5_PKT_PS6_PKfSB_ii
	.globl	_Z17wvSplitKQ_hf_sml_I14__hip_bfloat16N3c1013Float8_e4m3fnELi32ELi2ELi16ELi16ELi2ELi2EEviiiiiiPKT0_S5_PKT_PS6_PKfSB_ii
	.p2align	8
	.type	_Z17wvSplitKQ_hf_sml_I14__hip_bfloat16N3c1013Float8_e4m3fnELi32ELi2ELi16ELi16ELi2ELi2EEviiiiiiPKT0_S5_PKT_PS6_PKfSB_ii,@function
_Z17wvSplitKQ_hf_sml_I14__hip_bfloat16N3c1013Float8_e4m3fnELi32ELi2ELi16ELi16ELi2ELi2EEviiiiiiPKT0_S5_PKT_PS6_PKfSB_ii: ; @_Z17wvSplitKQ_hf_sml_I14__hip_bfloat16N3c1013Float8_e4m3fnELi32ELi2ELi16ELi16ELi2ELi2EEviiiiiiPKT0_S5_PKT_PS6_PKfSB_ii
; %bb.0:
	s_add_u32 s8, s0, 0x50
	s_addc_u32 s9, s1, 0
	s_getpc_b64 s[0:1]
	s_add_u32 s0, s0, __PRETTY_FUNCTION__._Z17wvSplitKQ_hf_sml_I14__hip_bfloat16N3c1013Float8_e4m3fnELi32ELi2ELi16ELi16ELi2ELi2EEviiiiiiPKT0_S5_PKT_PS6_PKfSB_ii@rel32@lo+4
	s_addc_u32 s1, s1, __PRETTY_FUNCTION__._Z17wvSplitKQ_hf_sml_I14__hip_bfloat16N3c1013Float8_e4m3fnELi32ELi2ELi16ELi16ELi2ELi2EEviiiiiiPKT0_S5_PKT_PS6_PKfSB_ii@rel32@hi+12
	v_dual_mov_b32 v0, 0x7fa :: v_dual_mov_b32 v1, s0
	v_mov_b32_e32 v2, s1
	s_mov_b32 s32, 0
	s_getpc_b64 s[2:3]
	s_add_u32 s2, s2, __assert_fail@rel32@lo+4
	s_addc_u32 s3, s3, __assert_fail@rel32@hi+12
	s_delay_alu instid0(SALU_CYCLE_1)
	s_swappc_b64 s[30:31], s[2:3]
	.section	.rodata,"a",@progbits
	.p2align	6, 0x0
	.amdhsa_kernel _Z17wvSplitKQ_hf_sml_I14__hip_bfloat16N3c1013Float8_e4m3fnELi32ELi2ELi16ELi16ELi2ELi2EEviiiiiiPKT0_S5_PKT_PS6_PKfSB_ii
		.amdhsa_group_segment_fixed_size 0
		.amdhsa_private_segment_fixed_size 64
		.amdhsa_kernarg_size 336
		.amdhsa_user_sgpr_count 15
		.amdhsa_user_sgpr_dispatch_ptr 0
		.amdhsa_user_sgpr_queue_ptr 0
		.amdhsa_user_sgpr_kernarg_segment_ptr 1
		.amdhsa_user_sgpr_dispatch_id 0
		.amdhsa_user_sgpr_private_segment_size 0
		.amdhsa_wavefront_size32 1
		.amdhsa_uses_dynamic_stack 0
		.amdhsa_enable_private_segment 1
		.amdhsa_system_sgpr_workgroup_id_x 1
		.amdhsa_system_sgpr_workgroup_id_y 0
		.amdhsa_system_sgpr_workgroup_id_z 0
		.amdhsa_system_sgpr_workgroup_info 0
		.amdhsa_system_vgpr_workitem_id 0
		.amdhsa_next_free_vgpr 50
		.amdhsa_next_free_sgpr 34
		.amdhsa_reserve_vcc 1
		.amdhsa_float_round_mode_32 0
		.amdhsa_float_round_mode_16_64 0
		.amdhsa_float_denorm_mode_32 3
		.amdhsa_float_denorm_mode_16_64 3
		.amdhsa_dx10_clamp 1
		.amdhsa_ieee_mode 1
		.amdhsa_fp16_overflow 0
		.amdhsa_workgroup_processor_mode 1
		.amdhsa_memory_ordered 1
		.amdhsa_forward_progress 0
		.amdhsa_shared_vgpr_count 0
		.amdhsa_exception_fp_ieee_invalid_op 0
		.amdhsa_exception_fp_denorm_src 0
		.amdhsa_exception_fp_ieee_div_zero 0
		.amdhsa_exception_fp_ieee_overflow 0
		.amdhsa_exception_fp_ieee_underflow 0
		.amdhsa_exception_fp_ieee_inexact 0
		.amdhsa_exception_int_div_zero 0
	.end_amdhsa_kernel
	.section	.text._Z17wvSplitKQ_hf_sml_I14__hip_bfloat16N3c1013Float8_e4m3fnELi32ELi2ELi16ELi16ELi2ELi2EEviiiiiiPKT0_S5_PKT_PS6_PKfSB_ii,"axG",@progbits,_Z17wvSplitKQ_hf_sml_I14__hip_bfloat16N3c1013Float8_e4m3fnELi32ELi2ELi16ELi16ELi2ELi2EEviiiiiiPKT0_S5_PKT_PS6_PKfSB_ii,comdat
.Lfunc_end374:
	.size	_Z17wvSplitKQ_hf_sml_I14__hip_bfloat16N3c1013Float8_e4m3fnELi32ELi2ELi16ELi16ELi2ELi2EEviiiiiiPKT0_S5_PKT_PS6_PKfSB_ii, .Lfunc_end374-_Z17wvSplitKQ_hf_sml_I14__hip_bfloat16N3c1013Float8_e4m3fnELi32ELi2ELi16ELi16ELi2ELi2EEviiiiiiPKT0_S5_PKT_PS6_PKfSB_ii
                                        ; -- End function
	.section	.AMDGPU.csdata,"",@progbits
; Kernel info:
; codeLenInByte = 80
; NumSgprs: 36
; NumVgprs: 50
; ScratchSize: 64
; MemoryBound: 0
; FloatMode: 240
; IeeeMode: 1
; LDSByteSize: 0 bytes/workgroup (compile time only)
; SGPRBlocks: 4
; VGPRBlocks: 6
; NumSGPRsForWavesPerEU: 36
; NumVGPRsForWavesPerEU: 50
; Occupancy: 16
; WaveLimiterHint : 1
; COMPUTE_PGM_RSRC2:SCRATCH_EN: 1
; COMPUTE_PGM_RSRC2:USER_SGPR: 15
; COMPUTE_PGM_RSRC2:TRAP_HANDLER: 0
; COMPUTE_PGM_RSRC2:TGID_X_EN: 1
; COMPUTE_PGM_RSRC2:TGID_Y_EN: 0
; COMPUTE_PGM_RSRC2:TGID_Z_EN: 0
; COMPUTE_PGM_RSRC2:TIDIG_COMP_CNT: 0
	.section	.text._Z13wvSplitKQ_hf_I14__hip_bfloat16N3c1013Float8_e4m3fnELi32ELi2ELi16ELi16ELi2ELi2EEviiiiiiPKT0_S5_PKT_PS6_PKfSB_ii,"axG",@progbits,_Z13wvSplitKQ_hf_I14__hip_bfloat16N3c1013Float8_e4m3fnELi32ELi2ELi16ELi16ELi2ELi2EEviiiiiiPKT0_S5_PKT_PS6_PKfSB_ii,comdat
	.protected	_Z13wvSplitKQ_hf_I14__hip_bfloat16N3c1013Float8_e4m3fnELi32ELi2ELi16ELi16ELi2ELi2EEviiiiiiPKT0_S5_PKT_PS6_PKfSB_ii ; -- Begin function _Z13wvSplitKQ_hf_I14__hip_bfloat16N3c1013Float8_e4m3fnELi32ELi2ELi16ELi16ELi2ELi2EEviiiiiiPKT0_S5_PKT_PS6_PKfSB_ii
	.globl	_Z13wvSplitKQ_hf_I14__hip_bfloat16N3c1013Float8_e4m3fnELi32ELi2ELi16ELi16ELi2ELi2EEviiiiiiPKT0_S5_PKT_PS6_PKfSB_ii
	.p2align	8
	.type	_Z13wvSplitKQ_hf_I14__hip_bfloat16N3c1013Float8_e4m3fnELi32ELi2ELi16ELi16ELi2ELi2EEviiiiiiPKT0_S5_PKT_PS6_PKfSB_ii,@function
_Z13wvSplitKQ_hf_I14__hip_bfloat16N3c1013Float8_e4m3fnELi32ELi2ELi16ELi16ELi2ELi2EEviiiiiiPKT0_S5_PKT_PS6_PKfSB_ii: ; @_Z13wvSplitKQ_hf_I14__hip_bfloat16N3c1013Float8_e4m3fnELi32ELi2ELi16ELi16ELi2ELi2EEviiiiiiPKT0_S5_PKT_PS6_PKfSB_ii
; %bb.0:
	s_add_u32 s8, s0, 0x50
	s_addc_u32 s9, s1, 0
	s_getpc_b64 s[0:1]
	s_add_u32 s0, s0, __PRETTY_FUNCTION__._Z13wvSplitKQ_hf_I14__hip_bfloat16N3c1013Float8_e4m3fnELi32ELi2ELi16ELi16ELi2ELi2EEviiiiiiPKT0_S5_PKT_PS6_PKfSB_ii@rel32@lo+4
	s_addc_u32 s1, s1, __PRETTY_FUNCTION__._Z13wvSplitKQ_hf_I14__hip_bfloat16N3c1013Float8_e4m3fnELi32ELi2ELi16ELi16ELi2ELi2EEviiiiiiPKT0_S5_PKT_PS6_PKfSB_ii@rel32@hi+12
	v_dual_mov_b32 v0, 0x8bf :: v_dual_mov_b32 v1, s0
	v_mov_b32_e32 v2, s1
	s_mov_b32 s32, 0
	s_getpc_b64 s[2:3]
	s_add_u32 s2, s2, __assert_fail@rel32@lo+4
	s_addc_u32 s3, s3, __assert_fail@rel32@hi+12
	s_delay_alu instid0(SALU_CYCLE_1)
	s_swappc_b64 s[30:31], s[2:3]
	.section	.rodata,"a",@progbits
	.p2align	6, 0x0
	.amdhsa_kernel _Z13wvSplitKQ_hf_I14__hip_bfloat16N3c1013Float8_e4m3fnELi32ELi2ELi16ELi16ELi2ELi2EEviiiiiiPKT0_S5_PKT_PS6_PKfSB_ii
		.amdhsa_group_segment_fixed_size 0
		.amdhsa_private_segment_fixed_size 64
		.amdhsa_kernarg_size 336
		.amdhsa_user_sgpr_count 15
		.amdhsa_user_sgpr_dispatch_ptr 0
		.amdhsa_user_sgpr_queue_ptr 0
		.amdhsa_user_sgpr_kernarg_segment_ptr 1
		.amdhsa_user_sgpr_dispatch_id 0
		.amdhsa_user_sgpr_private_segment_size 0
		.amdhsa_wavefront_size32 1
		.amdhsa_uses_dynamic_stack 0
		.amdhsa_enable_private_segment 1
		.amdhsa_system_sgpr_workgroup_id_x 1
		.amdhsa_system_sgpr_workgroup_id_y 0
		.amdhsa_system_sgpr_workgroup_id_z 0
		.amdhsa_system_sgpr_workgroup_info 0
		.amdhsa_system_vgpr_workitem_id 0
		.amdhsa_next_free_vgpr 50
		.amdhsa_next_free_sgpr 34
		.amdhsa_reserve_vcc 1
		.amdhsa_float_round_mode_32 0
		.amdhsa_float_round_mode_16_64 0
		.amdhsa_float_denorm_mode_32 3
		.amdhsa_float_denorm_mode_16_64 3
		.amdhsa_dx10_clamp 1
		.amdhsa_ieee_mode 1
		.amdhsa_fp16_overflow 0
		.amdhsa_workgroup_processor_mode 1
		.amdhsa_memory_ordered 1
		.amdhsa_forward_progress 0
		.amdhsa_shared_vgpr_count 0
		.amdhsa_exception_fp_ieee_invalid_op 0
		.amdhsa_exception_fp_denorm_src 0
		.amdhsa_exception_fp_ieee_div_zero 0
		.amdhsa_exception_fp_ieee_overflow 0
		.amdhsa_exception_fp_ieee_underflow 0
		.amdhsa_exception_fp_ieee_inexact 0
		.amdhsa_exception_int_div_zero 0
	.end_amdhsa_kernel
	.section	.text._Z13wvSplitKQ_hf_I14__hip_bfloat16N3c1013Float8_e4m3fnELi32ELi2ELi16ELi16ELi2ELi2EEviiiiiiPKT0_S5_PKT_PS6_PKfSB_ii,"axG",@progbits,_Z13wvSplitKQ_hf_I14__hip_bfloat16N3c1013Float8_e4m3fnELi32ELi2ELi16ELi16ELi2ELi2EEviiiiiiPKT0_S5_PKT_PS6_PKfSB_ii,comdat
.Lfunc_end375:
	.size	_Z13wvSplitKQ_hf_I14__hip_bfloat16N3c1013Float8_e4m3fnELi32ELi2ELi16ELi16ELi2ELi2EEviiiiiiPKT0_S5_PKT_PS6_PKfSB_ii, .Lfunc_end375-_Z13wvSplitKQ_hf_I14__hip_bfloat16N3c1013Float8_e4m3fnELi32ELi2ELi16ELi16ELi2ELi2EEviiiiiiPKT0_S5_PKT_PS6_PKfSB_ii
                                        ; -- End function
	.section	.AMDGPU.csdata,"",@progbits
; Kernel info:
; codeLenInByte = 80
; NumSgprs: 36
; NumVgprs: 50
; ScratchSize: 64
; MemoryBound: 0
; FloatMode: 240
; IeeeMode: 1
; LDSByteSize: 0 bytes/workgroup (compile time only)
; SGPRBlocks: 4
; VGPRBlocks: 6
; NumSGPRsForWavesPerEU: 36
; NumVGPRsForWavesPerEU: 50
; Occupancy: 16
; WaveLimiterHint : 1
; COMPUTE_PGM_RSRC2:SCRATCH_EN: 1
; COMPUTE_PGM_RSRC2:USER_SGPR: 15
; COMPUTE_PGM_RSRC2:TRAP_HANDLER: 0
; COMPUTE_PGM_RSRC2:TGID_X_EN: 1
; COMPUTE_PGM_RSRC2:TGID_Y_EN: 0
; COMPUTE_PGM_RSRC2:TGID_Z_EN: 0
; COMPUTE_PGM_RSRC2:TIDIG_COMP_CNT: 0
	.section	.text._Z17wvSplitKQ_hf_sml_I14__hip_bfloat16N3c1013Float8_e4m3fnELi64ELi2ELi16ELi16ELi2ELi2EEviiiiiiPKT0_S5_PKT_PS6_PKfSB_ii,"axG",@progbits,_Z17wvSplitKQ_hf_sml_I14__hip_bfloat16N3c1013Float8_e4m3fnELi64ELi2ELi16ELi16ELi2ELi2EEviiiiiiPKT0_S5_PKT_PS6_PKfSB_ii,comdat
	.protected	_Z17wvSplitKQ_hf_sml_I14__hip_bfloat16N3c1013Float8_e4m3fnELi64ELi2ELi16ELi16ELi2ELi2EEviiiiiiPKT0_S5_PKT_PS6_PKfSB_ii ; -- Begin function _Z17wvSplitKQ_hf_sml_I14__hip_bfloat16N3c1013Float8_e4m3fnELi64ELi2ELi16ELi16ELi2ELi2EEviiiiiiPKT0_S5_PKT_PS6_PKfSB_ii
	.globl	_Z17wvSplitKQ_hf_sml_I14__hip_bfloat16N3c1013Float8_e4m3fnELi64ELi2ELi16ELi16ELi2ELi2EEviiiiiiPKT0_S5_PKT_PS6_PKfSB_ii
	.p2align	8
	.type	_Z17wvSplitKQ_hf_sml_I14__hip_bfloat16N3c1013Float8_e4m3fnELi64ELi2ELi16ELi16ELi2ELi2EEviiiiiiPKT0_S5_PKT_PS6_PKfSB_ii,@function
_Z17wvSplitKQ_hf_sml_I14__hip_bfloat16N3c1013Float8_e4m3fnELi64ELi2ELi16ELi16ELi2ELi2EEviiiiiiPKT0_S5_PKT_PS6_PKfSB_ii: ; @_Z17wvSplitKQ_hf_sml_I14__hip_bfloat16N3c1013Float8_e4m3fnELi64ELi2ELi16ELi16ELi2ELi2EEviiiiiiPKT0_S5_PKT_PS6_PKfSB_ii
; %bb.0:
	s_add_u32 s8, s0, 0x50
	s_addc_u32 s9, s1, 0
	s_getpc_b64 s[0:1]
	s_add_u32 s0, s0, __PRETTY_FUNCTION__._Z17wvSplitKQ_hf_sml_I14__hip_bfloat16N3c1013Float8_e4m3fnELi64ELi2ELi16ELi16ELi2ELi2EEviiiiiiPKT0_S5_PKT_PS6_PKfSB_ii@rel32@lo+4
	s_addc_u32 s1, s1, __PRETTY_FUNCTION__._Z17wvSplitKQ_hf_sml_I14__hip_bfloat16N3c1013Float8_e4m3fnELi64ELi2ELi16ELi16ELi2ELi2EEviiiiiiPKT0_S5_PKT_PS6_PKfSB_ii@rel32@hi+12
	v_dual_mov_b32 v0, 0x7fa :: v_dual_mov_b32 v1, s0
	v_mov_b32_e32 v2, s1
	s_mov_b32 s32, 0
	s_getpc_b64 s[2:3]
	s_add_u32 s2, s2, __assert_fail@rel32@lo+4
	s_addc_u32 s3, s3, __assert_fail@rel32@hi+12
	s_delay_alu instid0(SALU_CYCLE_1)
	s_swappc_b64 s[30:31], s[2:3]
	.section	.rodata,"a",@progbits
	.p2align	6, 0x0
	.amdhsa_kernel _Z17wvSplitKQ_hf_sml_I14__hip_bfloat16N3c1013Float8_e4m3fnELi64ELi2ELi16ELi16ELi2ELi2EEviiiiiiPKT0_S5_PKT_PS6_PKfSB_ii
		.amdhsa_group_segment_fixed_size 0
		.amdhsa_private_segment_fixed_size 64
		.amdhsa_kernarg_size 336
		.amdhsa_user_sgpr_count 15
		.amdhsa_user_sgpr_dispatch_ptr 0
		.amdhsa_user_sgpr_queue_ptr 0
		.amdhsa_user_sgpr_kernarg_segment_ptr 1
		.amdhsa_user_sgpr_dispatch_id 0
		.amdhsa_user_sgpr_private_segment_size 0
		.amdhsa_wavefront_size32 1
		.amdhsa_uses_dynamic_stack 0
		.amdhsa_enable_private_segment 1
		.amdhsa_system_sgpr_workgroup_id_x 1
		.amdhsa_system_sgpr_workgroup_id_y 0
		.amdhsa_system_sgpr_workgroup_id_z 0
		.amdhsa_system_sgpr_workgroup_info 0
		.amdhsa_system_vgpr_workitem_id 0
		.amdhsa_next_free_vgpr 50
		.amdhsa_next_free_sgpr 34
		.amdhsa_reserve_vcc 1
		.amdhsa_float_round_mode_32 0
		.amdhsa_float_round_mode_16_64 0
		.amdhsa_float_denorm_mode_32 3
		.amdhsa_float_denorm_mode_16_64 3
		.amdhsa_dx10_clamp 1
		.amdhsa_ieee_mode 1
		.amdhsa_fp16_overflow 0
		.amdhsa_workgroup_processor_mode 1
		.amdhsa_memory_ordered 1
		.amdhsa_forward_progress 0
		.amdhsa_shared_vgpr_count 0
		.amdhsa_exception_fp_ieee_invalid_op 0
		.amdhsa_exception_fp_denorm_src 0
		.amdhsa_exception_fp_ieee_div_zero 0
		.amdhsa_exception_fp_ieee_overflow 0
		.amdhsa_exception_fp_ieee_underflow 0
		.amdhsa_exception_fp_ieee_inexact 0
		.amdhsa_exception_int_div_zero 0
	.end_amdhsa_kernel
	.section	.text._Z17wvSplitKQ_hf_sml_I14__hip_bfloat16N3c1013Float8_e4m3fnELi64ELi2ELi16ELi16ELi2ELi2EEviiiiiiPKT0_S5_PKT_PS6_PKfSB_ii,"axG",@progbits,_Z17wvSplitKQ_hf_sml_I14__hip_bfloat16N3c1013Float8_e4m3fnELi64ELi2ELi16ELi16ELi2ELi2EEviiiiiiPKT0_S5_PKT_PS6_PKfSB_ii,comdat
.Lfunc_end376:
	.size	_Z17wvSplitKQ_hf_sml_I14__hip_bfloat16N3c1013Float8_e4m3fnELi64ELi2ELi16ELi16ELi2ELi2EEviiiiiiPKT0_S5_PKT_PS6_PKfSB_ii, .Lfunc_end376-_Z17wvSplitKQ_hf_sml_I14__hip_bfloat16N3c1013Float8_e4m3fnELi64ELi2ELi16ELi16ELi2ELi2EEviiiiiiPKT0_S5_PKT_PS6_PKfSB_ii
                                        ; -- End function
	.section	.AMDGPU.csdata,"",@progbits
; Kernel info:
; codeLenInByte = 80
; NumSgprs: 36
; NumVgprs: 50
; ScratchSize: 64
; MemoryBound: 0
; FloatMode: 240
; IeeeMode: 1
; LDSByteSize: 0 bytes/workgroup (compile time only)
; SGPRBlocks: 4
; VGPRBlocks: 6
; NumSGPRsForWavesPerEU: 36
; NumVGPRsForWavesPerEU: 50
; Occupancy: 16
; WaveLimiterHint : 1
; COMPUTE_PGM_RSRC2:SCRATCH_EN: 1
; COMPUTE_PGM_RSRC2:USER_SGPR: 15
; COMPUTE_PGM_RSRC2:TRAP_HANDLER: 0
; COMPUTE_PGM_RSRC2:TGID_X_EN: 1
; COMPUTE_PGM_RSRC2:TGID_Y_EN: 0
; COMPUTE_PGM_RSRC2:TGID_Z_EN: 0
; COMPUTE_PGM_RSRC2:TIDIG_COMP_CNT: 0
	.section	.text._Z13wvSplitKQ_hf_I14__hip_bfloat16N3c1013Float8_e4m3fnELi64ELi2ELi16ELi16ELi2ELi2EEviiiiiiPKT0_S5_PKT_PS6_PKfSB_ii,"axG",@progbits,_Z13wvSplitKQ_hf_I14__hip_bfloat16N3c1013Float8_e4m3fnELi64ELi2ELi16ELi16ELi2ELi2EEviiiiiiPKT0_S5_PKT_PS6_PKfSB_ii,comdat
	.protected	_Z13wvSplitKQ_hf_I14__hip_bfloat16N3c1013Float8_e4m3fnELi64ELi2ELi16ELi16ELi2ELi2EEviiiiiiPKT0_S5_PKT_PS6_PKfSB_ii ; -- Begin function _Z13wvSplitKQ_hf_I14__hip_bfloat16N3c1013Float8_e4m3fnELi64ELi2ELi16ELi16ELi2ELi2EEviiiiiiPKT0_S5_PKT_PS6_PKfSB_ii
	.globl	_Z13wvSplitKQ_hf_I14__hip_bfloat16N3c1013Float8_e4m3fnELi64ELi2ELi16ELi16ELi2ELi2EEviiiiiiPKT0_S5_PKT_PS6_PKfSB_ii
	.p2align	8
	.type	_Z13wvSplitKQ_hf_I14__hip_bfloat16N3c1013Float8_e4m3fnELi64ELi2ELi16ELi16ELi2ELi2EEviiiiiiPKT0_S5_PKT_PS6_PKfSB_ii,@function
_Z13wvSplitKQ_hf_I14__hip_bfloat16N3c1013Float8_e4m3fnELi64ELi2ELi16ELi16ELi2ELi2EEviiiiiiPKT0_S5_PKT_PS6_PKfSB_ii: ; @_Z13wvSplitKQ_hf_I14__hip_bfloat16N3c1013Float8_e4m3fnELi64ELi2ELi16ELi16ELi2ELi2EEviiiiiiPKT0_S5_PKT_PS6_PKfSB_ii
; %bb.0:
	s_add_u32 s8, s0, 0x50
	s_addc_u32 s9, s1, 0
	s_getpc_b64 s[0:1]
	s_add_u32 s0, s0, __PRETTY_FUNCTION__._Z13wvSplitKQ_hf_I14__hip_bfloat16N3c1013Float8_e4m3fnELi64ELi2ELi16ELi16ELi2ELi2EEviiiiiiPKT0_S5_PKT_PS6_PKfSB_ii@rel32@lo+4
	s_addc_u32 s1, s1, __PRETTY_FUNCTION__._Z13wvSplitKQ_hf_I14__hip_bfloat16N3c1013Float8_e4m3fnELi64ELi2ELi16ELi16ELi2ELi2EEviiiiiiPKT0_S5_PKT_PS6_PKfSB_ii@rel32@hi+12
	v_dual_mov_b32 v0, 0x8bf :: v_dual_mov_b32 v1, s0
	v_mov_b32_e32 v2, s1
	s_mov_b32 s32, 0
	s_getpc_b64 s[2:3]
	s_add_u32 s2, s2, __assert_fail@rel32@lo+4
	s_addc_u32 s3, s3, __assert_fail@rel32@hi+12
	s_delay_alu instid0(SALU_CYCLE_1)
	s_swappc_b64 s[30:31], s[2:3]
	.section	.rodata,"a",@progbits
	.p2align	6, 0x0
	.amdhsa_kernel _Z13wvSplitKQ_hf_I14__hip_bfloat16N3c1013Float8_e4m3fnELi64ELi2ELi16ELi16ELi2ELi2EEviiiiiiPKT0_S5_PKT_PS6_PKfSB_ii
		.amdhsa_group_segment_fixed_size 0
		.amdhsa_private_segment_fixed_size 64
		.amdhsa_kernarg_size 336
		.amdhsa_user_sgpr_count 15
		.amdhsa_user_sgpr_dispatch_ptr 0
		.amdhsa_user_sgpr_queue_ptr 0
		.amdhsa_user_sgpr_kernarg_segment_ptr 1
		.amdhsa_user_sgpr_dispatch_id 0
		.amdhsa_user_sgpr_private_segment_size 0
		.amdhsa_wavefront_size32 1
		.amdhsa_uses_dynamic_stack 0
		.amdhsa_enable_private_segment 1
		.amdhsa_system_sgpr_workgroup_id_x 1
		.amdhsa_system_sgpr_workgroup_id_y 0
		.amdhsa_system_sgpr_workgroup_id_z 0
		.amdhsa_system_sgpr_workgroup_info 0
		.amdhsa_system_vgpr_workitem_id 0
		.amdhsa_next_free_vgpr 50
		.amdhsa_next_free_sgpr 34
		.amdhsa_reserve_vcc 1
		.amdhsa_float_round_mode_32 0
		.amdhsa_float_round_mode_16_64 0
		.amdhsa_float_denorm_mode_32 3
		.amdhsa_float_denorm_mode_16_64 3
		.amdhsa_dx10_clamp 1
		.amdhsa_ieee_mode 1
		.amdhsa_fp16_overflow 0
		.amdhsa_workgroup_processor_mode 1
		.amdhsa_memory_ordered 1
		.amdhsa_forward_progress 0
		.amdhsa_shared_vgpr_count 0
		.amdhsa_exception_fp_ieee_invalid_op 0
		.amdhsa_exception_fp_denorm_src 0
		.amdhsa_exception_fp_ieee_div_zero 0
		.amdhsa_exception_fp_ieee_overflow 0
		.amdhsa_exception_fp_ieee_underflow 0
		.amdhsa_exception_fp_ieee_inexact 0
		.amdhsa_exception_int_div_zero 0
	.end_amdhsa_kernel
	.section	.text._Z13wvSplitKQ_hf_I14__hip_bfloat16N3c1013Float8_e4m3fnELi64ELi2ELi16ELi16ELi2ELi2EEviiiiiiPKT0_S5_PKT_PS6_PKfSB_ii,"axG",@progbits,_Z13wvSplitKQ_hf_I14__hip_bfloat16N3c1013Float8_e4m3fnELi64ELi2ELi16ELi16ELi2ELi2EEviiiiiiPKT0_S5_PKT_PS6_PKfSB_ii,comdat
.Lfunc_end377:
	.size	_Z13wvSplitKQ_hf_I14__hip_bfloat16N3c1013Float8_e4m3fnELi64ELi2ELi16ELi16ELi2ELi2EEviiiiiiPKT0_S5_PKT_PS6_PKfSB_ii, .Lfunc_end377-_Z13wvSplitKQ_hf_I14__hip_bfloat16N3c1013Float8_e4m3fnELi64ELi2ELi16ELi16ELi2ELi2EEviiiiiiPKT0_S5_PKT_PS6_PKfSB_ii
                                        ; -- End function
	.section	.AMDGPU.csdata,"",@progbits
; Kernel info:
; codeLenInByte = 80
; NumSgprs: 36
; NumVgprs: 50
; ScratchSize: 64
; MemoryBound: 0
; FloatMode: 240
; IeeeMode: 1
; LDSByteSize: 0 bytes/workgroup (compile time only)
; SGPRBlocks: 4
; VGPRBlocks: 6
; NumSGPRsForWavesPerEU: 36
; NumVGPRsForWavesPerEU: 50
; Occupancy: 16
; WaveLimiterHint : 1
; COMPUTE_PGM_RSRC2:SCRATCH_EN: 1
; COMPUTE_PGM_RSRC2:USER_SGPR: 15
; COMPUTE_PGM_RSRC2:TRAP_HANDLER: 0
; COMPUTE_PGM_RSRC2:TGID_X_EN: 1
; COMPUTE_PGM_RSRC2:TGID_Y_EN: 0
; COMPUTE_PGM_RSRC2:TGID_Z_EN: 0
; COMPUTE_PGM_RSRC2:TIDIG_COMP_CNT: 0
	.section	.text._Z17wvSplitKQ_hf_sml_I14__hip_bfloat16N3c1013Float8_e4m3fnELi32ELi2ELi16ELi16ELi1ELi3EEviiiiiiPKT0_S5_PKT_PS6_PKfSB_ii,"axG",@progbits,_Z17wvSplitKQ_hf_sml_I14__hip_bfloat16N3c1013Float8_e4m3fnELi32ELi2ELi16ELi16ELi1ELi3EEviiiiiiPKT0_S5_PKT_PS6_PKfSB_ii,comdat
	.protected	_Z17wvSplitKQ_hf_sml_I14__hip_bfloat16N3c1013Float8_e4m3fnELi32ELi2ELi16ELi16ELi1ELi3EEviiiiiiPKT0_S5_PKT_PS6_PKfSB_ii ; -- Begin function _Z17wvSplitKQ_hf_sml_I14__hip_bfloat16N3c1013Float8_e4m3fnELi32ELi2ELi16ELi16ELi1ELi3EEviiiiiiPKT0_S5_PKT_PS6_PKfSB_ii
	.globl	_Z17wvSplitKQ_hf_sml_I14__hip_bfloat16N3c1013Float8_e4m3fnELi32ELi2ELi16ELi16ELi1ELi3EEviiiiiiPKT0_S5_PKT_PS6_PKfSB_ii
	.p2align	8
	.type	_Z17wvSplitKQ_hf_sml_I14__hip_bfloat16N3c1013Float8_e4m3fnELi32ELi2ELi16ELi16ELi1ELi3EEviiiiiiPKT0_S5_PKT_PS6_PKfSB_ii,@function
_Z17wvSplitKQ_hf_sml_I14__hip_bfloat16N3c1013Float8_e4m3fnELi32ELi2ELi16ELi16ELi1ELi3EEviiiiiiPKT0_S5_PKT_PS6_PKfSB_ii: ; @_Z17wvSplitKQ_hf_sml_I14__hip_bfloat16N3c1013Float8_e4m3fnELi32ELi2ELi16ELi16ELi1ELi3EEviiiiiiPKT0_S5_PKT_PS6_PKfSB_ii
; %bb.0:
	s_add_u32 s8, s0, 0x50
	s_addc_u32 s9, s1, 0
	s_getpc_b64 s[0:1]
	s_add_u32 s0, s0, __PRETTY_FUNCTION__._Z17wvSplitKQ_hf_sml_I14__hip_bfloat16N3c1013Float8_e4m3fnELi32ELi2ELi16ELi16ELi1ELi3EEviiiiiiPKT0_S5_PKT_PS6_PKfSB_ii@rel32@lo+4
	s_addc_u32 s1, s1, __PRETTY_FUNCTION__._Z17wvSplitKQ_hf_sml_I14__hip_bfloat16N3c1013Float8_e4m3fnELi32ELi2ELi16ELi16ELi1ELi3EEviiiiiiPKT0_S5_PKT_PS6_PKfSB_ii@rel32@hi+12
	v_dual_mov_b32 v0, 0x7fa :: v_dual_mov_b32 v1, s0
	v_mov_b32_e32 v2, s1
	s_mov_b32 s32, 0
	s_getpc_b64 s[2:3]
	s_add_u32 s2, s2, __assert_fail@rel32@lo+4
	s_addc_u32 s3, s3, __assert_fail@rel32@hi+12
	s_delay_alu instid0(SALU_CYCLE_1)
	s_swappc_b64 s[30:31], s[2:3]
	.section	.rodata,"a",@progbits
	.p2align	6, 0x0
	.amdhsa_kernel _Z17wvSplitKQ_hf_sml_I14__hip_bfloat16N3c1013Float8_e4m3fnELi32ELi2ELi16ELi16ELi1ELi3EEviiiiiiPKT0_S5_PKT_PS6_PKfSB_ii
		.amdhsa_group_segment_fixed_size 0
		.amdhsa_private_segment_fixed_size 64
		.amdhsa_kernarg_size 336
		.amdhsa_user_sgpr_count 15
		.amdhsa_user_sgpr_dispatch_ptr 0
		.amdhsa_user_sgpr_queue_ptr 0
		.amdhsa_user_sgpr_kernarg_segment_ptr 1
		.amdhsa_user_sgpr_dispatch_id 0
		.amdhsa_user_sgpr_private_segment_size 0
		.amdhsa_wavefront_size32 1
		.amdhsa_uses_dynamic_stack 0
		.amdhsa_enable_private_segment 1
		.amdhsa_system_sgpr_workgroup_id_x 1
		.amdhsa_system_sgpr_workgroup_id_y 0
		.amdhsa_system_sgpr_workgroup_id_z 0
		.amdhsa_system_sgpr_workgroup_info 0
		.amdhsa_system_vgpr_workitem_id 0
		.amdhsa_next_free_vgpr 50
		.amdhsa_next_free_sgpr 34
		.amdhsa_reserve_vcc 1
		.amdhsa_float_round_mode_32 0
		.amdhsa_float_round_mode_16_64 0
		.amdhsa_float_denorm_mode_32 3
		.amdhsa_float_denorm_mode_16_64 3
		.amdhsa_dx10_clamp 1
		.amdhsa_ieee_mode 1
		.amdhsa_fp16_overflow 0
		.amdhsa_workgroup_processor_mode 1
		.amdhsa_memory_ordered 1
		.amdhsa_forward_progress 0
		.amdhsa_shared_vgpr_count 0
		.amdhsa_exception_fp_ieee_invalid_op 0
		.amdhsa_exception_fp_denorm_src 0
		.amdhsa_exception_fp_ieee_div_zero 0
		.amdhsa_exception_fp_ieee_overflow 0
		.amdhsa_exception_fp_ieee_underflow 0
		.amdhsa_exception_fp_ieee_inexact 0
		.amdhsa_exception_int_div_zero 0
	.end_amdhsa_kernel
	.section	.text._Z17wvSplitKQ_hf_sml_I14__hip_bfloat16N3c1013Float8_e4m3fnELi32ELi2ELi16ELi16ELi1ELi3EEviiiiiiPKT0_S5_PKT_PS6_PKfSB_ii,"axG",@progbits,_Z17wvSplitKQ_hf_sml_I14__hip_bfloat16N3c1013Float8_e4m3fnELi32ELi2ELi16ELi16ELi1ELi3EEviiiiiiPKT0_S5_PKT_PS6_PKfSB_ii,comdat
.Lfunc_end378:
	.size	_Z17wvSplitKQ_hf_sml_I14__hip_bfloat16N3c1013Float8_e4m3fnELi32ELi2ELi16ELi16ELi1ELi3EEviiiiiiPKT0_S5_PKT_PS6_PKfSB_ii, .Lfunc_end378-_Z17wvSplitKQ_hf_sml_I14__hip_bfloat16N3c1013Float8_e4m3fnELi32ELi2ELi16ELi16ELi1ELi3EEviiiiiiPKT0_S5_PKT_PS6_PKfSB_ii
                                        ; -- End function
	.section	.AMDGPU.csdata,"",@progbits
; Kernel info:
; codeLenInByte = 80
; NumSgprs: 36
; NumVgprs: 50
; ScratchSize: 64
; MemoryBound: 0
; FloatMode: 240
; IeeeMode: 1
; LDSByteSize: 0 bytes/workgroup (compile time only)
; SGPRBlocks: 4
; VGPRBlocks: 6
; NumSGPRsForWavesPerEU: 36
; NumVGPRsForWavesPerEU: 50
; Occupancy: 16
; WaveLimiterHint : 1
; COMPUTE_PGM_RSRC2:SCRATCH_EN: 1
; COMPUTE_PGM_RSRC2:USER_SGPR: 15
; COMPUTE_PGM_RSRC2:TRAP_HANDLER: 0
; COMPUTE_PGM_RSRC2:TGID_X_EN: 1
; COMPUTE_PGM_RSRC2:TGID_Y_EN: 0
; COMPUTE_PGM_RSRC2:TGID_Z_EN: 0
; COMPUTE_PGM_RSRC2:TIDIG_COMP_CNT: 0
	.section	.text._Z13wvSplitKQ_hf_I14__hip_bfloat16N3c1013Float8_e4m3fnELi32ELi2ELi16ELi16ELi1ELi3EEviiiiiiPKT0_S5_PKT_PS6_PKfSB_ii,"axG",@progbits,_Z13wvSplitKQ_hf_I14__hip_bfloat16N3c1013Float8_e4m3fnELi32ELi2ELi16ELi16ELi1ELi3EEviiiiiiPKT0_S5_PKT_PS6_PKfSB_ii,comdat
	.protected	_Z13wvSplitKQ_hf_I14__hip_bfloat16N3c1013Float8_e4m3fnELi32ELi2ELi16ELi16ELi1ELi3EEviiiiiiPKT0_S5_PKT_PS6_PKfSB_ii ; -- Begin function _Z13wvSplitKQ_hf_I14__hip_bfloat16N3c1013Float8_e4m3fnELi32ELi2ELi16ELi16ELi1ELi3EEviiiiiiPKT0_S5_PKT_PS6_PKfSB_ii
	.globl	_Z13wvSplitKQ_hf_I14__hip_bfloat16N3c1013Float8_e4m3fnELi32ELi2ELi16ELi16ELi1ELi3EEviiiiiiPKT0_S5_PKT_PS6_PKfSB_ii
	.p2align	8
	.type	_Z13wvSplitKQ_hf_I14__hip_bfloat16N3c1013Float8_e4m3fnELi32ELi2ELi16ELi16ELi1ELi3EEviiiiiiPKT0_S5_PKT_PS6_PKfSB_ii,@function
_Z13wvSplitKQ_hf_I14__hip_bfloat16N3c1013Float8_e4m3fnELi32ELi2ELi16ELi16ELi1ELi3EEviiiiiiPKT0_S5_PKT_PS6_PKfSB_ii: ; @_Z13wvSplitKQ_hf_I14__hip_bfloat16N3c1013Float8_e4m3fnELi32ELi2ELi16ELi16ELi1ELi3EEviiiiiiPKT0_S5_PKT_PS6_PKfSB_ii
; %bb.0:
	s_add_u32 s8, s0, 0x50
	s_addc_u32 s9, s1, 0
	s_getpc_b64 s[0:1]
	s_add_u32 s0, s0, __PRETTY_FUNCTION__._Z13wvSplitKQ_hf_I14__hip_bfloat16N3c1013Float8_e4m3fnELi32ELi2ELi16ELi16ELi1ELi3EEviiiiiiPKT0_S5_PKT_PS6_PKfSB_ii@rel32@lo+4
	s_addc_u32 s1, s1, __PRETTY_FUNCTION__._Z13wvSplitKQ_hf_I14__hip_bfloat16N3c1013Float8_e4m3fnELi32ELi2ELi16ELi16ELi1ELi3EEviiiiiiPKT0_S5_PKT_PS6_PKfSB_ii@rel32@hi+12
	v_dual_mov_b32 v0, 0x8bf :: v_dual_mov_b32 v1, s0
	v_mov_b32_e32 v2, s1
	s_mov_b32 s32, 0
	s_getpc_b64 s[2:3]
	s_add_u32 s2, s2, __assert_fail@rel32@lo+4
	s_addc_u32 s3, s3, __assert_fail@rel32@hi+12
	s_delay_alu instid0(SALU_CYCLE_1)
	s_swappc_b64 s[30:31], s[2:3]
	.section	.rodata,"a",@progbits
	.p2align	6, 0x0
	.amdhsa_kernel _Z13wvSplitKQ_hf_I14__hip_bfloat16N3c1013Float8_e4m3fnELi32ELi2ELi16ELi16ELi1ELi3EEviiiiiiPKT0_S5_PKT_PS6_PKfSB_ii
		.amdhsa_group_segment_fixed_size 0
		.amdhsa_private_segment_fixed_size 64
		.amdhsa_kernarg_size 336
		.amdhsa_user_sgpr_count 15
		.amdhsa_user_sgpr_dispatch_ptr 0
		.amdhsa_user_sgpr_queue_ptr 0
		.amdhsa_user_sgpr_kernarg_segment_ptr 1
		.amdhsa_user_sgpr_dispatch_id 0
		.amdhsa_user_sgpr_private_segment_size 0
		.amdhsa_wavefront_size32 1
		.amdhsa_uses_dynamic_stack 0
		.amdhsa_enable_private_segment 1
		.amdhsa_system_sgpr_workgroup_id_x 1
		.amdhsa_system_sgpr_workgroup_id_y 0
		.amdhsa_system_sgpr_workgroup_id_z 0
		.amdhsa_system_sgpr_workgroup_info 0
		.amdhsa_system_vgpr_workitem_id 0
		.amdhsa_next_free_vgpr 50
		.amdhsa_next_free_sgpr 34
		.amdhsa_reserve_vcc 1
		.amdhsa_float_round_mode_32 0
		.amdhsa_float_round_mode_16_64 0
		.amdhsa_float_denorm_mode_32 3
		.amdhsa_float_denorm_mode_16_64 3
		.amdhsa_dx10_clamp 1
		.amdhsa_ieee_mode 1
		.amdhsa_fp16_overflow 0
		.amdhsa_workgroup_processor_mode 1
		.amdhsa_memory_ordered 1
		.amdhsa_forward_progress 0
		.amdhsa_shared_vgpr_count 0
		.amdhsa_exception_fp_ieee_invalid_op 0
		.amdhsa_exception_fp_denorm_src 0
		.amdhsa_exception_fp_ieee_div_zero 0
		.amdhsa_exception_fp_ieee_overflow 0
		.amdhsa_exception_fp_ieee_underflow 0
		.amdhsa_exception_fp_ieee_inexact 0
		.amdhsa_exception_int_div_zero 0
	.end_amdhsa_kernel
	.section	.text._Z13wvSplitKQ_hf_I14__hip_bfloat16N3c1013Float8_e4m3fnELi32ELi2ELi16ELi16ELi1ELi3EEviiiiiiPKT0_S5_PKT_PS6_PKfSB_ii,"axG",@progbits,_Z13wvSplitKQ_hf_I14__hip_bfloat16N3c1013Float8_e4m3fnELi32ELi2ELi16ELi16ELi1ELi3EEviiiiiiPKT0_S5_PKT_PS6_PKfSB_ii,comdat
.Lfunc_end379:
	.size	_Z13wvSplitKQ_hf_I14__hip_bfloat16N3c1013Float8_e4m3fnELi32ELi2ELi16ELi16ELi1ELi3EEviiiiiiPKT0_S5_PKT_PS6_PKfSB_ii, .Lfunc_end379-_Z13wvSplitKQ_hf_I14__hip_bfloat16N3c1013Float8_e4m3fnELi32ELi2ELi16ELi16ELi1ELi3EEviiiiiiPKT0_S5_PKT_PS6_PKfSB_ii
                                        ; -- End function
	.section	.AMDGPU.csdata,"",@progbits
; Kernel info:
; codeLenInByte = 80
; NumSgprs: 36
; NumVgprs: 50
; ScratchSize: 64
; MemoryBound: 0
; FloatMode: 240
; IeeeMode: 1
; LDSByteSize: 0 bytes/workgroup (compile time only)
; SGPRBlocks: 4
; VGPRBlocks: 6
; NumSGPRsForWavesPerEU: 36
; NumVGPRsForWavesPerEU: 50
; Occupancy: 16
; WaveLimiterHint : 1
; COMPUTE_PGM_RSRC2:SCRATCH_EN: 1
; COMPUTE_PGM_RSRC2:USER_SGPR: 15
; COMPUTE_PGM_RSRC2:TRAP_HANDLER: 0
; COMPUTE_PGM_RSRC2:TGID_X_EN: 1
; COMPUTE_PGM_RSRC2:TGID_Y_EN: 0
; COMPUTE_PGM_RSRC2:TGID_Z_EN: 0
; COMPUTE_PGM_RSRC2:TIDIG_COMP_CNT: 0
	.section	.text._Z17wvSplitKQ_hf_sml_I14__hip_bfloat16N3c1013Float8_e4m3fnELi64ELi2ELi16ELi16ELi1ELi3EEviiiiiiPKT0_S5_PKT_PS6_PKfSB_ii,"axG",@progbits,_Z17wvSplitKQ_hf_sml_I14__hip_bfloat16N3c1013Float8_e4m3fnELi64ELi2ELi16ELi16ELi1ELi3EEviiiiiiPKT0_S5_PKT_PS6_PKfSB_ii,comdat
	.protected	_Z17wvSplitKQ_hf_sml_I14__hip_bfloat16N3c1013Float8_e4m3fnELi64ELi2ELi16ELi16ELi1ELi3EEviiiiiiPKT0_S5_PKT_PS6_PKfSB_ii ; -- Begin function _Z17wvSplitKQ_hf_sml_I14__hip_bfloat16N3c1013Float8_e4m3fnELi64ELi2ELi16ELi16ELi1ELi3EEviiiiiiPKT0_S5_PKT_PS6_PKfSB_ii
	.globl	_Z17wvSplitKQ_hf_sml_I14__hip_bfloat16N3c1013Float8_e4m3fnELi64ELi2ELi16ELi16ELi1ELi3EEviiiiiiPKT0_S5_PKT_PS6_PKfSB_ii
	.p2align	8
	.type	_Z17wvSplitKQ_hf_sml_I14__hip_bfloat16N3c1013Float8_e4m3fnELi64ELi2ELi16ELi16ELi1ELi3EEviiiiiiPKT0_S5_PKT_PS6_PKfSB_ii,@function
_Z17wvSplitKQ_hf_sml_I14__hip_bfloat16N3c1013Float8_e4m3fnELi64ELi2ELi16ELi16ELi1ELi3EEviiiiiiPKT0_S5_PKT_PS6_PKfSB_ii: ; @_Z17wvSplitKQ_hf_sml_I14__hip_bfloat16N3c1013Float8_e4m3fnELi64ELi2ELi16ELi16ELi1ELi3EEviiiiiiPKT0_S5_PKT_PS6_PKfSB_ii
; %bb.0:
	s_add_u32 s8, s0, 0x50
	s_addc_u32 s9, s1, 0
	s_getpc_b64 s[0:1]
	s_add_u32 s0, s0, __PRETTY_FUNCTION__._Z17wvSplitKQ_hf_sml_I14__hip_bfloat16N3c1013Float8_e4m3fnELi64ELi2ELi16ELi16ELi1ELi3EEviiiiiiPKT0_S5_PKT_PS6_PKfSB_ii@rel32@lo+4
	s_addc_u32 s1, s1, __PRETTY_FUNCTION__._Z17wvSplitKQ_hf_sml_I14__hip_bfloat16N3c1013Float8_e4m3fnELi64ELi2ELi16ELi16ELi1ELi3EEviiiiiiPKT0_S5_PKT_PS6_PKfSB_ii@rel32@hi+12
	v_dual_mov_b32 v0, 0x7fa :: v_dual_mov_b32 v1, s0
	v_mov_b32_e32 v2, s1
	s_mov_b32 s32, 0
	s_getpc_b64 s[2:3]
	s_add_u32 s2, s2, __assert_fail@rel32@lo+4
	s_addc_u32 s3, s3, __assert_fail@rel32@hi+12
	s_delay_alu instid0(SALU_CYCLE_1)
	s_swappc_b64 s[30:31], s[2:3]
	.section	.rodata,"a",@progbits
	.p2align	6, 0x0
	.amdhsa_kernel _Z17wvSplitKQ_hf_sml_I14__hip_bfloat16N3c1013Float8_e4m3fnELi64ELi2ELi16ELi16ELi1ELi3EEviiiiiiPKT0_S5_PKT_PS6_PKfSB_ii
		.amdhsa_group_segment_fixed_size 0
		.amdhsa_private_segment_fixed_size 64
		.amdhsa_kernarg_size 336
		.amdhsa_user_sgpr_count 15
		.amdhsa_user_sgpr_dispatch_ptr 0
		.amdhsa_user_sgpr_queue_ptr 0
		.amdhsa_user_sgpr_kernarg_segment_ptr 1
		.amdhsa_user_sgpr_dispatch_id 0
		.amdhsa_user_sgpr_private_segment_size 0
		.amdhsa_wavefront_size32 1
		.amdhsa_uses_dynamic_stack 0
		.amdhsa_enable_private_segment 1
		.amdhsa_system_sgpr_workgroup_id_x 1
		.amdhsa_system_sgpr_workgroup_id_y 0
		.amdhsa_system_sgpr_workgroup_id_z 0
		.amdhsa_system_sgpr_workgroup_info 0
		.amdhsa_system_vgpr_workitem_id 0
		.amdhsa_next_free_vgpr 50
		.amdhsa_next_free_sgpr 34
		.amdhsa_reserve_vcc 1
		.amdhsa_float_round_mode_32 0
		.amdhsa_float_round_mode_16_64 0
		.amdhsa_float_denorm_mode_32 3
		.amdhsa_float_denorm_mode_16_64 3
		.amdhsa_dx10_clamp 1
		.amdhsa_ieee_mode 1
		.amdhsa_fp16_overflow 0
		.amdhsa_workgroup_processor_mode 1
		.amdhsa_memory_ordered 1
		.amdhsa_forward_progress 0
		.amdhsa_shared_vgpr_count 0
		.amdhsa_exception_fp_ieee_invalid_op 0
		.amdhsa_exception_fp_denorm_src 0
		.amdhsa_exception_fp_ieee_div_zero 0
		.amdhsa_exception_fp_ieee_overflow 0
		.amdhsa_exception_fp_ieee_underflow 0
		.amdhsa_exception_fp_ieee_inexact 0
		.amdhsa_exception_int_div_zero 0
	.end_amdhsa_kernel
	.section	.text._Z17wvSplitKQ_hf_sml_I14__hip_bfloat16N3c1013Float8_e4m3fnELi64ELi2ELi16ELi16ELi1ELi3EEviiiiiiPKT0_S5_PKT_PS6_PKfSB_ii,"axG",@progbits,_Z17wvSplitKQ_hf_sml_I14__hip_bfloat16N3c1013Float8_e4m3fnELi64ELi2ELi16ELi16ELi1ELi3EEviiiiiiPKT0_S5_PKT_PS6_PKfSB_ii,comdat
.Lfunc_end380:
	.size	_Z17wvSplitKQ_hf_sml_I14__hip_bfloat16N3c1013Float8_e4m3fnELi64ELi2ELi16ELi16ELi1ELi3EEviiiiiiPKT0_S5_PKT_PS6_PKfSB_ii, .Lfunc_end380-_Z17wvSplitKQ_hf_sml_I14__hip_bfloat16N3c1013Float8_e4m3fnELi64ELi2ELi16ELi16ELi1ELi3EEviiiiiiPKT0_S5_PKT_PS6_PKfSB_ii
                                        ; -- End function
	.section	.AMDGPU.csdata,"",@progbits
; Kernel info:
; codeLenInByte = 80
; NumSgprs: 36
; NumVgprs: 50
; ScratchSize: 64
; MemoryBound: 0
; FloatMode: 240
; IeeeMode: 1
; LDSByteSize: 0 bytes/workgroup (compile time only)
; SGPRBlocks: 4
; VGPRBlocks: 6
; NumSGPRsForWavesPerEU: 36
; NumVGPRsForWavesPerEU: 50
; Occupancy: 16
; WaveLimiterHint : 1
; COMPUTE_PGM_RSRC2:SCRATCH_EN: 1
; COMPUTE_PGM_RSRC2:USER_SGPR: 15
; COMPUTE_PGM_RSRC2:TRAP_HANDLER: 0
; COMPUTE_PGM_RSRC2:TGID_X_EN: 1
; COMPUTE_PGM_RSRC2:TGID_Y_EN: 0
; COMPUTE_PGM_RSRC2:TGID_Z_EN: 0
; COMPUTE_PGM_RSRC2:TIDIG_COMP_CNT: 0
	.section	.text._Z13wvSplitKQ_hf_I14__hip_bfloat16N3c1013Float8_e4m3fnELi64ELi2ELi16ELi16ELi1ELi3EEviiiiiiPKT0_S5_PKT_PS6_PKfSB_ii,"axG",@progbits,_Z13wvSplitKQ_hf_I14__hip_bfloat16N3c1013Float8_e4m3fnELi64ELi2ELi16ELi16ELi1ELi3EEviiiiiiPKT0_S5_PKT_PS6_PKfSB_ii,comdat
	.protected	_Z13wvSplitKQ_hf_I14__hip_bfloat16N3c1013Float8_e4m3fnELi64ELi2ELi16ELi16ELi1ELi3EEviiiiiiPKT0_S5_PKT_PS6_PKfSB_ii ; -- Begin function _Z13wvSplitKQ_hf_I14__hip_bfloat16N3c1013Float8_e4m3fnELi64ELi2ELi16ELi16ELi1ELi3EEviiiiiiPKT0_S5_PKT_PS6_PKfSB_ii
	.globl	_Z13wvSplitKQ_hf_I14__hip_bfloat16N3c1013Float8_e4m3fnELi64ELi2ELi16ELi16ELi1ELi3EEviiiiiiPKT0_S5_PKT_PS6_PKfSB_ii
	.p2align	8
	.type	_Z13wvSplitKQ_hf_I14__hip_bfloat16N3c1013Float8_e4m3fnELi64ELi2ELi16ELi16ELi1ELi3EEviiiiiiPKT0_S5_PKT_PS6_PKfSB_ii,@function
_Z13wvSplitKQ_hf_I14__hip_bfloat16N3c1013Float8_e4m3fnELi64ELi2ELi16ELi16ELi1ELi3EEviiiiiiPKT0_S5_PKT_PS6_PKfSB_ii: ; @_Z13wvSplitKQ_hf_I14__hip_bfloat16N3c1013Float8_e4m3fnELi64ELi2ELi16ELi16ELi1ELi3EEviiiiiiPKT0_S5_PKT_PS6_PKfSB_ii
; %bb.0:
	s_add_u32 s8, s0, 0x50
	s_addc_u32 s9, s1, 0
	s_getpc_b64 s[0:1]
	s_add_u32 s0, s0, __PRETTY_FUNCTION__._Z13wvSplitKQ_hf_I14__hip_bfloat16N3c1013Float8_e4m3fnELi64ELi2ELi16ELi16ELi1ELi3EEviiiiiiPKT0_S5_PKT_PS6_PKfSB_ii@rel32@lo+4
	s_addc_u32 s1, s1, __PRETTY_FUNCTION__._Z13wvSplitKQ_hf_I14__hip_bfloat16N3c1013Float8_e4m3fnELi64ELi2ELi16ELi16ELi1ELi3EEviiiiiiPKT0_S5_PKT_PS6_PKfSB_ii@rel32@hi+12
	v_dual_mov_b32 v0, 0x8bf :: v_dual_mov_b32 v1, s0
	v_mov_b32_e32 v2, s1
	s_mov_b32 s32, 0
	s_getpc_b64 s[2:3]
	s_add_u32 s2, s2, __assert_fail@rel32@lo+4
	s_addc_u32 s3, s3, __assert_fail@rel32@hi+12
	s_delay_alu instid0(SALU_CYCLE_1)
	s_swappc_b64 s[30:31], s[2:3]
	.section	.rodata,"a",@progbits
	.p2align	6, 0x0
	.amdhsa_kernel _Z13wvSplitKQ_hf_I14__hip_bfloat16N3c1013Float8_e4m3fnELi64ELi2ELi16ELi16ELi1ELi3EEviiiiiiPKT0_S5_PKT_PS6_PKfSB_ii
		.amdhsa_group_segment_fixed_size 0
		.amdhsa_private_segment_fixed_size 64
		.amdhsa_kernarg_size 336
		.amdhsa_user_sgpr_count 15
		.amdhsa_user_sgpr_dispatch_ptr 0
		.amdhsa_user_sgpr_queue_ptr 0
		.amdhsa_user_sgpr_kernarg_segment_ptr 1
		.amdhsa_user_sgpr_dispatch_id 0
		.amdhsa_user_sgpr_private_segment_size 0
		.amdhsa_wavefront_size32 1
		.amdhsa_uses_dynamic_stack 0
		.amdhsa_enable_private_segment 1
		.amdhsa_system_sgpr_workgroup_id_x 1
		.amdhsa_system_sgpr_workgroup_id_y 0
		.amdhsa_system_sgpr_workgroup_id_z 0
		.amdhsa_system_sgpr_workgroup_info 0
		.amdhsa_system_vgpr_workitem_id 0
		.amdhsa_next_free_vgpr 50
		.amdhsa_next_free_sgpr 34
		.amdhsa_reserve_vcc 1
		.amdhsa_float_round_mode_32 0
		.amdhsa_float_round_mode_16_64 0
		.amdhsa_float_denorm_mode_32 3
		.amdhsa_float_denorm_mode_16_64 3
		.amdhsa_dx10_clamp 1
		.amdhsa_ieee_mode 1
		.amdhsa_fp16_overflow 0
		.amdhsa_workgroup_processor_mode 1
		.amdhsa_memory_ordered 1
		.amdhsa_forward_progress 0
		.amdhsa_shared_vgpr_count 0
		.amdhsa_exception_fp_ieee_invalid_op 0
		.amdhsa_exception_fp_denorm_src 0
		.amdhsa_exception_fp_ieee_div_zero 0
		.amdhsa_exception_fp_ieee_overflow 0
		.amdhsa_exception_fp_ieee_underflow 0
		.amdhsa_exception_fp_ieee_inexact 0
		.amdhsa_exception_int_div_zero 0
	.end_amdhsa_kernel
	.section	.text._Z13wvSplitKQ_hf_I14__hip_bfloat16N3c1013Float8_e4m3fnELi64ELi2ELi16ELi16ELi1ELi3EEviiiiiiPKT0_S5_PKT_PS6_PKfSB_ii,"axG",@progbits,_Z13wvSplitKQ_hf_I14__hip_bfloat16N3c1013Float8_e4m3fnELi64ELi2ELi16ELi16ELi1ELi3EEviiiiiiPKT0_S5_PKT_PS6_PKfSB_ii,comdat
.Lfunc_end381:
	.size	_Z13wvSplitKQ_hf_I14__hip_bfloat16N3c1013Float8_e4m3fnELi64ELi2ELi16ELi16ELi1ELi3EEviiiiiiPKT0_S5_PKT_PS6_PKfSB_ii, .Lfunc_end381-_Z13wvSplitKQ_hf_I14__hip_bfloat16N3c1013Float8_e4m3fnELi64ELi2ELi16ELi16ELi1ELi3EEviiiiiiPKT0_S5_PKT_PS6_PKfSB_ii
                                        ; -- End function
	.section	.AMDGPU.csdata,"",@progbits
; Kernel info:
; codeLenInByte = 80
; NumSgprs: 36
; NumVgprs: 50
; ScratchSize: 64
; MemoryBound: 0
; FloatMode: 240
; IeeeMode: 1
; LDSByteSize: 0 bytes/workgroup (compile time only)
; SGPRBlocks: 4
; VGPRBlocks: 6
; NumSGPRsForWavesPerEU: 36
; NumVGPRsForWavesPerEU: 50
; Occupancy: 16
; WaveLimiterHint : 1
; COMPUTE_PGM_RSRC2:SCRATCH_EN: 1
; COMPUTE_PGM_RSRC2:USER_SGPR: 15
; COMPUTE_PGM_RSRC2:TRAP_HANDLER: 0
; COMPUTE_PGM_RSRC2:TGID_X_EN: 1
; COMPUTE_PGM_RSRC2:TGID_Y_EN: 0
; COMPUTE_PGM_RSRC2:TGID_Z_EN: 0
; COMPUTE_PGM_RSRC2:TIDIG_COMP_CNT: 0
	.section	.text._Z17wvSplitKQ_hf_sml_I14__hip_bfloat16N3c1013Float8_e4m3fnELi32ELi2ELi16ELi16ELi1ELi4EEviiiiiiPKT0_S5_PKT_PS6_PKfSB_ii,"axG",@progbits,_Z17wvSplitKQ_hf_sml_I14__hip_bfloat16N3c1013Float8_e4m3fnELi32ELi2ELi16ELi16ELi1ELi4EEviiiiiiPKT0_S5_PKT_PS6_PKfSB_ii,comdat
	.protected	_Z17wvSplitKQ_hf_sml_I14__hip_bfloat16N3c1013Float8_e4m3fnELi32ELi2ELi16ELi16ELi1ELi4EEviiiiiiPKT0_S5_PKT_PS6_PKfSB_ii ; -- Begin function _Z17wvSplitKQ_hf_sml_I14__hip_bfloat16N3c1013Float8_e4m3fnELi32ELi2ELi16ELi16ELi1ELi4EEviiiiiiPKT0_S5_PKT_PS6_PKfSB_ii
	.globl	_Z17wvSplitKQ_hf_sml_I14__hip_bfloat16N3c1013Float8_e4m3fnELi32ELi2ELi16ELi16ELi1ELi4EEviiiiiiPKT0_S5_PKT_PS6_PKfSB_ii
	.p2align	8
	.type	_Z17wvSplitKQ_hf_sml_I14__hip_bfloat16N3c1013Float8_e4m3fnELi32ELi2ELi16ELi16ELi1ELi4EEviiiiiiPKT0_S5_PKT_PS6_PKfSB_ii,@function
_Z17wvSplitKQ_hf_sml_I14__hip_bfloat16N3c1013Float8_e4m3fnELi32ELi2ELi16ELi16ELi1ELi4EEviiiiiiPKT0_S5_PKT_PS6_PKfSB_ii: ; @_Z17wvSplitKQ_hf_sml_I14__hip_bfloat16N3c1013Float8_e4m3fnELi32ELi2ELi16ELi16ELi1ELi4EEviiiiiiPKT0_S5_PKT_PS6_PKfSB_ii
; %bb.0:
	s_add_u32 s8, s0, 0x50
	s_addc_u32 s9, s1, 0
	s_getpc_b64 s[0:1]
	s_add_u32 s0, s0, __PRETTY_FUNCTION__._Z17wvSplitKQ_hf_sml_I14__hip_bfloat16N3c1013Float8_e4m3fnELi32ELi2ELi16ELi16ELi1ELi4EEviiiiiiPKT0_S5_PKT_PS6_PKfSB_ii@rel32@lo+4
	s_addc_u32 s1, s1, __PRETTY_FUNCTION__._Z17wvSplitKQ_hf_sml_I14__hip_bfloat16N3c1013Float8_e4m3fnELi32ELi2ELi16ELi16ELi1ELi4EEviiiiiiPKT0_S5_PKT_PS6_PKfSB_ii@rel32@hi+12
	v_dual_mov_b32 v0, 0x7fa :: v_dual_mov_b32 v1, s0
	v_mov_b32_e32 v2, s1
	s_mov_b32 s32, 0
	s_getpc_b64 s[2:3]
	s_add_u32 s2, s2, __assert_fail@rel32@lo+4
	s_addc_u32 s3, s3, __assert_fail@rel32@hi+12
	s_delay_alu instid0(SALU_CYCLE_1)
	s_swappc_b64 s[30:31], s[2:3]
	.section	.rodata,"a",@progbits
	.p2align	6, 0x0
	.amdhsa_kernel _Z17wvSplitKQ_hf_sml_I14__hip_bfloat16N3c1013Float8_e4m3fnELi32ELi2ELi16ELi16ELi1ELi4EEviiiiiiPKT0_S5_PKT_PS6_PKfSB_ii
		.amdhsa_group_segment_fixed_size 0
		.amdhsa_private_segment_fixed_size 64
		.amdhsa_kernarg_size 336
		.amdhsa_user_sgpr_count 15
		.amdhsa_user_sgpr_dispatch_ptr 0
		.amdhsa_user_sgpr_queue_ptr 0
		.amdhsa_user_sgpr_kernarg_segment_ptr 1
		.amdhsa_user_sgpr_dispatch_id 0
		.amdhsa_user_sgpr_private_segment_size 0
		.amdhsa_wavefront_size32 1
		.amdhsa_uses_dynamic_stack 0
		.amdhsa_enable_private_segment 1
		.amdhsa_system_sgpr_workgroup_id_x 1
		.amdhsa_system_sgpr_workgroup_id_y 0
		.amdhsa_system_sgpr_workgroup_id_z 0
		.amdhsa_system_sgpr_workgroup_info 0
		.amdhsa_system_vgpr_workitem_id 0
		.amdhsa_next_free_vgpr 50
		.amdhsa_next_free_sgpr 34
		.amdhsa_reserve_vcc 1
		.amdhsa_float_round_mode_32 0
		.amdhsa_float_round_mode_16_64 0
		.amdhsa_float_denorm_mode_32 3
		.amdhsa_float_denorm_mode_16_64 3
		.amdhsa_dx10_clamp 1
		.amdhsa_ieee_mode 1
		.amdhsa_fp16_overflow 0
		.amdhsa_workgroup_processor_mode 1
		.amdhsa_memory_ordered 1
		.amdhsa_forward_progress 0
		.amdhsa_shared_vgpr_count 0
		.amdhsa_exception_fp_ieee_invalid_op 0
		.amdhsa_exception_fp_denorm_src 0
		.amdhsa_exception_fp_ieee_div_zero 0
		.amdhsa_exception_fp_ieee_overflow 0
		.amdhsa_exception_fp_ieee_underflow 0
		.amdhsa_exception_fp_ieee_inexact 0
		.amdhsa_exception_int_div_zero 0
	.end_amdhsa_kernel
	.section	.text._Z17wvSplitKQ_hf_sml_I14__hip_bfloat16N3c1013Float8_e4m3fnELi32ELi2ELi16ELi16ELi1ELi4EEviiiiiiPKT0_S5_PKT_PS6_PKfSB_ii,"axG",@progbits,_Z17wvSplitKQ_hf_sml_I14__hip_bfloat16N3c1013Float8_e4m3fnELi32ELi2ELi16ELi16ELi1ELi4EEviiiiiiPKT0_S5_PKT_PS6_PKfSB_ii,comdat
.Lfunc_end382:
	.size	_Z17wvSplitKQ_hf_sml_I14__hip_bfloat16N3c1013Float8_e4m3fnELi32ELi2ELi16ELi16ELi1ELi4EEviiiiiiPKT0_S5_PKT_PS6_PKfSB_ii, .Lfunc_end382-_Z17wvSplitKQ_hf_sml_I14__hip_bfloat16N3c1013Float8_e4m3fnELi32ELi2ELi16ELi16ELi1ELi4EEviiiiiiPKT0_S5_PKT_PS6_PKfSB_ii
                                        ; -- End function
	.section	.AMDGPU.csdata,"",@progbits
; Kernel info:
; codeLenInByte = 80
; NumSgprs: 36
; NumVgprs: 50
; ScratchSize: 64
; MemoryBound: 0
; FloatMode: 240
; IeeeMode: 1
; LDSByteSize: 0 bytes/workgroup (compile time only)
; SGPRBlocks: 4
; VGPRBlocks: 6
; NumSGPRsForWavesPerEU: 36
; NumVGPRsForWavesPerEU: 50
; Occupancy: 16
; WaveLimiterHint : 1
; COMPUTE_PGM_RSRC2:SCRATCH_EN: 1
; COMPUTE_PGM_RSRC2:USER_SGPR: 15
; COMPUTE_PGM_RSRC2:TRAP_HANDLER: 0
; COMPUTE_PGM_RSRC2:TGID_X_EN: 1
; COMPUTE_PGM_RSRC2:TGID_Y_EN: 0
; COMPUTE_PGM_RSRC2:TGID_Z_EN: 0
; COMPUTE_PGM_RSRC2:TIDIG_COMP_CNT: 0
	.section	.text._Z13wvSplitKQ_hf_I14__hip_bfloat16N3c1013Float8_e4m3fnELi32ELi2ELi16ELi16ELi1ELi4EEviiiiiiPKT0_S5_PKT_PS6_PKfSB_ii,"axG",@progbits,_Z13wvSplitKQ_hf_I14__hip_bfloat16N3c1013Float8_e4m3fnELi32ELi2ELi16ELi16ELi1ELi4EEviiiiiiPKT0_S5_PKT_PS6_PKfSB_ii,comdat
	.protected	_Z13wvSplitKQ_hf_I14__hip_bfloat16N3c1013Float8_e4m3fnELi32ELi2ELi16ELi16ELi1ELi4EEviiiiiiPKT0_S5_PKT_PS6_PKfSB_ii ; -- Begin function _Z13wvSplitKQ_hf_I14__hip_bfloat16N3c1013Float8_e4m3fnELi32ELi2ELi16ELi16ELi1ELi4EEviiiiiiPKT0_S5_PKT_PS6_PKfSB_ii
	.globl	_Z13wvSplitKQ_hf_I14__hip_bfloat16N3c1013Float8_e4m3fnELi32ELi2ELi16ELi16ELi1ELi4EEviiiiiiPKT0_S5_PKT_PS6_PKfSB_ii
	.p2align	8
	.type	_Z13wvSplitKQ_hf_I14__hip_bfloat16N3c1013Float8_e4m3fnELi32ELi2ELi16ELi16ELi1ELi4EEviiiiiiPKT0_S5_PKT_PS6_PKfSB_ii,@function
_Z13wvSplitKQ_hf_I14__hip_bfloat16N3c1013Float8_e4m3fnELi32ELi2ELi16ELi16ELi1ELi4EEviiiiiiPKT0_S5_PKT_PS6_PKfSB_ii: ; @_Z13wvSplitKQ_hf_I14__hip_bfloat16N3c1013Float8_e4m3fnELi32ELi2ELi16ELi16ELi1ELi4EEviiiiiiPKT0_S5_PKT_PS6_PKfSB_ii
; %bb.0:
	s_add_u32 s8, s0, 0x50
	s_addc_u32 s9, s1, 0
	s_getpc_b64 s[0:1]
	s_add_u32 s0, s0, __PRETTY_FUNCTION__._Z13wvSplitKQ_hf_I14__hip_bfloat16N3c1013Float8_e4m3fnELi32ELi2ELi16ELi16ELi1ELi4EEviiiiiiPKT0_S5_PKT_PS6_PKfSB_ii@rel32@lo+4
	s_addc_u32 s1, s1, __PRETTY_FUNCTION__._Z13wvSplitKQ_hf_I14__hip_bfloat16N3c1013Float8_e4m3fnELi32ELi2ELi16ELi16ELi1ELi4EEviiiiiiPKT0_S5_PKT_PS6_PKfSB_ii@rel32@hi+12
	v_dual_mov_b32 v0, 0x8bf :: v_dual_mov_b32 v1, s0
	v_mov_b32_e32 v2, s1
	s_mov_b32 s32, 0
	s_getpc_b64 s[2:3]
	s_add_u32 s2, s2, __assert_fail@rel32@lo+4
	s_addc_u32 s3, s3, __assert_fail@rel32@hi+12
	s_delay_alu instid0(SALU_CYCLE_1)
	s_swappc_b64 s[30:31], s[2:3]
	.section	.rodata,"a",@progbits
	.p2align	6, 0x0
	.amdhsa_kernel _Z13wvSplitKQ_hf_I14__hip_bfloat16N3c1013Float8_e4m3fnELi32ELi2ELi16ELi16ELi1ELi4EEviiiiiiPKT0_S5_PKT_PS6_PKfSB_ii
		.amdhsa_group_segment_fixed_size 0
		.amdhsa_private_segment_fixed_size 64
		.amdhsa_kernarg_size 336
		.amdhsa_user_sgpr_count 15
		.amdhsa_user_sgpr_dispatch_ptr 0
		.amdhsa_user_sgpr_queue_ptr 0
		.amdhsa_user_sgpr_kernarg_segment_ptr 1
		.amdhsa_user_sgpr_dispatch_id 0
		.amdhsa_user_sgpr_private_segment_size 0
		.amdhsa_wavefront_size32 1
		.amdhsa_uses_dynamic_stack 0
		.amdhsa_enable_private_segment 1
		.amdhsa_system_sgpr_workgroup_id_x 1
		.amdhsa_system_sgpr_workgroup_id_y 0
		.amdhsa_system_sgpr_workgroup_id_z 0
		.amdhsa_system_sgpr_workgroup_info 0
		.amdhsa_system_vgpr_workitem_id 0
		.amdhsa_next_free_vgpr 50
		.amdhsa_next_free_sgpr 34
		.amdhsa_reserve_vcc 1
		.amdhsa_float_round_mode_32 0
		.amdhsa_float_round_mode_16_64 0
		.amdhsa_float_denorm_mode_32 3
		.amdhsa_float_denorm_mode_16_64 3
		.amdhsa_dx10_clamp 1
		.amdhsa_ieee_mode 1
		.amdhsa_fp16_overflow 0
		.amdhsa_workgroup_processor_mode 1
		.amdhsa_memory_ordered 1
		.amdhsa_forward_progress 0
		.amdhsa_shared_vgpr_count 0
		.amdhsa_exception_fp_ieee_invalid_op 0
		.amdhsa_exception_fp_denorm_src 0
		.amdhsa_exception_fp_ieee_div_zero 0
		.amdhsa_exception_fp_ieee_overflow 0
		.amdhsa_exception_fp_ieee_underflow 0
		.amdhsa_exception_fp_ieee_inexact 0
		.amdhsa_exception_int_div_zero 0
	.end_amdhsa_kernel
	.section	.text._Z13wvSplitKQ_hf_I14__hip_bfloat16N3c1013Float8_e4m3fnELi32ELi2ELi16ELi16ELi1ELi4EEviiiiiiPKT0_S5_PKT_PS6_PKfSB_ii,"axG",@progbits,_Z13wvSplitKQ_hf_I14__hip_bfloat16N3c1013Float8_e4m3fnELi32ELi2ELi16ELi16ELi1ELi4EEviiiiiiPKT0_S5_PKT_PS6_PKfSB_ii,comdat
.Lfunc_end383:
	.size	_Z13wvSplitKQ_hf_I14__hip_bfloat16N3c1013Float8_e4m3fnELi32ELi2ELi16ELi16ELi1ELi4EEviiiiiiPKT0_S5_PKT_PS6_PKfSB_ii, .Lfunc_end383-_Z13wvSplitKQ_hf_I14__hip_bfloat16N3c1013Float8_e4m3fnELi32ELi2ELi16ELi16ELi1ELi4EEviiiiiiPKT0_S5_PKT_PS6_PKfSB_ii
                                        ; -- End function
	.section	.AMDGPU.csdata,"",@progbits
; Kernel info:
; codeLenInByte = 80
; NumSgprs: 36
; NumVgprs: 50
; ScratchSize: 64
; MemoryBound: 0
; FloatMode: 240
; IeeeMode: 1
; LDSByteSize: 0 bytes/workgroup (compile time only)
; SGPRBlocks: 4
; VGPRBlocks: 6
; NumSGPRsForWavesPerEU: 36
; NumVGPRsForWavesPerEU: 50
; Occupancy: 16
; WaveLimiterHint : 1
; COMPUTE_PGM_RSRC2:SCRATCH_EN: 1
; COMPUTE_PGM_RSRC2:USER_SGPR: 15
; COMPUTE_PGM_RSRC2:TRAP_HANDLER: 0
; COMPUTE_PGM_RSRC2:TGID_X_EN: 1
; COMPUTE_PGM_RSRC2:TGID_Y_EN: 0
; COMPUTE_PGM_RSRC2:TGID_Z_EN: 0
; COMPUTE_PGM_RSRC2:TIDIG_COMP_CNT: 0
	.section	.text._Z17wvSplitKQ_hf_sml_I14__hip_bfloat16N3c1013Float8_e4m3fnELi64ELi2ELi16ELi16ELi1ELi4EEviiiiiiPKT0_S5_PKT_PS6_PKfSB_ii,"axG",@progbits,_Z17wvSplitKQ_hf_sml_I14__hip_bfloat16N3c1013Float8_e4m3fnELi64ELi2ELi16ELi16ELi1ELi4EEviiiiiiPKT0_S5_PKT_PS6_PKfSB_ii,comdat
	.protected	_Z17wvSplitKQ_hf_sml_I14__hip_bfloat16N3c1013Float8_e4m3fnELi64ELi2ELi16ELi16ELi1ELi4EEviiiiiiPKT0_S5_PKT_PS6_PKfSB_ii ; -- Begin function _Z17wvSplitKQ_hf_sml_I14__hip_bfloat16N3c1013Float8_e4m3fnELi64ELi2ELi16ELi16ELi1ELi4EEviiiiiiPKT0_S5_PKT_PS6_PKfSB_ii
	.globl	_Z17wvSplitKQ_hf_sml_I14__hip_bfloat16N3c1013Float8_e4m3fnELi64ELi2ELi16ELi16ELi1ELi4EEviiiiiiPKT0_S5_PKT_PS6_PKfSB_ii
	.p2align	8
	.type	_Z17wvSplitKQ_hf_sml_I14__hip_bfloat16N3c1013Float8_e4m3fnELi64ELi2ELi16ELi16ELi1ELi4EEviiiiiiPKT0_S5_PKT_PS6_PKfSB_ii,@function
_Z17wvSplitKQ_hf_sml_I14__hip_bfloat16N3c1013Float8_e4m3fnELi64ELi2ELi16ELi16ELi1ELi4EEviiiiiiPKT0_S5_PKT_PS6_PKfSB_ii: ; @_Z17wvSplitKQ_hf_sml_I14__hip_bfloat16N3c1013Float8_e4m3fnELi64ELi2ELi16ELi16ELi1ELi4EEviiiiiiPKT0_S5_PKT_PS6_PKfSB_ii
; %bb.0:
	s_add_u32 s8, s0, 0x50
	s_addc_u32 s9, s1, 0
	s_getpc_b64 s[0:1]
	s_add_u32 s0, s0, __PRETTY_FUNCTION__._Z17wvSplitKQ_hf_sml_I14__hip_bfloat16N3c1013Float8_e4m3fnELi64ELi2ELi16ELi16ELi1ELi4EEviiiiiiPKT0_S5_PKT_PS6_PKfSB_ii@rel32@lo+4
	s_addc_u32 s1, s1, __PRETTY_FUNCTION__._Z17wvSplitKQ_hf_sml_I14__hip_bfloat16N3c1013Float8_e4m3fnELi64ELi2ELi16ELi16ELi1ELi4EEviiiiiiPKT0_S5_PKT_PS6_PKfSB_ii@rel32@hi+12
	v_dual_mov_b32 v0, 0x7fa :: v_dual_mov_b32 v1, s0
	v_mov_b32_e32 v2, s1
	s_mov_b32 s32, 0
	s_getpc_b64 s[2:3]
	s_add_u32 s2, s2, __assert_fail@rel32@lo+4
	s_addc_u32 s3, s3, __assert_fail@rel32@hi+12
	s_delay_alu instid0(SALU_CYCLE_1)
	s_swappc_b64 s[30:31], s[2:3]
	.section	.rodata,"a",@progbits
	.p2align	6, 0x0
	.amdhsa_kernel _Z17wvSplitKQ_hf_sml_I14__hip_bfloat16N3c1013Float8_e4m3fnELi64ELi2ELi16ELi16ELi1ELi4EEviiiiiiPKT0_S5_PKT_PS6_PKfSB_ii
		.amdhsa_group_segment_fixed_size 0
		.amdhsa_private_segment_fixed_size 64
		.amdhsa_kernarg_size 336
		.amdhsa_user_sgpr_count 15
		.amdhsa_user_sgpr_dispatch_ptr 0
		.amdhsa_user_sgpr_queue_ptr 0
		.amdhsa_user_sgpr_kernarg_segment_ptr 1
		.amdhsa_user_sgpr_dispatch_id 0
		.amdhsa_user_sgpr_private_segment_size 0
		.amdhsa_wavefront_size32 1
		.amdhsa_uses_dynamic_stack 0
		.amdhsa_enable_private_segment 1
		.amdhsa_system_sgpr_workgroup_id_x 1
		.amdhsa_system_sgpr_workgroup_id_y 0
		.amdhsa_system_sgpr_workgroup_id_z 0
		.amdhsa_system_sgpr_workgroup_info 0
		.amdhsa_system_vgpr_workitem_id 0
		.amdhsa_next_free_vgpr 50
		.amdhsa_next_free_sgpr 34
		.amdhsa_reserve_vcc 1
		.amdhsa_float_round_mode_32 0
		.amdhsa_float_round_mode_16_64 0
		.amdhsa_float_denorm_mode_32 3
		.amdhsa_float_denorm_mode_16_64 3
		.amdhsa_dx10_clamp 1
		.amdhsa_ieee_mode 1
		.amdhsa_fp16_overflow 0
		.amdhsa_workgroup_processor_mode 1
		.amdhsa_memory_ordered 1
		.amdhsa_forward_progress 0
		.amdhsa_shared_vgpr_count 0
		.amdhsa_exception_fp_ieee_invalid_op 0
		.amdhsa_exception_fp_denorm_src 0
		.amdhsa_exception_fp_ieee_div_zero 0
		.amdhsa_exception_fp_ieee_overflow 0
		.amdhsa_exception_fp_ieee_underflow 0
		.amdhsa_exception_fp_ieee_inexact 0
		.amdhsa_exception_int_div_zero 0
	.end_amdhsa_kernel
	.section	.text._Z17wvSplitKQ_hf_sml_I14__hip_bfloat16N3c1013Float8_e4m3fnELi64ELi2ELi16ELi16ELi1ELi4EEviiiiiiPKT0_S5_PKT_PS6_PKfSB_ii,"axG",@progbits,_Z17wvSplitKQ_hf_sml_I14__hip_bfloat16N3c1013Float8_e4m3fnELi64ELi2ELi16ELi16ELi1ELi4EEviiiiiiPKT0_S5_PKT_PS6_PKfSB_ii,comdat
.Lfunc_end384:
	.size	_Z17wvSplitKQ_hf_sml_I14__hip_bfloat16N3c1013Float8_e4m3fnELi64ELi2ELi16ELi16ELi1ELi4EEviiiiiiPKT0_S5_PKT_PS6_PKfSB_ii, .Lfunc_end384-_Z17wvSplitKQ_hf_sml_I14__hip_bfloat16N3c1013Float8_e4m3fnELi64ELi2ELi16ELi16ELi1ELi4EEviiiiiiPKT0_S5_PKT_PS6_PKfSB_ii
                                        ; -- End function
	.section	.AMDGPU.csdata,"",@progbits
; Kernel info:
; codeLenInByte = 80
; NumSgprs: 36
; NumVgprs: 50
; ScratchSize: 64
; MemoryBound: 0
; FloatMode: 240
; IeeeMode: 1
; LDSByteSize: 0 bytes/workgroup (compile time only)
; SGPRBlocks: 4
; VGPRBlocks: 6
; NumSGPRsForWavesPerEU: 36
; NumVGPRsForWavesPerEU: 50
; Occupancy: 16
; WaveLimiterHint : 1
; COMPUTE_PGM_RSRC2:SCRATCH_EN: 1
; COMPUTE_PGM_RSRC2:USER_SGPR: 15
; COMPUTE_PGM_RSRC2:TRAP_HANDLER: 0
; COMPUTE_PGM_RSRC2:TGID_X_EN: 1
; COMPUTE_PGM_RSRC2:TGID_Y_EN: 0
; COMPUTE_PGM_RSRC2:TGID_Z_EN: 0
; COMPUTE_PGM_RSRC2:TIDIG_COMP_CNT: 0
	.section	.text._Z13wvSplitKQ_hf_I14__hip_bfloat16N3c1013Float8_e4m3fnELi64ELi2ELi16ELi16ELi1ELi4EEviiiiiiPKT0_S5_PKT_PS6_PKfSB_ii,"axG",@progbits,_Z13wvSplitKQ_hf_I14__hip_bfloat16N3c1013Float8_e4m3fnELi64ELi2ELi16ELi16ELi1ELi4EEviiiiiiPKT0_S5_PKT_PS6_PKfSB_ii,comdat
	.protected	_Z13wvSplitKQ_hf_I14__hip_bfloat16N3c1013Float8_e4m3fnELi64ELi2ELi16ELi16ELi1ELi4EEviiiiiiPKT0_S5_PKT_PS6_PKfSB_ii ; -- Begin function _Z13wvSplitKQ_hf_I14__hip_bfloat16N3c1013Float8_e4m3fnELi64ELi2ELi16ELi16ELi1ELi4EEviiiiiiPKT0_S5_PKT_PS6_PKfSB_ii
	.globl	_Z13wvSplitKQ_hf_I14__hip_bfloat16N3c1013Float8_e4m3fnELi64ELi2ELi16ELi16ELi1ELi4EEviiiiiiPKT0_S5_PKT_PS6_PKfSB_ii
	.p2align	8
	.type	_Z13wvSplitKQ_hf_I14__hip_bfloat16N3c1013Float8_e4m3fnELi64ELi2ELi16ELi16ELi1ELi4EEviiiiiiPKT0_S5_PKT_PS6_PKfSB_ii,@function
_Z13wvSplitKQ_hf_I14__hip_bfloat16N3c1013Float8_e4m3fnELi64ELi2ELi16ELi16ELi1ELi4EEviiiiiiPKT0_S5_PKT_PS6_PKfSB_ii: ; @_Z13wvSplitKQ_hf_I14__hip_bfloat16N3c1013Float8_e4m3fnELi64ELi2ELi16ELi16ELi1ELi4EEviiiiiiPKT0_S5_PKT_PS6_PKfSB_ii
; %bb.0:
	s_add_u32 s8, s0, 0x50
	s_addc_u32 s9, s1, 0
	s_getpc_b64 s[0:1]
	s_add_u32 s0, s0, __PRETTY_FUNCTION__._Z13wvSplitKQ_hf_I14__hip_bfloat16N3c1013Float8_e4m3fnELi64ELi2ELi16ELi16ELi1ELi4EEviiiiiiPKT0_S5_PKT_PS6_PKfSB_ii@rel32@lo+4
	s_addc_u32 s1, s1, __PRETTY_FUNCTION__._Z13wvSplitKQ_hf_I14__hip_bfloat16N3c1013Float8_e4m3fnELi64ELi2ELi16ELi16ELi1ELi4EEviiiiiiPKT0_S5_PKT_PS6_PKfSB_ii@rel32@hi+12
	v_dual_mov_b32 v0, 0x8bf :: v_dual_mov_b32 v1, s0
	v_mov_b32_e32 v2, s1
	s_mov_b32 s32, 0
	s_getpc_b64 s[2:3]
	s_add_u32 s2, s2, __assert_fail@rel32@lo+4
	s_addc_u32 s3, s3, __assert_fail@rel32@hi+12
	s_delay_alu instid0(SALU_CYCLE_1)
	s_swappc_b64 s[30:31], s[2:3]
	.section	.rodata,"a",@progbits
	.p2align	6, 0x0
	.amdhsa_kernel _Z13wvSplitKQ_hf_I14__hip_bfloat16N3c1013Float8_e4m3fnELi64ELi2ELi16ELi16ELi1ELi4EEviiiiiiPKT0_S5_PKT_PS6_PKfSB_ii
		.amdhsa_group_segment_fixed_size 0
		.amdhsa_private_segment_fixed_size 64
		.amdhsa_kernarg_size 336
		.amdhsa_user_sgpr_count 15
		.amdhsa_user_sgpr_dispatch_ptr 0
		.amdhsa_user_sgpr_queue_ptr 0
		.amdhsa_user_sgpr_kernarg_segment_ptr 1
		.amdhsa_user_sgpr_dispatch_id 0
		.amdhsa_user_sgpr_private_segment_size 0
		.amdhsa_wavefront_size32 1
		.amdhsa_uses_dynamic_stack 0
		.amdhsa_enable_private_segment 1
		.amdhsa_system_sgpr_workgroup_id_x 1
		.amdhsa_system_sgpr_workgroup_id_y 0
		.amdhsa_system_sgpr_workgroup_id_z 0
		.amdhsa_system_sgpr_workgroup_info 0
		.amdhsa_system_vgpr_workitem_id 0
		.amdhsa_next_free_vgpr 50
		.amdhsa_next_free_sgpr 34
		.amdhsa_reserve_vcc 1
		.amdhsa_float_round_mode_32 0
		.amdhsa_float_round_mode_16_64 0
		.amdhsa_float_denorm_mode_32 3
		.amdhsa_float_denorm_mode_16_64 3
		.amdhsa_dx10_clamp 1
		.amdhsa_ieee_mode 1
		.amdhsa_fp16_overflow 0
		.amdhsa_workgroup_processor_mode 1
		.amdhsa_memory_ordered 1
		.amdhsa_forward_progress 0
		.amdhsa_shared_vgpr_count 0
		.amdhsa_exception_fp_ieee_invalid_op 0
		.amdhsa_exception_fp_denorm_src 0
		.amdhsa_exception_fp_ieee_div_zero 0
		.amdhsa_exception_fp_ieee_overflow 0
		.amdhsa_exception_fp_ieee_underflow 0
		.amdhsa_exception_fp_ieee_inexact 0
		.amdhsa_exception_int_div_zero 0
	.end_amdhsa_kernel
	.section	.text._Z13wvSplitKQ_hf_I14__hip_bfloat16N3c1013Float8_e4m3fnELi64ELi2ELi16ELi16ELi1ELi4EEviiiiiiPKT0_S5_PKT_PS6_PKfSB_ii,"axG",@progbits,_Z13wvSplitKQ_hf_I14__hip_bfloat16N3c1013Float8_e4m3fnELi64ELi2ELi16ELi16ELi1ELi4EEviiiiiiPKT0_S5_PKT_PS6_PKfSB_ii,comdat
.Lfunc_end385:
	.size	_Z13wvSplitKQ_hf_I14__hip_bfloat16N3c1013Float8_e4m3fnELi64ELi2ELi16ELi16ELi1ELi4EEviiiiiiPKT0_S5_PKT_PS6_PKfSB_ii, .Lfunc_end385-_Z13wvSplitKQ_hf_I14__hip_bfloat16N3c1013Float8_e4m3fnELi64ELi2ELi16ELi16ELi1ELi4EEviiiiiiPKT0_S5_PKT_PS6_PKfSB_ii
                                        ; -- End function
	.section	.AMDGPU.csdata,"",@progbits
; Kernel info:
; codeLenInByte = 80
; NumSgprs: 36
; NumVgprs: 50
; ScratchSize: 64
; MemoryBound: 0
; FloatMode: 240
; IeeeMode: 1
; LDSByteSize: 0 bytes/workgroup (compile time only)
; SGPRBlocks: 4
; VGPRBlocks: 6
; NumSGPRsForWavesPerEU: 36
; NumVGPRsForWavesPerEU: 50
; Occupancy: 16
; WaveLimiterHint : 1
; COMPUTE_PGM_RSRC2:SCRATCH_EN: 1
; COMPUTE_PGM_RSRC2:USER_SGPR: 15
; COMPUTE_PGM_RSRC2:TRAP_HANDLER: 0
; COMPUTE_PGM_RSRC2:TGID_X_EN: 1
; COMPUTE_PGM_RSRC2:TGID_Y_EN: 0
; COMPUTE_PGM_RSRC2:TGID_Z_EN: 0
; COMPUTE_PGM_RSRC2:TIDIG_COMP_CNT: 0
	.section	.text._Z17wvSplitKQ_hf_sml_I14__hip_bfloat16N3c1015Float8_e4m3fnuzELi32ELi2ELi16ELi16ELi2ELi1EEviiiiiiPKT0_S5_PKT_PS6_PKfSB_ii,"axG",@progbits,_Z17wvSplitKQ_hf_sml_I14__hip_bfloat16N3c1015Float8_e4m3fnuzELi32ELi2ELi16ELi16ELi2ELi1EEviiiiiiPKT0_S5_PKT_PS6_PKfSB_ii,comdat
	.protected	_Z17wvSplitKQ_hf_sml_I14__hip_bfloat16N3c1015Float8_e4m3fnuzELi32ELi2ELi16ELi16ELi2ELi1EEviiiiiiPKT0_S5_PKT_PS6_PKfSB_ii ; -- Begin function _Z17wvSplitKQ_hf_sml_I14__hip_bfloat16N3c1015Float8_e4m3fnuzELi32ELi2ELi16ELi16ELi2ELi1EEviiiiiiPKT0_S5_PKT_PS6_PKfSB_ii
	.globl	_Z17wvSplitKQ_hf_sml_I14__hip_bfloat16N3c1015Float8_e4m3fnuzELi32ELi2ELi16ELi16ELi2ELi1EEviiiiiiPKT0_S5_PKT_PS6_PKfSB_ii
	.p2align	8
	.type	_Z17wvSplitKQ_hf_sml_I14__hip_bfloat16N3c1015Float8_e4m3fnuzELi32ELi2ELi16ELi16ELi2ELi1EEviiiiiiPKT0_S5_PKT_PS6_PKfSB_ii,@function
_Z17wvSplitKQ_hf_sml_I14__hip_bfloat16N3c1015Float8_e4m3fnuzELi32ELi2ELi16ELi16ELi2ELi1EEviiiiiiPKT0_S5_PKT_PS6_PKfSB_ii: ; @_Z17wvSplitKQ_hf_sml_I14__hip_bfloat16N3c1015Float8_e4m3fnuzELi32ELi2ELi16ELi16ELi2ELi1EEviiiiiiPKT0_S5_PKT_PS6_PKfSB_ii
; %bb.0:
	s_add_u32 s8, s0, 0x50
	s_addc_u32 s9, s1, 0
	s_getpc_b64 s[0:1]
	s_add_u32 s0, s0, __PRETTY_FUNCTION__._Z17wvSplitKQ_hf_sml_I14__hip_bfloat16N3c1015Float8_e4m3fnuzELi32ELi2ELi16ELi16ELi2ELi1EEviiiiiiPKT0_S5_PKT_PS6_PKfSB_ii@rel32@lo+4
	s_addc_u32 s1, s1, __PRETTY_FUNCTION__._Z17wvSplitKQ_hf_sml_I14__hip_bfloat16N3c1015Float8_e4m3fnuzELi32ELi2ELi16ELi16ELi2ELi1EEviiiiiiPKT0_S5_PKT_PS6_PKfSB_ii@rel32@hi+12
	v_dual_mov_b32 v0, 0x7fa :: v_dual_mov_b32 v1, s0
	v_mov_b32_e32 v2, s1
	s_mov_b32 s32, 0
	s_getpc_b64 s[2:3]
	s_add_u32 s2, s2, __assert_fail@rel32@lo+4
	s_addc_u32 s3, s3, __assert_fail@rel32@hi+12
	s_delay_alu instid0(SALU_CYCLE_1)
	s_swappc_b64 s[30:31], s[2:3]
	.section	.rodata,"a",@progbits
	.p2align	6, 0x0
	.amdhsa_kernel _Z17wvSplitKQ_hf_sml_I14__hip_bfloat16N3c1015Float8_e4m3fnuzELi32ELi2ELi16ELi16ELi2ELi1EEviiiiiiPKT0_S5_PKT_PS6_PKfSB_ii
		.amdhsa_group_segment_fixed_size 0
		.amdhsa_private_segment_fixed_size 64
		.amdhsa_kernarg_size 336
		.amdhsa_user_sgpr_count 15
		.amdhsa_user_sgpr_dispatch_ptr 0
		.amdhsa_user_sgpr_queue_ptr 0
		.amdhsa_user_sgpr_kernarg_segment_ptr 1
		.amdhsa_user_sgpr_dispatch_id 0
		.amdhsa_user_sgpr_private_segment_size 0
		.amdhsa_wavefront_size32 1
		.amdhsa_uses_dynamic_stack 0
		.amdhsa_enable_private_segment 1
		.amdhsa_system_sgpr_workgroup_id_x 1
		.amdhsa_system_sgpr_workgroup_id_y 0
		.amdhsa_system_sgpr_workgroup_id_z 0
		.amdhsa_system_sgpr_workgroup_info 0
		.amdhsa_system_vgpr_workitem_id 0
		.amdhsa_next_free_vgpr 50
		.amdhsa_next_free_sgpr 34
		.amdhsa_reserve_vcc 1
		.amdhsa_float_round_mode_32 0
		.amdhsa_float_round_mode_16_64 0
		.amdhsa_float_denorm_mode_32 3
		.amdhsa_float_denorm_mode_16_64 3
		.amdhsa_dx10_clamp 1
		.amdhsa_ieee_mode 1
		.amdhsa_fp16_overflow 0
		.amdhsa_workgroup_processor_mode 1
		.amdhsa_memory_ordered 1
		.amdhsa_forward_progress 0
		.amdhsa_shared_vgpr_count 0
		.amdhsa_exception_fp_ieee_invalid_op 0
		.amdhsa_exception_fp_denorm_src 0
		.amdhsa_exception_fp_ieee_div_zero 0
		.amdhsa_exception_fp_ieee_overflow 0
		.amdhsa_exception_fp_ieee_underflow 0
		.amdhsa_exception_fp_ieee_inexact 0
		.amdhsa_exception_int_div_zero 0
	.end_amdhsa_kernel
	.section	.text._Z17wvSplitKQ_hf_sml_I14__hip_bfloat16N3c1015Float8_e4m3fnuzELi32ELi2ELi16ELi16ELi2ELi1EEviiiiiiPKT0_S5_PKT_PS6_PKfSB_ii,"axG",@progbits,_Z17wvSplitKQ_hf_sml_I14__hip_bfloat16N3c1015Float8_e4m3fnuzELi32ELi2ELi16ELi16ELi2ELi1EEviiiiiiPKT0_S5_PKT_PS6_PKfSB_ii,comdat
.Lfunc_end386:
	.size	_Z17wvSplitKQ_hf_sml_I14__hip_bfloat16N3c1015Float8_e4m3fnuzELi32ELi2ELi16ELi16ELi2ELi1EEviiiiiiPKT0_S5_PKT_PS6_PKfSB_ii, .Lfunc_end386-_Z17wvSplitKQ_hf_sml_I14__hip_bfloat16N3c1015Float8_e4m3fnuzELi32ELi2ELi16ELi16ELi2ELi1EEviiiiiiPKT0_S5_PKT_PS6_PKfSB_ii
                                        ; -- End function
	.section	.AMDGPU.csdata,"",@progbits
; Kernel info:
; codeLenInByte = 80
; NumSgprs: 36
; NumVgprs: 50
; ScratchSize: 64
; MemoryBound: 0
; FloatMode: 240
; IeeeMode: 1
; LDSByteSize: 0 bytes/workgroup (compile time only)
; SGPRBlocks: 4
; VGPRBlocks: 6
; NumSGPRsForWavesPerEU: 36
; NumVGPRsForWavesPerEU: 50
; Occupancy: 16
; WaveLimiterHint : 1
; COMPUTE_PGM_RSRC2:SCRATCH_EN: 1
; COMPUTE_PGM_RSRC2:USER_SGPR: 15
; COMPUTE_PGM_RSRC2:TRAP_HANDLER: 0
; COMPUTE_PGM_RSRC2:TGID_X_EN: 1
; COMPUTE_PGM_RSRC2:TGID_Y_EN: 0
; COMPUTE_PGM_RSRC2:TGID_Z_EN: 0
; COMPUTE_PGM_RSRC2:TIDIG_COMP_CNT: 0
	.section	.text._Z13wvSplitKQ_hf_I14__hip_bfloat16N3c1015Float8_e4m3fnuzELi32ELi2ELi16ELi16ELi2ELi1EEviiiiiiPKT0_S5_PKT_PS6_PKfSB_ii,"axG",@progbits,_Z13wvSplitKQ_hf_I14__hip_bfloat16N3c1015Float8_e4m3fnuzELi32ELi2ELi16ELi16ELi2ELi1EEviiiiiiPKT0_S5_PKT_PS6_PKfSB_ii,comdat
	.protected	_Z13wvSplitKQ_hf_I14__hip_bfloat16N3c1015Float8_e4m3fnuzELi32ELi2ELi16ELi16ELi2ELi1EEviiiiiiPKT0_S5_PKT_PS6_PKfSB_ii ; -- Begin function _Z13wvSplitKQ_hf_I14__hip_bfloat16N3c1015Float8_e4m3fnuzELi32ELi2ELi16ELi16ELi2ELi1EEviiiiiiPKT0_S5_PKT_PS6_PKfSB_ii
	.globl	_Z13wvSplitKQ_hf_I14__hip_bfloat16N3c1015Float8_e4m3fnuzELi32ELi2ELi16ELi16ELi2ELi1EEviiiiiiPKT0_S5_PKT_PS6_PKfSB_ii
	.p2align	8
	.type	_Z13wvSplitKQ_hf_I14__hip_bfloat16N3c1015Float8_e4m3fnuzELi32ELi2ELi16ELi16ELi2ELi1EEviiiiiiPKT0_S5_PKT_PS6_PKfSB_ii,@function
_Z13wvSplitKQ_hf_I14__hip_bfloat16N3c1015Float8_e4m3fnuzELi32ELi2ELi16ELi16ELi2ELi1EEviiiiiiPKT0_S5_PKT_PS6_PKfSB_ii: ; @_Z13wvSplitKQ_hf_I14__hip_bfloat16N3c1015Float8_e4m3fnuzELi32ELi2ELi16ELi16ELi2ELi1EEviiiiiiPKT0_S5_PKT_PS6_PKfSB_ii
; %bb.0:
	s_add_u32 s8, s0, 0x50
	s_addc_u32 s9, s1, 0
	s_getpc_b64 s[0:1]
	s_add_u32 s0, s0, __PRETTY_FUNCTION__._Z13wvSplitKQ_hf_I14__hip_bfloat16N3c1015Float8_e4m3fnuzELi32ELi2ELi16ELi16ELi2ELi1EEviiiiiiPKT0_S5_PKT_PS6_PKfSB_ii@rel32@lo+4
	s_addc_u32 s1, s1, __PRETTY_FUNCTION__._Z13wvSplitKQ_hf_I14__hip_bfloat16N3c1015Float8_e4m3fnuzELi32ELi2ELi16ELi16ELi2ELi1EEviiiiiiPKT0_S5_PKT_PS6_PKfSB_ii@rel32@hi+12
	v_dual_mov_b32 v0, 0x8bf :: v_dual_mov_b32 v1, s0
	v_mov_b32_e32 v2, s1
	s_mov_b32 s32, 0
	s_getpc_b64 s[2:3]
	s_add_u32 s2, s2, __assert_fail@rel32@lo+4
	s_addc_u32 s3, s3, __assert_fail@rel32@hi+12
	s_delay_alu instid0(SALU_CYCLE_1)
	s_swappc_b64 s[30:31], s[2:3]
	.section	.rodata,"a",@progbits
	.p2align	6, 0x0
	.amdhsa_kernel _Z13wvSplitKQ_hf_I14__hip_bfloat16N3c1015Float8_e4m3fnuzELi32ELi2ELi16ELi16ELi2ELi1EEviiiiiiPKT0_S5_PKT_PS6_PKfSB_ii
		.amdhsa_group_segment_fixed_size 0
		.amdhsa_private_segment_fixed_size 64
		.amdhsa_kernarg_size 336
		.amdhsa_user_sgpr_count 15
		.amdhsa_user_sgpr_dispatch_ptr 0
		.amdhsa_user_sgpr_queue_ptr 0
		.amdhsa_user_sgpr_kernarg_segment_ptr 1
		.amdhsa_user_sgpr_dispatch_id 0
		.amdhsa_user_sgpr_private_segment_size 0
		.amdhsa_wavefront_size32 1
		.amdhsa_uses_dynamic_stack 0
		.amdhsa_enable_private_segment 1
		.amdhsa_system_sgpr_workgroup_id_x 1
		.amdhsa_system_sgpr_workgroup_id_y 0
		.amdhsa_system_sgpr_workgroup_id_z 0
		.amdhsa_system_sgpr_workgroup_info 0
		.amdhsa_system_vgpr_workitem_id 0
		.amdhsa_next_free_vgpr 50
		.amdhsa_next_free_sgpr 34
		.amdhsa_reserve_vcc 1
		.amdhsa_float_round_mode_32 0
		.amdhsa_float_round_mode_16_64 0
		.amdhsa_float_denorm_mode_32 3
		.amdhsa_float_denorm_mode_16_64 3
		.amdhsa_dx10_clamp 1
		.amdhsa_ieee_mode 1
		.amdhsa_fp16_overflow 0
		.amdhsa_workgroup_processor_mode 1
		.amdhsa_memory_ordered 1
		.amdhsa_forward_progress 0
		.amdhsa_shared_vgpr_count 0
		.amdhsa_exception_fp_ieee_invalid_op 0
		.amdhsa_exception_fp_denorm_src 0
		.amdhsa_exception_fp_ieee_div_zero 0
		.amdhsa_exception_fp_ieee_overflow 0
		.amdhsa_exception_fp_ieee_underflow 0
		.amdhsa_exception_fp_ieee_inexact 0
		.amdhsa_exception_int_div_zero 0
	.end_amdhsa_kernel
	.section	.text._Z13wvSplitKQ_hf_I14__hip_bfloat16N3c1015Float8_e4m3fnuzELi32ELi2ELi16ELi16ELi2ELi1EEviiiiiiPKT0_S5_PKT_PS6_PKfSB_ii,"axG",@progbits,_Z13wvSplitKQ_hf_I14__hip_bfloat16N3c1015Float8_e4m3fnuzELi32ELi2ELi16ELi16ELi2ELi1EEviiiiiiPKT0_S5_PKT_PS6_PKfSB_ii,comdat
.Lfunc_end387:
	.size	_Z13wvSplitKQ_hf_I14__hip_bfloat16N3c1015Float8_e4m3fnuzELi32ELi2ELi16ELi16ELi2ELi1EEviiiiiiPKT0_S5_PKT_PS6_PKfSB_ii, .Lfunc_end387-_Z13wvSplitKQ_hf_I14__hip_bfloat16N3c1015Float8_e4m3fnuzELi32ELi2ELi16ELi16ELi2ELi1EEviiiiiiPKT0_S5_PKT_PS6_PKfSB_ii
                                        ; -- End function
	.section	.AMDGPU.csdata,"",@progbits
; Kernel info:
; codeLenInByte = 80
; NumSgprs: 36
; NumVgprs: 50
; ScratchSize: 64
; MemoryBound: 0
; FloatMode: 240
; IeeeMode: 1
; LDSByteSize: 0 bytes/workgroup (compile time only)
; SGPRBlocks: 4
; VGPRBlocks: 6
; NumSGPRsForWavesPerEU: 36
; NumVGPRsForWavesPerEU: 50
; Occupancy: 16
; WaveLimiterHint : 1
; COMPUTE_PGM_RSRC2:SCRATCH_EN: 1
; COMPUTE_PGM_RSRC2:USER_SGPR: 15
; COMPUTE_PGM_RSRC2:TRAP_HANDLER: 0
; COMPUTE_PGM_RSRC2:TGID_X_EN: 1
; COMPUTE_PGM_RSRC2:TGID_Y_EN: 0
; COMPUTE_PGM_RSRC2:TGID_Z_EN: 0
; COMPUTE_PGM_RSRC2:TIDIG_COMP_CNT: 0
	.section	.text._Z17wvSplitKQ_hf_sml_I14__hip_bfloat16N3c1015Float8_e4m3fnuzELi64ELi2ELi16ELi16ELi2ELi1EEviiiiiiPKT0_S5_PKT_PS6_PKfSB_ii,"axG",@progbits,_Z17wvSplitKQ_hf_sml_I14__hip_bfloat16N3c1015Float8_e4m3fnuzELi64ELi2ELi16ELi16ELi2ELi1EEviiiiiiPKT0_S5_PKT_PS6_PKfSB_ii,comdat
	.protected	_Z17wvSplitKQ_hf_sml_I14__hip_bfloat16N3c1015Float8_e4m3fnuzELi64ELi2ELi16ELi16ELi2ELi1EEviiiiiiPKT0_S5_PKT_PS6_PKfSB_ii ; -- Begin function _Z17wvSplitKQ_hf_sml_I14__hip_bfloat16N3c1015Float8_e4m3fnuzELi64ELi2ELi16ELi16ELi2ELi1EEviiiiiiPKT0_S5_PKT_PS6_PKfSB_ii
	.globl	_Z17wvSplitKQ_hf_sml_I14__hip_bfloat16N3c1015Float8_e4m3fnuzELi64ELi2ELi16ELi16ELi2ELi1EEviiiiiiPKT0_S5_PKT_PS6_PKfSB_ii
	.p2align	8
	.type	_Z17wvSplitKQ_hf_sml_I14__hip_bfloat16N3c1015Float8_e4m3fnuzELi64ELi2ELi16ELi16ELi2ELi1EEviiiiiiPKT0_S5_PKT_PS6_PKfSB_ii,@function
_Z17wvSplitKQ_hf_sml_I14__hip_bfloat16N3c1015Float8_e4m3fnuzELi64ELi2ELi16ELi16ELi2ELi1EEviiiiiiPKT0_S5_PKT_PS6_PKfSB_ii: ; @_Z17wvSplitKQ_hf_sml_I14__hip_bfloat16N3c1015Float8_e4m3fnuzELi64ELi2ELi16ELi16ELi2ELi1EEviiiiiiPKT0_S5_PKT_PS6_PKfSB_ii
; %bb.0:
	s_add_u32 s8, s0, 0x50
	s_addc_u32 s9, s1, 0
	s_getpc_b64 s[0:1]
	s_add_u32 s0, s0, __PRETTY_FUNCTION__._Z17wvSplitKQ_hf_sml_I14__hip_bfloat16N3c1015Float8_e4m3fnuzELi64ELi2ELi16ELi16ELi2ELi1EEviiiiiiPKT0_S5_PKT_PS6_PKfSB_ii@rel32@lo+4
	s_addc_u32 s1, s1, __PRETTY_FUNCTION__._Z17wvSplitKQ_hf_sml_I14__hip_bfloat16N3c1015Float8_e4m3fnuzELi64ELi2ELi16ELi16ELi2ELi1EEviiiiiiPKT0_S5_PKT_PS6_PKfSB_ii@rel32@hi+12
	v_dual_mov_b32 v0, 0x7fa :: v_dual_mov_b32 v1, s0
	v_mov_b32_e32 v2, s1
	s_mov_b32 s32, 0
	s_getpc_b64 s[2:3]
	s_add_u32 s2, s2, __assert_fail@rel32@lo+4
	s_addc_u32 s3, s3, __assert_fail@rel32@hi+12
	s_delay_alu instid0(SALU_CYCLE_1)
	s_swappc_b64 s[30:31], s[2:3]
	.section	.rodata,"a",@progbits
	.p2align	6, 0x0
	.amdhsa_kernel _Z17wvSplitKQ_hf_sml_I14__hip_bfloat16N3c1015Float8_e4m3fnuzELi64ELi2ELi16ELi16ELi2ELi1EEviiiiiiPKT0_S5_PKT_PS6_PKfSB_ii
		.amdhsa_group_segment_fixed_size 0
		.amdhsa_private_segment_fixed_size 64
		.amdhsa_kernarg_size 336
		.amdhsa_user_sgpr_count 15
		.amdhsa_user_sgpr_dispatch_ptr 0
		.amdhsa_user_sgpr_queue_ptr 0
		.amdhsa_user_sgpr_kernarg_segment_ptr 1
		.amdhsa_user_sgpr_dispatch_id 0
		.amdhsa_user_sgpr_private_segment_size 0
		.amdhsa_wavefront_size32 1
		.amdhsa_uses_dynamic_stack 0
		.amdhsa_enable_private_segment 1
		.amdhsa_system_sgpr_workgroup_id_x 1
		.amdhsa_system_sgpr_workgroup_id_y 0
		.amdhsa_system_sgpr_workgroup_id_z 0
		.amdhsa_system_sgpr_workgroup_info 0
		.amdhsa_system_vgpr_workitem_id 0
		.amdhsa_next_free_vgpr 50
		.amdhsa_next_free_sgpr 34
		.amdhsa_reserve_vcc 1
		.amdhsa_float_round_mode_32 0
		.amdhsa_float_round_mode_16_64 0
		.amdhsa_float_denorm_mode_32 3
		.amdhsa_float_denorm_mode_16_64 3
		.amdhsa_dx10_clamp 1
		.amdhsa_ieee_mode 1
		.amdhsa_fp16_overflow 0
		.amdhsa_workgroup_processor_mode 1
		.amdhsa_memory_ordered 1
		.amdhsa_forward_progress 0
		.amdhsa_shared_vgpr_count 0
		.amdhsa_exception_fp_ieee_invalid_op 0
		.amdhsa_exception_fp_denorm_src 0
		.amdhsa_exception_fp_ieee_div_zero 0
		.amdhsa_exception_fp_ieee_overflow 0
		.amdhsa_exception_fp_ieee_underflow 0
		.amdhsa_exception_fp_ieee_inexact 0
		.amdhsa_exception_int_div_zero 0
	.end_amdhsa_kernel
	.section	.text._Z17wvSplitKQ_hf_sml_I14__hip_bfloat16N3c1015Float8_e4m3fnuzELi64ELi2ELi16ELi16ELi2ELi1EEviiiiiiPKT0_S5_PKT_PS6_PKfSB_ii,"axG",@progbits,_Z17wvSplitKQ_hf_sml_I14__hip_bfloat16N3c1015Float8_e4m3fnuzELi64ELi2ELi16ELi16ELi2ELi1EEviiiiiiPKT0_S5_PKT_PS6_PKfSB_ii,comdat
.Lfunc_end388:
	.size	_Z17wvSplitKQ_hf_sml_I14__hip_bfloat16N3c1015Float8_e4m3fnuzELi64ELi2ELi16ELi16ELi2ELi1EEviiiiiiPKT0_S5_PKT_PS6_PKfSB_ii, .Lfunc_end388-_Z17wvSplitKQ_hf_sml_I14__hip_bfloat16N3c1015Float8_e4m3fnuzELi64ELi2ELi16ELi16ELi2ELi1EEviiiiiiPKT0_S5_PKT_PS6_PKfSB_ii
                                        ; -- End function
	.section	.AMDGPU.csdata,"",@progbits
; Kernel info:
; codeLenInByte = 80
; NumSgprs: 36
; NumVgprs: 50
; ScratchSize: 64
; MemoryBound: 0
; FloatMode: 240
; IeeeMode: 1
; LDSByteSize: 0 bytes/workgroup (compile time only)
; SGPRBlocks: 4
; VGPRBlocks: 6
; NumSGPRsForWavesPerEU: 36
; NumVGPRsForWavesPerEU: 50
; Occupancy: 16
; WaveLimiterHint : 1
; COMPUTE_PGM_RSRC2:SCRATCH_EN: 1
; COMPUTE_PGM_RSRC2:USER_SGPR: 15
; COMPUTE_PGM_RSRC2:TRAP_HANDLER: 0
; COMPUTE_PGM_RSRC2:TGID_X_EN: 1
; COMPUTE_PGM_RSRC2:TGID_Y_EN: 0
; COMPUTE_PGM_RSRC2:TGID_Z_EN: 0
; COMPUTE_PGM_RSRC2:TIDIG_COMP_CNT: 0
	.section	.text._Z13wvSplitKQ_hf_I14__hip_bfloat16N3c1015Float8_e4m3fnuzELi64ELi2ELi16ELi16ELi2ELi1EEviiiiiiPKT0_S5_PKT_PS6_PKfSB_ii,"axG",@progbits,_Z13wvSplitKQ_hf_I14__hip_bfloat16N3c1015Float8_e4m3fnuzELi64ELi2ELi16ELi16ELi2ELi1EEviiiiiiPKT0_S5_PKT_PS6_PKfSB_ii,comdat
	.protected	_Z13wvSplitKQ_hf_I14__hip_bfloat16N3c1015Float8_e4m3fnuzELi64ELi2ELi16ELi16ELi2ELi1EEviiiiiiPKT0_S5_PKT_PS6_PKfSB_ii ; -- Begin function _Z13wvSplitKQ_hf_I14__hip_bfloat16N3c1015Float8_e4m3fnuzELi64ELi2ELi16ELi16ELi2ELi1EEviiiiiiPKT0_S5_PKT_PS6_PKfSB_ii
	.globl	_Z13wvSplitKQ_hf_I14__hip_bfloat16N3c1015Float8_e4m3fnuzELi64ELi2ELi16ELi16ELi2ELi1EEviiiiiiPKT0_S5_PKT_PS6_PKfSB_ii
	.p2align	8
	.type	_Z13wvSplitKQ_hf_I14__hip_bfloat16N3c1015Float8_e4m3fnuzELi64ELi2ELi16ELi16ELi2ELi1EEviiiiiiPKT0_S5_PKT_PS6_PKfSB_ii,@function
_Z13wvSplitKQ_hf_I14__hip_bfloat16N3c1015Float8_e4m3fnuzELi64ELi2ELi16ELi16ELi2ELi1EEviiiiiiPKT0_S5_PKT_PS6_PKfSB_ii: ; @_Z13wvSplitKQ_hf_I14__hip_bfloat16N3c1015Float8_e4m3fnuzELi64ELi2ELi16ELi16ELi2ELi1EEviiiiiiPKT0_S5_PKT_PS6_PKfSB_ii
; %bb.0:
	s_add_u32 s8, s0, 0x50
	s_addc_u32 s9, s1, 0
	s_getpc_b64 s[0:1]
	s_add_u32 s0, s0, __PRETTY_FUNCTION__._Z13wvSplitKQ_hf_I14__hip_bfloat16N3c1015Float8_e4m3fnuzELi64ELi2ELi16ELi16ELi2ELi1EEviiiiiiPKT0_S5_PKT_PS6_PKfSB_ii@rel32@lo+4
	s_addc_u32 s1, s1, __PRETTY_FUNCTION__._Z13wvSplitKQ_hf_I14__hip_bfloat16N3c1015Float8_e4m3fnuzELi64ELi2ELi16ELi16ELi2ELi1EEviiiiiiPKT0_S5_PKT_PS6_PKfSB_ii@rel32@hi+12
	v_dual_mov_b32 v0, 0x8bf :: v_dual_mov_b32 v1, s0
	v_mov_b32_e32 v2, s1
	s_mov_b32 s32, 0
	s_getpc_b64 s[2:3]
	s_add_u32 s2, s2, __assert_fail@rel32@lo+4
	s_addc_u32 s3, s3, __assert_fail@rel32@hi+12
	s_delay_alu instid0(SALU_CYCLE_1)
	s_swappc_b64 s[30:31], s[2:3]
	.section	.rodata,"a",@progbits
	.p2align	6, 0x0
	.amdhsa_kernel _Z13wvSplitKQ_hf_I14__hip_bfloat16N3c1015Float8_e4m3fnuzELi64ELi2ELi16ELi16ELi2ELi1EEviiiiiiPKT0_S5_PKT_PS6_PKfSB_ii
		.amdhsa_group_segment_fixed_size 0
		.amdhsa_private_segment_fixed_size 64
		.amdhsa_kernarg_size 336
		.amdhsa_user_sgpr_count 15
		.amdhsa_user_sgpr_dispatch_ptr 0
		.amdhsa_user_sgpr_queue_ptr 0
		.amdhsa_user_sgpr_kernarg_segment_ptr 1
		.amdhsa_user_sgpr_dispatch_id 0
		.amdhsa_user_sgpr_private_segment_size 0
		.amdhsa_wavefront_size32 1
		.amdhsa_uses_dynamic_stack 0
		.amdhsa_enable_private_segment 1
		.amdhsa_system_sgpr_workgroup_id_x 1
		.amdhsa_system_sgpr_workgroup_id_y 0
		.amdhsa_system_sgpr_workgroup_id_z 0
		.amdhsa_system_sgpr_workgroup_info 0
		.amdhsa_system_vgpr_workitem_id 0
		.amdhsa_next_free_vgpr 50
		.amdhsa_next_free_sgpr 34
		.amdhsa_reserve_vcc 1
		.amdhsa_float_round_mode_32 0
		.amdhsa_float_round_mode_16_64 0
		.amdhsa_float_denorm_mode_32 3
		.amdhsa_float_denorm_mode_16_64 3
		.amdhsa_dx10_clamp 1
		.amdhsa_ieee_mode 1
		.amdhsa_fp16_overflow 0
		.amdhsa_workgroup_processor_mode 1
		.amdhsa_memory_ordered 1
		.amdhsa_forward_progress 0
		.amdhsa_shared_vgpr_count 0
		.amdhsa_exception_fp_ieee_invalid_op 0
		.amdhsa_exception_fp_denorm_src 0
		.amdhsa_exception_fp_ieee_div_zero 0
		.amdhsa_exception_fp_ieee_overflow 0
		.amdhsa_exception_fp_ieee_underflow 0
		.amdhsa_exception_fp_ieee_inexact 0
		.amdhsa_exception_int_div_zero 0
	.end_amdhsa_kernel
	.section	.text._Z13wvSplitKQ_hf_I14__hip_bfloat16N3c1015Float8_e4m3fnuzELi64ELi2ELi16ELi16ELi2ELi1EEviiiiiiPKT0_S5_PKT_PS6_PKfSB_ii,"axG",@progbits,_Z13wvSplitKQ_hf_I14__hip_bfloat16N3c1015Float8_e4m3fnuzELi64ELi2ELi16ELi16ELi2ELi1EEviiiiiiPKT0_S5_PKT_PS6_PKfSB_ii,comdat
.Lfunc_end389:
	.size	_Z13wvSplitKQ_hf_I14__hip_bfloat16N3c1015Float8_e4m3fnuzELi64ELi2ELi16ELi16ELi2ELi1EEviiiiiiPKT0_S5_PKT_PS6_PKfSB_ii, .Lfunc_end389-_Z13wvSplitKQ_hf_I14__hip_bfloat16N3c1015Float8_e4m3fnuzELi64ELi2ELi16ELi16ELi2ELi1EEviiiiiiPKT0_S5_PKT_PS6_PKfSB_ii
                                        ; -- End function
	.section	.AMDGPU.csdata,"",@progbits
; Kernel info:
; codeLenInByte = 80
; NumSgprs: 36
; NumVgprs: 50
; ScratchSize: 64
; MemoryBound: 0
; FloatMode: 240
; IeeeMode: 1
; LDSByteSize: 0 bytes/workgroup (compile time only)
; SGPRBlocks: 4
; VGPRBlocks: 6
; NumSGPRsForWavesPerEU: 36
; NumVGPRsForWavesPerEU: 50
; Occupancy: 16
; WaveLimiterHint : 1
; COMPUTE_PGM_RSRC2:SCRATCH_EN: 1
; COMPUTE_PGM_RSRC2:USER_SGPR: 15
; COMPUTE_PGM_RSRC2:TRAP_HANDLER: 0
; COMPUTE_PGM_RSRC2:TGID_X_EN: 1
; COMPUTE_PGM_RSRC2:TGID_Y_EN: 0
; COMPUTE_PGM_RSRC2:TGID_Z_EN: 0
; COMPUTE_PGM_RSRC2:TIDIG_COMP_CNT: 0
	.section	.text._Z17wvSplitKQ_hf_sml_I14__hip_bfloat16N3c1015Float8_e4m3fnuzELi32ELi2ELi16ELi16ELi2ELi2EEviiiiiiPKT0_S5_PKT_PS6_PKfSB_ii,"axG",@progbits,_Z17wvSplitKQ_hf_sml_I14__hip_bfloat16N3c1015Float8_e4m3fnuzELi32ELi2ELi16ELi16ELi2ELi2EEviiiiiiPKT0_S5_PKT_PS6_PKfSB_ii,comdat
	.protected	_Z17wvSplitKQ_hf_sml_I14__hip_bfloat16N3c1015Float8_e4m3fnuzELi32ELi2ELi16ELi16ELi2ELi2EEviiiiiiPKT0_S5_PKT_PS6_PKfSB_ii ; -- Begin function _Z17wvSplitKQ_hf_sml_I14__hip_bfloat16N3c1015Float8_e4m3fnuzELi32ELi2ELi16ELi16ELi2ELi2EEviiiiiiPKT0_S5_PKT_PS6_PKfSB_ii
	.globl	_Z17wvSplitKQ_hf_sml_I14__hip_bfloat16N3c1015Float8_e4m3fnuzELi32ELi2ELi16ELi16ELi2ELi2EEviiiiiiPKT0_S5_PKT_PS6_PKfSB_ii
	.p2align	8
	.type	_Z17wvSplitKQ_hf_sml_I14__hip_bfloat16N3c1015Float8_e4m3fnuzELi32ELi2ELi16ELi16ELi2ELi2EEviiiiiiPKT0_S5_PKT_PS6_PKfSB_ii,@function
_Z17wvSplitKQ_hf_sml_I14__hip_bfloat16N3c1015Float8_e4m3fnuzELi32ELi2ELi16ELi16ELi2ELi2EEviiiiiiPKT0_S5_PKT_PS6_PKfSB_ii: ; @_Z17wvSplitKQ_hf_sml_I14__hip_bfloat16N3c1015Float8_e4m3fnuzELi32ELi2ELi16ELi16ELi2ELi2EEviiiiiiPKT0_S5_PKT_PS6_PKfSB_ii
; %bb.0:
	s_add_u32 s8, s0, 0x50
	s_addc_u32 s9, s1, 0
	s_getpc_b64 s[0:1]
	s_add_u32 s0, s0, __PRETTY_FUNCTION__._Z17wvSplitKQ_hf_sml_I14__hip_bfloat16N3c1015Float8_e4m3fnuzELi32ELi2ELi16ELi16ELi2ELi2EEviiiiiiPKT0_S5_PKT_PS6_PKfSB_ii@rel32@lo+4
	s_addc_u32 s1, s1, __PRETTY_FUNCTION__._Z17wvSplitKQ_hf_sml_I14__hip_bfloat16N3c1015Float8_e4m3fnuzELi32ELi2ELi16ELi16ELi2ELi2EEviiiiiiPKT0_S5_PKT_PS6_PKfSB_ii@rel32@hi+12
	v_dual_mov_b32 v0, 0x7fa :: v_dual_mov_b32 v1, s0
	v_mov_b32_e32 v2, s1
	s_mov_b32 s32, 0
	s_getpc_b64 s[2:3]
	s_add_u32 s2, s2, __assert_fail@rel32@lo+4
	s_addc_u32 s3, s3, __assert_fail@rel32@hi+12
	s_delay_alu instid0(SALU_CYCLE_1)
	s_swappc_b64 s[30:31], s[2:3]
	.section	.rodata,"a",@progbits
	.p2align	6, 0x0
	.amdhsa_kernel _Z17wvSplitKQ_hf_sml_I14__hip_bfloat16N3c1015Float8_e4m3fnuzELi32ELi2ELi16ELi16ELi2ELi2EEviiiiiiPKT0_S5_PKT_PS6_PKfSB_ii
		.amdhsa_group_segment_fixed_size 0
		.amdhsa_private_segment_fixed_size 64
		.amdhsa_kernarg_size 336
		.amdhsa_user_sgpr_count 15
		.amdhsa_user_sgpr_dispatch_ptr 0
		.amdhsa_user_sgpr_queue_ptr 0
		.amdhsa_user_sgpr_kernarg_segment_ptr 1
		.amdhsa_user_sgpr_dispatch_id 0
		.amdhsa_user_sgpr_private_segment_size 0
		.amdhsa_wavefront_size32 1
		.amdhsa_uses_dynamic_stack 0
		.amdhsa_enable_private_segment 1
		.amdhsa_system_sgpr_workgroup_id_x 1
		.amdhsa_system_sgpr_workgroup_id_y 0
		.amdhsa_system_sgpr_workgroup_id_z 0
		.amdhsa_system_sgpr_workgroup_info 0
		.amdhsa_system_vgpr_workitem_id 0
		.amdhsa_next_free_vgpr 50
		.amdhsa_next_free_sgpr 34
		.amdhsa_reserve_vcc 1
		.amdhsa_float_round_mode_32 0
		.amdhsa_float_round_mode_16_64 0
		.amdhsa_float_denorm_mode_32 3
		.amdhsa_float_denorm_mode_16_64 3
		.amdhsa_dx10_clamp 1
		.amdhsa_ieee_mode 1
		.amdhsa_fp16_overflow 0
		.amdhsa_workgroup_processor_mode 1
		.amdhsa_memory_ordered 1
		.amdhsa_forward_progress 0
		.amdhsa_shared_vgpr_count 0
		.amdhsa_exception_fp_ieee_invalid_op 0
		.amdhsa_exception_fp_denorm_src 0
		.amdhsa_exception_fp_ieee_div_zero 0
		.amdhsa_exception_fp_ieee_overflow 0
		.amdhsa_exception_fp_ieee_underflow 0
		.amdhsa_exception_fp_ieee_inexact 0
		.amdhsa_exception_int_div_zero 0
	.end_amdhsa_kernel
	.section	.text._Z17wvSplitKQ_hf_sml_I14__hip_bfloat16N3c1015Float8_e4m3fnuzELi32ELi2ELi16ELi16ELi2ELi2EEviiiiiiPKT0_S5_PKT_PS6_PKfSB_ii,"axG",@progbits,_Z17wvSplitKQ_hf_sml_I14__hip_bfloat16N3c1015Float8_e4m3fnuzELi32ELi2ELi16ELi16ELi2ELi2EEviiiiiiPKT0_S5_PKT_PS6_PKfSB_ii,comdat
.Lfunc_end390:
	.size	_Z17wvSplitKQ_hf_sml_I14__hip_bfloat16N3c1015Float8_e4m3fnuzELi32ELi2ELi16ELi16ELi2ELi2EEviiiiiiPKT0_S5_PKT_PS6_PKfSB_ii, .Lfunc_end390-_Z17wvSplitKQ_hf_sml_I14__hip_bfloat16N3c1015Float8_e4m3fnuzELi32ELi2ELi16ELi16ELi2ELi2EEviiiiiiPKT0_S5_PKT_PS6_PKfSB_ii
                                        ; -- End function
	.section	.AMDGPU.csdata,"",@progbits
; Kernel info:
; codeLenInByte = 80
; NumSgprs: 36
; NumVgprs: 50
; ScratchSize: 64
; MemoryBound: 0
; FloatMode: 240
; IeeeMode: 1
; LDSByteSize: 0 bytes/workgroup (compile time only)
; SGPRBlocks: 4
; VGPRBlocks: 6
; NumSGPRsForWavesPerEU: 36
; NumVGPRsForWavesPerEU: 50
; Occupancy: 16
; WaveLimiterHint : 1
; COMPUTE_PGM_RSRC2:SCRATCH_EN: 1
; COMPUTE_PGM_RSRC2:USER_SGPR: 15
; COMPUTE_PGM_RSRC2:TRAP_HANDLER: 0
; COMPUTE_PGM_RSRC2:TGID_X_EN: 1
; COMPUTE_PGM_RSRC2:TGID_Y_EN: 0
; COMPUTE_PGM_RSRC2:TGID_Z_EN: 0
; COMPUTE_PGM_RSRC2:TIDIG_COMP_CNT: 0
	.section	.text._Z13wvSplitKQ_hf_I14__hip_bfloat16N3c1015Float8_e4m3fnuzELi32ELi2ELi16ELi16ELi2ELi2EEviiiiiiPKT0_S5_PKT_PS6_PKfSB_ii,"axG",@progbits,_Z13wvSplitKQ_hf_I14__hip_bfloat16N3c1015Float8_e4m3fnuzELi32ELi2ELi16ELi16ELi2ELi2EEviiiiiiPKT0_S5_PKT_PS6_PKfSB_ii,comdat
	.protected	_Z13wvSplitKQ_hf_I14__hip_bfloat16N3c1015Float8_e4m3fnuzELi32ELi2ELi16ELi16ELi2ELi2EEviiiiiiPKT0_S5_PKT_PS6_PKfSB_ii ; -- Begin function _Z13wvSplitKQ_hf_I14__hip_bfloat16N3c1015Float8_e4m3fnuzELi32ELi2ELi16ELi16ELi2ELi2EEviiiiiiPKT0_S5_PKT_PS6_PKfSB_ii
	.globl	_Z13wvSplitKQ_hf_I14__hip_bfloat16N3c1015Float8_e4m3fnuzELi32ELi2ELi16ELi16ELi2ELi2EEviiiiiiPKT0_S5_PKT_PS6_PKfSB_ii
	.p2align	8
	.type	_Z13wvSplitKQ_hf_I14__hip_bfloat16N3c1015Float8_e4m3fnuzELi32ELi2ELi16ELi16ELi2ELi2EEviiiiiiPKT0_S5_PKT_PS6_PKfSB_ii,@function
_Z13wvSplitKQ_hf_I14__hip_bfloat16N3c1015Float8_e4m3fnuzELi32ELi2ELi16ELi16ELi2ELi2EEviiiiiiPKT0_S5_PKT_PS6_PKfSB_ii: ; @_Z13wvSplitKQ_hf_I14__hip_bfloat16N3c1015Float8_e4m3fnuzELi32ELi2ELi16ELi16ELi2ELi2EEviiiiiiPKT0_S5_PKT_PS6_PKfSB_ii
; %bb.0:
	s_add_u32 s8, s0, 0x50
	s_addc_u32 s9, s1, 0
	s_getpc_b64 s[0:1]
	s_add_u32 s0, s0, __PRETTY_FUNCTION__._Z13wvSplitKQ_hf_I14__hip_bfloat16N3c1015Float8_e4m3fnuzELi32ELi2ELi16ELi16ELi2ELi2EEviiiiiiPKT0_S5_PKT_PS6_PKfSB_ii@rel32@lo+4
	s_addc_u32 s1, s1, __PRETTY_FUNCTION__._Z13wvSplitKQ_hf_I14__hip_bfloat16N3c1015Float8_e4m3fnuzELi32ELi2ELi16ELi16ELi2ELi2EEviiiiiiPKT0_S5_PKT_PS6_PKfSB_ii@rel32@hi+12
	v_dual_mov_b32 v0, 0x8bf :: v_dual_mov_b32 v1, s0
	v_mov_b32_e32 v2, s1
	s_mov_b32 s32, 0
	s_getpc_b64 s[2:3]
	s_add_u32 s2, s2, __assert_fail@rel32@lo+4
	s_addc_u32 s3, s3, __assert_fail@rel32@hi+12
	s_delay_alu instid0(SALU_CYCLE_1)
	s_swappc_b64 s[30:31], s[2:3]
	.section	.rodata,"a",@progbits
	.p2align	6, 0x0
	.amdhsa_kernel _Z13wvSplitKQ_hf_I14__hip_bfloat16N3c1015Float8_e4m3fnuzELi32ELi2ELi16ELi16ELi2ELi2EEviiiiiiPKT0_S5_PKT_PS6_PKfSB_ii
		.amdhsa_group_segment_fixed_size 0
		.amdhsa_private_segment_fixed_size 64
		.amdhsa_kernarg_size 336
		.amdhsa_user_sgpr_count 15
		.amdhsa_user_sgpr_dispatch_ptr 0
		.amdhsa_user_sgpr_queue_ptr 0
		.amdhsa_user_sgpr_kernarg_segment_ptr 1
		.amdhsa_user_sgpr_dispatch_id 0
		.amdhsa_user_sgpr_private_segment_size 0
		.amdhsa_wavefront_size32 1
		.amdhsa_uses_dynamic_stack 0
		.amdhsa_enable_private_segment 1
		.amdhsa_system_sgpr_workgroup_id_x 1
		.amdhsa_system_sgpr_workgroup_id_y 0
		.amdhsa_system_sgpr_workgroup_id_z 0
		.amdhsa_system_sgpr_workgroup_info 0
		.amdhsa_system_vgpr_workitem_id 0
		.amdhsa_next_free_vgpr 50
		.amdhsa_next_free_sgpr 34
		.amdhsa_reserve_vcc 1
		.amdhsa_float_round_mode_32 0
		.amdhsa_float_round_mode_16_64 0
		.amdhsa_float_denorm_mode_32 3
		.amdhsa_float_denorm_mode_16_64 3
		.amdhsa_dx10_clamp 1
		.amdhsa_ieee_mode 1
		.amdhsa_fp16_overflow 0
		.amdhsa_workgroup_processor_mode 1
		.amdhsa_memory_ordered 1
		.amdhsa_forward_progress 0
		.amdhsa_shared_vgpr_count 0
		.amdhsa_exception_fp_ieee_invalid_op 0
		.amdhsa_exception_fp_denorm_src 0
		.amdhsa_exception_fp_ieee_div_zero 0
		.amdhsa_exception_fp_ieee_overflow 0
		.amdhsa_exception_fp_ieee_underflow 0
		.amdhsa_exception_fp_ieee_inexact 0
		.amdhsa_exception_int_div_zero 0
	.end_amdhsa_kernel
	.section	.text._Z13wvSplitKQ_hf_I14__hip_bfloat16N3c1015Float8_e4m3fnuzELi32ELi2ELi16ELi16ELi2ELi2EEviiiiiiPKT0_S5_PKT_PS6_PKfSB_ii,"axG",@progbits,_Z13wvSplitKQ_hf_I14__hip_bfloat16N3c1015Float8_e4m3fnuzELi32ELi2ELi16ELi16ELi2ELi2EEviiiiiiPKT0_S5_PKT_PS6_PKfSB_ii,comdat
.Lfunc_end391:
	.size	_Z13wvSplitKQ_hf_I14__hip_bfloat16N3c1015Float8_e4m3fnuzELi32ELi2ELi16ELi16ELi2ELi2EEviiiiiiPKT0_S5_PKT_PS6_PKfSB_ii, .Lfunc_end391-_Z13wvSplitKQ_hf_I14__hip_bfloat16N3c1015Float8_e4m3fnuzELi32ELi2ELi16ELi16ELi2ELi2EEviiiiiiPKT0_S5_PKT_PS6_PKfSB_ii
                                        ; -- End function
	.section	.AMDGPU.csdata,"",@progbits
; Kernel info:
; codeLenInByte = 80
; NumSgprs: 36
; NumVgprs: 50
; ScratchSize: 64
; MemoryBound: 0
; FloatMode: 240
; IeeeMode: 1
; LDSByteSize: 0 bytes/workgroup (compile time only)
; SGPRBlocks: 4
; VGPRBlocks: 6
; NumSGPRsForWavesPerEU: 36
; NumVGPRsForWavesPerEU: 50
; Occupancy: 16
; WaveLimiterHint : 1
; COMPUTE_PGM_RSRC2:SCRATCH_EN: 1
; COMPUTE_PGM_RSRC2:USER_SGPR: 15
; COMPUTE_PGM_RSRC2:TRAP_HANDLER: 0
; COMPUTE_PGM_RSRC2:TGID_X_EN: 1
; COMPUTE_PGM_RSRC2:TGID_Y_EN: 0
; COMPUTE_PGM_RSRC2:TGID_Z_EN: 0
; COMPUTE_PGM_RSRC2:TIDIG_COMP_CNT: 0
	.section	.text._Z17wvSplitKQ_hf_sml_I14__hip_bfloat16N3c1015Float8_e4m3fnuzELi64ELi2ELi16ELi16ELi2ELi2EEviiiiiiPKT0_S5_PKT_PS6_PKfSB_ii,"axG",@progbits,_Z17wvSplitKQ_hf_sml_I14__hip_bfloat16N3c1015Float8_e4m3fnuzELi64ELi2ELi16ELi16ELi2ELi2EEviiiiiiPKT0_S5_PKT_PS6_PKfSB_ii,comdat
	.protected	_Z17wvSplitKQ_hf_sml_I14__hip_bfloat16N3c1015Float8_e4m3fnuzELi64ELi2ELi16ELi16ELi2ELi2EEviiiiiiPKT0_S5_PKT_PS6_PKfSB_ii ; -- Begin function _Z17wvSplitKQ_hf_sml_I14__hip_bfloat16N3c1015Float8_e4m3fnuzELi64ELi2ELi16ELi16ELi2ELi2EEviiiiiiPKT0_S5_PKT_PS6_PKfSB_ii
	.globl	_Z17wvSplitKQ_hf_sml_I14__hip_bfloat16N3c1015Float8_e4m3fnuzELi64ELi2ELi16ELi16ELi2ELi2EEviiiiiiPKT0_S5_PKT_PS6_PKfSB_ii
	.p2align	8
	.type	_Z17wvSplitKQ_hf_sml_I14__hip_bfloat16N3c1015Float8_e4m3fnuzELi64ELi2ELi16ELi16ELi2ELi2EEviiiiiiPKT0_S5_PKT_PS6_PKfSB_ii,@function
_Z17wvSplitKQ_hf_sml_I14__hip_bfloat16N3c1015Float8_e4m3fnuzELi64ELi2ELi16ELi16ELi2ELi2EEviiiiiiPKT0_S5_PKT_PS6_PKfSB_ii: ; @_Z17wvSplitKQ_hf_sml_I14__hip_bfloat16N3c1015Float8_e4m3fnuzELi64ELi2ELi16ELi16ELi2ELi2EEviiiiiiPKT0_S5_PKT_PS6_PKfSB_ii
; %bb.0:
	s_add_u32 s8, s0, 0x50
	s_addc_u32 s9, s1, 0
	s_getpc_b64 s[0:1]
	s_add_u32 s0, s0, __PRETTY_FUNCTION__._Z17wvSplitKQ_hf_sml_I14__hip_bfloat16N3c1015Float8_e4m3fnuzELi64ELi2ELi16ELi16ELi2ELi2EEviiiiiiPKT0_S5_PKT_PS6_PKfSB_ii@rel32@lo+4
	s_addc_u32 s1, s1, __PRETTY_FUNCTION__._Z17wvSplitKQ_hf_sml_I14__hip_bfloat16N3c1015Float8_e4m3fnuzELi64ELi2ELi16ELi16ELi2ELi2EEviiiiiiPKT0_S5_PKT_PS6_PKfSB_ii@rel32@hi+12
	v_dual_mov_b32 v0, 0x7fa :: v_dual_mov_b32 v1, s0
	v_mov_b32_e32 v2, s1
	s_mov_b32 s32, 0
	s_getpc_b64 s[2:3]
	s_add_u32 s2, s2, __assert_fail@rel32@lo+4
	s_addc_u32 s3, s3, __assert_fail@rel32@hi+12
	s_delay_alu instid0(SALU_CYCLE_1)
	s_swappc_b64 s[30:31], s[2:3]
	.section	.rodata,"a",@progbits
	.p2align	6, 0x0
	.amdhsa_kernel _Z17wvSplitKQ_hf_sml_I14__hip_bfloat16N3c1015Float8_e4m3fnuzELi64ELi2ELi16ELi16ELi2ELi2EEviiiiiiPKT0_S5_PKT_PS6_PKfSB_ii
		.amdhsa_group_segment_fixed_size 0
		.amdhsa_private_segment_fixed_size 64
		.amdhsa_kernarg_size 336
		.amdhsa_user_sgpr_count 15
		.amdhsa_user_sgpr_dispatch_ptr 0
		.amdhsa_user_sgpr_queue_ptr 0
		.amdhsa_user_sgpr_kernarg_segment_ptr 1
		.amdhsa_user_sgpr_dispatch_id 0
		.amdhsa_user_sgpr_private_segment_size 0
		.amdhsa_wavefront_size32 1
		.amdhsa_uses_dynamic_stack 0
		.amdhsa_enable_private_segment 1
		.amdhsa_system_sgpr_workgroup_id_x 1
		.amdhsa_system_sgpr_workgroup_id_y 0
		.amdhsa_system_sgpr_workgroup_id_z 0
		.amdhsa_system_sgpr_workgroup_info 0
		.amdhsa_system_vgpr_workitem_id 0
		.amdhsa_next_free_vgpr 50
		.amdhsa_next_free_sgpr 34
		.amdhsa_reserve_vcc 1
		.amdhsa_float_round_mode_32 0
		.amdhsa_float_round_mode_16_64 0
		.amdhsa_float_denorm_mode_32 3
		.amdhsa_float_denorm_mode_16_64 3
		.amdhsa_dx10_clamp 1
		.amdhsa_ieee_mode 1
		.amdhsa_fp16_overflow 0
		.amdhsa_workgroup_processor_mode 1
		.amdhsa_memory_ordered 1
		.amdhsa_forward_progress 0
		.amdhsa_shared_vgpr_count 0
		.amdhsa_exception_fp_ieee_invalid_op 0
		.amdhsa_exception_fp_denorm_src 0
		.amdhsa_exception_fp_ieee_div_zero 0
		.amdhsa_exception_fp_ieee_overflow 0
		.amdhsa_exception_fp_ieee_underflow 0
		.amdhsa_exception_fp_ieee_inexact 0
		.amdhsa_exception_int_div_zero 0
	.end_amdhsa_kernel
	.section	.text._Z17wvSplitKQ_hf_sml_I14__hip_bfloat16N3c1015Float8_e4m3fnuzELi64ELi2ELi16ELi16ELi2ELi2EEviiiiiiPKT0_S5_PKT_PS6_PKfSB_ii,"axG",@progbits,_Z17wvSplitKQ_hf_sml_I14__hip_bfloat16N3c1015Float8_e4m3fnuzELi64ELi2ELi16ELi16ELi2ELi2EEviiiiiiPKT0_S5_PKT_PS6_PKfSB_ii,comdat
.Lfunc_end392:
	.size	_Z17wvSplitKQ_hf_sml_I14__hip_bfloat16N3c1015Float8_e4m3fnuzELi64ELi2ELi16ELi16ELi2ELi2EEviiiiiiPKT0_S5_PKT_PS6_PKfSB_ii, .Lfunc_end392-_Z17wvSplitKQ_hf_sml_I14__hip_bfloat16N3c1015Float8_e4m3fnuzELi64ELi2ELi16ELi16ELi2ELi2EEviiiiiiPKT0_S5_PKT_PS6_PKfSB_ii
                                        ; -- End function
	.section	.AMDGPU.csdata,"",@progbits
; Kernel info:
; codeLenInByte = 80
; NumSgprs: 36
; NumVgprs: 50
; ScratchSize: 64
; MemoryBound: 0
; FloatMode: 240
; IeeeMode: 1
; LDSByteSize: 0 bytes/workgroup (compile time only)
; SGPRBlocks: 4
; VGPRBlocks: 6
; NumSGPRsForWavesPerEU: 36
; NumVGPRsForWavesPerEU: 50
; Occupancy: 16
; WaveLimiterHint : 1
; COMPUTE_PGM_RSRC2:SCRATCH_EN: 1
; COMPUTE_PGM_RSRC2:USER_SGPR: 15
; COMPUTE_PGM_RSRC2:TRAP_HANDLER: 0
; COMPUTE_PGM_RSRC2:TGID_X_EN: 1
; COMPUTE_PGM_RSRC2:TGID_Y_EN: 0
; COMPUTE_PGM_RSRC2:TGID_Z_EN: 0
; COMPUTE_PGM_RSRC2:TIDIG_COMP_CNT: 0
	.section	.text._Z13wvSplitKQ_hf_I14__hip_bfloat16N3c1015Float8_e4m3fnuzELi64ELi2ELi16ELi16ELi2ELi2EEviiiiiiPKT0_S5_PKT_PS6_PKfSB_ii,"axG",@progbits,_Z13wvSplitKQ_hf_I14__hip_bfloat16N3c1015Float8_e4m3fnuzELi64ELi2ELi16ELi16ELi2ELi2EEviiiiiiPKT0_S5_PKT_PS6_PKfSB_ii,comdat
	.protected	_Z13wvSplitKQ_hf_I14__hip_bfloat16N3c1015Float8_e4m3fnuzELi64ELi2ELi16ELi16ELi2ELi2EEviiiiiiPKT0_S5_PKT_PS6_PKfSB_ii ; -- Begin function _Z13wvSplitKQ_hf_I14__hip_bfloat16N3c1015Float8_e4m3fnuzELi64ELi2ELi16ELi16ELi2ELi2EEviiiiiiPKT0_S5_PKT_PS6_PKfSB_ii
	.globl	_Z13wvSplitKQ_hf_I14__hip_bfloat16N3c1015Float8_e4m3fnuzELi64ELi2ELi16ELi16ELi2ELi2EEviiiiiiPKT0_S5_PKT_PS6_PKfSB_ii
	.p2align	8
	.type	_Z13wvSplitKQ_hf_I14__hip_bfloat16N3c1015Float8_e4m3fnuzELi64ELi2ELi16ELi16ELi2ELi2EEviiiiiiPKT0_S5_PKT_PS6_PKfSB_ii,@function
_Z13wvSplitKQ_hf_I14__hip_bfloat16N3c1015Float8_e4m3fnuzELi64ELi2ELi16ELi16ELi2ELi2EEviiiiiiPKT0_S5_PKT_PS6_PKfSB_ii: ; @_Z13wvSplitKQ_hf_I14__hip_bfloat16N3c1015Float8_e4m3fnuzELi64ELi2ELi16ELi16ELi2ELi2EEviiiiiiPKT0_S5_PKT_PS6_PKfSB_ii
; %bb.0:
	s_add_u32 s8, s0, 0x50
	s_addc_u32 s9, s1, 0
	s_getpc_b64 s[0:1]
	s_add_u32 s0, s0, __PRETTY_FUNCTION__._Z13wvSplitKQ_hf_I14__hip_bfloat16N3c1015Float8_e4m3fnuzELi64ELi2ELi16ELi16ELi2ELi2EEviiiiiiPKT0_S5_PKT_PS6_PKfSB_ii@rel32@lo+4
	s_addc_u32 s1, s1, __PRETTY_FUNCTION__._Z13wvSplitKQ_hf_I14__hip_bfloat16N3c1015Float8_e4m3fnuzELi64ELi2ELi16ELi16ELi2ELi2EEviiiiiiPKT0_S5_PKT_PS6_PKfSB_ii@rel32@hi+12
	v_dual_mov_b32 v0, 0x8bf :: v_dual_mov_b32 v1, s0
	v_mov_b32_e32 v2, s1
	s_mov_b32 s32, 0
	s_getpc_b64 s[2:3]
	s_add_u32 s2, s2, __assert_fail@rel32@lo+4
	s_addc_u32 s3, s3, __assert_fail@rel32@hi+12
	s_delay_alu instid0(SALU_CYCLE_1)
	s_swappc_b64 s[30:31], s[2:3]
	.section	.rodata,"a",@progbits
	.p2align	6, 0x0
	.amdhsa_kernel _Z13wvSplitKQ_hf_I14__hip_bfloat16N3c1015Float8_e4m3fnuzELi64ELi2ELi16ELi16ELi2ELi2EEviiiiiiPKT0_S5_PKT_PS6_PKfSB_ii
		.amdhsa_group_segment_fixed_size 0
		.amdhsa_private_segment_fixed_size 64
		.amdhsa_kernarg_size 336
		.amdhsa_user_sgpr_count 15
		.amdhsa_user_sgpr_dispatch_ptr 0
		.amdhsa_user_sgpr_queue_ptr 0
		.amdhsa_user_sgpr_kernarg_segment_ptr 1
		.amdhsa_user_sgpr_dispatch_id 0
		.amdhsa_user_sgpr_private_segment_size 0
		.amdhsa_wavefront_size32 1
		.amdhsa_uses_dynamic_stack 0
		.amdhsa_enable_private_segment 1
		.amdhsa_system_sgpr_workgroup_id_x 1
		.amdhsa_system_sgpr_workgroup_id_y 0
		.amdhsa_system_sgpr_workgroup_id_z 0
		.amdhsa_system_sgpr_workgroup_info 0
		.amdhsa_system_vgpr_workitem_id 0
		.amdhsa_next_free_vgpr 50
		.amdhsa_next_free_sgpr 34
		.amdhsa_reserve_vcc 1
		.amdhsa_float_round_mode_32 0
		.amdhsa_float_round_mode_16_64 0
		.amdhsa_float_denorm_mode_32 3
		.amdhsa_float_denorm_mode_16_64 3
		.amdhsa_dx10_clamp 1
		.amdhsa_ieee_mode 1
		.amdhsa_fp16_overflow 0
		.amdhsa_workgroup_processor_mode 1
		.amdhsa_memory_ordered 1
		.amdhsa_forward_progress 0
		.amdhsa_shared_vgpr_count 0
		.amdhsa_exception_fp_ieee_invalid_op 0
		.amdhsa_exception_fp_denorm_src 0
		.amdhsa_exception_fp_ieee_div_zero 0
		.amdhsa_exception_fp_ieee_overflow 0
		.amdhsa_exception_fp_ieee_underflow 0
		.amdhsa_exception_fp_ieee_inexact 0
		.amdhsa_exception_int_div_zero 0
	.end_amdhsa_kernel
	.section	.text._Z13wvSplitKQ_hf_I14__hip_bfloat16N3c1015Float8_e4m3fnuzELi64ELi2ELi16ELi16ELi2ELi2EEviiiiiiPKT0_S5_PKT_PS6_PKfSB_ii,"axG",@progbits,_Z13wvSplitKQ_hf_I14__hip_bfloat16N3c1015Float8_e4m3fnuzELi64ELi2ELi16ELi16ELi2ELi2EEviiiiiiPKT0_S5_PKT_PS6_PKfSB_ii,comdat
.Lfunc_end393:
	.size	_Z13wvSplitKQ_hf_I14__hip_bfloat16N3c1015Float8_e4m3fnuzELi64ELi2ELi16ELi16ELi2ELi2EEviiiiiiPKT0_S5_PKT_PS6_PKfSB_ii, .Lfunc_end393-_Z13wvSplitKQ_hf_I14__hip_bfloat16N3c1015Float8_e4m3fnuzELi64ELi2ELi16ELi16ELi2ELi2EEviiiiiiPKT0_S5_PKT_PS6_PKfSB_ii
                                        ; -- End function
	.section	.AMDGPU.csdata,"",@progbits
; Kernel info:
; codeLenInByte = 80
; NumSgprs: 36
; NumVgprs: 50
; ScratchSize: 64
; MemoryBound: 0
; FloatMode: 240
; IeeeMode: 1
; LDSByteSize: 0 bytes/workgroup (compile time only)
; SGPRBlocks: 4
; VGPRBlocks: 6
; NumSGPRsForWavesPerEU: 36
; NumVGPRsForWavesPerEU: 50
; Occupancy: 16
; WaveLimiterHint : 1
; COMPUTE_PGM_RSRC2:SCRATCH_EN: 1
; COMPUTE_PGM_RSRC2:USER_SGPR: 15
; COMPUTE_PGM_RSRC2:TRAP_HANDLER: 0
; COMPUTE_PGM_RSRC2:TGID_X_EN: 1
; COMPUTE_PGM_RSRC2:TGID_Y_EN: 0
; COMPUTE_PGM_RSRC2:TGID_Z_EN: 0
; COMPUTE_PGM_RSRC2:TIDIG_COMP_CNT: 0
	.section	.text._Z17wvSplitKQ_hf_sml_I14__hip_bfloat16N3c1015Float8_e4m3fnuzELi32ELi2ELi16ELi16ELi1ELi3EEviiiiiiPKT0_S5_PKT_PS6_PKfSB_ii,"axG",@progbits,_Z17wvSplitKQ_hf_sml_I14__hip_bfloat16N3c1015Float8_e4m3fnuzELi32ELi2ELi16ELi16ELi1ELi3EEviiiiiiPKT0_S5_PKT_PS6_PKfSB_ii,comdat
	.protected	_Z17wvSplitKQ_hf_sml_I14__hip_bfloat16N3c1015Float8_e4m3fnuzELi32ELi2ELi16ELi16ELi1ELi3EEviiiiiiPKT0_S5_PKT_PS6_PKfSB_ii ; -- Begin function _Z17wvSplitKQ_hf_sml_I14__hip_bfloat16N3c1015Float8_e4m3fnuzELi32ELi2ELi16ELi16ELi1ELi3EEviiiiiiPKT0_S5_PKT_PS6_PKfSB_ii
	.globl	_Z17wvSplitKQ_hf_sml_I14__hip_bfloat16N3c1015Float8_e4m3fnuzELi32ELi2ELi16ELi16ELi1ELi3EEviiiiiiPKT0_S5_PKT_PS6_PKfSB_ii
	.p2align	8
	.type	_Z17wvSplitKQ_hf_sml_I14__hip_bfloat16N3c1015Float8_e4m3fnuzELi32ELi2ELi16ELi16ELi1ELi3EEviiiiiiPKT0_S5_PKT_PS6_PKfSB_ii,@function
_Z17wvSplitKQ_hf_sml_I14__hip_bfloat16N3c1015Float8_e4m3fnuzELi32ELi2ELi16ELi16ELi1ELi3EEviiiiiiPKT0_S5_PKT_PS6_PKfSB_ii: ; @_Z17wvSplitKQ_hf_sml_I14__hip_bfloat16N3c1015Float8_e4m3fnuzELi32ELi2ELi16ELi16ELi1ELi3EEviiiiiiPKT0_S5_PKT_PS6_PKfSB_ii
; %bb.0:
	s_add_u32 s8, s0, 0x50
	s_addc_u32 s9, s1, 0
	s_getpc_b64 s[0:1]
	s_add_u32 s0, s0, __PRETTY_FUNCTION__._Z17wvSplitKQ_hf_sml_I14__hip_bfloat16N3c1015Float8_e4m3fnuzELi32ELi2ELi16ELi16ELi1ELi3EEviiiiiiPKT0_S5_PKT_PS6_PKfSB_ii@rel32@lo+4
	s_addc_u32 s1, s1, __PRETTY_FUNCTION__._Z17wvSplitKQ_hf_sml_I14__hip_bfloat16N3c1015Float8_e4m3fnuzELi32ELi2ELi16ELi16ELi1ELi3EEviiiiiiPKT0_S5_PKT_PS6_PKfSB_ii@rel32@hi+12
	v_dual_mov_b32 v0, 0x7fa :: v_dual_mov_b32 v1, s0
	v_mov_b32_e32 v2, s1
	s_mov_b32 s32, 0
	s_getpc_b64 s[2:3]
	s_add_u32 s2, s2, __assert_fail@rel32@lo+4
	s_addc_u32 s3, s3, __assert_fail@rel32@hi+12
	s_delay_alu instid0(SALU_CYCLE_1)
	s_swappc_b64 s[30:31], s[2:3]
	.section	.rodata,"a",@progbits
	.p2align	6, 0x0
	.amdhsa_kernel _Z17wvSplitKQ_hf_sml_I14__hip_bfloat16N3c1015Float8_e4m3fnuzELi32ELi2ELi16ELi16ELi1ELi3EEviiiiiiPKT0_S5_PKT_PS6_PKfSB_ii
		.amdhsa_group_segment_fixed_size 0
		.amdhsa_private_segment_fixed_size 64
		.amdhsa_kernarg_size 336
		.amdhsa_user_sgpr_count 15
		.amdhsa_user_sgpr_dispatch_ptr 0
		.amdhsa_user_sgpr_queue_ptr 0
		.amdhsa_user_sgpr_kernarg_segment_ptr 1
		.amdhsa_user_sgpr_dispatch_id 0
		.amdhsa_user_sgpr_private_segment_size 0
		.amdhsa_wavefront_size32 1
		.amdhsa_uses_dynamic_stack 0
		.amdhsa_enable_private_segment 1
		.amdhsa_system_sgpr_workgroup_id_x 1
		.amdhsa_system_sgpr_workgroup_id_y 0
		.amdhsa_system_sgpr_workgroup_id_z 0
		.amdhsa_system_sgpr_workgroup_info 0
		.amdhsa_system_vgpr_workitem_id 0
		.amdhsa_next_free_vgpr 50
		.amdhsa_next_free_sgpr 34
		.amdhsa_reserve_vcc 1
		.amdhsa_float_round_mode_32 0
		.amdhsa_float_round_mode_16_64 0
		.amdhsa_float_denorm_mode_32 3
		.amdhsa_float_denorm_mode_16_64 3
		.amdhsa_dx10_clamp 1
		.amdhsa_ieee_mode 1
		.amdhsa_fp16_overflow 0
		.amdhsa_workgroup_processor_mode 1
		.amdhsa_memory_ordered 1
		.amdhsa_forward_progress 0
		.amdhsa_shared_vgpr_count 0
		.amdhsa_exception_fp_ieee_invalid_op 0
		.amdhsa_exception_fp_denorm_src 0
		.amdhsa_exception_fp_ieee_div_zero 0
		.amdhsa_exception_fp_ieee_overflow 0
		.amdhsa_exception_fp_ieee_underflow 0
		.amdhsa_exception_fp_ieee_inexact 0
		.amdhsa_exception_int_div_zero 0
	.end_amdhsa_kernel
	.section	.text._Z17wvSplitKQ_hf_sml_I14__hip_bfloat16N3c1015Float8_e4m3fnuzELi32ELi2ELi16ELi16ELi1ELi3EEviiiiiiPKT0_S5_PKT_PS6_PKfSB_ii,"axG",@progbits,_Z17wvSplitKQ_hf_sml_I14__hip_bfloat16N3c1015Float8_e4m3fnuzELi32ELi2ELi16ELi16ELi1ELi3EEviiiiiiPKT0_S5_PKT_PS6_PKfSB_ii,comdat
.Lfunc_end394:
	.size	_Z17wvSplitKQ_hf_sml_I14__hip_bfloat16N3c1015Float8_e4m3fnuzELi32ELi2ELi16ELi16ELi1ELi3EEviiiiiiPKT0_S5_PKT_PS6_PKfSB_ii, .Lfunc_end394-_Z17wvSplitKQ_hf_sml_I14__hip_bfloat16N3c1015Float8_e4m3fnuzELi32ELi2ELi16ELi16ELi1ELi3EEviiiiiiPKT0_S5_PKT_PS6_PKfSB_ii
                                        ; -- End function
	.section	.AMDGPU.csdata,"",@progbits
; Kernel info:
; codeLenInByte = 80
; NumSgprs: 36
; NumVgprs: 50
; ScratchSize: 64
; MemoryBound: 0
; FloatMode: 240
; IeeeMode: 1
; LDSByteSize: 0 bytes/workgroup (compile time only)
; SGPRBlocks: 4
; VGPRBlocks: 6
; NumSGPRsForWavesPerEU: 36
; NumVGPRsForWavesPerEU: 50
; Occupancy: 16
; WaveLimiterHint : 1
; COMPUTE_PGM_RSRC2:SCRATCH_EN: 1
; COMPUTE_PGM_RSRC2:USER_SGPR: 15
; COMPUTE_PGM_RSRC2:TRAP_HANDLER: 0
; COMPUTE_PGM_RSRC2:TGID_X_EN: 1
; COMPUTE_PGM_RSRC2:TGID_Y_EN: 0
; COMPUTE_PGM_RSRC2:TGID_Z_EN: 0
; COMPUTE_PGM_RSRC2:TIDIG_COMP_CNT: 0
	.section	.text._Z13wvSplitKQ_hf_I14__hip_bfloat16N3c1015Float8_e4m3fnuzELi32ELi2ELi16ELi16ELi1ELi3EEviiiiiiPKT0_S5_PKT_PS6_PKfSB_ii,"axG",@progbits,_Z13wvSplitKQ_hf_I14__hip_bfloat16N3c1015Float8_e4m3fnuzELi32ELi2ELi16ELi16ELi1ELi3EEviiiiiiPKT0_S5_PKT_PS6_PKfSB_ii,comdat
	.protected	_Z13wvSplitKQ_hf_I14__hip_bfloat16N3c1015Float8_e4m3fnuzELi32ELi2ELi16ELi16ELi1ELi3EEviiiiiiPKT0_S5_PKT_PS6_PKfSB_ii ; -- Begin function _Z13wvSplitKQ_hf_I14__hip_bfloat16N3c1015Float8_e4m3fnuzELi32ELi2ELi16ELi16ELi1ELi3EEviiiiiiPKT0_S5_PKT_PS6_PKfSB_ii
	.globl	_Z13wvSplitKQ_hf_I14__hip_bfloat16N3c1015Float8_e4m3fnuzELi32ELi2ELi16ELi16ELi1ELi3EEviiiiiiPKT0_S5_PKT_PS6_PKfSB_ii
	.p2align	8
	.type	_Z13wvSplitKQ_hf_I14__hip_bfloat16N3c1015Float8_e4m3fnuzELi32ELi2ELi16ELi16ELi1ELi3EEviiiiiiPKT0_S5_PKT_PS6_PKfSB_ii,@function
_Z13wvSplitKQ_hf_I14__hip_bfloat16N3c1015Float8_e4m3fnuzELi32ELi2ELi16ELi16ELi1ELi3EEviiiiiiPKT0_S5_PKT_PS6_PKfSB_ii: ; @_Z13wvSplitKQ_hf_I14__hip_bfloat16N3c1015Float8_e4m3fnuzELi32ELi2ELi16ELi16ELi1ELi3EEviiiiiiPKT0_S5_PKT_PS6_PKfSB_ii
; %bb.0:
	s_add_u32 s8, s0, 0x50
	s_addc_u32 s9, s1, 0
	s_getpc_b64 s[0:1]
	s_add_u32 s0, s0, __PRETTY_FUNCTION__._Z13wvSplitKQ_hf_I14__hip_bfloat16N3c1015Float8_e4m3fnuzELi32ELi2ELi16ELi16ELi1ELi3EEviiiiiiPKT0_S5_PKT_PS6_PKfSB_ii@rel32@lo+4
	s_addc_u32 s1, s1, __PRETTY_FUNCTION__._Z13wvSplitKQ_hf_I14__hip_bfloat16N3c1015Float8_e4m3fnuzELi32ELi2ELi16ELi16ELi1ELi3EEviiiiiiPKT0_S5_PKT_PS6_PKfSB_ii@rel32@hi+12
	v_dual_mov_b32 v0, 0x8bf :: v_dual_mov_b32 v1, s0
	v_mov_b32_e32 v2, s1
	s_mov_b32 s32, 0
	s_getpc_b64 s[2:3]
	s_add_u32 s2, s2, __assert_fail@rel32@lo+4
	s_addc_u32 s3, s3, __assert_fail@rel32@hi+12
	s_delay_alu instid0(SALU_CYCLE_1)
	s_swappc_b64 s[30:31], s[2:3]
	.section	.rodata,"a",@progbits
	.p2align	6, 0x0
	.amdhsa_kernel _Z13wvSplitKQ_hf_I14__hip_bfloat16N3c1015Float8_e4m3fnuzELi32ELi2ELi16ELi16ELi1ELi3EEviiiiiiPKT0_S5_PKT_PS6_PKfSB_ii
		.amdhsa_group_segment_fixed_size 0
		.amdhsa_private_segment_fixed_size 64
		.amdhsa_kernarg_size 336
		.amdhsa_user_sgpr_count 15
		.amdhsa_user_sgpr_dispatch_ptr 0
		.amdhsa_user_sgpr_queue_ptr 0
		.amdhsa_user_sgpr_kernarg_segment_ptr 1
		.amdhsa_user_sgpr_dispatch_id 0
		.amdhsa_user_sgpr_private_segment_size 0
		.amdhsa_wavefront_size32 1
		.amdhsa_uses_dynamic_stack 0
		.amdhsa_enable_private_segment 1
		.amdhsa_system_sgpr_workgroup_id_x 1
		.amdhsa_system_sgpr_workgroup_id_y 0
		.amdhsa_system_sgpr_workgroup_id_z 0
		.amdhsa_system_sgpr_workgroup_info 0
		.amdhsa_system_vgpr_workitem_id 0
		.amdhsa_next_free_vgpr 50
		.amdhsa_next_free_sgpr 34
		.amdhsa_reserve_vcc 1
		.amdhsa_float_round_mode_32 0
		.amdhsa_float_round_mode_16_64 0
		.amdhsa_float_denorm_mode_32 3
		.amdhsa_float_denorm_mode_16_64 3
		.amdhsa_dx10_clamp 1
		.amdhsa_ieee_mode 1
		.amdhsa_fp16_overflow 0
		.amdhsa_workgroup_processor_mode 1
		.amdhsa_memory_ordered 1
		.amdhsa_forward_progress 0
		.amdhsa_shared_vgpr_count 0
		.amdhsa_exception_fp_ieee_invalid_op 0
		.amdhsa_exception_fp_denorm_src 0
		.amdhsa_exception_fp_ieee_div_zero 0
		.amdhsa_exception_fp_ieee_overflow 0
		.amdhsa_exception_fp_ieee_underflow 0
		.amdhsa_exception_fp_ieee_inexact 0
		.amdhsa_exception_int_div_zero 0
	.end_amdhsa_kernel
	.section	.text._Z13wvSplitKQ_hf_I14__hip_bfloat16N3c1015Float8_e4m3fnuzELi32ELi2ELi16ELi16ELi1ELi3EEviiiiiiPKT0_S5_PKT_PS6_PKfSB_ii,"axG",@progbits,_Z13wvSplitKQ_hf_I14__hip_bfloat16N3c1015Float8_e4m3fnuzELi32ELi2ELi16ELi16ELi1ELi3EEviiiiiiPKT0_S5_PKT_PS6_PKfSB_ii,comdat
.Lfunc_end395:
	.size	_Z13wvSplitKQ_hf_I14__hip_bfloat16N3c1015Float8_e4m3fnuzELi32ELi2ELi16ELi16ELi1ELi3EEviiiiiiPKT0_S5_PKT_PS6_PKfSB_ii, .Lfunc_end395-_Z13wvSplitKQ_hf_I14__hip_bfloat16N3c1015Float8_e4m3fnuzELi32ELi2ELi16ELi16ELi1ELi3EEviiiiiiPKT0_S5_PKT_PS6_PKfSB_ii
                                        ; -- End function
	.section	.AMDGPU.csdata,"",@progbits
; Kernel info:
; codeLenInByte = 80
; NumSgprs: 36
; NumVgprs: 50
; ScratchSize: 64
; MemoryBound: 0
; FloatMode: 240
; IeeeMode: 1
; LDSByteSize: 0 bytes/workgroup (compile time only)
; SGPRBlocks: 4
; VGPRBlocks: 6
; NumSGPRsForWavesPerEU: 36
; NumVGPRsForWavesPerEU: 50
; Occupancy: 16
; WaveLimiterHint : 1
; COMPUTE_PGM_RSRC2:SCRATCH_EN: 1
; COMPUTE_PGM_RSRC2:USER_SGPR: 15
; COMPUTE_PGM_RSRC2:TRAP_HANDLER: 0
; COMPUTE_PGM_RSRC2:TGID_X_EN: 1
; COMPUTE_PGM_RSRC2:TGID_Y_EN: 0
; COMPUTE_PGM_RSRC2:TGID_Z_EN: 0
; COMPUTE_PGM_RSRC2:TIDIG_COMP_CNT: 0
	.section	.text._Z17wvSplitKQ_hf_sml_I14__hip_bfloat16N3c1015Float8_e4m3fnuzELi64ELi2ELi16ELi16ELi1ELi3EEviiiiiiPKT0_S5_PKT_PS6_PKfSB_ii,"axG",@progbits,_Z17wvSplitKQ_hf_sml_I14__hip_bfloat16N3c1015Float8_e4m3fnuzELi64ELi2ELi16ELi16ELi1ELi3EEviiiiiiPKT0_S5_PKT_PS6_PKfSB_ii,comdat
	.protected	_Z17wvSplitKQ_hf_sml_I14__hip_bfloat16N3c1015Float8_e4m3fnuzELi64ELi2ELi16ELi16ELi1ELi3EEviiiiiiPKT0_S5_PKT_PS6_PKfSB_ii ; -- Begin function _Z17wvSplitKQ_hf_sml_I14__hip_bfloat16N3c1015Float8_e4m3fnuzELi64ELi2ELi16ELi16ELi1ELi3EEviiiiiiPKT0_S5_PKT_PS6_PKfSB_ii
	.globl	_Z17wvSplitKQ_hf_sml_I14__hip_bfloat16N3c1015Float8_e4m3fnuzELi64ELi2ELi16ELi16ELi1ELi3EEviiiiiiPKT0_S5_PKT_PS6_PKfSB_ii
	.p2align	8
	.type	_Z17wvSplitKQ_hf_sml_I14__hip_bfloat16N3c1015Float8_e4m3fnuzELi64ELi2ELi16ELi16ELi1ELi3EEviiiiiiPKT0_S5_PKT_PS6_PKfSB_ii,@function
_Z17wvSplitKQ_hf_sml_I14__hip_bfloat16N3c1015Float8_e4m3fnuzELi64ELi2ELi16ELi16ELi1ELi3EEviiiiiiPKT0_S5_PKT_PS6_PKfSB_ii: ; @_Z17wvSplitKQ_hf_sml_I14__hip_bfloat16N3c1015Float8_e4m3fnuzELi64ELi2ELi16ELi16ELi1ELi3EEviiiiiiPKT0_S5_PKT_PS6_PKfSB_ii
; %bb.0:
	s_add_u32 s8, s0, 0x50
	s_addc_u32 s9, s1, 0
	s_getpc_b64 s[0:1]
	s_add_u32 s0, s0, __PRETTY_FUNCTION__._Z17wvSplitKQ_hf_sml_I14__hip_bfloat16N3c1015Float8_e4m3fnuzELi64ELi2ELi16ELi16ELi1ELi3EEviiiiiiPKT0_S5_PKT_PS6_PKfSB_ii@rel32@lo+4
	s_addc_u32 s1, s1, __PRETTY_FUNCTION__._Z17wvSplitKQ_hf_sml_I14__hip_bfloat16N3c1015Float8_e4m3fnuzELi64ELi2ELi16ELi16ELi1ELi3EEviiiiiiPKT0_S5_PKT_PS6_PKfSB_ii@rel32@hi+12
	v_dual_mov_b32 v0, 0x7fa :: v_dual_mov_b32 v1, s0
	v_mov_b32_e32 v2, s1
	s_mov_b32 s32, 0
	s_getpc_b64 s[2:3]
	s_add_u32 s2, s2, __assert_fail@rel32@lo+4
	s_addc_u32 s3, s3, __assert_fail@rel32@hi+12
	s_delay_alu instid0(SALU_CYCLE_1)
	s_swappc_b64 s[30:31], s[2:3]
	.section	.rodata,"a",@progbits
	.p2align	6, 0x0
	.amdhsa_kernel _Z17wvSplitKQ_hf_sml_I14__hip_bfloat16N3c1015Float8_e4m3fnuzELi64ELi2ELi16ELi16ELi1ELi3EEviiiiiiPKT0_S5_PKT_PS6_PKfSB_ii
		.amdhsa_group_segment_fixed_size 0
		.amdhsa_private_segment_fixed_size 64
		.amdhsa_kernarg_size 336
		.amdhsa_user_sgpr_count 15
		.amdhsa_user_sgpr_dispatch_ptr 0
		.amdhsa_user_sgpr_queue_ptr 0
		.amdhsa_user_sgpr_kernarg_segment_ptr 1
		.amdhsa_user_sgpr_dispatch_id 0
		.amdhsa_user_sgpr_private_segment_size 0
		.amdhsa_wavefront_size32 1
		.amdhsa_uses_dynamic_stack 0
		.amdhsa_enable_private_segment 1
		.amdhsa_system_sgpr_workgroup_id_x 1
		.amdhsa_system_sgpr_workgroup_id_y 0
		.amdhsa_system_sgpr_workgroup_id_z 0
		.amdhsa_system_sgpr_workgroup_info 0
		.amdhsa_system_vgpr_workitem_id 0
		.amdhsa_next_free_vgpr 50
		.amdhsa_next_free_sgpr 34
		.amdhsa_reserve_vcc 1
		.amdhsa_float_round_mode_32 0
		.amdhsa_float_round_mode_16_64 0
		.amdhsa_float_denorm_mode_32 3
		.amdhsa_float_denorm_mode_16_64 3
		.amdhsa_dx10_clamp 1
		.amdhsa_ieee_mode 1
		.amdhsa_fp16_overflow 0
		.amdhsa_workgroup_processor_mode 1
		.amdhsa_memory_ordered 1
		.amdhsa_forward_progress 0
		.amdhsa_shared_vgpr_count 0
		.amdhsa_exception_fp_ieee_invalid_op 0
		.amdhsa_exception_fp_denorm_src 0
		.amdhsa_exception_fp_ieee_div_zero 0
		.amdhsa_exception_fp_ieee_overflow 0
		.amdhsa_exception_fp_ieee_underflow 0
		.amdhsa_exception_fp_ieee_inexact 0
		.amdhsa_exception_int_div_zero 0
	.end_amdhsa_kernel
	.section	.text._Z17wvSplitKQ_hf_sml_I14__hip_bfloat16N3c1015Float8_e4m3fnuzELi64ELi2ELi16ELi16ELi1ELi3EEviiiiiiPKT0_S5_PKT_PS6_PKfSB_ii,"axG",@progbits,_Z17wvSplitKQ_hf_sml_I14__hip_bfloat16N3c1015Float8_e4m3fnuzELi64ELi2ELi16ELi16ELi1ELi3EEviiiiiiPKT0_S5_PKT_PS6_PKfSB_ii,comdat
.Lfunc_end396:
	.size	_Z17wvSplitKQ_hf_sml_I14__hip_bfloat16N3c1015Float8_e4m3fnuzELi64ELi2ELi16ELi16ELi1ELi3EEviiiiiiPKT0_S5_PKT_PS6_PKfSB_ii, .Lfunc_end396-_Z17wvSplitKQ_hf_sml_I14__hip_bfloat16N3c1015Float8_e4m3fnuzELi64ELi2ELi16ELi16ELi1ELi3EEviiiiiiPKT0_S5_PKT_PS6_PKfSB_ii
                                        ; -- End function
	.section	.AMDGPU.csdata,"",@progbits
; Kernel info:
; codeLenInByte = 80
; NumSgprs: 36
; NumVgprs: 50
; ScratchSize: 64
; MemoryBound: 0
; FloatMode: 240
; IeeeMode: 1
; LDSByteSize: 0 bytes/workgroup (compile time only)
; SGPRBlocks: 4
; VGPRBlocks: 6
; NumSGPRsForWavesPerEU: 36
; NumVGPRsForWavesPerEU: 50
; Occupancy: 16
; WaveLimiterHint : 1
; COMPUTE_PGM_RSRC2:SCRATCH_EN: 1
; COMPUTE_PGM_RSRC2:USER_SGPR: 15
; COMPUTE_PGM_RSRC2:TRAP_HANDLER: 0
; COMPUTE_PGM_RSRC2:TGID_X_EN: 1
; COMPUTE_PGM_RSRC2:TGID_Y_EN: 0
; COMPUTE_PGM_RSRC2:TGID_Z_EN: 0
; COMPUTE_PGM_RSRC2:TIDIG_COMP_CNT: 0
	.section	.text._Z13wvSplitKQ_hf_I14__hip_bfloat16N3c1015Float8_e4m3fnuzELi64ELi2ELi16ELi16ELi1ELi3EEviiiiiiPKT0_S5_PKT_PS6_PKfSB_ii,"axG",@progbits,_Z13wvSplitKQ_hf_I14__hip_bfloat16N3c1015Float8_e4m3fnuzELi64ELi2ELi16ELi16ELi1ELi3EEviiiiiiPKT0_S5_PKT_PS6_PKfSB_ii,comdat
	.protected	_Z13wvSplitKQ_hf_I14__hip_bfloat16N3c1015Float8_e4m3fnuzELi64ELi2ELi16ELi16ELi1ELi3EEviiiiiiPKT0_S5_PKT_PS6_PKfSB_ii ; -- Begin function _Z13wvSplitKQ_hf_I14__hip_bfloat16N3c1015Float8_e4m3fnuzELi64ELi2ELi16ELi16ELi1ELi3EEviiiiiiPKT0_S5_PKT_PS6_PKfSB_ii
	.globl	_Z13wvSplitKQ_hf_I14__hip_bfloat16N3c1015Float8_e4m3fnuzELi64ELi2ELi16ELi16ELi1ELi3EEviiiiiiPKT0_S5_PKT_PS6_PKfSB_ii
	.p2align	8
	.type	_Z13wvSplitKQ_hf_I14__hip_bfloat16N3c1015Float8_e4m3fnuzELi64ELi2ELi16ELi16ELi1ELi3EEviiiiiiPKT0_S5_PKT_PS6_PKfSB_ii,@function
_Z13wvSplitKQ_hf_I14__hip_bfloat16N3c1015Float8_e4m3fnuzELi64ELi2ELi16ELi16ELi1ELi3EEviiiiiiPKT0_S5_PKT_PS6_PKfSB_ii: ; @_Z13wvSplitKQ_hf_I14__hip_bfloat16N3c1015Float8_e4m3fnuzELi64ELi2ELi16ELi16ELi1ELi3EEviiiiiiPKT0_S5_PKT_PS6_PKfSB_ii
; %bb.0:
	s_add_u32 s8, s0, 0x50
	s_addc_u32 s9, s1, 0
	s_getpc_b64 s[0:1]
	s_add_u32 s0, s0, __PRETTY_FUNCTION__._Z13wvSplitKQ_hf_I14__hip_bfloat16N3c1015Float8_e4m3fnuzELi64ELi2ELi16ELi16ELi1ELi3EEviiiiiiPKT0_S5_PKT_PS6_PKfSB_ii@rel32@lo+4
	s_addc_u32 s1, s1, __PRETTY_FUNCTION__._Z13wvSplitKQ_hf_I14__hip_bfloat16N3c1015Float8_e4m3fnuzELi64ELi2ELi16ELi16ELi1ELi3EEviiiiiiPKT0_S5_PKT_PS6_PKfSB_ii@rel32@hi+12
	v_dual_mov_b32 v0, 0x8bf :: v_dual_mov_b32 v1, s0
	v_mov_b32_e32 v2, s1
	s_mov_b32 s32, 0
	s_getpc_b64 s[2:3]
	s_add_u32 s2, s2, __assert_fail@rel32@lo+4
	s_addc_u32 s3, s3, __assert_fail@rel32@hi+12
	s_delay_alu instid0(SALU_CYCLE_1)
	s_swappc_b64 s[30:31], s[2:3]
	.section	.rodata,"a",@progbits
	.p2align	6, 0x0
	.amdhsa_kernel _Z13wvSplitKQ_hf_I14__hip_bfloat16N3c1015Float8_e4m3fnuzELi64ELi2ELi16ELi16ELi1ELi3EEviiiiiiPKT0_S5_PKT_PS6_PKfSB_ii
		.amdhsa_group_segment_fixed_size 0
		.amdhsa_private_segment_fixed_size 64
		.amdhsa_kernarg_size 336
		.amdhsa_user_sgpr_count 15
		.amdhsa_user_sgpr_dispatch_ptr 0
		.amdhsa_user_sgpr_queue_ptr 0
		.amdhsa_user_sgpr_kernarg_segment_ptr 1
		.amdhsa_user_sgpr_dispatch_id 0
		.amdhsa_user_sgpr_private_segment_size 0
		.amdhsa_wavefront_size32 1
		.amdhsa_uses_dynamic_stack 0
		.amdhsa_enable_private_segment 1
		.amdhsa_system_sgpr_workgroup_id_x 1
		.amdhsa_system_sgpr_workgroup_id_y 0
		.amdhsa_system_sgpr_workgroup_id_z 0
		.amdhsa_system_sgpr_workgroup_info 0
		.amdhsa_system_vgpr_workitem_id 0
		.amdhsa_next_free_vgpr 50
		.amdhsa_next_free_sgpr 34
		.amdhsa_reserve_vcc 1
		.amdhsa_float_round_mode_32 0
		.amdhsa_float_round_mode_16_64 0
		.amdhsa_float_denorm_mode_32 3
		.amdhsa_float_denorm_mode_16_64 3
		.amdhsa_dx10_clamp 1
		.amdhsa_ieee_mode 1
		.amdhsa_fp16_overflow 0
		.amdhsa_workgroup_processor_mode 1
		.amdhsa_memory_ordered 1
		.amdhsa_forward_progress 0
		.amdhsa_shared_vgpr_count 0
		.amdhsa_exception_fp_ieee_invalid_op 0
		.amdhsa_exception_fp_denorm_src 0
		.amdhsa_exception_fp_ieee_div_zero 0
		.amdhsa_exception_fp_ieee_overflow 0
		.amdhsa_exception_fp_ieee_underflow 0
		.amdhsa_exception_fp_ieee_inexact 0
		.amdhsa_exception_int_div_zero 0
	.end_amdhsa_kernel
	.section	.text._Z13wvSplitKQ_hf_I14__hip_bfloat16N3c1015Float8_e4m3fnuzELi64ELi2ELi16ELi16ELi1ELi3EEviiiiiiPKT0_S5_PKT_PS6_PKfSB_ii,"axG",@progbits,_Z13wvSplitKQ_hf_I14__hip_bfloat16N3c1015Float8_e4m3fnuzELi64ELi2ELi16ELi16ELi1ELi3EEviiiiiiPKT0_S5_PKT_PS6_PKfSB_ii,comdat
.Lfunc_end397:
	.size	_Z13wvSplitKQ_hf_I14__hip_bfloat16N3c1015Float8_e4m3fnuzELi64ELi2ELi16ELi16ELi1ELi3EEviiiiiiPKT0_S5_PKT_PS6_PKfSB_ii, .Lfunc_end397-_Z13wvSplitKQ_hf_I14__hip_bfloat16N3c1015Float8_e4m3fnuzELi64ELi2ELi16ELi16ELi1ELi3EEviiiiiiPKT0_S5_PKT_PS6_PKfSB_ii
                                        ; -- End function
	.section	.AMDGPU.csdata,"",@progbits
; Kernel info:
; codeLenInByte = 80
; NumSgprs: 36
; NumVgprs: 50
; ScratchSize: 64
; MemoryBound: 0
; FloatMode: 240
; IeeeMode: 1
; LDSByteSize: 0 bytes/workgroup (compile time only)
; SGPRBlocks: 4
; VGPRBlocks: 6
; NumSGPRsForWavesPerEU: 36
; NumVGPRsForWavesPerEU: 50
; Occupancy: 16
; WaveLimiterHint : 1
; COMPUTE_PGM_RSRC2:SCRATCH_EN: 1
; COMPUTE_PGM_RSRC2:USER_SGPR: 15
; COMPUTE_PGM_RSRC2:TRAP_HANDLER: 0
; COMPUTE_PGM_RSRC2:TGID_X_EN: 1
; COMPUTE_PGM_RSRC2:TGID_Y_EN: 0
; COMPUTE_PGM_RSRC2:TGID_Z_EN: 0
; COMPUTE_PGM_RSRC2:TIDIG_COMP_CNT: 0
	.section	.text._Z17wvSplitKQ_hf_sml_I14__hip_bfloat16N3c1015Float8_e4m3fnuzELi32ELi2ELi16ELi16ELi1ELi4EEviiiiiiPKT0_S5_PKT_PS6_PKfSB_ii,"axG",@progbits,_Z17wvSplitKQ_hf_sml_I14__hip_bfloat16N3c1015Float8_e4m3fnuzELi32ELi2ELi16ELi16ELi1ELi4EEviiiiiiPKT0_S5_PKT_PS6_PKfSB_ii,comdat
	.protected	_Z17wvSplitKQ_hf_sml_I14__hip_bfloat16N3c1015Float8_e4m3fnuzELi32ELi2ELi16ELi16ELi1ELi4EEviiiiiiPKT0_S5_PKT_PS6_PKfSB_ii ; -- Begin function _Z17wvSplitKQ_hf_sml_I14__hip_bfloat16N3c1015Float8_e4m3fnuzELi32ELi2ELi16ELi16ELi1ELi4EEviiiiiiPKT0_S5_PKT_PS6_PKfSB_ii
	.globl	_Z17wvSplitKQ_hf_sml_I14__hip_bfloat16N3c1015Float8_e4m3fnuzELi32ELi2ELi16ELi16ELi1ELi4EEviiiiiiPKT0_S5_PKT_PS6_PKfSB_ii
	.p2align	8
	.type	_Z17wvSplitKQ_hf_sml_I14__hip_bfloat16N3c1015Float8_e4m3fnuzELi32ELi2ELi16ELi16ELi1ELi4EEviiiiiiPKT0_S5_PKT_PS6_PKfSB_ii,@function
_Z17wvSplitKQ_hf_sml_I14__hip_bfloat16N3c1015Float8_e4m3fnuzELi32ELi2ELi16ELi16ELi1ELi4EEviiiiiiPKT0_S5_PKT_PS6_PKfSB_ii: ; @_Z17wvSplitKQ_hf_sml_I14__hip_bfloat16N3c1015Float8_e4m3fnuzELi32ELi2ELi16ELi16ELi1ELi4EEviiiiiiPKT0_S5_PKT_PS6_PKfSB_ii
; %bb.0:
	s_add_u32 s8, s0, 0x50
	s_addc_u32 s9, s1, 0
	s_getpc_b64 s[0:1]
	s_add_u32 s0, s0, __PRETTY_FUNCTION__._Z17wvSplitKQ_hf_sml_I14__hip_bfloat16N3c1015Float8_e4m3fnuzELi32ELi2ELi16ELi16ELi1ELi4EEviiiiiiPKT0_S5_PKT_PS6_PKfSB_ii@rel32@lo+4
	s_addc_u32 s1, s1, __PRETTY_FUNCTION__._Z17wvSplitKQ_hf_sml_I14__hip_bfloat16N3c1015Float8_e4m3fnuzELi32ELi2ELi16ELi16ELi1ELi4EEviiiiiiPKT0_S5_PKT_PS6_PKfSB_ii@rel32@hi+12
	v_dual_mov_b32 v0, 0x7fa :: v_dual_mov_b32 v1, s0
	v_mov_b32_e32 v2, s1
	s_mov_b32 s32, 0
	s_getpc_b64 s[2:3]
	s_add_u32 s2, s2, __assert_fail@rel32@lo+4
	s_addc_u32 s3, s3, __assert_fail@rel32@hi+12
	s_delay_alu instid0(SALU_CYCLE_1)
	s_swappc_b64 s[30:31], s[2:3]
	.section	.rodata,"a",@progbits
	.p2align	6, 0x0
	.amdhsa_kernel _Z17wvSplitKQ_hf_sml_I14__hip_bfloat16N3c1015Float8_e4m3fnuzELi32ELi2ELi16ELi16ELi1ELi4EEviiiiiiPKT0_S5_PKT_PS6_PKfSB_ii
		.amdhsa_group_segment_fixed_size 0
		.amdhsa_private_segment_fixed_size 64
		.amdhsa_kernarg_size 336
		.amdhsa_user_sgpr_count 15
		.amdhsa_user_sgpr_dispatch_ptr 0
		.amdhsa_user_sgpr_queue_ptr 0
		.amdhsa_user_sgpr_kernarg_segment_ptr 1
		.amdhsa_user_sgpr_dispatch_id 0
		.amdhsa_user_sgpr_private_segment_size 0
		.amdhsa_wavefront_size32 1
		.amdhsa_uses_dynamic_stack 0
		.amdhsa_enable_private_segment 1
		.amdhsa_system_sgpr_workgroup_id_x 1
		.amdhsa_system_sgpr_workgroup_id_y 0
		.amdhsa_system_sgpr_workgroup_id_z 0
		.amdhsa_system_sgpr_workgroup_info 0
		.amdhsa_system_vgpr_workitem_id 0
		.amdhsa_next_free_vgpr 50
		.amdhsa_next_free_sgpr 34
		.amdhsa_reserve_vcc 1
		.amdhsa_float_round_mode_32 0
		.amdhsa_float_round_mode_16_64 0
		.amdhsa_float_denorm_mode_32 3
		.amdhsa_float_denorm_mode_16_64 3
		.amdhsa_dx10_clamp 1
		.amdhsa_ieee_mode 1
		.amdhsa_fp16_overflow 0
		.amdhsa_workgroup_processor_mode 1
		.amdhsa_memory_ordered 1
		.amdhsa_forward_progress 0
		.amdhsa_shared_vgpr_count 0
		.amdhsa_exception_fp_ieee_invalid_op 0
		.amdhsa_exception_fp_denorm_src 0
		.amdhsa_exception_fp_ieee_div_zero 0
		.amdhsa_exception_fp_ieee_overflow 0
		.amdhsa_exception_fp_ieee_underflow 0
		.amdhsa_exception_fp_ieee_inexact 0
		.amdhsa_exception_int_div_zero 0
	.end_amdhsa_kernel
	.section	.text._Z17wvSplitKQ_hf_sml_I14__hip_bfloat16N3c1015Float8_e4m3fnuzELi32ELi2ELi16ELi16ELi1ELi4EEviiiiiiPKT0_S5_PKT_PS6_PKfSB_ii,"axG",@progbits,_Z17wvSplitKQ_hf_sml_I14__hip_bfloat16N3c1015Float8_e4m3fnuzELi32ELi2ELi16ELi16ELi1ELi4EEviiiiiiPKT0_S5_PKT_PS6_PKfSB_ii,comdat
.Lfunc_end398:
	.size	_Z17wvSplitKQ_hf_sml_I14__hip_bfloat16N3c1015Float8_e4m3fnuzELi32ELi2ELi16ELi16ELi1ELi4EEviiiiiiPKT0_S5_PKT_PS6_PKfSB_ii, .Lfunc_end398-_Z17wvSplitKQ_hf_sml_I14__hip_bfloat16N3c1015Float8_e4m3fnuzELi32ELi2ELi16ELi16ELi1ELi4EEviiiiiiPKT0_S5_PKT_PS6_PKfSB_ii
                                        ; -- End function
	.section	.AMDGPU.csdata,"",@progbits
; Kernel info:
; codeLenInByte = 80
; NumSgprs: 36
; NumVgprs: 50
; ScratchSize: 64
; MemoryBound: 0
; FloatMode: 240
; IeeeMode: 1
; LDSByteSize: 0 bytes/workgroup (compile time only)
; SGPRBlocks: 4
; VGPRBlocks: 6
; NumSGPRsForWavesPerEU: 36
; NumVGPRsForWavesPerEU: 50
; Occupancy: 16
; WaveLimiterHint : 1
; COMPUTE_PGM_RSRC2:SCRATCH_EN: 1
; COMPUTE_PGM_RSRC2:USER_SGPR: 15
; COMPUTE_PGM_RSRC2:TRAP_HANDLER: 0
; COMPUTE_PGM_RSRC2:TGID_X_EN: 1
; COMPUTE_PGM_RSRC2:TGID_Y_EN: 0
; COMPUTE_PGM_RSRC2:TGID_Z_EN: 0
; COMPUTE_PGM_RSRC2:TIDIG_COMP_CNT: 0
	.section	.text._Z13wvSplitKQ_hf_I14__hip_bfloat16N3c1015Float8_e4m3fnuzELi32ELi2ELi16ELi16ELi1ELi4EEviiiiiiPKT0_S5_PKT_PS6_PKfSB_ii,"axG",@progbits,_Z13wvSplitKQ_hf_I14__hip_bfloat16N3c1015Float8_e4m3fnuzELi32ELi2ELi16ELi16ELi1ELi4EEviiiiiiPKT0_S5_PKT_PS6_PKfSB_ii,comdat
	.protected	_Z13wvSplitKQ_hf_I14__hip_bfloat16N3c1015Float8_e4m3fnuzELi32ELi2ELi16ELi16ELi1ELi4EEviiiiiiPKT0_S5_PKT_PS6_PKfSB_ii ; -- Begin function _Z13wvSplitKQ_hf_I14__hip_bfloat16N3c1015Float8_e4m3fnuzELi32ELi2ELi16ELi16ELi1ELi4EEviiiiiiPKT0_S5_PKT_PS6_PKfSB_ii
	.globl	_Z13wvSplitKQ_hf_I14__hip_bfloat16N3c1015Float8_e4m3fnuzELi32ELi2ELi16ELi16ELi1ELi4EEviiiiiiPKT0_S5_PKT_PS6_PKfSB_ii
	.p2align	8
	.type	_Z13wvSplitKQ_hf_I14__hip_bfloat16N3c1015Float8_e4m3fnuzELi32ELi2ELi16ELi16ELi1ELi4EEviiiiiiPKT0_S5_PKT_PS6_PKfSB_ii,@function
_Z13wvSplitKQ_hf_I14__hip_bfloat16N3c1015Float8_e4m3fnuzELi32ELi2ELi16ELi16ELi1ELi4EEviiiiiiPKT0_S5_PKT_PS6_PKfSB_ii: ; @_Z13wvSplitKQ_hf_I14__hip_bfloat16N3c1015Float8_e4m3fnuzELi32ELi2ELi16ELi16ELi1ELi4EEviiiiiiPKT0_S5_PKT_PS6_PKfSB_ii
; %bb.0:
	s_add_u32 s8, s0, 0x50
	s_addc_u32 s9, s1, 0
	s_getpc_b64 s[0:1]
	s_add_u32 s0, s0, __PRETTY_FUNCTION__._Z13wvSplitKQ_hf_I14__hip_bfloat16N3c1015Float8_e4m3fnuzELi32ELi2ELi16ELi16ELi1ELi4EEviiiiiiPKT0_S5_PKT_PS6_PKfSB_ii@rel32@lo+4
	s_addc_u32 s1, s1, __PRETTY_FUNCTION__._Z13wvSplitKQ_hf_I14__hip_bfloat16N3c1015Float8_e4m3fnuzELi32ELi2ELi16ELi16ELi1ELi4EEviiiiiiPKT0_S5_PKT_PS6_PKfSB_ii@rel32@hi+12
	v_dual_mov_b32 v0, 0x8bf :: v_dual_mov_b32 v1, s0
	v_mov_b32_e32 v2, s1
	s_mov_b32 s32, 0
	s_getpc_b64 s[2:3]
	s_add_u32 s2, s2, __assert_fail@rel32@lo+4
	s_addc_u32 s3, s3, __assert_fail@rel32@hi+12
	s_delay_alu instid0(SALU_CYCLE_1)
	s_swappc_b64 s[30:31], s[2:3]
	.section	.rodata,"a",@progbits
	.p2align	6, 0x0
	.amdhsa_kernel _Z13wvSplitKQ_hf_I14__hip_bfloat16N3c1015Float8_e4m3fnuzELi32ELi2ELi16ELi16ELi1ELi4EEviiiiiiPKT0_S5_PKT_PS6_PKfSB_ii
		.amdhsa_group_segment_fixed_size 0
		.amdhsa_private_segment_fixed_size 64
		.amdhsa_kernarg_size 336
		.amdhsa_user_sgpr_count 15
		.amdhsa_user_sgpr_dispatch_ptr 0
		.amdhsa_user_sgpr_queue_ptr 0
		.amdhsa_user_sgpr_kernarg_segment_ptr 1
		.amdhsa_user_sgpr_dispatch_id 0
		.amdhsa_user_sgpr_private_segment_size 0
		.amdhsa_wavefront_size32 1
		.amdhsa_uses_dynamic_stack 0
		.amdhsa_enable_private_segment 1
		.amdhsa_system_sgpr_workgroup_id_x 1
		.amdhsa_system_sgpr_workgroup_id_y 0
		.amdhsa_system_sgpr_workgroup_id_z 0
		.amdhsa_system_sgpr_workgroup_info 0
		.amdhsa_system_vgpr_workitem_id 0
		.amdhsa_next_free_vgpr 50
		.amdhsa_next_free_sgpr 34
		.amdhsa_reserve_vcc 1
		.amdhsa_float_round_mode_32 0
		.amdhsa_float_round_mode_16_64 0
		.amdhsa_float_denorm_mode_32 3
		.amdhsa_float_denorm_mode_16_64 3
		.amdhsa_dx10_clamp 1
		.amdhsa_ieee_mode 1
		.amdhsa_fp16_overflow 0
		.amdhsa_workgroup_processor_mode 1
		.amdhsa_memory_ordered 1
		.amdhsa_forward_progress 0
		.amdhsa_shared_vgpr_count 0
		.amdhsa_exception_fp_ieee_invalid_op 0
		.amdhsa_exception_fp_denorm_src 0
		.amdhsa_exception_fp_ieee_div_zero 0
		.amdhsa_exception_fp_ieee_overflow 0
		.amdhsa_exception_fp_ieee_underflow 0
		.amdhsa_exception_fp_ieee_inexact 0
		.amdhsa_exception_int_div_zero 0
	.end_amdhsa_kernel
	.section	.text._Z13wvSplitKQ_hf_I14__hip_bfloat16N3c1015Float8_e4m3fnuzELi32ELi2ELi16ELi16ELi1ELi4EEviiiiiiPKT0_S5_PKT_PS6_PKfSB_ii,"axG",@progbits,_Z13wvSplitKQ_hf_I14__hip_bfloat16N3c1015Float8_e4m3fnuzELi32ELi2ELi16ELi16ELi1ELi4EEviiiiiiPKT0_S5_PKT_PS6_PKfSB_ii,comdat
.Lfunc_end399:
	.size	_Z13wvSplitKQ_hf_I14__hip_bfloat16N3c1015Float8_e4m3fnuzELi32ELi2ELi16ELi16ELi1ELi4EEviiiiiiPKT0_S5_PKT_PS6_PKfSB_ii, .Lfunc_end399-_Z13wvSplitKQ_hf_I14__hip_bfloat16N3c1015Float8_e4m3fnuzELi32ELi2ELi16ELi16ELi1ELi4EEviiiiiiPKT0_S5_PKT_PS6_PKfSB_ii
                                        ; -- End function
	.section	.AMDGPU.csdata,"",@progbits
; Kernel info:
; codeLenInByte = 80
; NumSgprs: 36
; NumVgprs: 50
; ScratchSize: 64
; MemoryBound: 0
; FloatMode: 240
; IeeeMode: 1
; LDSByteSize: 0 bytes/workgroup (compile time only)
; SGPRBlocks: 4
; VGPRBlocks: 6
; NumSGPRsForWavesPerEU: 36
; NumVGPRsForWavesPerEU: 50
; Occupancy: 16
; WaveLimiterHint : 1
; COMPUTE_PGM_RSRC2:SCRATCH_EN: 1
; COMPUTE_PGM_RSRC2:USER_SGPR: 15
; COMPUTE_PGM_RSRC2:TRAP_HANDLER: 0
; COMPUTE_PGM_RSRC2:TGID_X_EN: 1
; COMPUTE_PGM_RSRC2:TGID_Y_EN: 0
; COMPUTE_PGM_RSRC2:TGID_Z_EN: 0
; COMPUTE_PGM_RSRC2:TIDIG_COMP_CNT: 0
	.section	.text._Z17wvSplitKQ_hf_sml_I14__hip_bfloat16N3c1015Float8_e4m3fnuzELi64ELi2ELi16ELi16ELi1ELi4EEviiiiiiPKT0_S5_PKT_PS6_PKfSB_ii,"axG",@progbits,_Z17wvSplitKQ_hf_sml_I14__hip_bfloat16N3c1015Float8_e4m3fnuzELi64ELi2ELi16ELi16ELi1ELi4EEviiiiiiPKT0_S5_PKT_PS6_PKfSB_ii,comdat
	.protected	_Z17wvSplitKQ_hf_sml_I14__hip_bfloat16N3c1015Float8_e4m3fnuzELi64ELi2ELi16ELi16ELi1ELi4EEviiiiiiPKT0_S5_PKT_PS6_PKfSB_ii ; -- Begin function _Z17wvSplitKQ_hf_sml_I14__hip_bfloat16N3c1015Float8_e4m3fnuzELi64ELi2ELi16ELi16ELi1ELi4EEviiiiiiPKT0_S5_PKT_PS6_PKfSB_ii
	.globl	_Z17wvSplitKQ_hf_sml_I14__hip_bfloat16N3c1015Float8_e4m3fnuzELi64ELi2ELi16ELi16ELi1ELi4EEviiiiiiPKT0_S5_PKT_PS6_PKfSB_ii
	.p2align	8
	.type	_Z17wvSplitKQ_hf_sml_I14__hip_bfloat16N3c1015Float8_e4m3fnuzELi64ELi2ELi16ELi16ELi1ELi4EEviiiiiiPKT0_S5_PKT_PS6_PKfSB_ii,@function
_Z17wvSplitKQ_hf_sml_I14__hip_bfloat16N3c1015Float8_e4m3fnuzELi64ELi2ELi16ELi16ELi1ELi4EEviiiiiiPKT0_S5_PKT_PS6_PKfSB_ii: ; @_Z17wvSplitKQ_hf_sml_I14__hip_bfloat16N3c1015Float8_e4m3fnuzELi64ELi2ELi16ELi16ELi1ELi4EEviiiiiiPKT0_S5_PKT_PS6_PKfSB_ii
; %bb.0:
	s_add_u32 s8, s0, 0x50
	s_addc_u32 s9, s1, 0
	s_getpc_b64 s[0:1]
	s_add_u32 s0, s0, __PRETTY_FUNCTION__._Z17wvSplitKQ_hf_sml_I14__hip_bfloat16N3c1015Float8_e4m3fnuzELi64ELi2ELi16ELi16ELi1ELi4EEviiiiiiPKT0_S5_PKT_PS6_PKfSB_ii@rel32@lo+4
	s_addc_u32 s1, s1, __PRETTY_FUNCTION__._Z17wvSplitKQ_hf_sml_I14__hip_bfloat16N3c1015Float8_e4m3fnuzELi64ELi2ELi16ELi16ELi1ELi4EEviiiiiiPKT0_S5_PKT_PS6_PKfSB_ii@rel32@hi+12
	v_dual_mov_b32 v0, 0x7fa :: v_dual_mov_b32 v1, s0
	v_mov_b32_e32 v2, s1
	s_mov_b32 s32, 0
	s_getpc_b64 s[2:3]
	s_add_u32 s2, s2, __assert_fail@rel32@lo+4
	s_addc_u32 s3, s3, __assert_fail@rel32@hi+12
	s_delay_alu instid0(SALU_CYCLE_1)
	s_swappc_b64 s[30:31], s[2:3]
	.section	.rodata,"a",@progbits
	.p2align	6, 0x0
	.amdhsa_kernel _Z17wvSplitKQ_hf_sml_I14__hip_bfloat16N3c1015Float8_e4m3fnuzELi64ELi2ELi16ELi16ELi1ELi4EEviiiiiiPKT0_S5_PKT_PS6_PKfSB_ii
		.amdhsa_group_segment_fixed_size 0
		.amdhsa_private_segment_fixed_size 64
		.amdhsa_kernarg_size 336
		.amdhsa_user_sgpr_count 15
		.amdhsa_user_sgpr_dispatch_ptr 0
		.amdhsa_user_sgpr_queue_ptr 0
		.amdhsa_user_sgpr_kernarg_segment_ptr 1
		.amdhsa_user_sgpr_dispatch_id 0
		.amdhsa_user_sgpr_private_segment_size 0
		.amdhsa_wavefront_size32 1
		.amdhsa_uses_dynamic_stack 0
		.amdhsa_enable_private_segment 1
		.amdhsa_system_sgpr_workgroup_id_x 1
		.amdhsa_system_sgpr_workgroup_id_y 0
		.amdhsa_system_sgpr_workgroup_id_z 0
		.amdhsa_system_sgpr_workgroup_info 0
		.amdhsa_system_vgpr_workitem_id 0
		.amdhsa_next_free_vgpr 50
		.amdhsa_next_free_sgpr 34
		.amdhsa_reserve_vcc 1
		.amdhsa_float_round_mode_32 0
		.amdhsa_float_round_mode_16_64 0
		.amdhsa_float_denorm_mode_32 3
		.amdhsa_float_denorm_mode_16_64 3
		.amdhsa_dx10_clamp 1
		.amdhsa_ieee_mode 1
		.amdhsa_fp16_overflow 0
		.amdhsa_workgroup_processor_mode 1
		.amdhsa_memory_ordered 1
		.amdhsa_forward_progress 0
		.amdhsa_shared_vgpr_count 0
		.amdhsa_exception_fp_ieee_invalid_op 0
		.amdhsa_exception_fp_denorm_src 0
		.amdhsa_exception_fp_ieee_div_zero 0
		.amdhsa_exception_fp_ieee_overflow 0
		.amdhsa_exception_fp_ieee_underflow 0
		.amdhsa_exception_fp_ieee_inexact 0
		.amdhsa_exception_int_div_zero 0
	.end_amdhsa_kernel
	.section	.text._Z17wvSplitKQ_hf_sml_I14__hip_bfloat16N3c1015Float8_e4m3fnuzELi64ELi2ELi16ELi16ELi1ELi4EEviiiiiiPKT0_S5_PKT_PS6_PKfSB_ii,"axG",@progbits,_Z17wvSplitKQ_hf_sml_I14__hip_bfloat16N3c1015Float8_e4m3fnuzELi64ELi2ELi16ELi16ELi1ELi4EEviiiiiiPKT0_S5_PKT_PS6_PKfSB_ii,comdat
.Lfunc_end400:
	.size	_Z17wvSplitKQ_hf_sml_I14__hip_bfloat16N3c1015Float8_e4m3fnuzELi64ELi2ELi16ELi16ELi1ELi4EEviiiiiiPKT0_S5_PKT_PS6_PKfSB_ii, .Lfunc_end400-_Z17wvSplitKQ_hf_sml_I14__hip_bfloat16N3c1015Float8_e4m3fnuzELi64ELi2ELi16ELi16ELi1ELi4EEviiiiiiPKT0_S5_PKT_PS6_PKfSB_ii
                                        ; -- End function
	.section	.AMDGPU.csdata,"",@progbits
; Kernel info:
; codeLenInByte = 80
; NumSgprs: 36
; NumVgprs: 50
; ScratchSize: 64
; MemoryBound: 0
; FloatMode: 240
; IeeeMode: 1
; LDSByteSize: 0 bytes/workgroup (compile time only)
; SGPRBlocks: 4
; VGPRBlocks: 6
; NumSGPRsForWavesPerEU: 36
; NumVGPRsForWavesPerEU: 50
; Occupancy: 16
; WaveLimiterHint : 1
; COMPUTE_PGM_RSRC2:SCRATCH_EN: 1
; COMPUTE_PGM_RSRC2:USER_SGPR: 15
; COMPUTE_PGM_RSRC2:TRAP_HANDLER: 0
; COMPUTE_PGM_RSRC2:TGID_X_EN: 1
; COMPUTE_PGM_RSRC2:TGID_Y_EN: 0
; COMPUTE_PGM_RSRC2:TGID_Z_EN: 0
; COMPUTE_PGM_RSRC2:TIDIG_COMP_CNT: 0
	.section	.text._Z13wvSplitKQ_hf_I14__hip_bfloat16N3c1015Float8_e4m3fnuzELi64ELi2ELi16ELi16ELi1ELi4EEviiiiiiPKT0_S5_PKT_PS6_PKfSB_ii,"axG",@progbits,_Z13wvSplitKQ_hf_I14__hip_bfloat16N3c1015Float8_e4m3fnuzELi64ELi2ELi16ELi16ELi1ELi4EEviiiiiiPKT0_S5_PKT_PS6_PKfSB_ii,comdat
	.protected	_Z13wvSplitKQ_hf_I14__hip_bfloat16N3c1015Float8_e4m3fnuzELi64ELi2ELi16ELi16ELi1ELi4EEviiiiiiPKT0_S5_PKT_PS6_PKfSB_ii ; -- Begin function _Z13wvSplitKQ_hf_I14__hip_bfloat16N3c1015Float8_e4m3fnuzELi64ELi2ELi16ELi16ELi1ELi4EEviiiiiiPKT0_S5_PKT_PS6_PKfSB_ii
	.globl	_Z13wvSplitKQ_hf_I14__hip_bfloat16N3c1015Float8_e4m3fnuzELi64ELi2ELi16ELi16ELi1ELi4EEviiiiiiPKT0_S5_PKT_PS6_PKfSB_ii
	.p2align	8
	.type	_Z13wvSplitKQ_hf_I14__hip_bfloat16N3c1015Float8_e4m3fnuzELi64ELi2ELi16ELi16ELi1ELi4EEviiiiiiPKT0_S5_PKT_PS6_PKfSB_ii,@function
_Z13wvSplitKQ_hf_I14__hip_bfloat16N3c1015Float8_e4m3fnuzELi64ELi2ELi16ELi16ELi1ELi4EEviiiiiiPKT0_S5_PKT_PS6_PKfSB_ii: ; @_Z13wvSplitKQ_hf_I14__hip_bfloat16N3c1015Float8_e4m3fnuzELi64ELi2ELi16ELi16ELi1ELi4EEviiiiiiPKT0_S5_PKT_PS6_PKfSB_ii
; %bb.0:
	s_add_u32 s8, s0, 0x50
	s_addc_u32 s9, s1, 0
	s_getpc_b64 s[0:1]
	s_add_u32 s0, s0, __PRETTY_FUNCTION__._Z13wvSplitKQ_hf_I14__hip_bfloat16N3c1015Float8_e4m3fnuzELi64ELi2ELi16ELi16ELi1ELi4EEviiiiiiPKT0_S5_PKT_PS6_PKfSB_ii@rel32@lo+4
	s_addc_u32 s1, s1, __PRETTY_FUNCTION__._Z13wvSplitKQ_hf_I14__hip_bfloat16N3c1015Float8_e4m3fnuzELi64ELi2ELi16ELi16ELi1ELi4EEviiiiiiPKT0_S5_PKT_PS6_PKfSB_ii@rel32@hi+12
	v_dual_mov_b32 v0, 0x8bf :: v_dual_mov_b32 v1, s0
	v_mov_b32_e32 v2, s1
	s_mov_b32 s32, 0
	s_getpc_b64 s[2:3]
	s_add_u32 s2, s2, __assert_fail@rel32@lo+4
	s_addc_u32 s3, s3, __assert_fail@rel32@hi+12
	s_delay_alu instid0(SALU_CYCLE_1)
	s_swappc_b64 s[30:31], s[2:3]
	.section	.rodata,"a",@progbits
	.p2align	6, 0x0
	.amdhsa_kernel _Z13wvSplitKQ_hf_I14__hip_bfloat16N3c1015Float8_e4m3fnuzELi64ELi2ELi16ELi16ELi1ELi4EEviiiiiiPKT0_S5_PKT_PS6_PKfSB_ii
		.amdhsa_group_segment_fixed_size 0
		.amdhsa_private_segment_fixed_size 64
		.amdhsa_kernarg_size 336
		.amdhsa_user_sgpr_count 15
		.amdhsa_user_sgpr_dispatch_ptr 0
		.amdhsa_user_sgpr_queue_ptr 0
		.amdhsa_user_sgpr_kernarg_segment_ptr 1
		.amdhsa_user_sgpr_dispatch_id 0
		.amdhsa_user_sgpr_private_segment_size 0
		.amdhsa_wavefront_size32 1
		.amdhsa_uses_dynamic_stack 0
		.amdhsa_enable_private_segment 1
		.amdhsa_system_sgpr_workgroup_id_x 1
		.amdhsa_system_sgpr_workgroup_id_y 0
		.amdhsa_system_sgpr_workgroup_id_z 0
		.amdhsa_system_sgpr_workgroup_info 0
		.amdhsa_system_vgpr_workitem_id 0
		.amdhsa_next_free_vgpr 50
		.amdhsa_next_free_sgpr 34
		.amdhsa_reserve_vcc 1
		.amdhsa_float_round_mode_32 0
		.amdhsa_float_round_mode_16_64 0
		.amdhsa_float_denorm_mode_32 3
		.amdhsa_float_denorm_mode_16_64 3
		.amdhsa_dx10_clamp 1
		.amdhsa_ieee_mode 1
		.amdhsa_fp16_overflow 0
		.amdhsa_workgroup_processor_mode 1
		.amdhsa_memory_ordered 1
		.amdhsa_forward_progress 0
		.amdhsa_shared_vgpr_count 0
		.amdhsa_exception_fp_ieee_invalid_op 0
		.amdhsa_exception_fp_denorm_src 0
		.amdhsa_exception_fp_ieee_div_zero 0
		.amdhsa_exception_fp_ieee_overflow 0
		.amdhsa_exception_fp_ieee_underflow 0
		.amdhsa_exception_fp_ieee_inexact 0
		.amdhsa_exception_int_div_zero 0
	.end_amdhsa_kernel
	.section	.text._Z13wvSplitKQ_hf_I14__hip_bfloat16N3c1015Float8_e4m3fnuzELi64ELi2ELi16ELi16ELi1ELi4EEviiiiiiPKT0_S5_PKT_PS6_PKfSB_ii,"axG",@progbits,_Z13wvSplitKQ_hf_I14__hip_bfloat16N3c1015Float8_e4m3fnuzELi64ELi2ELi16ELi16ELi1ELi4EEviiiiiiPKT0_S5_PKT_PS6_PKfSB_ii,comdat
.Lfunc_end401:
	.size	_Z13wvSplitKQ_hf_I14__hip_bfloat16N3c1015Float8_e4m3fnuzELi64ELi2ELi16ELi16ELi1ELi4EEviiiiiiPKT0_S5_PKT_PS6_PKfSB_ii, .Lfunc_end401-_Z13wvSplitKQ_hf_I14__hip_bfloat16N3c1015Float8_e4m3fnuzELi64ELi2ELi16ELi16ELi1ELi4EEviiiiiiPKT0_S5_PKT_PS6_PKfSB_ii
                                        ; -- End function
	.section	.AMDGPU.csdata,"",@progbits
; Kernel info:
; codeLenInByte = 80
; NumSgprs: 36
; NumVgprs: 50
; ScratchSize: 64
; MemoryBound: 0
; FloatMode: 240
; IeeeMode: 1
; LDSByteSize: 0 bytes/workgroup (compile time only)
; SGPRBlocks: 4
; VGPRBlocks: 6
; NumSGPRsForWavesPerEU: 36
; NumVGPRsForWavesPerEU: 50
; Occupancy: 16
; WaveLimiterHint : 1
; COMPUTE_PGM_RSRC2:SCRATCH_EN: 1
; COMPUTE_PGM_RSRC2:USER_SGPR: 15
; COMPUTE_PGM_RSRC2:TRAP_HANDLER: 0
; COMPUTE_PGM_RSRC2:TGID_X_EN: 1
; COMPUTE_PGM_RSRC2:TGID_Y_EN: 0
; COMPUTE_PGM_RSRC2:TGID_Z_EN: 0
; COMPUTE_PGM_RSRC2:TIDIG_COMP_CNT: 0
	.text
	.p2alignl 7, 3214868480
	.fill 96, 4, 3214868480
	.type	__const.__assert_fail.fmt,@object ; @__const.__assert_fail.fmt
	.section	.rodata.str1.16,"aMS",@progbits,1
	.p2align	4, 0x0
__const.__assert_fail.fmt:
	.asciz	"%s:%u: %s: Device-side assertion `%s' failed.\n"
	.size	__const.__assert_fail.fmt, 47

	.type	.str.1,@object                  ; @.str.1
	.section	.rodata.str1.1,"aMS",@progbits,1
.str.1:
	.asciz	"false"
	.size	.str.1, 6

	.type	.str.2,@object                  ; @.str.2
.str.2:
	.asciz	"/root/src/amdgpu-assembly/repos/vllm-project__vllm/csrc/rocm/skinny_gemms.hip"
	.size	.str.2, 78

	.type	__PRETTY_FUNCTION__._Z11wvSplitKrc_I6__halfLi64ELi16ELi4ELi8ELi1ELi16ELi1ELi1ELi1EEviiiiiiPKT_S3_S3_PfPiPS1_i,@object ; @__PRETTY_FUNCTION__._Z11wvSplitKrc_I6__halfLi64ELi16ELi4ELi8ELi1ELi16ELi1ELi1ELi1EEviiiiiiPKT_S3_S3_PfPiPS1_i
__PRETTY_FUNCTION__._Z11wvSplitKrc_I6__halfLi64ELi16ELi4ELi8ELi1ELi16ELi1ELi1ELi1EEviiiiiiPKT_S3_S3_PfPiPS1_i:
	.asciz	"void wvSplitKrc_(const int, const int, const int, const int, const int, const int, const scalar_t *, const scalar_t *__restrict, const scalar_t *__restrict, float *, int *, scalar_t *, const int) [scalar_t = __half, THRDS = 64, YTILE = 16, WvPrGrp = 4, A_CHUNK = 8, UNRL = 1, N = 16, GrpsShrB = 1, CHUNKK = 1, DTRMNSTC = 1]"
	.size	__PRETTY_FUNCTION__._Z11wvSplitKrc_I6__halfLi64ELi16ELi4ELi8ELi1ELi16ELi1ELi1ELi1EEviiiiiiPKT_S3_S3_PfPiPS1_i, 324

	.type	__PRETTY_FUNCTION__._Z11wvSplitKrc_I6__halfLi64ELi16ELi4ELi8ELi1ELi16ELi1ELi1ELi0EEviiiiiiPKT_S3_S3_PfPiPS1_i,@object ; @__PRETTY_FUNCTION__._Z11wvSplitKrc_I6__halfLi64ELi16ELi4ELi8ELi1ELi16ELi1ELi1ELi0EEviiiiiiPKT_S3_S3_PfPiPS1_i
__PRETTY_FUNCTION__._Z11wvSplitKrc_I6__halfLi64ELi16ELi4ELi8ELi1ELi16ELi1ELi1ELi0EEviiiiiiPKT_S3_S3_PfPiPS1_i:
	.asciz	"void wvSplitKrc_(const int, const int, const int, const int, const int, const int, const scalar_t *, const scalar_t *__restrict, const scalar_t *__restrict, float *, int *, scalar_t *, const int) [scalar_t = __half, THRDS = 64, YTILE = 16, WvPrGrp = 4, A_CHUNK = 8, UNRL = 1, N = 16, GrpsShrB = 1, CHUNKK = 1, DTRMNSTC = 0]"
	.size	__PRETTY_FUNCTION__._Z11wvSplitKrc_I6__halfLi64ELi16ELi4ELi8ELi1ELi16ELi1ELi1ELi0EEviiiiiiPKT_S3_S3_PfPiPS1_i, 324

	.type	__PRETTY_FUNCTION__._Z11wvSplitKrc_I6__halfLi64ELi16ELi4ELi8ELi1ELi32ELi2ELi2ELi1EEviiiiiiPKT_S3_S3_PfPiPS1_i,@object ; @__PRETTY_FUNCTION__._Z11wvSplitKrc_I6__halfLi64ELi16ELi4ELi8ELi1ELi32ELi2ELi2ELi1EEviiiiiiPKT_S3_S3_PfPiPS1_i
__PRETTY_FUNCTION__._Z11wvSplitKrc_I6__halfLi64ELi16ELi4ELi8ELi1ELi32ELi2ELi2ELi1EEviiiiiiPKT_S3_S3_PfPiPS1_i:
	.asciz	"void wvSplitKrc_(const int, const int, const int, const int, const int, const int, const scalar_t *, const scalar_t *__restrict, const scalar_t *__restrict, float *, int *, scalar_t *, const int) [scalar_t = __half, THRDS = 64, YTILE = 16, WvPrGrp = 4, A_CHUNK = 8, UNRL = 1, N = 32, GrpsShrB = 2, CHUNKK = 2, DTRMNSTC = 1]"
	.size	__PRETTY_FUNCTION__._Z11wvSplitKrc_I6__halfLi64ELi16ELi4ELi8ELi1ELi32ELi2ELi2ELi1EEviiiiiiPKT_S3_S3_PfPiPS1_i, 324

	.type	__PRETTY_FUNCTION__._Z11wvSplitKrc_I6__halfLi64ELi16ELi4ELi8ELi1ELi32ELi2ELi2ELi0EEviiiiiiPKT_S3_S3_PfPiPS1_i,@object ; @__PRETTY_FUNCTION__._Z11wvSplitKrc_I6__halfLi64ELi16ELi4ELi8ELi1ELi32ELi2ELi2ELi0EEviiiiiiPKT_S3_S3_PfPiPS1_i
__PRETTY_FUNCTION__._Z11wvSplitKrc_I6__halfLi64ELi16ELi4ELi8ELi1ELi32ELi2ELi2ELi0EEviiiiiiPKT_S3_S3_PfPiPS1_i:
	.asciz	"void wvSplitKrc_(const int, const int, const int, const int, const int, const int, const scalar_t *, const scalar_t *__restrict, const scalar_t *__restrict, float *, int *, scalar_t *, const int) [scalar_t = __half, THRDS = 64, YTILE = 16, WvPrGrp = 4, A_CHUNK = 8, UNRL = 1, N = 32, GrpsShrB = 2, CHUNKK = 2, DTRMNSTC = 0]"
	.size	__PRETTY_FUNCTION__._Z11wvSplitKrc_I6__halfLi64ELi16ELi4ELi8ELi1ELi32ELi2ELi2ELi0EEviiiiiiPKT_S3_S3_PfPiPS1_i, 324

	.type	__PRETTY_FUNCTION__._Z11wvSplitKrc_I6__halfLi64ELi16ELi4ELi8ELi1ELi32ELi2ELi1ELi1EEviiiiiiPKT_S3_S3_PfPiPS1_i,@object ; @__PRETTY_FUNCTION__._Z11wvSplitKrc_I6__halfLi64ELi16ELi4ELi8ELi1ELi32ELi2ELi1ELi1EEviiiiiiPKT_S3_S3_PfPiPS1_i
__PRETTY_FUNCTION__._Z11wvSplitKrc_I6__halfLi64ELi16ELi4ELi8ELi1ELi32ELi2ELi1ELi1EEviiiiiiPKT_S3_S3_PfPiPS1_i:
	.asciz	"void wvSplitKrc_(const int, const int, const int, const int, const int, const int, const scalar_t *, const scalar_t *__restrict, const scalar_t *__restrict, float *, int *, scalar_t *, const int) [scalar_t = __half, THRDS = 64, YTILE = 16, WvPrGrp = 4, A_CHUNK = 8, UNRL = 1, N = 32, GrpsShrB = 2, CHUNKK = 1, DTRMNSTC = 1]"
	.size	__PRETTY_FUNCTION__._Z11wvSplitKrc_I6__halfLi64ELi16ELi4ELi8ELi1ELi32ELi2ELi1ELi1EEviiiiiiPKT_S3_S3_PfPiPS1_i, 324

	.type	__PRETTY_FUNCTION__._Z11wvSplitKrc_I6__halfLi64ELi16ELi4ELi8ELi1ELi32ELi2ELi1ELi0EEviiiiiiPKT_S3_S3_PfPiPS1_i,@object ; @__PRETTY_FUNCTION__._Z11wvSplitKrc_I6__halfLi64ELi16ELi4ELi8ELi1ELi32ELi2ELi1ELi0EEviiiiiiPKT_S3_S3_PfPiPS1_i
__PRETTY_FUNCTION__._Z11wvSplitKrc_I6__halfLi64ELi16ELi4ELi8ELi1ELi32ELi2ELi1ELi0EEviiiiiiPKT_S3_S3_PfPiPS1_i:
	.asciz	"void wvSplitKrc_(const int, const int, const int, const int, const int, const int, const scalar_t *, const scalar_t *__restrict, const scalar_t *__restrict, float *, int *, scalar_t *, const int) [scalar_t = __half, THRDS = 64, YTILE = 16, WvPrGrp = 4, A_CHUNK = 8, UNRL = 1, N = 32, GrpsShrB = 2, CHUNKK = 1, DTRMNSTC = 0]"
	.size	__PRETTY_FUNCTION__._Z11wvSplitKrc_I6__halfLi64ELi16ELi4ELi8ELi1ELi32ELi2ELi1ELi0EEviiiiiiPKT_S3_S3_PfPiPS1_i, 324

	.type	__PRETTY_FUNCTION__._Z11wvSplitKrc_I6__halfLi64ELi16ELi4ELi8ELi1ELi64ELi4ELi2ELi1EEviiiiiiPKT_S3_S3_PfPiPS1_i,@object ; @__PRETTY_FUNCTION__._Z11wvSplitKrc_I6__halfLi64ELi16ELi4ELi8ELi1ELi64ELi4ELi2ELi1EEviiiiiiPKT_S3_S3_PfPiPS1_i
__PRETTY_FUNCTION__._Z11wvSplitKrc_I6__halfLi64ELi16ELi4ELi8ELi1ELi64ELi4ELi2ELi1EEviiiiiiPKT_S3_S3_PfPiPS1_i:
	.asciz	"void wvSplitKrc_(const int, const int, const int, const int, const int, const int, const scalar_t *, const scalar_t *__restrict, const scalar_t *__restrict, float *, int *, scalar_t *, const int) [scalar_t = __half, THRDS = 64, YTILE = 16, WvPrGrp = 4, A_CHUNK = 8, UNRL = 1, N = 64, GrpsShrB = 4, CHUNKK = 2, DTRMNSTC = 1]"
	.size	__PRETTY_FUNCTION__._Z11wvSplitKrc_I6__halfLi64ELi16ELi4ELi8ELi1ELi64ELi4ELi2ELi1EEviiiiiiPKT_S3_S3_PfPiPS1_i, 324

	.type	__PRETTY_FUNCTION__._Z11wvSplitKrc_I6__halfLi64ELi16ELi4ELi8ELi1ELi64ELi4ELi2ELi0EEviiiiiiPKT_S3_S3_PfPiPS1_i,@object ; @__PRETTY_FUNCTION__._Z11wvSplitKrc_I6__halfLi64ELi16ELi4ELi8ELi1ELi64ELi4ELi2ELi0EEviiiiiiPKT_S3_S3_PfPiPS1_i
__PRETTY_FUNCTION__._Z11wvSplitKrc_I6__halfLi64ELi16ELi4ELi8ELi1ELi64ELi4ELi2ELi0EEviiiiiiPKT_S3_S3_PfPiPS1_i:
	.asciz	"void wvSplitKrc_(const int, const int, const int, const int, const int, const int, const scalar_t *, const scalar_t *__restrict, const scalar_t *__restrict, float *, int *, scalar_t *, const int) [scalar_t = __half, THRDS = 64, YTILE = 16, WvPrGrp = 4, A_CHUNK = 8, UNRL = 1, N = 64, GrpsShrB = 4, CHUNKK = 2, DTRMNSTC = 0]"
	.size	__PRETTY_FUNCTION__._Z11wvSplitKrc_I6__halfLi64ELi16ELi4ELi8ELi1ELi64ELi4ELi2ELi0EEviiiiiiPKT_S3_S3_PfPiPS1_i, 324

	.type	__PRETTY_FUNCTION__._Z11wvSplitKrc_I6__halfLi64ELi16ELi4ELi8ELi1ELi64ELi4ELi1ELi1EEviiiiiiPKT_S3_S3_PfPiPS1_i,@object ; @__PRETTY_FUNCTION__._Z11wvSplitKrc_I6__halfLi64ELi16ELi4ELi8ELi1ELi64ELi4ELi1ELi1EEviiiiiiPKT_S3_S3_PfPiPS1_i
__PRETTY_FUNCTION__._Z11wvSplitKrc_I6__halfLi64ELi16ELi4ELi8ELi1ELi64ELi4ELi1ELi1EEviiiiiiPKT_S3_S3_PfPiPS1_i:
	.asciz	"void wvSplitKrc_(const int, const int, const int, const int, const int, const int, const scalar_t *, const scalar_t *__restrict, const scalar_t *__restrict, float *, int *, scalar_t *, const int) [scalar_t = __half, THRDS = 64, YTILE = 16, WvPrGrp = 4, A_CHUNK = 8, UNRL = 1, N = 64, GrpsShrB = 4, CHUNKK = 1, DTRMNSTC = 1]"
	.size	__PRETTY_FUNCTION__._Z11wvSplitKrc_I6__halfLi64ELi16ELi4ELi8ELi1ELi64ELi4ELi1ELi1EEviiiiiiPKT_S3_S3_PfPiPS1_i, 324

	.type	__PRETTY_FUNCTION__._Z11wvSplitKrc_I6__halfLi64ELi16ELi4ELi8ELi1ELi64ELi4ELi1ELi0EEviiiiiiPKT_S3_S3_PfPiPS1_i,@object ; @__PRETTY_FUNCTION__._Z11wvSplitKrc_I6__halfLi64ELi16ELi4ELi8ELi1ELi64ELi4ELi1ELi0EEviiiiiiPKT_S3_S3_PfPiPS1_i
__PRETTY_FUNCTION__._Z11wvSplitKrc_I6__halfLi64ELi16ELi4ELi8ELi1ELi64ELi4ELi1ELi0EEviiiiiiPKT_S3_S3_PfPiPS1_i:
	.asciz	"void wvSplitKrc_(const int, const int, const int, const int, const int, const int, const scalar_t *, const scalar_t *__restrict, const scalar_t *__restrict, float *, int *, scalar_t *, const int) [scalar_t = __half, THRDS = 64, YTILE = 16, WvPrGrp = 4, A_CHUNK = 8, UNRL = 1, N = 64, GrpsShrB = 4, CHUNKK = 1, DTRMNSTC = 0]"
	.size	__PRETTY_FUNCTION__._Z11wvSplitKrc_I6__halfLi64ELi16ELi4ELi8ELi1ELi64ELi4ELi1ELi0EEviiiiiiPKT_S3_S3_PfPiPS1_i, 324

	.type	__PRETTY_FUNCTION__._Z11wvSplitKrc_I6__halfLi64ELi16ELi4ELi8ELi1ELi128ELi4ELi2ELi1EEviiiiiiPKT_S3_S3_PfPiPS1_i,@object ; @__PRETTY_FUNCTION__._Z11wvSplitKrc_I6__halfLi64ELi16ELi4ELi8ELi1ELi128ELi4ELi2ELi1EEviiiiiiPKT_S3_S3_PfPiPS1_i
__PRETTY_FUNCTION__._Z11wvSplitKrc_I6__halfLi64ELi16ELi4ELi8ELi1ELi128ELi4ELi2ELi1EEviiiiiiPKT_S3_S3_PfPiPS1_i:
	.asciz	"void wvSplitKrc_(const int, const int, const int, const int, const int, const int, const scalar_t *, const scalar_t *__restrict, const scalar_t *__restrict, float *, int *, scalar_t *, const int) [scalar_t = __half, THRDS = 64, YTILE = 16, WvPrGrp = 4, A_CHUNK = 8, UNRL = 1, N = 128, GrpsShrB = 4, CHUNKK = 2, DTRMNSTC = 1]"
	.size	__PRETTY_FUNCTION__._Z11wvSplitKrc_I6__halfLi64ELi16ELi4ELi8ELi1ELi128ELi4ELi2ELi1EEviiiiiiPKT_S3_S3_PfPiPS1_i, 325

	.type	__PRETTY_FUNCTION__._Z11wvSplitKrc_I6__halfLi64ELi16ELi4ELi8ELi1ELi128ELi4ELi2ELi0EEviiiiiiPKT_S3_S3_PfPiPS1_i,@object ; @__PRETTY_FUNCTION__._Z11wvSplitKrc_I6__halfLi64ELi16ELi4ELi8ELi1ELi128ELi4ELi2ELi0EEviiiiiiPKT_S3_S3_PfPiPS1_i
__PRETTY_FUNCTION__._Z11wvSplitKrc_I6__halfLi64ELi16ELi4ELi8ELi1ELi128ELi4ELi2ELi0EEviiiiiiPKT_S3_S3_PfPiPS1_i:
	.asciz	"void wvSplitKrc_(const int, const int, const int, const int, const int, const int, const scalar_t *, const scalar_t *__restrict, const scalar_t *__restrict, float *, int *, scalar_t *, const int) [scalar_t = __half, THRDS = 64, YTILE = 16, WvPrGrp = 4, A_CHUNK = 8, UNRL = 1, N = 128, GrpsShrB = 4, CHUNKK = 2, DTRMNSTC = 0]"
	.size	__PRETTY_FUNCTION__._Z11wvSplitKrc_I6__halfLi64ELi16ELi4ELi8ELi1ELi128ELi4ELi2ELi0EEviiiiiiPKT_S3_S3_PfPiPS1_i, 325

	.type	__PRETTY_FUNCTION__._Z11wvSplitKrc_I6__halfLi64ELi16ELi4ELi8ELi1ELi128ELi4ELi1ELi1EEviiiiiiPKT_S3_S3_PfPiPS1_i,@object ; @__PRETTY_FUNCTION__._Z11wvSplitKrc_I6__halfLi64ELi16ELi4ELi8ELi1ELi128ELi4ELi1ELi1EEviiiiiiPKT_S3_S3_PfPiPS1_i
__PRETTY_FUNCTION__._Z11wvSplitKrc_I6__halfLi64ELi16ELi4ELi8ELi1ELi128ELi4ELi1ELi1EEviiiiiiPKT_S3_S3_PfPiPS1_i:
	.asciz	"void wvSplitKrc_(const int, const int, const int, const int, const int, const int, const scalar_t *, const scalar_t *__restrict, const scalar_t *__restrict, float *, int *, scalar_t *, const int) [scalar_t = __half, THRDS = 64, YTILE = 16, WvPrGrp = 4, A_CHUNK = 8, UNRL = 1, N = 128, GrpsShrB = 4, CHUNKK = 1, DTRMNSTC = 1]"
	.size	__PRETTY_FUNCTION__._Z11wvSplitKrc_I6__halfLi64ELi16ELi4ELi8ELi1ELi128ELi4ELi1ELi1EEviiiiiiPKT_S3_S3_PfPiPS1_i, 325

	.type	__PRETTY_FUNCTION__._Z11wvSplitKrc_I6__halfLi64ELi16ELi4ELi8ELi1ELi128ELi4ELi1ELi0EEviiiiiiPKT_S3_S3_PfPiPS1_i,@object ; @__PRETTY_FUNCTION__._Z11wvSplitKrc_I6__halfLi64ELi16ELi4ELi8ELi1ELi128ELi4ELi1ELi0EEviiiiiiPKT_S3_S3_PfPiPS1_i
__PRETTY_FUNCTION__._Z11wvSplitKrc_I6__halfLi64ELi16ELi4ELi8ELi1ELi128ELi4ELi1ELi0EEviiiiiiPKT_S3_S3_PfPiPS1_i:
	.asciz	"void wvSplitKrc_(const int, const int, const int, const int, const int, const int, const scalar_t *, const scalar_t *__restrict, const scalar_t *__restrict, float *, int *, scalar_t *, const int) [scalar_t = __half, THRDS = 64, YTILE = 16, WvPrGrp = 4, A_CHUNK = 8, UNRL = 1, N = 128, GrpsShrB = 4, CHUNKK = 1, DTRMNSTC = 0]"
	.size	__PRETTY_FUNCTION__._Z11wvSplitKrc_I6__halfLi64ELi16ELi4ELi8ELi1ELi128ELi4ELi1ELi0EEviiiiiiPKT_S3_S3_PfPiPS1_i, 325

	.type	__PRETTY_FUNCTION__._Z11wvSplitKrc_I14__hip_bfloat16Li64ELi16ELi4ELi8ELi1ELi16ELi1ELi1ELi1EEviiiiiiPKT_S3_S3_PfPiPS1_i,@object ; @__PRETTY_FUNCTION__._Z11wvSplitKrc_I14__hip_bfloat16Li64ELi16ELi4ELi8ELi1ELi16ELi1ELi1ELi1EEviiiiiiPKT_S3_S3_PfPiPS1_i
__PRETTY_FUNCTION__._Z11wvSplitKrc_I14__hip_bfloat16Li64ELi16ELi4ELi8ELi1ELi16ELi1ELi1ELi1EEviiiiiiPKT_S3_S3_PfPiPS1_i:
	.asciz	"void wvSplitKrc_(const int, const int, const int, const int, const int, const int, const scalar_t *, const scalar_t *__restrict, const scalar_t *__restrict, float *, int *, scalar_t *, const int) [scalar_t = __hip_bfloat16, THRDS = 64, YTILE = 16, WvPrGrp = 4, A_CHUNK = 8, UNRL = 1, N = 16, GrpsShrB = 1, CHUNKK = 1, DTRMNSTC = 1]"
	.size	__PRETTY_FUNCTION__._Z11wvSplitKrc_I14__hip_bfloat16Li64ELi16ELi4ELi8ELi1ELi16ELi1ELi1ELi1EEviiiiiiPKT_S3_S3_PfPiPS1_i, 332

	.type	__PRETTY_FUNCTION__._Z11wvSplitKrc_I14__hip_bfloat16Li64ELi16ELi4ELi8ELi1ELi16ELi1ELi1ELi0EEviiiiiiPKT_S3_S3_PfPiPS1_i,@object ; @__PRETTY_FUNCTION__._Z11wvSplitKrc_I14__hip_bfloat16Li64ELi16ELi4ELi8ELi1ELi16ELi1ELi1ELi0EEviiiiiiPKT_S3_S3_PfPiPS1_i
__PRETTY_FUNCTION__._Z11wvSplitKrc_I14__hip_bfloat16Li64ELi16ELi4ELi8ELi1ELi16ELi1ELi1ELi0EEviiiiiiPKT_S3_S3_PfPiPS1_i:
	.asciz	"void wvSplitKrc_(const int, const int, const int, const int, const int, const int, const scalar_t *, const scalar_t *__restrict, const scalar_t *__restrict, float *, int *, scalar_t *, const int) [scalar_t = __hip_bfloat16, THRDS = 64, YTILE = 16, WvPrGrp = 4, A_CHUNK = 8, UNRL = 1, N = 16, GrpsShrB = 1, CHUNKK = 1, DTRMNSTC = 0]"
	.size	__PRETTY_FUNCTION__._Z11wvSplitKrc_I14__hip_bfloat16Li64ELi16ELi4ELi8ELi1ELi16ELi1ELi1ELi0EEviiiiiiPKT_S3_S3_PfPiPS1_i, 332

	.type	__PRETTY_FUNCTION__._Z11wvSplitKrc_I14__hip_bfloat16Li64ELi16ELi4ELi8ELi1ELi32ELi2ELi2ELi1EEviiiiiiPKT_S3_S3_PfPiPS1_i,@object ; @__PRETTY_FUNCTION__._Z11wvSplitKrc_I14__hip_bfloat16Li64ELi16ELi4ELi8ELi1ELi32ELi2ELi2ELi1EEviiiiiiPKT_S3_S3_PfPiPS1_i
__PRETTY_FUNCTION__._Z11wvSplitKrc_I14__hip_bfloat16Li64ELi16ELi4ELi8ELi1ELi32ELi2ELi2ELi1EEviiiiiiPKT_S3_S3_PfPiPS1_i:
	.asciz	"void wvSplitKrc_(const int, const int, const int, const int, const int, const int, const scalar_t *, const scalar_t *__restrict, const scalar_t *__restrict, float *, int *, scalar_t *, const int) [scalar_t = __hip_bfloat16, THRDS = 64, YTILE = 16, WvPrGrp = 4, A_CHUNK = 8, UNRL = 1, N = 32, GrpsShrB = 2, CHUNKK = 2, DTRMNSTC = 1]"
	.size	__PRETTY_FUNCTION__._Z11wvSplitKrc_I14__hip_bfloat16Li64ELi16ELi4ELi8ELi1ELi32ELi2ELi2ELi1EEviiiiiiPKT_S3_S3_PfPiPS1_i, 332

	.type	__PRETTY_FUNCTION__._Z11wvSplitKrc_I14__hip_bfloat16Li64ELi16ELi4ELi8ELi1ELi32ELi2ELi2ELi0EEviiiiiiPKT_S3_S3_PfPiPS1_i,@object ; @__PRETTY_FUNCTION__._Z11wvSplitKrc_I14__hip_bfloat16Li64ELi16ELi4ELi8ELi1ELi32ELi2ELi2ELi0EEviiiiiiPKT_S3_S3_PfPiPS1_i
__PRETTY_FUNCTION__._Z11wvSplitKrc_I14__hip_bfloat16Li64ELi16ELi4ELi8ELi1ELi32ELi2ELi2ELi0EEviiiiiiPKT_S3_S3_PfPiPS1_i:
	.asciz	"void wvSplitKrc_(const int, const int, const int, const int, const int, const int, const scalar_t *, const scalar_t *__restrict, const scalar_t *__restrict, float *, int *, scalar_t *, const int) [scalar_t = __hip_bfloat16, THRDS = 64, YTILE = 16, WvPrGrp = 4, A_CHUNK = 8, UNRL = 1, N = 32, GrpsShrB = 2, CHUNKK = 2, DTRMNSTC = 0]"
	.size	__PRETTY_FUNCTION__._Z11wvSplitKrc_I14__hip_bfloat16Li64ELi16ELi4ELi8ELi1ELi32ELi2ELi2ELi0EEviiiiiiPKT_S3_S3_PfPiPS1_i, 332

	.type	__PRETTY_FUNCTION__._Z11wvSplitKrc_I14__hip_bfloat16Li64ELi16ELi4ELi8ELi1ELi32ELi2ELi1ELi1EEviiiiiiPKT_S3_S3_PfPiPS1_i,@object ; @__PRETTY_FUNCTION__._Z11wvSplitKrc_I14__hip_bfloat16Li64ELi16ELi4ELi8ELi1ELi32ELi2ELi1ELi1EEviiiiiiPKT_S3_S3_PfPiPS1_i
__PRETTY_FUNCTION__._Z11wvSplitKrc_I14__hip_bfloat16Li64ELi16ELi4ELi8ELi1ELi32ELi2ELi1ELi1EEviiiiiiPKT_S3_S3_PfPiPS1_i:
	.asciz	"void wvSplitKrc_(const int, const int, const int, const int, const int, const int, const scalar_t *, const scalar_t *__restrict, const scalar_t *__restrict, float *, int *, scalar_t *, const int) [scalar_t = __hip_bfloat16, THRDS = 64, YTILE = 16, WvPrGrp = 4, A_CHUNK = 8, UNRL = 1, N = 32, GrpsShrB = 2, CHUNKK = 1, DTRMNSTC = 1]"
	.size	__PRETTY_FUNCTION__._Z11wvSplitKrc_I14__hip_bfloat16Li64ELi16ELi4ELi8ELi1ELi32ELi2ELi1ELi1EEviiiiiiPKT_S3_S3_PfPiPS1_i, 332

	.type	__PRETTY_FUNCTION__._Z11wvSplitKrc_I14__hip_bfloat16Li64ELi16ELi4ELi8ELi1ELi32ELi2ELi1ELi0EEviiiiiiPKT_S3_S3_PfPiPS1_i,@object ; @__PRETTY_FUNCTION__._Z11wvSplitKrc_I14__hip_bfloat16Li64ELi16ELi4ELi8ELi1ELi32ELi2ELi1ELi0EEviiiiiiPKT_S3_S3_PfPiPS1_i
__PRETTY_FUNCTION__._Z11wvSplitKrc_I14__hip_bfloat16Li64ELi16ELi4ELi8ELi1ELi32ELi2ELi1ELi0EEviiiiiiPKT_S3_S3_PfPiPS1_i:
	.asciz	"void wvSplitKrc_(const int, const int, const int, const int, const int, const int, const scalar_t *, const scalar_t *__restrict, const scalar_t *__restrict, float *, int *, scalar_t *, const int) [scalar_t = __hip_bfloat16, THRDS = 64, YTILE = 16, WvPrGrp = 4, A_CHUNK = 8, UNRL = 1, N = 32, GrpsShrB = 2, CHUNKK = 1, DTRMNSTC = 0]"
	.size	__PRETTY_FUNCTION__._Z11wvSplitKrc_I14__hip_bfloat16Li64ELi16ELi4ELi8ELi1ELi32ELi2ELi1ELi0EEviiiiiiPKT_S3_S3_PfPiPS1_i, 332

	.type	__PRETTY_FUNCTION__._Z11wvSplitKrc_I14__hip_bfloat16Li64ELi16ELi4ELi8ELi1ELi64ELi4ELi2ELi1EEviiiiiiPKT_S3_S3_PfPiPS1_i,@object ; @__PRETTY_FUNCTION__._Z11wvSplitKrc_I14__hip_bfloat16Li64ELi16ELi4ELi8ELi1ELi64ELi4ELi2ELi1EEviiiiiiPKT_S3_S3_PfPiPS1_i
__PRETTY_FUNCTION__._Z11wvSplitKrc_I14__hip_bfloat16Li64ELi16ELi4ELi8ELi1ELi64ELi4ELi2ELi1EEviiiiiiPKT_S3_S3_PfPiPS1_i:
	.asciz	"void wvSplitKrc_(const int, const int, const int, const int, const int, const int, const scalar_t *, const scalar_t *__restrict, const scalar_t *__restrict, float *, int *, scalar_t *, const int) [scalar_t = __hip_bfloat16, THRDS = 64, YTILE = 16, WvPrGrp = 4, A_CHUNK = 8, UNRL = 1, N = 64, GrpsShrB = 4, CHUNKK = 2, DTRMNSTC = 1]"
	.size	__PRETTY_FUNCTION__._Z11wvSplitKrc_I14__hip_bfloat16Li64ELi16ELi4ELi8ELi1ELi64ELi4ELi2ELi1EEviiiiiiPKT_S3_S3_PfPiPS1_i, 332

	.type	__PRETTY_FUNCTION__._Z11wvSplitKrc_I14__hip_bfloat16Li64ELi16ELi4ELi8ELi1ELi64ELi4ELi2ELi0EEviiiiiiPKT_S3_S3_PfPiPS1_i,@object ; @__PRETTY_FUNCTION__._Z11wvSplitKrc_I14__hip_bfloat16Li64ELi16ELi4ELi8ELi1ELi64ELi4ELi2ELi0EEviiiiiiPKT_S3_S3_PfPiPS1_i
__PRETTY_FUNCTION__._Z11wvSplitKrc_I14__hip_bfloat16Li64ELi16ELi4ELi8ELi1ELi64ELi4ELi2ELi0EEviiiiiiPKT_S3_S3_PfPiPS1_i:
	.asciz	"void wvSplitKrc_(const int, const int, const int, const int, const int, const int, const scalar_t *, const scalar_t *__restrict, const scalar_t *__restrict, float *, int *, scalar_t *, const int) [scalar_t = __hip_bfloat16, THRDS = 64, YTILE = 16, WvPrGrp = 4, A_CHUNK = 8, UNRL = 1, N = 64, GrpsShrB = 4, CHUNKK = 2, DTRMNSTC = 0]"
	.size	__PRETTY_FUNCTION__._Z11wvSplitKrc_I14__hip_bfloat16Li64ELi16ELi4ELi8ELi1ELi64ELi4ELi2ELi0EEviiiiiiPKT_S3_S3_PfPiPS1_i, 332

	.type	__PRETTY_FUNCTION__._Z11wvSplitKrc_I14__hip_bfloat16Li64ELi16ELi4ELi8ELi1ELi64ELi4ELi1ELi1EEviiiiiiPKT_S3_S3_PfPiPS1_i,@object ; @__PRETTY_FUNCTION__._Z11wvSplitKrc_I14__hip_bfloat16Li64ELi16ELi4ELi8ELi1ELi64ELi4ELi1ELi1EEviiiiiiPKT_S3_S3_PfPiPS1_i
__PRETTY_FUNCTION__._Z11wvSplitKrc_I14__hip_bfloat16Li64ELi16ELi4ELi8ELi1ELi64ELi4ELi1ELi1EEviiiiiiPKT_S3_S3_PfPiPS1_i:
	.asciz	"void wvSplitKrc_(const int, const int, const int, const int, const int, const int, const scalar_t *, const scalar_t *__restrict, const scalar_t *__restrict, float *, int *, scalar_t *, const int) [scalar_t = __hip_bfloat16, THRDS = 64, YTILE = 16, WvPrGrp = 4, A_CHUNK = 8, UNRL = 1, N = 64, GrpsShrB = 4, CHUNKK = 1, DTRMNSTC = 1]"
	.size	__PRETTY_FUNCTION__._Z11wvSplitKrc_I14__hip_bfloat16Li64ELi16ELi4ELi8ELi1ELi64ELi4ELi1ELi1EEviiiiiiPKT_S3_S3_PfPiPS1_i, 332

	.type	__PRETTY_FUNCTION__._Z11wvSplitKrc_I14__hip_bfloat16Li64ELi16ELi4ELi8ELi1ELi64ELi4ELi1ELi0EEviiiiiiPKT_S3_S3_PfPiPS1_i,@object ; @__PRETTY_FUNCTION__._Z11wvSplitKrc_I14__hip_bfloat16Li64ELi16ELi4ELi8ELi1ELi64ELi4ELi1ELi0EEviiiiiiPKT_S3_S3_PfPiPS1_i
__PRETTY_FUNCTION__._Z11wvSplitKrc_I14__hip_bfloat16Li64ELi16ELi4ELi8ELi1ELi64ELi4ELi1ELi0EEviiiiiiPKT_S3_S3_PfPiPS1_i:
	.asciz	"void wvSplitKrc_(const int, const int, const int, const int, const int, const int, const scalar_t *, const scalar_t *__restrict, const scalar_t *__restrict, float *, int *, scalar_t *, const int) [scalar_t = __hip_bfloat16, THRDS = 64, YTILE = 16, WvPrGrp = 4, A_CHUNK = 8, UNRL = 1, N = 64, GrpsShrB = 4, CHUNKK = 1, DTRMNSTC = 0]"
	.size	__PRETTY_FUNCTION__._Z11wvSplitKrc_I14__hip_bfloat16Li64ELi16ELi4ELi8ELi1ELi64ELi4ELi1ELi0EEviiiiiiPKT_S3_S3_PfPiPS1_i, 332

	.type	__PRETTY_FUNCTION__._Z11wvSplitKrc_I14__hip_bfloat16Li64ELi16ELi4ELi8ELi1ELi128ELi4ELi2ELi1EEviiiiiiPKT_S3_S3_PfPiPS1_i,@object ; @__PRETTY_FUNCTION__._Z11wvSplitKrc_I14__hip_bfloat16Li64ELi16ELi4ELi8ELi1ELi128ELi4ELi2ELi1EEviiiiiiPKT_S3_S3_PfPiPS1_i
__PRETTY_FUNCTION__._Z11wvSplitKrc_I14__hip_bfloat16Li64ELi16ELi4ELi8ELi1ELi128ELi4ELi2ELi1EEviiiiiiPKT_S3_S3_PfPiPS1_i:
	.asciz	"void wvSplitKrc_(const int, const int, const int, const int, const int, const int, const scalar_t *, const scalar_t *__restrict, const scalar_t *__restrict, float *, int *, scalar_t *, const int) [scalar_t = __hip_bfloat16, THRDS = 64, YTILE = 16, WvPrGrp = 4, A_CHUNK = 8, UNRL = 1, N = 128, GrpsShrB = 4, CHUNKK = 2, DTRMNSTC = 1]"
	.size	__PRETTY_FUNCTION__._Z11wvSplitKrc_I14__hip_bfloat16Li64ELi16ELi4ELi8ELi1ELi128ELi4ELi2ELi1EEviiiiiiPKT_S3_S3_PfPiPS1_i, 333

	.type	__PRETTY_FUNCTION__._Z11wvSplitKrc_I14__hip_bfloat16Li64ELi16ELi4ELi8ELi1ELi128ELi4ELi2ELi0EEviiiiiiPKT_S3_S3_PfPiPS1_i,@object ; @__PRETTY_FUNCTION__._Z11wvSplitKrc_I14__hip_bfloat16Li64ELi16ELi4ELi8ELi1ELi128ELi4ELi2ELi0EEviiiiiiPKT_S3_S3_PfPiPS1_i
__PRETTY_FUNCTION__._Z11wvSplitKrc_I14__hip_bfloat16Li64ELi16ELi4ELi8ELi1ELi128ELi4ELi2ELi0EEviiiiiiPKT_S3_S3_PfPiPS1_i:
	.asciz	"void wvSplitKrc_(const int, const int, const int, const int, const int, const int, const scalar_t *, const scalar_t *__restrict, const scalar_t *__restrict, float *, int *, scalar_t *, const int) [scalar_t = __hip_bfloat16, THRDS = 64, YTILE = 16, WvPrGrp = 4, A_CHUNK = 8, UNRL = 1, N = 128, GrpsShrB = 4, CHUNKK = 2, DTRMNSTC = 0]"
	.size	__PRETTY_FUNCTION__._Z11wvSplitKrc_I14__hip_bfloat16Li64ELi16ELi4ELi8ELi1ELi128ELi4ELi2ELi0EEviiiiiiPKT_S3_S3_PfPiPS1_i, 333

	.type	__PRETTY_FUNCTION__._Z11wvSplitKrc_I14__hip_bfloat16Li64ELi16ELi4ELi8ELi1ELi128ELi4ELi1ELi1EEviiiiiiPKT_S3_S3_PfPiPS1_i,@object ; @__PRETTY_FUNCTION__._Z11wvSplitKrc_I14__hip_bfloat16Li64ELi16ELi4ELi8ELi1ELi128ELi4ELi1ELi1EEviiiiiiPKT_S3_S3_PfPiPS1_i
__PRETTY_FUNCTION__._Z11wvSplitKrc_I14__hip_bfloat16Li64ELi16ELi4ELi8ELi1ELi128ELi4ELi1ELi1EEviiiiiiPKT_S3_S3_PfPiPS1_i:
	.asciz	"void wvSplitKrc_(const int, const int, const int, const int, const int, const int, const scalar_t *, const scalar_t *__restrict, const scalar_t *__restrict, float *, int *, scalar_t *, const int) [scalar_t = __hip_bfloat16, THRDS = 64, YTILE = 16, WvPrGrp = 4, A_CHUNK = 8, UNRL = 1, N = 128, GrpsShrB = 4, CHUNKK = 1, DTRMNSTC = 1]"
	.size	__PRETTY_FUNCTION__._Z11wvSplitKrc_I14__hip_bfloat16Li64ELi16ELi4ELi8ELi1ELi128ELi4ELi1ELi1EEviiiiiiPKT_S3_S3_PfPiPS1_i, 333

	.type	__PRETTY_FUNCTION__._Z11wvSplitKrc_I14__hip_bfloat16Li64ELi16ELi4ELi8ELi1ELi128ELi4ELi1ELi0EEviiiiiiPKT_S3_S3_PfPiPS1_i,@object ; @__PRETTY_FUNCTION__._Z11wvSplitKrc_I14__hip_bfloat16Li64ELi16ELi4ELi8ELi1ELi128ELi4ELi1ELi0EEviiiiiiPKT_S3_S3_PfPiPS1_i
__PRETTY_FUNCTION__._Z11wvSplitKrc_I14__hip_bfloat16Li64ELi16ELi4ELi8ELi1ELi128ELi4ELi1ELi0EEviiiiiiPKT_S3_S3_PfPiPS1_i:
	.asciz	"void wvSplitKrc_(const int, const int, const int, const int, const int, const int, const scalar_t *, const scalar_t *__restrict, const scalar_t *__restrict, float *, int *, scalar_t *, const int) [scalar_t = __hip_bfloat16, THRDS = 64, YTILE = 16, WvPrGrp = 4, A_CHUNK = 8, UNRL = 1, N = 128, GrpsShrB = 4, CHUNKK = 1, DTRMNSTC = 0]"
	.size	__PRETTY_FUNCTION__._Z11wvSplitKrc_I14__hip_bfloat16Li64ELi16ELi4ELi8ELi1ELi128ELi4ELi1ELi0EEviiiiiiPKT_S3_S3_PfPiPS1_i, 333

	.type	__PRETTY_FUNCTION__._Z17wvSplitKQ_hf_sml_I6__halfN3c1013Float8_e4m3fnELi32ELi2ELi16ELi16ELi2ELi1EEviiiiiiPKT0_S5_PKT_PS6_PKfSB_ii,@object ; @__PRETTY_FUNCTION__._Z17wvSplitKQ_hf_sml_I6__halfN3c1013Float8_e4m3fnELi32ELi2ELi16ELi16ELi2ELi1EEviiiiiiPKT0_S5_PKT_PS6_PKfSB_ii
__PRETTY_FUNCTION__._Z17wvSplitKQ_hf_sml_I6__halfN3c1013Float8_e4m3fnELi32ELi2ELi16ELi16ELi2ELi1EEviiiiiiPKT0_S5_PKT_PS6_PKfSB_ii:
	.asciz	"void wvSplitKQ_hf_sml_(const int, const int, const int, const int, const int, const int, const fp8_t *, const fp8_t *__restrict, const scalar_t *__restrict, scalar_t *, const float *__restrict, const float *__restrict, const int, const int) [scalar_t = __half, fp8_t = c10::Float8_e4m3fn, THRDS = 32, YTILE = 2, WvPrGrp = 16, A_CHUNK = 16, UNRL = 2, N = 1]"
	.size	__PRETTY_FUNCTION__._Z17wvSplitKQ_hf_sml_I6__halfN3c1013Float8_e4m3fnELi32ELi2ELi16ELi16ELi2ELi1EEviiiiiiPKT0_S5_PKT_PS6_PKfSB_ii, 357

	.type	__PRETTY_FUNCTION__._Z13wvSplitKQ_hf_I6__halfN3c1013Float8_e4m3fnELi32ELi2ELi16ELi16ELi2ELi1EEviiiiiiPKT0_S5_PKT_PS6_PKfSB_ii,@object ; @__PRETTY_FUNCTION__._Z13wvSplitKQ_hf_I6__halfN3c1013Float8_e4m3fnELi32ELi2ELi16ELi16ELi2ELi1EEviiiiiiPKT0_S5_PKT_PS6_PKfSB_ii
__PRETTY_FUNCTION__._Z13wvSplitKQ_hf_I6__halfN3c1013Float8_e4m3fnELi32ELi2ELi16ELi16ELi2ELi1EEviiiiiiPKT0_S5_PKT_PS6_PKfSB_ii:
	.asciz	"void wvSplitKQ_hf_(const int, const int, const int, const int, const int, const int, const fp8_t *, const fp8_t *__restrict, const scalar_t *__restrict, scalar_t *, const float *__restrict, const float *__restrict, const int, const int) [scalar_t = __half, fp8_t = c10::Float8_e4m3fn, THRDS = 32, YTILE = 2, WvPrGrp = 16, A_CHUNK = 16, UNRL = 2, N = 1]"
	.size	__PRETTY_FUNCTION__._Z13wvSplitKQ_hf_I6__halfN3c1013Float8_e4m3fnELi32ELi2ELi16ELi16ELi2ELi1EEviiiiiiPKT0_S5_PKT_PS6_PKfSB_ii, 353

	.type	__PRETTY_FUNCTION__._Z17wvSplitKQ_hf_sml_I6__halfN3c1013Float8_e4m3fnELi64ELi2ELi16ELi16ELi2ELi1EEviiiiiiPKT0_S5_PKT_PS6_PKfSB_ii,@object ; @__PRETTY_FUNCTION__._Z17wvSplitKQ_hf_sml_I6__halfN3c1013Float8_e4m3fnELi64ELi2ELi16ELi16ELi2ELi1EEviiiiiiPKT0_S5_PKT_PS6_PKfSB_ii
__PRETTY_FUNCTION__._Z17wvSplitKQ_hf_sml_I6__halfN3c1013Float8_e4m3fnELi64ELi2ELi16ELi16ELi2ELi1EEviiiiiiPKT0_S5_PKT_PS6_PKfSB_ii:
	.asciz	"void wvSplitKQ_hf_sml_(const int, const int, const int, const int, const int, const int, const fp8_t *, const fp8_t *__restrict, const scalar_t *__restrict, scalar_t *, const float *__restrict, const float *__restrict, const int, const int) [scalar_t = __half, fp8_t = c10::Float8_e4m3fn, THRDS = 64, YTILE = 2, WvPrGrp = 16, A_CHUNK = 16, UNRL = 2, N = 1]"
	.size	__PRETTY_FUNCTION__._Z17wvSplitKQ_hf_sml_I6__halfN3c1013Float8_e4m3fnELi64ELi2ELi16ELi16ELi2ELi1EEviiiiiiPKT0_S5_PKT_PS6_PKfSB_ii, 357

	.type	__PRETTY_FUNCTION__._Z13wvSplitKQ_hf_I6__halfN3c1013Float8_e4m3fnELi64ELi2ELi16ELi16ELi2ELi1EEviiiiiiPKT0_S5_PKT_PS6_PKfSB_ii,@object ; @__PRETTY_FUNCTION__._Z13wvSplitKQ_hf_I6__halfN3c1013Float8_e4m3fnELi64ELi2ELi16ELi16ELi2ELi1EEviiiiiiPKT0_S5_PKT_PS6_PKfSB_ii
__PRETTY_FUNCTION__._Z13wvSplitKQ_hf_I6__halfN3c1013Float8_e4m3fnELi64ELi2ELi16ELi16ELi2ELi1EEviiiiiiPKT0_S5_PKT_PS6_PKfSB_ii:
	.asciz	"void wvSplitKQ_hf_(const int, const int, const int, const int, const int, const int, const fp8_t *, const fp8_t *__restrict, const scalar_t *__restrict, scalar_t *, const float *__restrict, const float *__restrict, const int, const int) [scalar_t = __half, fp8_t = c10::Float8_e4m3fn, THRDS = 64, YTILE = 2, WvPrGrp = 16, A_CHUNK = 16, UNRL = 2, N = 1]"
	.size	__PRETTY_FUNCTION__._Z13wvSplitKQ_hf_I6__halfN3c1013Float8_e4m3fnELi64ELi2ELi16ELi16ELi2ELi1EEviiiiiiPKT0_S5_PKT_PS6_PKfSB_ii, 353

	.type	__PRETTY_FUNCTION__._Z17wvSplitKQ_hf_sml_I6__halfN3c1013Float8_e4m3fnELi32ELi2ELi16ELi16ELi2ELi2EEviiiiiiPKT0_S5_PKT_PS6_PKfSB_ii,@object ; @__PRETTY_FUNCTION__._Z17wvSplitKQ_hf_sml_I6__halfN3c1013Float8_e4m3fnELi32ELi2ELi16ELi16ELi2ELi2EEviiiiiiPKT0_S5_PKT_PS6_PKfSB_ii
__PRETTY_FUNCTION__._Z17wvSplitKQ_hf_sml_I6__halfN3c1013Float8_e4m3fnELi32ELi2ELi16ELi16ELi2ELi2EEviiiiiiPKT0_S5_PKT_PS6_PKfSB_ii:
	.asciz	"void wvSplitKQ_hf_sml_(const int, const int, const int, const int, const int, const int, const fp8_t *, const fp8_t *__restrict, const scalar_t *__restrict, scalar_t *, const float *__restrict, const float *__restrict, const int, const int) [scalar_t = __half, fp8_t = c10::Float8_e4m3fn, THRDS = 32, YTILE = 2, WvPrGrp = 16, A_CHUNK = 16, UNRL = 2, N = 2]"
	.size	__PRETTY_FUNCTION__._Z17wvSplitKQ_hf_sml_I6__halfN3c1013Float8_e4m3fnELi32ELi2ELi16ELi16ELi2ELi2EEviiiiiiPKT0_S5_PKT_PS6_PKfSB_ii, 357

	.type	__PRETTY_FUNCTION__._Z13wvSplitKQ_hf_I6__halfN3c1013Float8_e4m3fnELi32ELi2ELi16ELi16ELi2ELi2EEviiiiiiPKT0_S5_PKT_PS6_PKfSB_ii,@object ; @__PRETTY_FUNCTION__._Z13wvSplitKQ_hf_I6__halfN3c1013Float8_e4m3fnELi32ELi2ELi16ELi16ELi2ELi2EEviiiiiiPKT0_S5_PKT_PS6_PKfSB_ii
__PRETTY_FUNCTION__._Z13wvSplitKQ_hf_I6__halfN3c1013Float8_e4m3fnELi32ELi2ELi16ELi16ELi2ELi2EEviiiiiiPKT0_S5_PKT_PS6_PKfSB_ii:
	.asciz	"void wvSplitKQ_hf_(const int, const int, const int, const int, const int, const int, const fp8_t *, const fp8_t *__restrict, const scalar_t *__restrict, scalar_t *, const float *__restrict, const float *__restrict, const int, const int) [scalar_t = __half, fp8_t = c10::Float8_e4m3fn, THRDS = 32, YTILE = 2, WvPrGrp = 16, A_CHUNK = 16, UNRL = 2, N = 2]"
	.size	__PRETTY_FUNCTION__._Z13wvSplitKQ_hf_I6__halfN3c1013Float8_e4m3fnELi32ELi2ELi16ELi16ELi2ELi2EEviiiiiiPKT0_S5_PKT_PS6_PKfSB_ii, 353

	.type	__PRETTY_FUNCTION__._Z17wvSplitKQ_hf_sml_I6__halfN3c1013Float8_e4m3fnELi64ELi2ELi16ELi16ELi2ELi2EEviiiiiiPKT0_S5_PKT_PS6_PKfSB_ii,@object ; @__PRETTY_FUNCTION__._Z17wvSplitKQ_hf_sml_I6__halfN3c1013Float8_e4m3fnELi64ELi2ELi16ELi16ELi2ELi2EEviiiiiiPKT0_S5_PKT_PS6_PKfSB_ii
__PRETTY_FUNCTION__._Z17wvSplitKQ_hf_sml_I6__halfN3c1013Float8_e4m3fnELi64ELi2ELi16ELi16ELi2ELi2EEviiiiiiPKT0_S5_PKT_PS6_PKfSB_ii:
	.asciz	"void wvSplitKQ_hf_sml_(const int, const int, const int, const int, const int, const int, const fp8_t *, const fp8_t *__restrict, const scalar_t *__restrict, scalar_t *, const float *__restrict, const float *__restrict, const int, const int) [scalar_t = __half, fp8_t = c10::Float8_e4m3fn, THRDS = 64, YTILE = 2, WvPrGrp = 16, A_CHUNK = 16, UNRL = 2, N = 2]"
	.size	__PRETTY_FUNCTION__._Z17wvSplitKQ_hf_sml_I6__halfN3c1013Float8_e4m3fnELi64ELi2ELi16ELi16ELi2ELi2EEviiiiiiPKT0_S5_PKT_PS6_PKfSB_ii, 357

	.type	__PRETTY_FUNCTION__._Z13wvSplitKQ_hf_I6__halfN3c1013Float8_e4m3fnELi64ELi2ELi16ELi16ELi2ELi2EEviiiiiiPKT0_S5_PKT_PS6_PKfSB_ii,@object ; @__PRETTY_FUNCTION__._Z13wvSplitKQ_hf_I6__halfN3c1013Float8_e4m3fnELi64ELi2ELi16ELi16ELi2ELi2EEviiiiiiPKT0_S5_PKT_PS6_PKfSB_ii
__PRETTY_FUNCTION__._Z13wvSplitKQ_hf_I6__halfN3c1013Float8_e4m3fnELi64ELi2ELi16ELi16ELi2ELi2EEviiiiiiPKT0_S5_PKT_PS6_PKfSB_ii:
	.asciz	"void wvSplitKQ_hf_(const int, const int, const int, const int, const int, const int, const fp8_t *, const fp8_t *__restrict, const scalar_t *__restrict, scalar_t *, const float *__restrict, const float *__restrict, const int, const int) [scalar_t = __half, fp8_t = c10::Float8_e4m3fn, THRDS = 64, YTILE = 2, WvPrGrp = 16, A_CHUNK = 16, UNRL = 2, N = 2]"
	.size	__PRETTY_FUNCTION__._Z13wvSplitKQ_hf_I6__halfN3c1013Float8_e4m3fnELi64ELi2ELi16ELi16ELi2ELi2EEviiiiiiPKT0_S5_PKT_PS6_PKfSB_ii, 353

	.type	__PRETTY_FUNCTION__._Z17wvSplitKQ_hf_sml_I6__halfN3c1013Float8_e4m3fnELi32ELi2ELi16ELi16ELi1ELi3EEviiiiiiPKT0_S5_PKT_PS6_PKfSB_ii,@object ; @__PRETTY_FUNCTION__._Z17wvSplitKQ_hf_sml_I6__halfN3c1013Float8_e4m3fnELi32ELi2ELi16ELi16ELi1ELi3EEviiiiiiPKT0_S5_PKT_PS6_PKfSB_ii
__PRETTY_FUNCTION__._Z17wvSplitKQ_hf_sml_I6__halfN3c1013Float8_e4m3fnELi32ELi2ELi16ELi16ELi1ELi3EEviiiiiiPKT0_S5_PKT_PS6_PKfSB_ii:
	.asciz	"void wvSplitKQ_hf_sml_(const int, const int, const int, const int, const int, const int, const fp8_t *, const fp8_t *__restrict, const scalar_t *__restrict, scalar_t *, const float *__restrict, const float *__restrict, const int, const int) [scalar_t = __half, fp8_t = c10::Float8_e4m3fn, THRDS = 32, YTILE = 2, WvPrGrp = 16, A_CHUNK = 16, UNRL = 1, N = 3]"
	.size	__PRETTY_FUNCTION__._Z17wvSplitKQ_hf_sml_I6__halfN3c1013Float8_e4m3fnELi32ELi2ELi16ELi16ELi1ELi3EEviiiiiiPKT0_S5_PKT_PS6_PKfSB_ii, 357

	.type	__PRETTY_FUNCTION__._Z13wvSplitKQ_hf_I6__halfN3c1013Float8_e4m3fnELi32ELi2ELi16ELi16ELi1ELi3EEviiiiiiPKT0_S5_PKT_PS6_PKfSB_ii,@object ; @__PRETTY_FUNCTION__._Z13wvSplitKQ_hf_I6__halfN3c1013Float8_e4m3fnELi32ELi2ELi16ELi16ELi1ELi3EEviiiiiiPKT0_S5_PKT_PS6_PKfSB_ii
__PRETTY_FUNCTION__._Z13wvSplitKQ_hf_I6__halfN3c1013Float8_e4m3fnELi32ELi2ELi16ELi16ELi1ELi3EEviiiiiiPKT0_S5_PKT_PS6_PKfSB_ii:
	.asciz	"void wvSplitKQ_hf_(const int, const int, const int, const int, const int, const int, const fp8_t *, const fp8_t *__restrict, const scalar_t *__restrict, scalar_t *, const float *__restrict, const float *__restrict, const int, const int) [scalar_t = __half, fp8_t = c10::Float8_e4m3fn, THRDS = 32, YTILE = 2, WvPrGrp = 16, A_CHUNK = 16, UNRL = 1, N = 3]"
	.size	__PRETTY_FUNCTION__._Z13wvSplitKQ_hf_I6__halfN3c1013Float8_e4m3fnELi32ELi2ELi16ELi16ELi1ELi3EEviiiiiiPKT0_S5_PKT_PS6_PKfSB_ii, 353

	.type	__PRETTY_FUNCTION__._Z17wvSplitKQ_hf_sml_I6__halfN3c1013Float8_e4m3fnELi64ELi2ELi16ELi16ELi1ELi3EEviiiiiiPKT0_S5_PKT_PS6_PKfSB_ii,@object ; @__PRETTY_FUNCTION__._Z17wvSplitKQ_hf_sml_I6__halfN3c1013Float8_e4m3fnELi64ELi2ELi16ELi16ELi1ELi3EEviiiiiiPKT0_S5_PKT_PS6_PKfSB_ii
__PRETTY_FUNCTION__._Z17wvSplitKQ_hf_sml_I6__halfN3c1013Float8_e4m3fnELi64ELi2ELi16ELi16ELi1ELi3EEviiiiiiPKT0_S5_PKT_PS6_PKfSB_ii:
	.asciz	"void wvSplitKQ_hf_sml_(const int, const int, const int, const int, const int, const int, const fp8_t *, const fp8_t *__restrict, const scalar_t *__restrict, scalar_t *, const float *__restrict, const float *__restrict, const int, const int) [scalar_t = __half, fp8_t = c10::Float8_e4m3fn, THRDS = 64, YTILE = 2, WvPrGrp = 16, A_CHUNK = 16, UNRL = 1, N = 3]"
	.size	__PRETTY_FUNCTION__._Z17wvSplitKQ_hf_sml_I6__halfN3c1013Float8_e4m3fnELi64ELi2ELi16ELi16ELi1ELi3EEviiiiiiPKT0_S5_PKT_PS6_PKfSB_ii, 357

	.type	__PRETTY_FUNCTION__._Z13wvSplitKQ_hf_I6__halfN3c1013Float8_e4m3fnELi64ELi2ELi16ELi16ELi1ELi3EEviiiiiiPKT0_S5_PKT_PS6_PKfSB_ii,@object ; @__PRETTY_FUNCTION__._Z13wvSplitKQ_hf_I6__halfN3c1013Float8_e4m3fnELi64ELi2ELi16ELi16ELi1ELi3EEviiiiiiPKT0_S5_PKT_PS6_PKfSB_ii
__PRETTY_FUNCTION__._Z13wvSplitKQ_hf_I6__halfN3c1013Float8_e4m3fnELi64ELi2ELi16ELi16ELi1ELi3EEviiiiiiPKT0_S5_PKT_PS6_PKfSB_ii:
	.asciz	"void wvSplitKQ_hf_(const int, const int, const int, const int, const int, const int, const fp8_t *, const fp8_t *__restrict, const scalar_t *__restrict, scalar_t *, const float *__restrict, const float *__restrict, const int, const int) [scalar_t = __half, fp8_t = c10::Float8_e4m3fn, THRDS = 64, YTILE = 2, WvPrGrp = 16, A_CHUNK = 16, UNRL = 1, N = 3]"
	.size	__PRETTY_FUNCTION__._Z13wvSplitKQ_hf_I6__halfN3c1013Float8_e4m3fnELi64ELi2ELi16ELi16ELi1ELi3EEviiiiiiPKT0_S5_PKT_PS6_PKfSB_ii, 353

	.type	__PRETTY_FUNCTION__._Z17wvSplitKQ_hf_sml_I6__halfN3c1013Float8_e4m3fnELi32ELi2ELi16ELi16ELi1ELi4EEviiiiiiPKT0_S5_PKT_PS6_PKfSB_ii,@object ; @__PRETTY_FUNCTION__._Z17wvSplitKQ_hf_sml_I6__halfN3c1013Float8_e4m3fnELi32ELi2ELi16ELi16ELi1ELi4EEviiiiiiPKT0_S5_PKT_PS6_PKfSB_ii
__PRETTY_FUNCTION__._Z17wvSplitKQ_hf_sml_I6__halfN3c1013Float8_e4m3fnELi32ELi2ELi16ELi16ELi1ELi4EEviiiiiiPKT0_S5_PKT_PS6_PKfSB_ii:
	.asciz	"void wvSplitKQ_hf_sml_(const int, const int, const int, const int, const int, const int, const fp8_t *, const fp8_t *__restrict, const scalar_t *__restrict, scalar_t *, const float *__restrict, const float *__restrict, const int, const int) [scalar_t = __half, fp8_t = c10::Float8_e4m3fn, THRDS = 32, YTILE = 2, WvPrGrp = 16, A_CHUNK = 16, UNRL = 1, N = 4]"
	.size	__PRETTY_FUNCTION__._Z17wvSplitKQ_hf_sml_I6__halfN3c1013Float8_e4m3fnELi32ELi2ELi16ELi16ELi1ELi4EEviiiiiiPKT0_S5_PKT_PS6_PKfSB_ii, 357

	.type	__PRETTY_FUNCTION__._Z13wvSplitKQ_hf_I6__halfN3c1013Float8_e4m3fnELi32ELi2ELi16ELi16ELi1ELi4EEviiiiiiPKT0_S5_PKT_PS6_PKfSB_ii,@object ; @__PRETTY_FUNCTION__._Z13wvSplitKQ_hf_I6__halfN3c1013Float8_e4m3fnELi32ELi2ELi16ELi16ELi1ELi4EEviiiiiiPKT0_S5_PKT_PS6_PKfSB_ii
__PRETTY_FUNCTION__._Z13wvSplitKQ_hf_I6__halfN3c1013Float8_e4m3fnELi32ELi2ELi16ELi16ELi1ELi4EEviiiiiiPKT0_S5_PKT_PS6_PKfSB_ii:
	.asciz	"void wvSplitKQ_hf_(const int, const int, const int, const int, const int, const int, const fp8_t *, const fp8_t *__restrict, const scalar_t *__restrict, scalar_t *, const float *__restrict, const float *__restrict, const int, const int) [scalar_t = __half, fp8_t = c10::Float8_e4m3fn, THRDS = 32, YTILE = 2, WvPrGrp = 16, A_CHUNK = 16, UNRL = 1, N = 4]"
	.size	__PRETTY_FUNCTION__._Z13wvSplitKQ_hf_I6__halfN3c1013Float8_e4m3fnELi32ELi2ELi16ELi16ELi1ELi4EEviiiiiiPKT0_S5_PKT_PS6_PKfSB_ii, 353

	.type	__PRETTY_FUNCTION__._Z17wvSplitKQ_hf_sml_I6__halfN3c1013Float8_e4m3fnELi64ELi2ELi16ELi16ELi1ELi4EEviiiiiiPKT0_S5_PKT_PS6_PKfSB_ii,@object ; @__PRETTY_FUNCTION__._Z17wvSplitKQ_hf_sml_I6__halfN3c1013Float8_e4m3fnELi64ELi2ELi16ELi16ELi1ELi4EEviiiiiiPKT0_S5_PKT_PS6_PKfSB_ii
__PRETTY_FUNCTION__._Z17wvSplitKQ_hf_sml_I6__halfN3c1013Float8_e4m3fnELi64ELi2ELi16ELi16ELi1ELi4EEviiiiiiPKT0_S5_PKT_PS6_PKfSB_ii:
	.asciz	"void wvSplitKQ_hf_sml_(const int, const int, const int, const int, const int, const int, const fp8_t *, const fp8_t *__restrict, const scalar_t *__restrict, scalar_t *, const float *__restrict, const float *__restrict, const int, const int) [scalar_t = __half, fp8_t = c10::Float8_e4m3fn, THRDS = 64, YTILE = 2, WvPrGrp = 16, A_CHUNK = 16, UNRL = 1, N = 4]"
	.size	__PRETTY_FUNCTION__._Z17wvSplitKQ_hf_sml_I6__halfN3c1013Float8_e4m3fnELi64ELi2ELi16ELi16ELi1ELi4EEviiiiiiPKT0_S5_PKT_PS6_PKfSB_ii, 357

	.type	__PRETTY_FUNCTION__._Z13wvSplitKQ_hf_I6__halfN3c1013Float8_e4m3fnELi64ELi2ELi16ELi16ELi1ELi4EEviiiiiiPKT0_S5_PKT_PS6_PKfSB_ii,@object ; @__PRETTY_FUNCTION__._Z13wvSplitKQ_hf_I6__halfN3c1013Float8_e4m3fnELi64ELi2ELi16ELi16ELi1ELi4EEviiiiiiPKT0_S5_PKT_PS6_PKfSB_ii
__PRETTY_FUNCTION__._Z13wvSplitKQ_hf_I6__halfN3c1013Float8_e4m3fnELi64ELi2ELi16ELi16ELi1ELi4EEviiiiiiPKT0_S5_PKT_PS6_PKfSB_ii:
	.asciz	"void wvSplitKQ_hf_(const int, const int, const int, const int, const int, const int, const fp8_t *, const fp8_t *__restrict, const scalar_t *__restrict, scalar_t *, const float *__restrict, const float *__restrict, const int, const int) [scalar_t = __half, fp8_t = c10::Float8_e4m3fn, THRDS = 64, YTILE = 2, WvPrGrp = 16, A_CHUNK = 16, UNRL = 1, N = 4]"
	.size	__PRETTY_FUNCTION__._Z13wvSplitKQ_hf_I6__halfN3c1013Float8_e4m3fnELi64ELi2ELi16ELi16ELi1ELi4EEviiiiiiPKT0_S5_PKT_PS6_PKfSB_ii, 353

	.type	__PRETTY_FUNCTION__._Z17wvSplitKQ_hf_sml_I6__halfN3c1015Float8_e4m3fnuzELi32ELi2ELi16ELi16ELi2ELi1EEviiiiiiPKT0_S5_PKT_PS6_PKfSB_ii,@object ; @__PRETTY_FUNCTION__._Z17wvSplitKQ_hf_sml_I6__halfN3c1015Float8_e4m3fnuzELi32ELi2ELi16ELi16ELi2ELi1EEviiiiiiPKT0_S5_PKT_PS6_PKfSB_ii
__PRETTY_FUNCTION__._Z17wvSplitKQ_hf_sml_I6__halfN3c1015Float8_e4m3fnuzELi32ELi2ELi16ELi16ELi2ELi1EEviiiiiiPKT0_S5_PKT_PS6_PKfSB_ii:
	.asciz	"void wvSplitKQ_hf_sml_(const int, const int, const int, const int, const int, const int, const fp8_t *, const fp8_t *__restrict, const scalar_t *__restrict, scalar_t *, const float *__restrict, const float *__restrict, const int, const int) [scalar_t = __half, fp8_t = c10::Float8_e4m3fnuz, THRDS = 32, YTILE = 2, WvPrGrp = 16, A_CHUNK = 16, UNRL = 2, N = 1]"
	.size	__PRETTY_FUNCTION__._Z17wvSplitKQ_hf_sml_I6__halfN3c1015Float8_e4m3fnuzELi32ELi2ELi16ELi16ELi2ELi1EEviiiiiiPKT0_S5_PKT_PS6_PKfSB_ii, 359

	.type	__PRETTY_FUNCTION__._Z13wvSplitKQ_hf_I6__halfN3c1015Float8_e4m3fnuzELi32ELi2ELi16ELi16ELi2ELi1EEviiiiiiPKT0_S5_PKT_PS6_PKfSB_ii,@object ; @__PRETTY_FUNCTION__._Z13wvSplitKQ_hf_I6__halfN3c1015Float8_e4m3fnuzELi32ELi2ELi16ELi16ELi2ELi1EEviiiiiiPKT0_S5_PKT_PS6_PKfSB_ii
__PRETTY_FUNCTION__._Z13wvSplitKQ_hf_I6__halfN3c1015Float8_e4m3fnuzELi32ELi2ELi16ELi16ELi2ELi1EEviiiiiiPKT0_S5_PKT_PS6_PKfSB_ii:
	.asciz	"void wvSplitKQ_hf_(const int, const int, const int, const int, const int, const int, const fp8_t *, const fp8_t *__restrict, const scalar_t *__restrict, scalar_t *, const float *__restrict, const float *__restrict, const int, const int) [scalar_t = __half, fp8_t = c10::Float8_e4m3fnuz, THRDS = 32, YTILE = 2, WvPrGrp = 16, A_CHUNK = 16, UNRL = 2, N = 1]"
	.size	__PRETTY_FUNCTION__._Z13wvSplitKQ_hf_I6__halfN3c1015Float8_e4m3fnuzELi32ELi2ELi16ELi16ELi2ELi1EEviiiiiiPKT0_S5_PKT_PS6_PKfSB_ii, 355

	.type	__PRETTY_FUNCTION__._Z17wvSplitKQ_hf_sml_I6__halfN3c1015Float8_e4m3fnuzELi64ELi2ELi16ELi16ELi2ELi1EEviiiiiiPKT0_S5_PKT_PS6_PKfSB_ii,@object ; @__PRETTY_FUNCTION__._Z17wvSplitKQ_hf_sml_I6__halfN3c1015Float8_e4m3fnuzELi64ELi2ELi16ELi16ELi2ELi1EEviiiiiiPKT0_S5_PKT_PS6_PKfSB_ii
__PRETTY_FUNCTION__._Z17wvSplitKQ_hf_sml_I6__halfN3c1015Float8_e4m3fnuzELi64ELi2ELi16ELi16ELi2ELi1EEviiiiiiPKT0_S5_PKT_PS6_PKfSB_ii:
	.asciz	"void wvSplitKQ_hf_sml_(const int, const int, const int, const int, const int, const int, const fp8_t *, const fp8_t *__restrict, const scalar_t *__restrict, scalar_t *, const float *__restrict, const float *__restrict, const int, const int) [scalar_t = __half, fp8_t = c10::Float8_e4m3fnuz, THRDS = 64, YTILE = 2, WvPrGrp = 16, A_CHUNK = 16, UNRL = 2, N = 1]"
	.size	__PRETTY_FUNCTION__._Z17wvSplitKQ_hf_sml_I6__halfN3c1015Float8_e4m3fnuzELi64ELi2ELi16ELi16ELi2ELi1EEviiiiiiPKT0_S5_PKT_PS6_PKfSB_ii, 359

	.type	__PRETTY_FUNCTION__._Z13wvSplitKQ_hf_I6__halfN3c1015Float8_e4m3fnuzELi64ELi2ELi16ELi16ELi2ELi1EEviiiiiiPKT0_S5_PKT_PS6_PKfSB_ii,@object ; @__PRETTY_FUNCTION__._Z13wvSplitKQ_hf_I6__halfN3c1015Float8_e4m3fnuzELi64ELi2ELi16ELi16ELi2ELi1EEviiiiiiPKT0_S5_PKT_PS6_PKfSB_ii
__PRETTY_FUNCTION__._Z13wvSplitKQ_hf_I6__halfN3c1015Float8_e4m3fnuzELi64ELi2ELi16ELi16ELi2ELi1EEviiiiiiPKT0_S5_PKT_PS6_PKfSB_ii:
	.asciz	"void wvSplitKQ_hf_(const int, const int, const int, const int, const int, const int, const fp8_t *, const fp8_t *__restrict, const scalar_t *__restrict, scalar_t *, const float *__restrict, const float *__restrict, const int, const int) [scalar_t = __half, fp8_t = c10::Float8_e4m3fnuz, THRDS = 64, YTILE = 2, WvPrGrp = 16, A_CHUNK = 16, UNRL = 2, N = 1]"
	.size	__PRETTY_FUNCTION__._Z13wvSplitKQ_hf_I6__halfN3c1015Float8_e4m3fnuzELi64ELi2ELi16ELi16ELi2ELi1EEviiiiiiPKT0_S5_PKT_PS6_PKfSB_ii, 355

	.type	__PRETTY_FUNCTION__._Z17wvSplitKQ_hf_sml_I6__halfN3c1015Float8_e4m3fnuzELi32ELi2ELi16ELi16ELi2ELi2EEviiiiiiPKT0_S5_PKT_PS6_PKfSB_ii,@object ; @__PRETTY_FUNCTION__._Z17wvSplitKQ_hf_sml_I6__halfN3c1015Float8_e4m3fnuzELi32ELi2ELi16ELi16ELi2ELi2EEviiiiiiPKT0_S5_PKT_PS6_PKfSB_ii
__PRETTY_FUNCTION__._Z17wvSplitKQ_hf_sml_I6__halfN3c1015Float8_e4m3fnuzELi32ELi2ELi16ELi16ELi2ELi2EEviiiiiiPKT0_S5_PKT_PS6_PKfSB_ii:
	.asciz	"void wvSplitKQ_hf_sml_(const int, const int, const int, const int, const int, const int, const fp8_t *, const fp8_t *__restrict, const scalar_t *__restrict, scalar_t *, const float *__restrict, const float *__restrict, const int, const int) [scalar_t = __half, fp8_t = c10::Float8_e4m3fnuz, THRDS = 32, YTILE = 2, WvPrGrp = 16, A_CHUNK = 16, UNRL = 2, N = 2]"
	.size	__PRETTY_FUNCTION__._Z17wvSplitKQ_hf_sml_I6__halfN3c1015Float8_e4m3fnuzELi32ELi2ELi16ELi16ELi2ELi2EEviiiiiiPKT0_S5_PKT_PS6_PKfSB_ii, 359

	.type	__PRETTY_FUNCTION__._Z13wvSplitKQ_hf_I6__halfN3c1015Float8_e4m3fnuzELi32ELi2ELi16ELi16ELi2ELi2EEviiiiiiPKT0_S5_PKT_PS6_PKfSB_ii,@object ; @__PRETTY_FUNCTION__._Z13wvSplitKQ_hf_I6__halfN3c1015Float8_e4m3fnuzELi32ELi2ELi16ELi16ELi2ELi2EEviiiiiiPKT0_S5_PKT_PS6_PKfSB_ii
__PRETTY_FUNCTION__._Z13wvSplitKQ_hf_I6__halfN3c1015Float8_e4m3fnuzELi32ELi2ELi16ELi16ELi2ELi2EEviiiiiiPKT0_S5_PKT_PS6_PKfSB_ii:
	.asciz	"void wvSplitKQ_hf_(const int, const int, const int, const int, const int, const int, const fp8_t *, const fp8_t *__restrict, const scalar_t *__restrict, scalar_t *, const float *__restrict, const float *__restrict, const int, const int) [scalar_t = __half, fp8_t = c10::Float8_e4m3fnuz, THRDS = 32, YTILE = 2, WvPrGrp = 16, A_CHUNK = 16, UNRL = 2, N = 2]"
	.size	__PRETTY_FUNCTION__._Z13wvSplitKQ_hf_I6__halfN3c1015Float8_e4m3fnuzELi32ELi2ELi16ELi16ELi2ELi2EEviiiiiiPKT0_S5_PKT_PS6_PKfSB_ii, 355

	.type	__PRETTY_FUNCTION__._Z17wvSplitKQ_hf_sml_I6__halfN3c1015Float8_e4m3fnuzELi64ELi2ELi16ELi16ELi2ELi2EEviiiiiiPKT0_S5_PKT_PS6_PKfSB_ii,@object ; @__PRETTY_FUNCTION__._Z17wvSplitKQ_hf_sml_I6__halfN3c1015Float8_e4m3fnuzELi64ELi2ELi16ELi16ELi2ELi2EEviiiiiiPKT0_S5_PKT_PS6_PKfSB_ii
__PRETTY_FUNCTION__._Z17wvSplitKQ_hf_sml_I6__halfN3c1015Float8_e4m3fnuzELi64ELi2ELi16ELi16ELi2ELi2EEviiiiiiPKT0_S5_PKT_PS6_PKfSB_ii:
	.asciz	"void wvSplitKQ_hf_sml_(const int, const int, const int, const int, const int, const int, const fp8_t *, const fp8_t *__restrict, const scalar_t *__restrict, scalar_t *, const float *__restrict, const float *__restrict, const int, const int) [scalar_t = __half, fp8_t = c10::Float8_e4m3fnuz, THRDS = 64, YTILE = 2, WvPrGrp = 16, A_CHUNK = 16, UNRL = 2, N = 2]"
	.size	__PRETTY_FUNCTION__._Z17wvSplitKQ_hf_sml_I6__halfN3c1015Float8_e4m3fnuzELi64ELi2ELi16ELi16ELi2ELi2EEviiiiiiPKT0_S5_PKT_PS6_PKfSB_ii, 359

	.type	__PRETTY_FUNCTION__._Z13wvSplitKQ_hf_I6__halfN3c1015Float8_e4m3fnuzELi64ELi2ELi16ELi16ELi2ELi2EEviiiiiiPKT0_S5_PKT_PS6_PKfSB_ii,@object ; @__PRETTY_FUNCTION__._Z13wvSplitKQ_hf_I6__halfN3c1015Float8_e4m3fnuzELi64ELi2ELi16ELi16ELi2ELi2EEviiiiiiPKT0_S5_PKT_PS6_PKfSB_ii
__PRETTY_FUNCTION__._Z13wvSplitKQ_hf_I6__halfN3c1015Float8_e4m3fnuzELi64ELi2ELi16ELi16ELi2ELi2EEviiiiiiPKT0_S5_PKT_PS6_PKfSB_ii:
	.asciz	"void wvSplitKQ_hf_(const int, const int, const int, const int, const int, const int, const fp8_t *, const fp8_t *__restrict, const scalar_t *__restrict, scalar_t *, const float *__restrict, const float *__restrict, const int, const int) [scalar_t = __half, fp8_t = c10::Float8_e4m3fnuz, THRDS = 64, YTILE = 2, WvPrGrp = 16, A_CHUNK = 16, UNRL = 2, N = 2]"
	.size	__PRETTY_FUNCTION__._Z13wvSplitKQ_hf_I6__halfN3c1015Float8_e4m3fnuzELi64ELi2ELi16ELi16ELi2ELi2EEviiiiiiPKT0_S5_PKT_PS6_PKfSB_ii, 355

	.type	__PRETTY_FUNCTION__._Z17wvSplitKQ_hf_sml_I6__halfN3c1015Float8_e4m3fnuzELi32ELi2ELi16ELi16ELi1ELi3EEviiiiiiPKT0_S5_PKT_PS6_PKfSB_ii,@object ; @__PRETTY_FUNCTION__._Z17wvSplitKQ_hf_sml_I6__halfN3c1015Float8_e4m3fnuzELi32ELi2ELi16ELi16ELi1ELi3EEviiiiiiPKT0_S5_PKT_PS6_PKfSB_ii
__PRETTY_FUNCTION__._Z17wvSplitKQ_hf_sml_I6__halfN3c1015Float8_e4m3fnuzELi32ELi2ELi16ELi16ELi1ELi3EEviiiiiiPKT0_S5_PKT_PS6_PKfSB_ii:
	.asciz	"void wvSplitKQ_hf_sml_(const int, const int, const int, const int, const int, const int, const fp8_t *, const fp8_t *__restrict, const scalar_t *__restrict, scalar_t *, const float *__restrict, const float *__restrict, const int, const int) [scalar_t = __half, fp8_t = c10::Float8_e4m3fnuz, THRDS = 32, YTILE = 2, WvPrGrp = 16, A_CHUNK = 16, UNRL = 1, N = 3]"
	.size	__PRETTY_FUNCTION__._Z17wvSplitKQ_hf_sml_I6__halfN3c1015Float8_e4m3fnuzELi32ELi2ELi16ELi16ELi1ELi3EEviiiiiiPKT0_S5_PKT_PS6_PKfSB_ii, 359

	.type	__PRETTY_FUNCTION__._Z13wvSplitKQ_hf_I6__halfN3c1015Float8_e4m3fnuzELi32ELi2ELi16ELi16ELi1ELi3EEviiiiiiPKT0_S5_PKT_PS6_PKfSB_ii,@object ; @__PRETTY_FUNCTION__._Z13wvSplitKQ_hf_I6__halfN3c1015Float8_e4m3fnuzELi32ELi2ELi16ELi16ELi1ELi3EEviiiiiiPKT0_S5_PKT_PS6_PKfSB_ii
__PRETTY_FUNCTION__._Z13wvSplitKQ_hf_I6__halfN3c1015Float8_e4m3fnuzELi32ELi2ELi16ELi16ELi1ELi3EEviiiiiiPKT0_S5_PKT_PS6_PKfSB_ii:
	.asciz	"void wvSplitKQ_hf_(const int, const int, const int, const int, const int, const int, const fp8_t *, const fp8_t *__restrict, const scalar_t *__restrict, scalar_t *, const float *__restrict, const float *__restrict, const int, const int) [scalar_t = __half, fp8_t = c10::Float8_e4m3fnuz, THRDS = 32, YTILE = 2, WvPrGrp = 16, A_CHUNK = 16, UNRL = 1, N = 3]"
	.size	__PRETTY_FUNCTION__._Z13wvSplitKQ_hf_I6__halfN3c1015Float8_e4m3fnuzELi32ELi2ELi16ELi16ELi1ELi3EEviiiiiiPKT0_S5_PKT_PS6_PKfSB_ii, 355

	.type	__PRETTY_FUNCTION__._Z17wvSplitKQ_hf_sml_I6__halfN3c1015Float8_e4m3fnuzELi64ELi2ELi16ELi16ELi1ELi3EEviiiiiiPKT0_S5_PKT_PS6_PKfSB_ii,@object ; @__PRETTY_FUNCTION__._Z17wvSplitKQ_hf_sml_I6__halfN3c1015Float8_e4m3fnuzELi64ELi2ELi16ELi16ELi1ELi3EEviiiiiiPKT0_S5_PKT_PS6_PKfSB_ii
__PRETTY_FUNCTION__._Z17wvSplitKQ_hf_sml_I6__halfN3c1015Float8_e4m3fnuzELi64ELi2ELi16ELi16ELi1ELi3EEviiiiiiPKT0_S5_PKT_PS6_PKfSB_ii:
	.asciz	"void wvSplitKQ_hf_sml_(const int, const int, const int, const int, const int, const int, const fp8_t *, const fp8_t *__restrict, const scalar_t *__restrict, scalar_t *, const float *__restrict, const float *__restrict, const int, const int) [scalar_t = __half, fp8_t = c10::Float8_e4m3fnuz, THRDS = 64, YTILE = 2, WvPrGrp = 16, A_CHUNK = 16, UNRL = 1, N = 3]"
	.size	__PRETTY_FUNCTION__._Z17wvSplitKQ_hf_sml_I6__halfN3c1015Float8_e4m3fnuzELi64ELi2ELi16ELi16ELi1ELi3EEviiiiiiPKT0_S5_PKT_PS6_PKfSB_ii, 359

	.type	__PRETTY_FUNCTION__._Z13wvSplitKQ_hf_I6__halfN3c1015Float8_e4m3fnuzELi64ELi2ELi16ELi16ELi1ELi3EEviiiiiiPKT0_S5_PKT_PS6_PKfSB_ii,@object ; @__PRETTY_FUNCTION__._Z13wvSplitKQ_hf_I6__halfN3c1015Float8_e4m3fnuzELi64ELi2ELi16ELi16ELi1ELi3EEviiiiiiPKT0_S5_PKT_PS6_PKfSB_ii
__PRETTY_FUNCTION__._Z13wvSplitKQ_hf_I6__halfN3c1015Float8_e4m3fnuzELi64ELi2ELi16ELi16ELi1ELi3EEviiiiiiPKT0_S5_PKT_PS6_PKfSB_ii:
	.asciz	"void wvSplitKQ_hf_(const int, const int, const int, const int, const int, const int, const fp8_t *, const fp8_t *__restrict, const scalar_t *__restrict, scalar_t *, const float *__restrict, const float *__restrict, const int, const int) [scalar_t = __half, fp8_t = c10::Float8_e4m3fnuz, THRDS = 64, YTILE = 2, WvPrGrp = 16, A_CHUNK = 16, UNRL = 1, N = 3]"
	.size	__PRETTY_FUNCTION__._Z13wvSplitKQ_hf_I6__halfN3c1015Float8_e4m3fnuzELi64ELi2ELi16ELi16ELi1ELi3EEviiiiiiPKT0_S5_PKT_PS6_PKfSB_ii, 355

	.type	__PRETTY_FUNCTION__._Z17wvSplitKQ_hf_sml_I6__halfN3c1015Float8_e4m3fnuzELi32ELi2ELi16ELi16ELi1ELi4EEviiiiiiPKT0_S5_PKT_PS6_PKfSB_ii,@object ; @__PRETTY_FUNCTION__._Z17wvSplitKQ_hf_sml_I6__halfN3c1015Float8_e4m3fnuzELi32ELi2ELi16ELi16ELi1ELi4EEviiiiiiPKT0_S5_PKT_PS6_PKfSB_ii
__PRETTY_FUNCTION__._Z17wvSplitKQ_hf_sml_I6__halfN3c1015Float8_e4m3fnuzELi32ELi2ELi16ELi16ELi1ELi4EEviiiiiiPKT0_S5_PKT_PS6_PKfSB_ii:
	.asciz	"void wvSplitKQ_hf_sml_(const int, const int, const int, const int, const int, const int, const fp8_t *, const fp8_t *__restrict, const scalar_t *__restrict, scalar_t *, const float *__restrict, const float *__restrict, const int, const int) [scalar_t = __half, fp8_t = c10::Float8_e4m3fnuz, THRDS = 32, YTILE = 2, WvPrGrp = 16, A_CHUNK = 16, UNRL = 1, N = 4]"
	.size	__PRETTY_FUNCTION__._Z17wvSplitKQ_hf_sml_I6__halfN3c1015Float8_e4m3fnuzELi32ELi2ELi16ELi16ELi1ELi4EEviiiiiiPKT0_S5_PKT_PS6_PKfSB_ii, 359

	.type	__PRETTY_FUNCTION__._Z13wvSplitKQ_hf_I6__halfN3c1015Float8_e4m3fnuzELi32ELi2ELi16ELi16ELi1ELi4EEviiiiiiPKT0_S5_PKT_PS6_PKfSB_ii,@object ; @__PRETTY_FUNCTION__._Z13wvSplitKQ_hf_I6__halfN3c1015Float8_e4m3fnuzELi32ELi2ELi16ELi16ELi1ELi4EEviiiiiiPKT0_S5_PKT_PS6_PKfSB_ii
__PRETTY_FUNCTION__._Z13wvSplitKQ_hf_I6__halfN3c1015Float8_e4m3fnuzELi32ELi2ELi16ELi16ELi1ELi4EEviiiiiiPKT0_S5_PKT_PS6_PKfSB_ii:
	.asciz	"void wvSplitKQ_hf_(const int, const int, const int, const int, const int, const int, const fp8_t *, const fp8_t *__restrict, const scalar_t *__restrict, scalar_t *, const float *__restrict, const float *__restrict, const int, const int) [scalar_t = __half, fp8_t = c10::Float8_e4m3fnuz, THRDS = 32, YTILE = 2, WvPrGrp = 16, A_CHUNK = 16, UNRL = 1, N = 4]"
	.size	__PRETTY_FUNCTION__._Z13wvSplitKQ_hf_I6__halfN3c1015Float8_e4m3fnuzELi32ELi2ELi16ELi16ELi1ELi4EEviiiiiiPKT0_S5_PKT_PS6_PKfSB_ii, 355

	.type	__PRETTY_FUNCTION__._Z17wvSplitKQ_hf_sml_I6__halfN3c1015Float8_e4m3fnuzELi64ELi2ELi16ELi16ELi1ELi4EEviiiiiiPKT0_S5_PKT_PS6_PKfSB_ii,@object ; @__PRETTY_FUNCTION__._Z17wvSplitKQ_hf_sml_I6__halfN3c1015Float8_e4m3fnuzELi64ELi2ELi16ELi16ELi1ELi4EEviiiiiiPKT0_S5_PKT_PS6_PKfSB_ii
__PRETTY_FUNCTION__._Z17wvSplitKQ_hf_sml_I6__halfN3c1015Float8_e4m3fnuzELi64ELi2ELi16ELi16ELi1ELi4EEviiiiiiPKT0_S5_PKT_PS6_PKfSB_ii:
	.asciz	"void wvSplitKQ_hf_sml_(const int, const int, const int, const int, const int, const int, const fp8_t *, const fp8_t *__restrict, const scalar_t *__restrict, scalar_t *, const float *__restrict, const float *__restrict, const int, const int) [scalar_t = __half, fp8_t = c10::Float8_e4m3fnuz, THRDS = 64, YTILE = 2, WvPrGrp = 16, A_CHUNK = 16, UNRL = 1, N = 4]"
	.size	__PRETTY_FUNCTION__._Z17wvSplitKQ_hf_sml_I6__halfN3c1015Float8_e4m3fnuzELi64ELi2ELi16ELi16ELi1ELi4EEviiiiiiPKT0_S5_PKT_PS6_PKfSB_ii, 359

	.type	__PRETTY_FUNCTION__._Z13wvSplitKQ_hf_I6__halfN3c1015Float8_e4m3fnuzELi64ELi2ELi16ELi16ELi1ELi4EEviiiiiiPKT0_S5_PKT_PS6_PKfSB_ii,@object ; @__PRETTY_FUNCTION__._Z13wvSplitKQ_hf_I6__halfN3c1015Float8_e4m3fnuzELi64ELi2ELi16ELi16ELi1ELi4EEviiiiiiPKT0_S5_PKT_PS6_PKfSB_ii
__PRETTY_FUNCTION__._Z13wvSplitKQ_hf_I6__halfN3c1015Float8_e4m3fnuzELi64ELi2ELi16ELi16ELi1ELi4EEviiiiiiPKT0_S5_PKT_PS6_PKfSB_ii:
	.asciz	"void wvSplitKQ_hf_(const int, const int, const int, const int, const int, const int, const fp8_t *, const fp8_t *__restrict, const scalar_t *__restrict, scalar_t *, const float *__restrict, const float *__restrict, const int, const int) [scalar_t = __half, fp8_t = c10::Float8_e4m3fnuz, THRDS = 64, YTILE = 2, WvPrGrp = 16, A_CHUNK = 16, UNRL = 1, N = 4]"
	.size	__PRETTY_FUNCTION__._Z13wvSplitKQ_hf_I6__halfN3c1015Float8_e4m3fnuzELi64ELi2ELi16ELi16ELi1ELi4EEviiiiiiPKT0_S5_PKT_PS6_PKfSB_ii, 355

	.type	__PRETTY_FUNCTION__._Z17wvSplitKQ_hf_sml_I14__hip_bfloat16N3c1013Float8_e4m3fnELi32ELi2ELi16ELi16ELi2ELi1EEviiiiiiPKT0_S5_PKT_PS6_PKfSB_ii,@object ; @__PRETTY_FUNCTION__._Z17wvSplitKQ_hf_sml_I14__hip_bfloat16N3c1013Float8_e4m3fnELi32ELi2ELi16ELi16ELi2ELi1EEviiiiiiPKT0_S5_PKT_PS6_PKfSB_ii
__PRETTY_FUNCTION__._Z17wvSplitKQ_hf_sml_I14__hip_bfloat16N3c1013Float8_e4m3fnELi32ELi2ELi16ELi16ELi2ELi1EEviiiiiiPKT0_S5_PKT_PS6_PKfSB_ii:
	.asciz	"void wvSplitKQ_hf_sml_(const int, const int, const int, const int, const int, const int, const fp8_t *, const fp8_t *__restrict, const scalar_t *__restrict, scalar_t *, const float *__restrict, const float *__restrict, const int, const int) [scalar_t = __hip_bfloat16, fp8_t = c10::Float8_e4m3fn, THRDS = 32, YTILE = 2, WvPrGrp = 16, A_CHUNK = 16, UNRL = 2, N = 1]"
	.size	__PRETTY_FUNCTION__._Z17wvSplitKQ_hf_sml_I14__hip_bfloat16N3c1013Float8_e4m3fnELi32ELi2ELi16ELi16ELi2ELi1EEviiiiiiPKT0_S5_PKT_PS6_PKfSB_ii, 365

	.type	__PRETTY_FUNCTION__._Z13wvSplitKQ_hf_I14__hip_bfloat16N3c1013Float8_e4m3fnELi32ELi2ELi16ELi16ELi2ELi1EEviiiiiiPKT0_S5_PKT_PS6_PKfSB_ii,@object ; @__PRETTY_FUNCTION__._Z13wvSplitKQ_hf_I14__hip_bfloat16N3c1013Float8_e4m3fnELi32ELi2ELi16ELi16ELi2ELi1EEviiiiiiPKT0_S5_PKT_PS6_PKfSB_ii
__PRETTY_FUNCTION__._Z13wvSplitKQ_hf_I14__hip_bfloat16N3c1013Float8_e4m3fnELi32ELi2ELi16ELi16ELi2ELi1EEviiiiiiPKT0_S5_PKT_PS6_PKfSB_ii:
	.asciz	"void wvSplitKQ_hf_(const int, const int, const int, const int, const int, const int, const fp8_t *, const fp8_t *__restrict, const scalar_t *__restrict, scalar_t *, const float *__restrict, const float *__restrict, const int, const int) [scalar_t = __hip_bfloat16, fp8_t = c10::Float8_e4m3fn, THRDS = 32, YTILE = 2, WvPrGrp = 16, A_CHUNK = 16, UNRL = 2, N = 1]"
	.size	__PRETTY_FUNCTION__._Z13wvSplitKQ_hf_I14__hip_bfloat16N3c1013Float8_e4m3fnELi32ELi2ELi16ELi16ELi2ELi1EEviiiiiiPKT0_S5_PKT_PS6_PKfSB_ii, 361

	.type	__PRETTY_FUNCTION__._Z17wvSplitKQ_hf_sml_I14__hip_bfloat16N3c1013Float8_e4m3fnELi64ELi2ELi16ELi16ELi2ELi1EEviiiiiiPKT0_S5_PKT_PS6_PKfSB_ii,@object ; @__PRETTY_FUNCTION__._Z17wvSplitKQ_hf_sml_I14__hip_bfloat16N3c1013Float8_e4m3fnELi64ELi2ELi16ELi16ELi2ELi1EEviiiiiiPKT0_S5_PKT_PS6_PKfSB_ii
__PRETTY_FUNCTION__._Z17wvSplitKQ_hf_sml_I14__hip_bfloat16N3c1013Float8_e4m3fnELi64ELi2ELi16ELi16ELi2ELi1EEviiiiiiPKT0_S5_PKT_PS6_PKfSB_ii:
	.asciz	"void wvSplitKQ_hf_sml_(const int, const int, const int, const int, const int, const int, const fp8_t *, const fp8_t *__restrict, const scalar_t *__restrict, scalar_t *, const float *__restrict, const float *__restrict, const int, const int) [scalar_t = __hip_bfloat16, fp8_t = c10::Float8_e4m3fn, THRDS = 64, YTILE = 2, WvPrGrp = 16, A_CHUNK = 16, UNRL = 2, N = 1]"
	.size	__PRETTY_FUNCTION__._Z17wvSplitKQ_hf_sml_I14__hip_bfloat16N3c1013Float8_e4m3fnELi64ELi2ELi16ELi16ELi2ELi1EEviiiiiiPKT0_S5_PKT_PS6_PKfSB_ii, 365

	.type	__PRETTY_FUNCTION__._Z13wvSplitKQ_hf_I14__hip_bfloat16N3c1013Float8_e4m3fnELi64ELi2ELi16ELi16ELi2ELi1EEviiiiiiPKT0_S5_PKT_PS6_PKfSB_ii,@object ; @__PRETTY_FUNCTION__._Z13wvSplitKQ_hf_I14__hip_bfloat16N3c1013Float8_e4m3fnELi64ELi2ELi16ELi16ELi2ELi1EEviiiiiiPKT0_S5_PKT_PS6_PKfSB_ii
__PRETTY_FUNCTION__._Z13wvSplitKQ_hf_I14__hip_bfloat16N3c1013Float8_e4m3fnELi64ELi2ELi16ELi16ELi2ELi1EEviiiiiiPKT0_S5_PKT_PS6_PKfSB_ii:
	.asciz	"void wvSplitKQ_hf_(const int, const int, const int, const int, const int, const int, const fp8_t *, const fp8_t *__restrict, const scalar_t *__restrict, scalar_t *, const float *__restrict, const float *__restrict, const int, const int) [scalar_t = __hip_bfloat16, fp8_t = c10::Float8_e4m3fn, THRDS = 64, YTILE = 2, WvPrGrp = 16, A_CHUNK = 16, UNRL = 2, N = 1]"
	.size	__PRETTY_FUNCTION__._Z13wvSplitKQ_hf_I14__hip_bfloat16N3c1013Float8_e4m3fnELi64ELi2ELi16ELi16ELi2ELi1EEviiiiiiPKT0_S5_PKT_PS6_PKfSB_ii, 361

	.type	__PRETTY_FUNCTION__._Z17wvSplitKQ_hf_sml_I14__hip_bfloat16N3c1013Float8_e4m3fnELi32ELi2ELi16ELi16ELi2ELi2EEviiiiiiPKT0_S5_PKT_PS6_PKfSB_ii,@object ; @__PRETTY_FUNCTION__._Z17wvSplitKQ_hf_sml_I14__hip_bfloat16N3c1013Float8_e4m3fnELi32ELi2ELi16ELi16ELi2ELi2EEviiiiiiPKT0_S5_PKT_PS6_PKfSB_ii
__PRETTY_FUNCTION__._Z17wvSplitKQ_hf_sml_I14__hip_bfloat16N3c1013Float8_e4m3fnELi32ELi2ELi16ELi16ELi2ELi2EEviiiiiiPKT0_S5_PKT_PS6_PKfSB_ii:
	.asciz	"void wvSplitKQ_hf_sml_(const int, const int, const int, const int, const int, const int, const fp8_t *, const fp8_t *__restrict, const scalar_t *__restrict, scalar_t *, const float *__restrict, const float *__restrict, const int, const int) [scalar_t = __hip_bfloat16, fp8_t = c10::Float8_e4m3fn, THRDS = 32, YTILE = 2, WvPrGrp = 16, A_CHUNK = 16, UNRL = 2, N = 2]"
	.size	__PRETTY_FUNCTION__._Z17wvSplitKQ_hf_sml_I14__hip_bfloat16N3c1013Float8_e4m3fnELi32ELi2ELi16ELi16ELi2ELi2EEviiiiiiPKT0_S5_PKT_PS6_PKfSB_ii, 365

	.type	__PRETTY_FUNCTION__._Z13wvSplitKQ_hf_I14__hip_bfloat16N3c1013Float8_e4m3fnELi32ELi2ELi16ELi16ELi2ELi2EEviiiiiiPKT0_S5_PKT_PS6_PKfSB_ii,@object ; @__PRETTY_FUNCTION__._Z13wvSplitKQ_hf_I14__hip_bfloat16N3c1013Float8_e4m3fnELi32ELi2ELi16ELi16ELi2ELi2EEviiiiiiPKT0_S5_PKT_PS6_PKfSB_ii
__PRETTY_FUNCTION__._Z13wvSplitKQ_hf_I14__hip_bfloat16N3c1013Float8_e4m3fnELi32ELi2ELi16ELi16ELi2ELi2EEviiiiiiPKT0_S5_PKT_PS6_PKfSB_ii:
	.asciz	"void wvSplitKQ_hf_(const int, const int, const int, const int, const int, const int, const fp8_t *, const fp8_t *__restrict, const scalar_t *__restrict, scalar_t *, const float *__restrict, const float *__restrict, const int, const int) [scalar_t = __hip_bfloat16, fp8_t = c10::Float8_e4m3fn, THRDS = 32, YTILE = 2, WvPrGrp = 16, A_CHUNK = 16, UNRL = 2, N = 2]"
	.size	__PRETTY_FUNCTION__._Z13wvSplitKQ_hf_I14__hip_bfloat16N3c1013Float8_e4m3fnELi32ELi2ELi16ELi16ELi2ELi2EEviiiiiiPKT0_S5_PKT_PS6_PKfSB_ii, 361

	.type	__PRETTY_FUNCTION__._Z17wvSplitKQ_hf_sml_I14__hip_bfloat16N3c1013Float8_e4m3fnELi64ELi2ELi16ELi16ELi2ELi2EEviiiiiiPKT0_S5_PKT_PS6_PKfSB_ii,@object ; @__PRETTY_FUNCTION__._Z17wvSplitKQ_hf_sml_I14__hip_bfloat16N3c1013Float8_e4m3fnELi64ELi2ELi16ELi16ELi2ELi2EEviiiiiiPKT0_S5_PKT_PS6_PKfSB_ii
__PRETTY_FUNCTION__._Z17wvSplitKQ_hf_sml_I14__hip_bfloat16N3c1013Float8_e4m3fnELi64ELi2ELi16ELi16ELi2ELi2EEviiiiiiPKT0_S5_PKT_PS6_PKfSB_ii:
	.asciz	"void wvSplitKQ_hf_sml_(const int, const int, const int, const int, const int, const int, const fp8_t *, const fp8_t *__restrict, const scalar_t *__restrict, scalar_t *, const float *__restrict, const float *__restrict, const int, const int) [scalar_t = __hip_bfloat16, fp8_t = c10::Float8_e4m3fn, THRDS = 64, YTILE = 2, WvPrGrp = 16, A_CHUNK = 16, UNRL = 2, N = 2]"
	.size	__PRETTY_FUNCTION__._Z17wvSplitKQ_hf_sml_I14__hip_bfloat16N3c1013Float8_e4m3fnELi64ELi2ELi16ELi16ELi2ELi2EEviiiiiiPKT0_S5_PKT_PS6_PKfSB_ii, 365

	.type	__PRETTY_FUNCTION__._Z13wvSplitKQ_hf_I14__hip_bfloat16N3c1013Float8_e4m3fnELi64ELi2ELi16ELi16ELi2ELi2EEviiiiiiPKT0_S5_PKT_PS6_PKfSB_ii,@object ; @__PRETTY_FUNCTION__._Z13wvSplitKQ_hf_I14__hip_bfloat16N3c1013Float8_e4m3fnELi64ELi2ELi16ELi16ELi2ELi2EEviiiiiiPKT0_S5_PKT_PS6_PKfSB_ii
__PRETTY_FUNCTION__._Z13wvSplitKQ_hf_I14__hip_bfloat16N3c1013Float8_e4m3fnELi64ELi2ELi16ELi16ELi2ELi2EEviiiiiiPKT0_S5_PKT_PS6_PKfSB_ii:
	.asciz	"void wvSplitKQ_hf_(const int, const int, const int, const int, const int, const int, const fp8_t *, const fp8_t *__restrict, const scalar_t *__restrict, scalar_t *, const float *__restrict, const float *__restrict, const int, const int) [scalar_t = __hip_bfloat16, fp8_t = c10::Float8_e4m3fn, THRDS = 64, YTILE = 2, WvPrGrp = 16, A_CHUNK = 16, UNRL = 2, N = 2]"
	.size	__PRETTY_FUNCTION__._Z13wvSplitKQ_hf_I14__hip_bfloat16N3c1013Float8_e4m3fnELi64ELi2ELi16ELi16ELi2ELi2EEviiiiiiPKT0_S5_PKT_PS6_PKfSB_ii, 361

	.type	__PRETTY_FUNCTION__._Z17wvSplitKQ_hf_sml_I14__hip_bfloat16N3c1013Float8_e4m3fnELi32ELi2ELi16ELi16ELi1ELi3EEviiiiiiPKT0_S5_PKT_PS6_PKfSB_ii,@object ; @__PRETTY_FUNCTION__._Z17wvSplitKQ_hf_sml_I14__hip_bfloat16N3c1013Float8_e4m3fnELi32ELi2ELi16ELi16ELi1ELi3EEviiiiiiPKT0_S5_PKT_PS6_PKfSB_ii
__PRETTY_FUNCTION__._Z17wvSplitKQ_hf_sml_I14__hip_bfloat16N3c1013Float8_e4m3fnELi32ELi2ELi16ELi16ELi1ELi3EEviiiiiiPKT0_S5_PKT_PS6_PKfSB_ii:
	.asciz	"void wvSplitKQ_hf_sml_(const int, const int, const int, const int, const int, const int, const fp8_t *, const fp8_t *__restrict, const scalar_t *__restrict, scalar_t *, const float *__restrict, const float *__restrict, const int, const int) [scalar_t = __hip_bfloat16, fp8_t = c10::Float8_e4m3fn, THRDS = 32, YTILE = 2, WvPrGrp = 16, A_CHUNK = 16, UNRL = 1, N = 3]"
	.size	__PRETTY_FUNCTION__._Z17wvSplitKQ_hf_sml_I14__hip_bfloat16N3c1013Float8_e4m3fnELi32ELi2ELi16ELi16ELi1ELi3EEviiiiiiPKT0_S5_PKT_PS6_PKfSB_ii, 365

	.type	__PRETTY_FUNCTION__._Z13wvSplitKQ_hf_I14__hip_bfloat16N3c1013Float8_e4m3fnELi32ELi2ELi16ELi16ELi1ELi3EEviiiiiiPKT0_S5_PKT_PS6_PKfSB_ii,@object ; @__PRETTY_FUNCTION__._Z13wvSplitKQ_hf_I14__hip_bfloat16N3c1013Float8_e4m3fnELi32ELi2ELi16ELi16ELi1ELi3EEviiiiiiPKT0_S5_PKT_PS6_PKfSB_ii
__PRETTY_FUNCTION__._Z13wvSplitKQ_hf_I14__hip_bfloat16N3c1013Float8_e4m3fnELi32ELi2ELi16ELi16ELi1ELi3EEviiiiiiPKT0_S5_PKT_PS6_PKfSB_ii:
	.asciz	"void wvSplitKQ_hf_(const int, const int, const int, const int, const int, const int, const fp8_t *, const fp8_t *__restrict, const scalar_t *__restrict, scalar_t *, const float *__restrict, const float *__restrict, const int, const int) [scalar_t = __hip_bfloat16, fp8_t = c10::Float8_e4m3fn, THRDS = 32, YTILE = 2, WvPrGrp = 16, A_CHUNK = 16, UNRL = 1, N = 3]"
	.size	__PRETTY_FUNCTION__._Z13wvSplitKQ_hf_I14__hip_bfloat16N3c1013Float8_e4m3fnELi32ELi2ELi16ELi16ELi1ELi3EEviiiiiiPKT0_S5_PKT_PS6_PKfSB_ii, 361

	.type	__PRETTY_FUNCTION__._Z17wvSplitKQ_hf_sml_I14__hip_bfloat16N3c1013Float8_e4m3fnELi64ELi2ELi16ELi16ELi1ELi3EEviiiiiiPKT0_S5_PKT_PS6_PKfSB_ii,@object ; @__PRETTY_FUNCTION__._Z17wvSplitKQ_hf_sml_I14__hip_bfloat16N3c1013Float8_e4m3fnELi64ELi2ELi16ELi16ELi1ELi3EEviiiiiiPKT0_S5_PKT_PS6_PKfSB_ii
__PRETTY_FUNCTION__._Z17wvSplitKQ_hf_sml_I14__hip_bfloat16N3c1013Float8_e4m3fnELi64ELi2ELi16ELi16ELi1ELi3EEviiiiiiPKT0_S5_PKT_PS6_PKfSB_ii:
	.asciz	"void wvSplitKQ_hf_sml_(const int, const int, const int, const int, const int, const int, const fp8_t *, const fp8_t *__restrict, const scalar_t *__restrict, scalar_t *, const float *__restrict, const float *__restrict, const int, const int) [scalar_t = __hip_bfloat16, fp8_t = c10::Float8_e4m3fn, THRDS = 64, YTILE = 2, WvPrGrp = 16, A_CHUNK = 16, UNRL = 1, N = 3]"
	.size	__PRETTY_FUNCTION__._Z17wvSplitKQ_hf_sml_I14__hip_bfloat16N3c1013Float8_e4m3fnELi64ELi2ELi16ELi16ELi1ELi3EEviiiiiiPKT0_S5_PKT_PS6_PKfSB_ii, 365

	.type	__PRETTY_FUNCTION__._Z13wvSplitKQ_hf_I14__hip_bfloat16N3c1013Float8_e4m3fnELi64ELi2ELi16ELi16ELi1ELi3EEviiiiiiPKT0_S5_PKT_PS6_PKfSB_ii,@object ; @__PRETTY_FUNCTION__._Z13wvSplitKQ_hf_I14__hip_bfloat16N3c1013Float8_e4m3fnELi64ELi2ELi16ELi16ELi1ELi3EEviiiiiiPKT0_S5_PKT_PS6_PKfSB_ii
__PRETTY_FUNCTION__._Z13wvSplitKQ_hf_I14__hip_bfloat16N3c1013Float8_e4m3fnELi64ELi2ELi16ELi16ELi1ELi3EEviiiiiiPKT0_S5_PKT_PS6_PKfSB_ii:
	.asciz	"void wvSplitKQ_hf_(const int, const int, const int, const int, const int, const int, const fp8_t *, const fp8_t *__restrict, const scalar_t *__restrict, scalar_t *, const float *__restrict, const float *__restrict, const int, const int) [scalar_t = __hip_bfloat16, fp8_t = c10::Float8_e4m3fn, THRDS = 64, YTILE = 2, WvPrGrp = 16, A_CHUNK = 16, UNRL = 1, N = 3]"
	.size	__PRETTY_FUNCTION__._Z13wvSplitKQ_hf_I14__hip_bfloat16N3c1013Float8_e4m3fnELi64ELi2ELi16ELi16ELi1ELi3EEviiiiiiPKT0_S5_PKT_PS6_PKfSB_ii, 361

	.type	__PRETTY_FUNCTION__._Z17wvSplitKQ_hf_sml_I14__hip_bfloat16N3c1013Float8_e4m3fnELi32ELi2ELi16ELi16ELi1ELi4EEviiiiiiPKT0_S5_PKT_PS6_PKfSB_ii,@object ; @__PRETTY_FUNCTION__._Z17wvSplitKQ_hf_sml_I14__hip_bfloat16N3c1013Float8_e4m3fnELi32ELi2ELi16ELi16ELi1ELi4EEviiiiiiPKT0_S5_PKT_PS6_PKfSB_ii
__PRETTY_FUNCTION__._Z17wvSplitKQ_hf_sml_I14__hip_bfloat16N3c1013Float8_e4m3fnELi32ELi2ELi16ELi16ELi1ELi4EEviiiiiiPKT0_S5_PKT_PS6_PKfSB_ii:
	.asciz	"void wvSplitKQ_hf_sml_(const int, const int, const int, const int, const int, const int, const fp8_t *, const fp8_t *__restrict, const scalar_t *__restrict, scalar_t *, const float *__restrict, const float *__restrict, const int, const int) [scalar_t = __hip_bfloat16, fp8_t = c10::Float8_e4m3fn, THRDS = 32, YTILE = 2, WvPrGrp = 16, A_CHUNK = 16, UNRL = 1, N = 4]"
	.size	__PRETTY_FUNCTION__._Z17wvSplitKQ_hf_sml_I14__hip_bfloat16N3c1013Float8_e4m3fnELi32ELi2ELi16ELi16ELi1ELi4EEviiiiiiPKT0_S5_PKT_PS6_PKfSB_ii, 365

	.type	__PRETTY_FUNCTION__._Z13wvSplitKQ_hf_I14__hip_bfloat16N3c1013Float8_e4m3fnELi32ELi2ELi16ELi16ELi1ELi4EEviiiiiiPKT0_S5_PKT_PS6_PKfSB_ii,@object ; @__PRETTY_FUNCTION__._Z13wvSplitKQ_hf_I14__hip_bfloat16N3c1013Float8_e4m3fnELi32ELi2ELi16ELi16ELi1ELi4EEviiiiiiPKT0_S5_PKT_PS6_PKfSB_ii
__PRETTY_FUNCTION__._Z13wvSplitKQ_hf_I14__hip_bfloat16N3c1013Float8_e4m3fnELi32ELi2ELi16ELi16ELi1ELi4EEviiiiiiPKT0_S5_PKT_PS6_PKfSB_ii:
	.asciz	"void wvSplitKQ_hf_(const int, const int, const int, const int, const int, const int, const fp8_t *, const fp8_t *__restrict, const scalar_t *__restrict, scalar_t *, const float *__restrict, const float *__restrict, const int, const int) [scalar_t = __hip_bfloat16, fp8_t = c10::Float8_e4m3fn, THRDS = 32, YTILE = 2, WvPrGrp = 16, A_CHUNK = 16, UNRL = 1, N = 4]"
	.size	__PRETTY_FUNCTION__._Z13wvSplitKQ_hf_I14__hip_bfloat16N3c1013Float8_e4m3fnELi32ELi2ELi16ELi16ELi1ELi4EEviiiiiiPKT0_S5_PKT_PS6_PKfSB_ii, 361

	.type	__PRETTY_FUNCTION__._Z17wvSplitKQ_hf_sml_I14__hip_bfloat16N3c1013Float8_e4m3fnELi64ELi2ELi16ELi16ELi1ELi4EEviiiiiiPKT0_S5_PKT_PS6_PKfSB_ii,@object ; @__PRETTY_FUNCTION__._Z17wvSplitKQ_hf_sml_I14__hip_bfloat16N3c1013Float8_e4m3fnELi64ELi2ELi16ELi16ELi1ELi4EEviiiiiiPKT0_S5_PKT_PS6_PKfSB_ii
__PRETTY_FUNCTION__._Z17wvSplitKQ_hf_sml_I14__hip_bfloat16N3c1013Float8_e4m3fnELi64ELi2ELi16ELi16ELi1ELi4EEviiiiiiPKT0_S5_PKT_PS6_PKfSB_ii:
	.asciz	"void wvSplitKQ_hf_sml_(const int, const int, const int, const int, const int, const int, const fp8_t *, const fp8_t *__restrict, const scalar_t *__restrict, scalar_t *, const float *__restrict, const float *__restrict, const int, const int) [scalar_t = __hip_bfloat16, fp8_t = c10::Float8_e4m3fn, THRDS = 64, YTILE = 2, WvPrGrp = 16, A_CHUNK = 16, UNRL = 1, N = 4]"
	.size	__PRETTY_FUNCTION__._Z17wvSplitKQ_hf_sml_I14__hip_bfloat16N3c1013Float8_e4m3fnELi64ELi2ELi16ELi16ELi1ELi4EEviiiiiiPKT0_S5_PKT_PS6_PKfSB_ii, 365

	.type	__PRETTY_FUNCTION__._Z13wvSplitKQ_hf_I14__hip_bfloat16N3c1013Float8_e4m3fnELi64ELi2ELi16ELi16ELi1ELi4EEviiiiiiPKT0_S5_PKT_PS6_PKfSB_ii,@object ; @__PRETTY_FUNCTION__._Z13wvSplitKQ_hf_I14__hip_bfloat16N3c1013Float8_e4m3fnELi64ELi2ELi16ELi16ELi1ELi4EEviiiiiiPKT0_S5_PKT_PS6_PKfSB_ii
__PRETTY_FUNCTION__._Z13wvSplitKQ_hf_I14__hip_bfloat16N3c1013Float8_e4m3fnELi64ELi2ELi16ELi16ELi1ELi4EEviiiiiiPKT0_S5_PKT_PS6_PKfSB_ii:
	.asciz	"void wvSplitKQ_hf_(const int, const int, const int, const int, const int, const int, const fp8_t *, const fp8_t *__restrict, const scalar_t *__restrict, scalar_t *, const float *__restrict, const float *__restrict, const int, const int) [scalar_t = __hip_bfloat16, fp8_t = c10::Float8_e4m3fn, THRDS = 64, YTILE = 2, WvPrGrp = 16, A_CHUNK = 16, UNRL = 1, N = 4]"
	.size	__PRETTY_FUNCTION__._Z13wvSplitKQ_hf_I14__hip_bfloat16N3c1013Float8_e4m3fnELi64ELi2ELi16ELi16ELi1ELi4EEviiiiiiPKT0_S5_PKT_PS6_PKfSB_ii, 361

	.type	__PRETTY_FUNCTION__._Z17wvSplitKQ_hf_sml_I14__hip_bfloat16N3c1015Float8_e4m3fnuzELi32ELi2ELi16ELi16ELi2ELi1EEviiiiiiPKT0_S5_PKT_PS6_PKfSB_ii,@object ; @__PRETTY_FUNCTION__._Z17wvSplitKQ_hf_sml_I14__hip_bfloat16N3c1015Float8_e4m3fnuzELi32ELi2ELi16ELi16ELi2ELi1EEviiiiiiPKT0_S5_PKT_PS6_PKfSB_ii
__PRETTY_FUNCTION__._Z17wvSplitKQ_hf_sml_I14__hip_bfloat16N3c1015Float8_e4m3fnuzELi32ELi2ELi16ELi16ELi2ELi1EEviiiiiiPKT0_S5_PKT_PS6_PKfSB_ii:
	.asciz	"void wvSplitKQ_hf_sml_(const int, const int, const int, const int, const int, const int, const fp8_t *, const fp8_t *__restrict, const scalar_t *__restrict, scalar_t *, const float *__restrict, const float *__restrict, const int, const int) [scalar_t = __hip_bfloat16, fp8_t = c10::Float8_e4m3fnuz, THRDS = 32, YTILE = 2, WvPrGrp = 16, A_CHUNK = 16, UNRL = 2, N = 1]"
	.size	__PRETTY_FUNCTION__._Z17wvSplitKQ_hf_sml_I14__hip_bfloat16N3c1015Float8_e4m3fnuzELi32ELi2ELi16ELi16ELi2ELi1EEviiiiiiPKT0_S5_PKT_PS6_PKfSB_ii, 367

	.type	__PRETTY_FUNCTION__._Z13wvSplitKQ_hf_I14__hip_bfloat16N3c1015Float8_e4m3fnuzELi32ELi2ELi16ELi16ELi2ELi1EEviiiiiiPKT0_S5_PKT_PS6_PKfSB_ii,@object ; @__PRETTY_FUNCTION__._Z13wvSplitKQ_hf_I14__hip_bfloat16N3c1015Float8_e4m3fnuzELi32ELi2ELi16ELi16ELi2ELi1EEviiiiiiPKT0_S5_PKT_PS6_PKfSB_ii
__PRETTY_FUNCTION__._Z13wvSplitKQ_hf_I14__hip_bfloat16N3c1015Float8_e4m3fnuzELi32ELi2ELi16ELi16ELi2ELi1EEviiiiiiPKT0_S5_PKT_PS6_PKfSB_ii:
	.asciz	"void wvSplitKQ_hf_(const int, const int, const int, const int, const int, const int, const fp8_t *, const fp8_t *__restrict, const scalar_t *__restrict, scalar_t *, const float *__restrict, const float *__restrict, const int, const int) [scalar_t = __hip_bfloat16, fp8_t = c10::Float8_e4m3fnuz, THRDS = 32, YTILE = 2, WvPrGrp = 16, A_CHUNK = 16, UNRL = 2, N = 1]"
	.size	__PRETTY_FUNCTION__._Z13wvSplitKQ_hf_I14__hip_bfloat16N3c1015Float8_e4m3fnuzELi32ELi2ELi16ELi16ELi2ELi1EEviiiiiiPKT0_S5_PKT_PS6_PKfSB_ii, 363

	.type	__PRETTY_FUNCTION__._Z17wvSplitKQ_hf_sml_I14__hip_bfloat16N3c1015Float8_e4m3fnuzELi64ELi2ELi16ELi16ELi2ELi1EEviiiiiiPKT0_S5_PKT_PS6_PKfSB_ii,@object ; @__PRETTY_FUNCTION__._Z17wvSplitKQ_hf_sml_I14__hip_bfloat16N3c1015Float8_e4m3fnuzELi64ELi2ELi16ELi16ELi2ELi1EEviiiiiiPKT0_S5_PKT_PS6_PKfSB_ii
__PRETTY_FUNCTION__._Z17wvSplitKQ_hf_sml_I14__hip_bfloat16N3c1015Float8_e4m3fnuzELi64ELi2ELi16ELi16ELi2ELi1EEviiiiiiPKT0_S5_PKT_PS6_PKfSB_ii:
	.asciz	"void wvSplitKQ_hf_sml_(const int, const int, const int, const int, const int, const int, const fp8_t *, const fp8_t *__restrict, const scalar_t *__restrict, scalar_t *, const float *__restrict, const float *__restrict, const int, const int) [scalar_t = __hip_bfloat16, fp8_t = c10::Float8_e4m3fnuz, THRDS = 64, YTILE = 2, WvPrGrp = 16, A_CHUNK = 16, UNRL = 2, N = 1]"
	.size	__PRETTY_FUNCTION__._Z17wvSplitKQ_hf_sml_I14__hip_bfloat16N3c1015Float8_e4m3fnuzELi64ELi2ELi16ELi16ELi2ELi1EEviiiiiiPKT0_S5_PKT_PS6_PKfSB_ii, 367

	.type	__PRETTY_FUNCTION__._Z13wvSplitKQ_hf_I14__hip_bfloat16N3c1015Float8_e4m3fnuzELi64ELi2ELi16ELi16ELi2ELi1EEviiiiiiPKT0_S5_PKT_PS6_PKfSB_ii,@object ; @__PRETTY_FUNCTION__._Z13wvSplitKQ_hf_I14__hip_bfloat16N3c1015Float8_e4m3fnuzELi64ELi2ELi16ELi16ELi2ELi1EEviiiiiiPKT0_S5_PKT_PS6_PKfSB_ii
__PRETTY_FUNCTION__._Z13wvSplitKQ_hf_I14__hip_bfloat16N3c1015Float8_e4m3fnuzELi64ELi2ELi16ELi16ELi2ELi1EEviiiiiiPKT0_S5_PKT_PS6_PKfSB_ii:
	.asciz	"void wvSplitKQ_hf_(const int, const int, const int, const int, const int, const int, const fp8_t *, const fp8_t *__restrict, const scalar_t *__restrict, scalar_t *, const float *__restrict, const float *__restrict, const int, const int) [scalar_t = __hip_bfloat16, fp8_t = c10::Float8_e4m3fnuz, THRDS = 64, YTILE = 2, WvPrGrp = 16, A_CHUNK = 16, UNRL = 2, N = 1]"
	.size	__PRETTY_FUNCTION__._Z13wvSplitKQ_hf_I14__hip_bfloat16N3c1015Float8_e4m3fnuzELi64ELi2ELi16ELi16ELi2ELi1EEviiiiiiPKT0_S5_PKT_PS6_PKfSB_ii, 363

	.type	__PRETTY_FUNCTION__._Z17wvSplitKQ_hf_sml_I14__hip_bfloat16N3c1015Float8_e4m3fnuzELi32ELi2ELi16ELi16ELi2ELi2EEviiiiiiPKT0_S5_PKT_PS6_PKfSB_ii,@object ; @__PRETTY_FUNCTION__._Z17wvSplitKQ_hf_sml_I14__hip_bfloat16N3c1015Float8_e4m3fnuzELi32ELi2ELi16ELi16ELi2ELi2EEviiiiiiPKT0_S5_PKT_PS6_PKfSB_ii
__PRETTY_FUNCTION__._Z17wvSplitKQ_hf_sml_I14__hip_bfloat16N3c1015Float8_e4m3fnuzELi32ELi2ELi16ELi16ELi2ELi2EEviiiiiiPKT0_S5_PKT_PS6_PKfSB_ii:
	.asciz	"void wvSplitKQ_hf_sml_(const int, const int, const int, const int, const int, const int, const fp8_t *, const fp8_t *__restrict, const scalar_t *__restrict, scalar_t *, const float *__restrict, const float *__restrict, const int, const int) [scalar_t = __hip_bfloat16, fp8_t = c10::Float8_e4m3fnuz, THRDS = 32, YTILE = 2, WvPrGrp = 16, A_CHUNK = 16, UNRL = 2, N = 2]"
	.size	__PRETTY_FUNCTION__._Z17wvSplitKQ_hf_sml_I14__hip_bfloat16N3c1015Float8_e4m3fnuzELi32ELi2ELi16ELi16ELi2ELi2EEviiiiiiPKT0_S5_PKT_PS6_PKfSB_ii, 367

	.type	__PRETTY_FUNCTION__._Z13wvSplitKQ_hf_I14__hip_bfloat16N3c1015Float8_e4m3fnuzELi32ELi2ELi16ELi16ELi2ELi2EEviiiiiiPKT0_S5_PKT_PS6_PKfSB_ii,@object ; @__PRETTY_FUNCTION__._Z13wvSplitKQ_hf_I14__hip_bfloat16N3c1015Float8_e4m3fnuzELi32ELi2ELi16ELi16ELi2ELi2EEviiiiiiPKT0_S5_PKT_PS6_PKfSB_ii
__PRETTY_FUNCTION__._Z13wvSplitKQ_hf_I14__hip_bfloat16N3c1015Float8_e4m3fnuzELi32ELi2ELi16ELi16ELi2ELi2EEviiiiiiPKT0_S5_PKT_PS6_PKfSB_ii:
	.asciz	"void wvSplitKQ_hf_(const int, const int, const int, const int, const int, const int, const fp8_t *, const fp8_t *__restrict, const scalar_t *__restrict, scalar_t *, const float *__restrict, const float *__restrict, const int, const int) [scalar_t = __hip_bfloat16, fp8_t = c10::Float8_e4m3fnuz, THRDS = 32, YTILE = 2, WvPrGrp = 16, A_CHUNK = 16, UNRL = 2, N = 2]"
	.size	__PRETTY_FUNCTION__._Z13wvSplitKQ_hf_I14__hip_bfloat16N3c1015Float8_e4m3fnuzELi32ELi2ELi16ELi16ELi2ELi2EEviiiiiiPKT0_S5_PKT_PS6_PKfSB_ii, 363

	.type	__PRETTY_FUNCTION__._Z17wvSplitKQ_hf_sml_I14__hip_bfloat16N3c1015Float8_e4m3fnuzELi64ELi2ELi16ELi16ELi2ELi2EEviiiiiiPKT0_S5_PKT_PS6_PKfSB_ii,@object ; @__PRETTY_FUNCTION__._Z17wvSplitKQ_hf_sml_I14__hip_bfloat16N3c1015Float8_e4m3fnuzELi64ELi2ELi16ELi16ELi2ELi2EEviiiiiiPKT0_S5_PKT_PS6_PKfSB_ii
__PRETTY_FUNCTION__._Z17wvSplitKQ_hf_sml_I14__hip_bfloat16N3c1015Float8_e4m3fnuzELi64ELi2ELi16ELi16ELi2ELi2EEviiiiiiPKT0_S5_PKT_PS6_PKfSB_ii:
	.asciz	"void wvSplitKQ_hf_sml_(const int, const int, const int, const int, const int, const int, const fp8_t *, const fp8_t *__restrict, const scalar_t *__restrict, scalar_t *, const float *__restrict, const float *__restrict, const int, const int) [scalar_t = __hip_bfloat16, fp8_t = c10::Float8_e4m3fnuz, THRDS = 64, YTILE = 2, WvPrGrp = 16, A_CHUNK = 16, UNRL = 2, N = 2]"
	.size	__PRETTY_FUNCTION__._Z17wvSplitKQ_hf_sml_I14__hip_bfloat16N3c1015Float8_e4m3fnuzELi64ELi2ELi16ELi16ELi2ELi2EEviiiiiiPKT0_S5_PKT_PS6_PKfSB_ii, 367

	.type	__PRETTY_FUNCTION__._Z13wvSplitKQ_hf_I14__hip_bfloat16N3c1015Float8_e4m3fnuzELi64ELi2ELi16ELi16ELi2ELi2EEviiiiiiPKT0_S5_PKT_PS6_PKfSB_ii,@object ; @__PRETTY_FUNCTION__._Z13wvSplitKQ_hf_I14__hip_bfloat16N3c1015Float8_e4m3fnuzELi64ELi2ELi16ELi16ELi2ELi2EEviiiiiiPKT0_S5_PKT_PS6_PKfSB_ii
__PRETTY_FUNCTION__._Z13wvSplitKQ_hf_I14__hip_bfloat16N3c1015Float8_e4m3fnuzELi64ELi2ELi16ELi16ELi2ELi2EEviiiiiiPKT0_S5_PKT_PS6_PKfSB_ii:
	.asciz	"void wvSplitKQ_hf_(const int, const int, const int, const int, const int, const int, const fp8_t *, const fp8_t *__restrict, const scalar_t *__restrict, scalar_t *, const float *__restrict, const float *__restrict, const int, const int) [scalar_t = __hip_bfloat16, fp8_t = c10::Float8_e4m3fnuz, THRDS = 64, YTILE = 2, WvPrGrp = 16, A_CHUNK = 16, UNRL = 2, N = 2]"
	.size	__PRETTY_FUNCTION__._Z13wvSplitKQ_hf_I14__hip_bfloat16N3c1015Float8_e4m3fnuzELi64ELi2ELi16ELi16ELi2ELi2EEviiiiiiPKT0_S5_PKT_PS6_PKfSB_ii, 363

	.type	__PRETTY_FUNCTION__._Z17wvSplitKQ_hf_sml_I14__hip_bfloat16N3c1015Float8_e4m3fnuzELi32ELi2ELi16ELi16ELi1ELi3EEviiiiiiPKT0_S5_PKT_PS6_PKfSB_ii,@object ; @__PRETTY_FUNCTION__._Z17wvSplitKQ_hf_sml_I14__hip_bfloat16N3c1015Float8_e4m3fnuzELi32ELi2ELi16ELi16ELi1ELi3EEviiiiiiPKT0_S5_PKT_PS6_PKfSB_ii
__PRETTY_FUNCTION__._Z17wvSplitKQ_hf_sml_I14__hip_bfloat16N3c1015Float8_e4m3fnuzELi32ELi2ELi16ELi16ELi1ELi3EEviiiiiiPKT0_S5_PKT_PS6_PKfSB_ii:
	.asciz	"void wvSplitKQ_hf_sml_(const int, const int, const int, const int, const int, const int, const fp8_t *, const fp8_t *__restrict, const scalar_t *__restrict, scalar_t *, const float *__restrict, const float *__restrict, const int, const int) [scalar_t = __hip_bfloat16, fp8_t = c10::Float8_e4m3fnuz, THRDS = 32, YTILE = 2, WvPrGrp = 16, A_CHUNK = 16, UNRL = 1, N = 3]"
	.size	__PRETTY_FUNCTION__._Z17wvSplitKQ_hf_sml_I14__hip_bfloat16N3c1015Float8_e4m3fnuzELi32ELi2ELi16ELi16ELi1ELi3EEviiiiiiPKT0_S5_PKT_PS6_PKfSB_ii, 367

	.type	__PRETTY_FUNCTION__._Z13wvSplitKQ_hf_I14__hip_bfloat16N3c1015Float8_e4m3fnuzELi32ELi2ELi16ELi16ELi1ELi3EEviiiiiiPKT0_S5_PKT_PS6_PKfSB_ii,@object ; @__PRETTY_FUNCTION__._Z13wvSplitKQ_hf_I14__hip_bfloat16N3c1015Float8_e4m3fnuzELi32ELi2ELi16ELi16ELi1ELi3EEviiiiiiPKT0_S5_PKT_PS6_PKfSB_ii
__PRETTY_FUNCTION__._Z13wvSplitKQ_hf_I14__hip_bfloat16N3c1015Float8_e4m3fnuzELi32ELi2ELi16ELi16ELi1ELi3EEviiiiiiPKT0_S5_PKT_PS6_PKfSB_ii:
	.asciz	"void wvSplitKQ_hf_(const int, const int, const int, const int, const int, const int, const fp8_t *, const fp8_t *__restrict, const scalar_t *__restrict, scalar_t *, const float *__restrict, const float *__restrict, const int, const int) [scalar_t = __hip_bfloat16, fp8_t = c10::Float8_e4m3fnuz, THRDS = 32, YTILE = 2, WvPrGrp = 16, A_CHUNK = 16, UNRL = 1, N = 3]"
	.size	__PRETTY_FUNCTION__._Z13wvSplitKQ_hf_I14__hip_bfloat16N3c1015Float8_e4m3fnuzELi32ELi2ELi16ELi16ELi1ELi3EEviiiiiiPKT0_S5_PKT_PS6_PKfSB_ii, 363

	.type	__PRETTY_FUNCTION__._Z17wvSplitKQ_hf_sml_I14__hip_bfloat16N3c1015Float8_e4m3fnuzELi64ELi2ELi16ELi16ELi1ELi3EEviiiiiiPKT0_S5_PKT_PS6_PKfSB_ii,@object ; @__PRETTY_FUNCTION__._Z17wvSplitKQ_hf_sml_I14__hip_bfloat16N3c1015Float8_e4m3fnuzELi64ELi2ELi16ELi16ELi1ELi3EEviiiiiiPKT0_S5_PKT_PS6_PKfSB_ii
__PRETTY_FUNCTION__._Z17wvSplitKQ_hf_sml_I14__hip_bfloat16N3c1015Float8_e4m3fnuzELi64ELi2ELi16ELi16ELi1ELi3EEviiiiiiPKT0_S5_PKT_PS6_PKfSB_ii:
	.asciz	"void wvSplitKQ_hf_sml_(const int, const int, const int, const int, const int, const int, const fp8_t *, const fp8_t *__restrict, const scalar_t *__restrict, scalar_t *, const float *__restrict, const float *__restrict, const int, const int) [scalar_t = __hip_bfloat16, fp8_t = c10::Float8_e4m3fnuz, THRDS = 64, YTILE = 2, WvPrGrp = 16, A_CHUNK = 16, UNRL = 1, N = 3]"
	.size	__PRETTY_FUNCTION__._Z17wvSplitKQ_hf_sml_I14__hip_bfloat16N3c1015Float8_e4m3fnuzELi64ELi2ELi16ELi16ELi1ELi3EEviiiiiiPKT0_S5_PKT_PS6_PKfSB_ii, 367

	.type	__PRETTY_FUNCTION__._Z13wvSplitKQ_hf_I14__hip_bfloat16N3c1015Float8_e4m3fnuzELi64ELi2ELi16ELi16ELi1ELi3EEviiiiiiPKT0_S5_PKT_PS6_PKfSB_ii,@object ; @__PRETTY_FUNCTION__._Z13wvSplitKQ_hf_I14__hip_bfloat16N3c1015Float8_e4m3fnuzELi64ELi2ELi16ELi16ELi1ELi3EEviiiiiiPKT0_S5_PKT_PS6_PKfSB_ii
__PRETTY_FUNCTION__._Z13wvSplitKQ_hf_I14__hip_bfloat16N3c1015Float8_e4m3fnuzELi64ELi2ELi16ELi16ELi1ELi3EEviiiiiiPKT0_S5_PKT_PS6_PKfSB_ii:
	.asciz	"void wvSplitKQ_hf_(const int, const int, const int, const int, const int, const int, const fp8_t *, const fp8_t *__restrict, const scalar_t *__restrict, scalar_t *, const float *__restrict, const float *__restrict, const int, const int) [scalar_t = __hip_bfloat16, fp8_t = c10::Float8_e4m3fnuz, THRDS = 64, YTILE = 2, WvPrGrp = 16, A_CHUNK = 16, UNRL = 1, N = 3]"
	.size	__PRETTY_FUNCTION__._Z13wvSplitKQ_hf_I14__hip_bfloat16N3c1015Float8_e4m3fnuzELi64ELi2ELi16ELi16ELi1ELi3EEviiiiiiPKT0_S5_PKT_PS6_PKfSB_ii, 363

	.type	__PRETTY_FUNCTION__._Z17wvSplitKQ_hf_sml_I14__hip_bfloat16N3c1015Float8_e4m3fnuzELi32ELi2ELi16ELi16ELi1ELi4EEviiiiiiPKT0_S5_PKT_PS6_PKfSB_ii,@object ; @__PRETTY_FUNCTION__._Z17wvSplitKQ_hf_sml_I14__hip_bfloat16N3c1015Float8_e4m3fnuzELi32ELi2ELi16ELi16ELi1ELi4EEviiiiiiPKT0_S5_PKT_PS6_PKfSB_ii
__PRETTY_FUNCTION__._Z17wvSplitKQ_hf_sml_I14__hip_bfloat16N3c1015Float8_e4m3fnuzELi32ELi2ELi16ELi16ELi1ELi4EEviiiiiiPKT0_S5_PKT_PS6_PKfSB_ii:
	.asciz	"void wvSplitKQ_hf_sml_(const int, const int, const int, const int, const int, const int, const fp8_t *, const fp8_t *__restrict, const scalar_t *__restrict, scalar_t *, const float *__restrict, const float *__restrict, const int, const int) [scalar_t = __hip_bfloat16, fp8_t = c10::Float8_e4m3fnuz, THRDS = 32, YTILE = 2, WvPrGrp = 16, A_CHUNK = 16, UNRL = 1, N = 4]"
	.size	__PRETTY_FUNCTION__._Z17wvSplitKQ_hf_sml_I14__hip_bfloat16N3c1015Float8_e4m3fnuzELi32ELi2ELi16ELi16ELi1ELi4EEviiiiiiPKT0_S5_PKT_PS6_PKfSB_ii, 367

	.type	__PRETTY_FUNCTION__._Z13wvSplitKQ_hf_I14__hip_bfloat16N3c1015Float8_e4m3fnuzELi32ELi2ELi16ELi16ELi1ELi4EEviiiiiiPKT0_S5_PKT_PS6_PKfSB_ii,@object ; @__PRETTY_FUNCTION__._Z13wvSplitKQ_hf_I14__hip_bfloat16N3c1015Float8_e4m3fnuzELi32ELi2ELi16ELi16ELi1ELi4EEviiiiiiPKT0_S5_PKT_PS6_PKfSB_ii
__PRETTY_FUNCTION__._Z13wvSplitKQ_hf_I14__hip_bfloat16N3c1015Float8_e4m3fnuzELi32ELi2ELi16ELi16ELi1ELi4EEviiiiiiPKT0_S5_PKT_PS6_PKfSB_ii:
	.asciz	"void wvSplitKQ_hf_(const int, const int, const int, const int, const int, const int, const fp8_t *, const fp8_t *__restrict, const scalar_t *__restrict, scalar_t *, const float *__restrict, const float *__restrict, const int, const int) [scalar_t = __hip_bfloat16, fp8_t = c10::Float8_e4m3fnuz, THRDS = 32, YTILE = 2, WvPrGrp = 16, A_CHUNK = 16, UNRL = 1, N = 4]"
	.size	__PRETTY_FUNCTION__._Z13wvSplitKQ_hf_I14__hip_bfloat16N3c1015Float8_e4m3fnuzELi32ELi2ELi16ELi16ELi1ELi4EEviiiiiiPKT0_S5_PKT_PS6_PKfSB_ii, 363

	.type	__PRETTY_FUNCTION__._Z17wvSplitKQ_hf_sml_I14__hip_bfloat16N3c1015Float8_e4m3fnuzELi64ELi2ELi16ELi16ELi1ELi4EEviiiiiiPKT0_S5_PKT_PS6_PKfSB_ii,@object ; @__PRETTY_FUNCTION__._Z17wvSplitKQ_hf_sml_I14__hip_bfloat16N3c1015Float8_e4m3fnuzELi64ELi2ELi16ELi16ELi1ELi4EEviiiiiiPKT0_S5_PKT_PS6_PKfSB_ii
__PRETTY_FUNCTION__._Z17wvSplitKQ_hf_sml_I14__hip_bfloat16N3c1015Float8_e4m3fnuzELi64ELi2ELi16ELi16ELi1ELi4EEviiiiiiPKT0_S5_PKT_PS6_PKfSB_ii:
	.asciz	"void wvSplitKQ_hf_sml_(const int, const int, const int, const int, const int, const int, const fp8_t *, const fp8_t *__restrict, const scalar_t *__restrict, scalar_t *, const float *__restrict, const float *__restrict, const int, const int) [scalar_t = __hip_bfloat16, fp8_t = c10::Float8_e4m3fnuz, THRDS = 64, YTILE = 2, WvPrGrp = 16, A_CHUNK = 16, UNRL = 1, N = 4]"
	.size	__PRETTY_FUNCTION__._Z17wvSplitKQ_hf_sml_I14__hip_bfloat16N3c1015Float8_e4m3fnuzELi64ELi2ELi16ELi16ELi1ELi4EEviiiiiiPKT0_S5_PKT_PS6_PKfSB_ii, 367

	.type	__PRETTY_FUNCTION__._Z13wvSplitKQ_hf_I14__hip_bfloat16N3c1015Float8_e4m3fnuzELi64ELi2ELi16ELi16ELi1ELi4EEviiiiiiPKT0_S5_PKT_PS6_PKfSB_ii,@object ; @__PRETTY_FUNCTION__._Z13wvSplitKQ_hf_I14__hip_bfloat16N3c1015Float8_e4m3fnuzELi64ELi2ELi16ELi16ELi1ELi4EEviiiiiiPKT0_S5_PKT_PS6_PKfSB_ii
__PRETTY_FUNCTION__._Z13wvSplitKQ_hf_I14__hip_bfloat16N3c1015Float8_e4m3fnuzELi64ELi2ELi16ELi16ELi1ELi4EEviiiiiiPKT0_S5_PKT_PS6_PKfSB_ii:
	.asciz	"void wvSplitKQ_hf_(const int, const int, const int, const int, const int, const int, const fp8_t *, const fp8_t *__restrict, const scalar_t *__restrict, scalar_t *, const float *__restrict, const float *__restrict, const int, const int) [scalar_t = __hip_bfloat16, fp8_t = c10::Float8_e4m3fnuz, THRDS = 64, YTILE = 2, WvPrGrp = 16, A_CHUNK = 16, UNRL = 1, N = 4]"
	.size	__PRETTY_FUNCTION__._Z13wvSplitKQ_hf_I14__hip_bfloat16N3c1015Float8_e4m3fnuzELi64ELi2ELi16ELi16ELi1ELi4EEviiiiiiPKT0_S5_PKT_PS6_PKfSB_ii, 363

	.type	__hip_cuid_fc47c814fecd702,@object ; @__hip_cuid_fc47c814fecd702
	.section	.bss,"aw",@nobits
	.globl	__hip_cuid_fc47c814fecd702
__hip_cuid_fc47c814fecd702:
	.byte	0                               ; 0x0
	.size	__hip_cuid_fc47c814fecd702, 1

	.ident	"AMD clang version 19.0.0git (https://github.com/RadeonOpenCompute/llvm-project roc-6.4.0 25133 c7fe45cf4b819c5991fe208aaa96edf142730f1d)"
	.section	".note.GNU-stack","",@progbits
	.addrsig
	.addrsig_sym __hip_cuid_fc47c814fecd702
	.amdgpu_metadata
---
amdhsa.kernels:
  - .args:
      - .address_space:  global
        .offset:         0
        .size:           8
        .value_kind:     global_buffer
      - .address_space:  global
        .offset:         8
        .size:           8
        .value_kind:     global_buffer
      - .address_space:  global
        .offset:         16
        .size:           8
        .value_kind:     global_buffer
      - .offset:         24
        .size:           4
        .value_kind:     by_value
      - .offset:         32
        .size:           4
        .value_kind:     hidden_block_count_x
      - .offset:         36
        .size:           4
        .value_kind:     hidden_block_count_y
      - .offset:         40
        .size:           4
        .value_kind:     hidden_block_count_z
      - .offset:         44
        .size:           2
        .value_kind:     hidden_group_size_x
      - .offset:         46
        .size:           2
        .value_kind:     hidden_group_size_y
      - .offset:         48
        .size:           2
        .value_kind:     hidden_group_size_z
      - .offset:         50
        .size:           2
        .value_kind:     hidden_remainder_x
      - .offset:         52
        .size:           2
        .value_kind:     hidden_remainder_y
      - .offset:         54
        .size:           2
        .value_kind:     hidden_remainder_z
      - .offset:         72
        .size:           8
        .value_kind:     hidden_global_offset_x
      - .offset:         80
        .size:           8
        .value_kind:     hidden_global_offset_y
      - .offset:         88
        .size:           8
        .value_kind:     hidden_global_offset_z
      - .offset:         96
        .size:           2
        .value_kind:     hidden_grid_dims
    .group_segment_fixed_size: 256
    .kernarg_segment_align: 8
    .kernarg_segment_size: 288
    .language:       OpenCL C
    .language_version:
      - 2
      - 0
    .max_flat_workgroup_size: 1024
    .name:           _Z14LLGemm1_kernelIN3c104HalfELi2EEvPKT_S4_PS2_i
    .private_segment_fixed_size: 0
    .sgpr_count:     18
    .sgpr_spill_count: 0
    .symbol:         _Z14LLGemm1_kernelIN3c104HalfELi2EEvPKT_S4_PS2_i.kd
    .uniform_work_group_size: 1
    .uses_dynamic_stack: false
    .vgpr_count:     15
    .vgpr_spill_count: 0
    .wavefront_size: 32
    .workgroup_processor_mode: 1
  - .args:
      - .address_space:  global
        .offset:         0
        .size:           8
        .value_kind:     global_buffer
      - .address_space:  global
        .offset:         8
        .size:           8
        .value_kind:     global_buffer
      - .address_space:  global
        .offset:         16
        .size:           8
        .value_kind:     global_buffer
      - .offset:         24
        .size:           4
        .value_kind:     by_value
      - .offset:         32
        .size:           4
        .value_kind:     hidden_block_count_x
      - .offset:         36
        .size:           4
        .value_kind:     hidden_block_count_y
      - .offset:         40
        .size:           4
        .value_kind:     hidden_block_count_z
      - .offset:         44
        .size:           2
        .value_kind:     hidden_group_size_x
      - .offset:         46
        .size:           2
        .value_kind:     hidden_group_size_y
      - .offset:         48
        .size:           2
        .value_kind:     hidden_group_size_z
      - .offset:         50
        .size:           2
        .value_kind:     hidden_remainder_x
      - .offset:         52
        .size:           2
        .value_kind:     hidden_remainder_y
      - .offset:         54
        .size:           2
        .value_kind:     hidden_remainder_z
      - .offset:         72
        .size:           8
        .value_kind:     hidden_global_offset_x
      - .offset:         80
        .size:           8
        .value_kind:     hidden_global_offset_y
      - .offset:         88
        .size:           8
        .value_kind:     hidden_global_offset_z
      - .offset:         96
        .size:           2
        .value_kind:     hidden_grid_dims
    .group_segment_fixed_size: 512
    .kernarg_segment_align: 8
    .kernarg_segment_size: 288
    .language:       OpenCL C
    .language_version:
      - 2
      - 0
    .max_flat_workgroup_size: 1024
    .name:           _Z14LLGemm1_kernelIN3c104HalfELi4EEvPKT_S4_PS2_i
    .private_segment_fixed_size: 0
    .sgpr_count:     18
    .sgpr_spill_count: 0
    .symbol:         _Z14LLGemm1_kernelIN3c104HalfELi4EEvPKT_S4_PS2_i.kd
    .uniform_work_group_size: 1
    .uses_dynamic_stack: false
    .vgpr_count:     23
    .vgpr_spill_count: 0
    .wavefront_size: 32
    .workgroup_processor_mode: 1
  - .args:
      - .address_space:  global
        .offset:         0
        .size:           8
        .value_kind:     global_buffer
      - .address_space:  global
        .offset:         8
        .size:           8
        .value_kind:     global_buffer
      - .address_space:  global
        .offset:         16
        .size:           8
        .value_kind:     global_buffer
      - .offset:         24
        .size:           4
        .value_kind:     by_value
      - .offset:         32
        .size:           4
        .value_kind:     hidden_block_count_x
      - .offset:         36
        .size:           4
        .value_kind:     hidden_block_count_y
      - .offset:         40
        .size:           4
        .value_kind:     hidden_block_count_z
      - .offset:         44
        .size:           2
        .value_kind:     hidden_group_size_x
      - .offset:         46
        .size:           2
        .value_kind:     hidden_group_size_y
      - .offset:         48
        .size:           2
        .value_kind:     hidden_group_size_z
      - .offset:         50
        .size:           2
        .value_kind:     hidden_remainder_x
      - .offset:         52
        .size:           2
        .value_kind:     hidden_remainder_y
      - .offset:         54
        .size:           2
        .value_kind:     hidden_remainder_z
      - .offset:         72
        .size:           8
        .value_kind:     hidden_global_offset_x
      - .offset:         80
        .size:           8
        .value_kind:     hidden_global_offset_y
      - .offset:         88
        .size:           8
        .value_kind:     hidden_global_offset_z
      - .offset:         96
        .size:           2
        .value_kind:     hidden_grid_dims
    .group_segment_fixed_size: 1024
    .kernarg_segment_align: 8
    .kernarg_segment_size: 288
    .language:       OpenCL C
    .language_version:
      - 2
      - 0
    .max_flat_workgroup_size: 1024
    .name:           _Z14LLGemm1_kernelIN3c104HalfELi8EEvPKT_S4_PS2_i
    .private_segment_fixed_size: 0
    .sgpr_count:     18
    .sgpr_spill_count: 0
    .symbol:         _Z14LLGemm1_kernelIN3c104HalfELi8EEvPKT_S4_PS2_i.kd
    .uniform_work_group_size: 1
    .uses_dynamic_stack: false
    .vgpr_count:     39
    .vgpr_spill_count: 0
    .wavefront_size: 32
    .workgroup_processor_mode: 1
  - .args:
      - .address_space:  global
        .offset:         0
        .size:           8
        .value_kind:     global_buffer
      - .address_space:  global
        .offset:         8
        .size:           8
        .value_kind:     global_buffer
      - .address_space:  global
        .offset:         16
        .size:           8
        .value_kind:     global_buffer
      - .offset:         24
        .size:           4
        .value_kind:     by_value
      - .offset:         32
        .size:           4
        .value_kind:     hidden_block_count_x
      - .offset:         36
        .size:           4
        .value_kind:     hidden_block_count_y
      - .offset:         40
        .size:           4
        .value_kind:     hidden_block_count_z
      - .offset:         44
        .size:           2
        .value_kind:     hidden_group_size_x
      - .offset:         46
        .size:           2
        .value_kind:     hidden_group_size_y
      - .offset:         48
        .size:           2
        .value_kind:     hidden_group_size_z
      - .offset:         50
        .size:           2
        .value_kind:     hidden_remainder_x
      - .offset:         52
        .size:           2
        .value_kind:     hidden_remainder_y
      - .offset:         54
        .size:           2
        .value_kind:     hidden_remainder_z
      - .offset:         72
        .size:           8
        .value_kind:     hidden_global_offset_x
      - .offset:         80
        .size:           8
        .value_kind:     hidden_global_offset_y
      - .offset:         88
        .size:           8
        .value_kind:     hidden_global_offset_z
      - .offset:         96
        .size:           2
        .value_kind:     hidden_grid_dims
    .group_segment_fixed_size: 2048
    .kernarg_segment_align: 8
    .kernarg_segment_size: 288
    .language:       OpenCL C
    .language_version:
      - 2
      - 0
    .max_flat_workgroup_size: 1024
    .name:           _Z14LLGemm1_kernelIN3c104HalfELi16EEvPKT_S4_PS2_i
    .private_segment_fixed_size: 0
    .sgpr_count:     20
    .sgpr_spill_count: 0
    .symbol:         _Z14LLGemm1_kernelIN3c104HalfELi16EEvPKT_S4_PS2_i.kd
    .uniform_work_group_size: 1
    .uses_dynamic_stack: false
    .vgpr_count:     71
    .vgpr_spill_count: 0
    .wavefront_size: 32
    .workgroup_processor_mode: 1
  - .args:
      - .address_space:  global
        .offset:         0
        .size:           8
        .value_kind:     global_buffer
      - .address_space:  global
        .offset:         8
        .size:           8
        .value_kind:     global_buffer
      - .address_space:  global
        .offset:         16
        .size:           8
        .value_kind:     global_buffer
      - .offset:         24
        .size:           4
        .value_kind:     by_value
      - .offset:         32
        .size:           4
        .value_kind:     hidden_block_count_x
      - .offset:         36
        .size:           4
        .value_kind:     hidden_block_count_y
      - .offset:         40
        .size:           4
        .value_kind:     hidden_block_count_z
      - .offset:         44
        .size:           2
        .value_kind:     hidden_group_size_x
      - .offset:         46
        .size:           2
        .value_kind:     hidden_group_size_y
      - .offset:         48
        .size:           2
        .value_kind:     hidden_group_size_z
      - .offset:         50
        .size:           2
        .value_kind:     hidden_remainder_x
      - .offset:         52
        .size:           2
        .value_kind:     hidden_remainder_y
      - .offset:         54
        .size:           2
        .value_kind:     hidden_remainder_z
      - .offset:         72
        .size:           8
        .value_kind:     hidden_global_offset_x
      - .offset:         80
        .size:           8
        .value_kind:     hidden_global_offset_y
      - .offset:         88
        .size:           8
        .value_kind:     hidden_global_offset_z
      - .offset:         96
        .size:           2
        .value_kind:     hidden_grid_dims
    .group_segment_fixed_size: 256
    .kernarg_segment_align: 8
    .kernarg_segment_size: 288
    .language:       OpenCL C
    .language_version:
      - 2
      - 0
    .max_flat_workgroup_size: 1024
    .name:           _Z14LLGemm1_kernelIN3c108BFloat16ELi2EEvPKT_S4_PS2_i
    .private_segment_fixed_size: 0
    .sgpr_count:     18
    .sgpr_spill_count: 0
    .symbol:         _Z14LLGemm1_kernelIN3c108BFloat16ELi2EEvPKT_S4_PS2_i.kd
    .uniform_work_group_size: 1
    .uses_dynamic_stack: false
    .vgpr_count:     21
    .vgpr_spill_count: 0
    .wavefront_size: 32
    .workgroup_processor_mode: 1
  - .args:
      - .address_space:  global
        .offset:         0
        .size:           8
        .value_kind:     global_buffer
      - .address_space:  global
        .offset:         8
        .size:           8
        .value_kind:     global_buffer
      - .address_space:  global
        .offset:         16
        .size:           8
        .value_kind:     global_buffer
      - .offset:         24
        .size:           4
        .value_kind:     by_value
      - .offset:         32
        .size:           4
        .value_kind:     hidden_block_count_x
      - .offset:         36
        .size:           4
        .value_kind:     hidden_block_count_y
      - .offset:         40
        .size:           4
        .value_kind:     hidden_block_count_z
      - .offset:         44
        .size:           2
        .value_kind:     hidden_group_size_x
      - .offset:         46
        .size:           2
        .value_kind:     hidden_group_size_y
      - .offset:         48
        .size:           2
        .value_kind:     hidden_group_size_z
      - .offset:         50
        .size:           2
        .value_kind:     hidden_remainder_x
      - .offset:         52
        .size:           2
        .value_kind:     hidden_remainder_y
      - .offset:         54
        .size:           2
        .value_kind:     hidden_remainder_z
      - .offset:         72
        .size:           8
        .value_kind:     hidden_global_offset_x
      - .offset:         80
        .size:           8
        .value_kind:     hidden_global_offset_y
      - .offset:         88
        .size:           8
        .value_kind:     hidden_global_offset_z
      - .offset:         96
        .size:           2
        .value_kind:     hidden_grid_dims
    .group_segment_fixed_size: 512
    .kernarg_segment_align: 8
    .kernarg_segment_size: 288
    .language:       OpenCL C
    .language_version:
      - 2
      - 0
    .max_flat_workgroup_size: 1024
    .name:           _Z14LLGemm1_kernelIN3c108BFloat16ELi4EEvPKT_S4_PS2_i
    .private_segment_fixed_size: 0
    .sgpr_count:     18
    .sgpr_spill_count: 0
    .symbol:         _Z14LLGemm1_kernelIN3c108BFloat16ELi4EEvPKT_S4_PS2_i.kd
    .uniform_work_group_size: 1
    .uses_dynamic_stack: false
    .vgpr_count:     29
    .vgpr_spill_count: 0
    .wavefront_size: 32
    .workgroup_processor_mode: 1
  - .args:
      - .address_space:  global
        .offset:         0
        .size:           8
        .value_kind:     global_buffer
      - .address_space:  global
        .offset:         8
        .size:           8
        .value_kind:     global_buffer
      - .address_space:  global
        .offset:         16
        .size:           8
        .value_kind:     global_buffer
      - .offset:         24
        .size:           4
        .value_kind:     by_value
      - .offset:         32
        .size:           4
        .value_kind:     hidden_block_count_x
      - .offset:         36
        .size:           4
        .value_kind:     hidden_block_count_y
      - .offset:         40
        .size:           4
        .value_kind:     hidden_block_count_z
      - .offset:         44
        .size:           2
        .value_kind:     hidden_group_size_x
      - .offset:         46
        .size:           2
        .value_kind:     hidden_group_size_y
      - .offset:         48
        .size:           2
        .value_kind:     hidden_group_size_z
      - .offset:         50
        .size:           2
        .value_kind:     hidden_remainder_x
      - .offset:         52
        .size:           2
        .value_kind:     hidden_remainder_y
      - .offset:         54
        .size:           2
        .value_kind:     hidden_remainder_z
      - .offset:         72
        .size:           8
        .value_kind:     hidden_global_offset_x
      - .offset:         80
        .size:           8
        .value_kind:     hidden_global_offset_y
      - .offset:         88
        .size:           8
        .value_kind:     hidden_global_offset_z
      - .offset:         96
        .size:           2
        .value_kind:     hidden_grid_dims
    .group_segment_fixed_size: 1024
    .kernarg_segment_align: 8
    .kernarg_segment_size: 288
    .language:       OpenCL C
    .language_version:
      - 2
      - 0
    .max_flat_workgroup_size: 1024
    .name:           _Z14LLGemm1_kernelIN3c108BFloat16ELi8EEvPKT_S4_PS2_i
    .private_segment_fixed_size: 0
    .sgpr_count:     18
    .sgpr_spill_count: 0
    .symbol:         _Z14LLGemm1_kernelIN3c108BFloat16ELi8EEvPKT_S4_PS2_i.kd
    .uniform_work_group_size: 1
    .uses_dynamic_stack: false
    .vgpr_count:     45
    .vgpr_spill_count: 0
    .wavefront_size: 32
    .workgroup_processor_mode: 1
  - .args:
      - .address_space:  global
        .offset:         0
        .size:           8
        .value_kind:     global_buffer
      - .address_space:  global
        .offset:         8
        .size:           8
        .value_kind:     global_buffer
      - .address_space:  global
        .offset:         16
        .size:           8
        .value_kind:     global_buffer
      - .offset:         24
        .size:           4
        .value_kind:     by_value
      - .offset:         32
        .size:           4
        .value_kind:     hidden_block_count_x
      - .offset:         36
        .size:           4
        .value_kind:     hidden_block_count_y
      - .offset:         40
        .size:           4
        .value_kind:     hidden_block_count_z
      - .offset:         44
        .size:           2
        .value_kind:     hidden_group_size_x
      - .offset:         46
        .size:           2
        .value_kind:     hidden_group_size_y
      - .offset:         48
        .size:           2
        .value_kind:     hidden_group_size_z
      - .offset:         50
        .size:           2
        .value_kind:     hidden_remainder_x
      - .offset:         52
        .size:           2
        .value_kind:     hidden_remainder_y
      - .offset:         54
        .size:           2
        .value_kind:     hidden_remainder_z
      - .offset:         72
        .size:           8
        .value_kind:     hidden_global_offset_x
      - .offset:         80
        .size:           8
        .value_kind:     hidden_global_offset_y
      - .offset:         88
        .size:           8
        .value_kind:     hidden_global_offset_z
      - .offset:         96
        .size:           2
        .value_kind:     hidden_grid_dims
    .group_segment_fixed_size: 2048
    .kernarg_segment_align: 8
    .kernarg_segment_size: 288
    .language:       OpenCL C
    .language_version:
      - 2
      - 0
    .max_flat_workgroup_size: 1024
    .name:           _Z14LLGemm1_kernelIN3c108BFloat16ELi16EEvPKT_S4_PS2_i
    .private_segment_fixed_size: 0
    .sgpr_count:     20
    .sgpr_spill_count: 0
    .symbol:         _Z14LLGemm1_kernelIN3c108BFloat16ELi16EEvPKT_S4_PS2_i.kd
    .uniform_work_group_size: 1
    .uses_dynamic_stack: false
    .vgpr_count:     77
    .vgpr_spill_count: 0
    .wavefront_size: 32
    .workgroup_processor_mode: 1
  - .args:
      - .offset:         0
        .size:           4
        .value_kind:     by_value
      - .offset:         4
        .size:           4
        .value_kind:     by_value
      - .offset:         8
        .size:           4
        .value_kind:     by_value
      - .offset:         12
        .size:           4
        .value_kind:     by_value
      - .offset:         16
        .size:           4
        .value_kind:     by_value
      - .offset:         20
        .size:           4
        .value_kind:     by_value
      - .address_space:  global
        .offset:         24
        .size:           8
        .value_kind:     global_buffer
      - .actual_access:  read_only
        .address_space:  global
        .offset:         32
        .size:           8
        .value_kind:     global_buffer
      - .actual_access:  read_only
        .address_space:  global
        .offset:         40
        .size:           8
        .value_kind:     global_buffer
      - .address_space:  global
        .offset:         48
        .size:           8
        .value_kind:     global_buffer
      - .offset:         56
        .size:           4
        .value_kind:     by_value
      - .offset:         60
        .size:           4
        .value_kind:     by_value
    .group_segment_fixed_size: 65536
    .kernarg_segment_align: 8
    .kernarg_segment_size: 64
    .language:       OpenCL C
    .language_version:
      - 2
      - 0
    .max_flat_workgroup_size: 512
    .name:           _Z16wvSplitK_hf_sml_I6__halfLi32ELi1ELi16ELi8ELi4ELi1EEviiiiiiPKT_S3_S3_PS1_ii
    .private_segment_fixed_size: 0
    .sgpr_count:     24
    .sgpr_spill_count: 0
    .symbol:         _Z16wvSplitK_hf_sml_I6__halfLi32ELi1ELi16ELi8ELi4ELi1EEviiiiiiPKT_S3_S3_PS1_ii.kd
    .uniform_work_group_size: 1
    .uses_dynamic_stack: false
    .vgpr_count:     47
    .vgpr_spill_count: 0
    .wavefront_size: 32
    .workgroup_processor_mode: 1
  - .args:
      - .offset:         0
        .size:           4
        .value_kind:     by_value
      - .offset:         4
        .size:           4
        .value_kind:     by_value
      - .offset:         8
        .size:           4
        .value_kind:     by_value
      - .offset:         12
        .size:           4
        .value_kind:     by_value
      - .offset:         16
        .size:           4
        .value_kind:     by_value
      - .offset:         20
        .size:           4
        .value_kind:     by_value
      - .address_space:  global
        .offset:         24
        .size:           8
        .value_kind:     global_buffer
      - .actual_access:  read_only
        .address_space:  global
        .offset:         32
        .size:           8
        .value_kind:     global_buffer
      - .actual_access:  read_only
        .address_space:  global
        .offset:         40
        .size:           8
        .value_kind:     global_buffer
      - .address_space:  global
        .offset:         48
        .size:           8
        .value_kind:     global_buffer
      - .offset:         56
        .size:           4
        .value_kind:     by_value
      - .offset:         60
        .size:           4
        .value_kind:     by_value
    .group_segment_fixed_size: 65536
    .kernarg_segment_align: 8
    .kernarg_segment_size: 64
    .language:       OpenCL C
    .language_version:
      - 2
      - 0
    .max_flat_workgroup_size: 512
    .name:           _Z12wvSplitK_hf_I6__halfLi32ELi1ELi16ELi8ELi4ELi1EEviiiiiiPKT_S3_S3_PS1_ii
    .private_segment_fixed_size: 0
    .sgpr_count:     28
    .sgpr_spill_count: 0
    .symbol:         _Z12wvSplitK_hf_I6__halfLi32ELi1ELi16ELi8ELi4ELi1EEviiiiiiPKT_S3_S3_PS1_ii.kd
    .uniform_work_group_size: 1
    .uses_dynamic_stack: false
    .vgpr_count:     49
    .vgpr_spill_count: 0
    .wavefront_size: 32
    .workgroup_processor_mode: 1
  - .args:
      - .offset:         0
        .size:           4
        .value_kind:     by_value
      - .offset:         4
        .size:           4
        .value_kind:     by_value
      - .offset:         8
        .size:           4
        .value_kind:     by_value
      - .offset:         12
        .size:           4
        .value_kind:     by_value
      - .offset:         16
        .size:           4
        .value_kind:     by_value
      - .offset:         20
        .size:           4
        .value_kind:     by_value
      - .address_space:  global
        .offset:         24
        .size:           8
        .value_kind:     global_buffer
      - .actual_access:  read_only
        .address_space:  global
        .offset:         32
        .size:           8
        .value_kind:     global_buffer
      - .actual_access:  read_only
        .address_space:  global
        .offset:         40
        .size:           8
        .value_kind:     global_buffer
      - .address_space:  global
        .offset:         48
        .size:           8
        .value_kind:     global_buffer
      - .offset:         56
        .size:           4
        .value_kind:     by_value
      - .offset:         60
        .size:           4
        .value_kind:     by_value
    .group_segment_fixed_size: 65536
    .kernarg_segment_align: 8
    .kernarg_segment_size: 64
    .language:       OpenCL C
    .language_version:
      - 2
      - 0
    .max_flat_workgroup_size: 512
    .name:           _Z16wvSplitK_hf_big_I6__halfLi32ELi1ELi16ELi8ELi4ELi1EEviiiiiiPKT_S3_S3_PS1_ii
    .private_segment_fixed_size: 0
    .sgpr_count:     37
    .sgpr_spill_count: 0
    .symbol:         _Z16wvSplitK_hf_big_I6__halfLi32ELi1ELi16ELi8ELi4ELi1EEviiiiiiPKT_S3_S3_PS1_ii.kd
    .uniform_work_group_size: 1
    .uses_dynamic_stack: false
    .vgpr_count:     49
    .vgpr_spill_count: 0
    .wavefront_size: 32
    .workgroup_processor_mode: 1
  - .args:
      - .offset:         0
        .size:           4
        .value_kind:     by_value
      - .offset:         4
        .size:           4
        .value_kind:     by_value
      - .offset:         8
        .size:           4
        .value_kind:     by_value
      - .offset:         12
        .size:           4
        .value_kind:     by_value
      - .offset:         16
        .size:           4
        .value_kind:     by_value
      - .offset:         20
        .size:           4
        .value_kind:     by_value
      - .address_space:  global
        .offset:         24
        .size:           8
        .value_kind:     global_buffer
      - .actual_access:  read_only
        .address_space:  global
        .offset:         32
        .size:           8
        .value_kind:     global_buffer
      - .actual_access:  read_only
        .address_space:  global
        .offset:         40
        .size:           8
        .value_kind:     global_buffer
      - .address_space:  global
        .offset:         48
        .size:           8
        .value_kind:     global_buffer
      - .offset:         56
        .size:           4
        .value_kind:     by_value
      - .offset:         60
        .size:           4
        .value_kind:     by_value
    .group_segment_fixed_size: 65536
    .kernarg_segment_align: 8
    .kernarg_segment_size: 64
    .language:       OpenCL C
    .language_version:
      - 2
      - 0
    .max_flat_workgroup_size: 512
    .name:           _Z16wvSplitK_hf_sml_I6__halfLi32ELi2ELi16ELi8ELi2ELi1EEviiiiiiPKT_S3_S3_PS1_ii
    .private_segment_fixed_size: 0
    .sgpr_count:     22
    .sgpr_spill_count: 0
    .symbol:         _Z16wvSplitK_hf_sml_I6__halfLi32ELi2ELi16ELi8ELi2ELi1EEviiiiiiPKT_S3_S3_PS1_ii.kd
    .uniform_work_group_size: 1
    .uses_dynamic_stack: false
    .vgpr_count:     41
    .vgpr_spill_count: 0
    .wavefront_size: 32
    .workgroup_processor_mode: 1
  - .args:
      - .offset:         0
        .size:           4
        .value_kind:     by_value
      - .offset:         4
        .size:           4
        .value_kind:     by_value
      - .offset:         8
        .size:           4
        .value_kind:     by_value
      - .offset:         12
        .size:           4
        .value_kind:     by_value
      - .offset:         16
        .size:           4
        .value_kind:     by_value
      - .offset:         20
        .size:           4
        .value_kind:     by_value
      - .address_space:  global
        .offset:         24
        .size:           8
        .value_kind:     global_buffer
      - .actual_access:  read_only
        .address_space:  global
        .offset:         32
        .size:           8
        .value_kind:     global_buffer
      - .actual_access:  read_only
        .address_space:  global
        .offset:         40
        .size:           8
        .value_kind:     global_buffer
      - .address_space:  global
        .offset:         48
        .size:           8
        .value_kind:     global_buffer
      - .offset:         56
        .size:           4
        .value_kind:     by_value
      - .offset:         60
        .size:           4
        .value_kind:     by_value
    .group_segment_fixed_size: 65536
    .kernarg_segment_align: 8
    .kernarg_segment_size: 64
    .language:       OpenCL C
    .language_version:
      - 2
      - 0
    .max_flat_workgroup_size: 512
    .name:           _Z12wvSplitK_hf_I6__halfLi32ELi2ELi16ELi8ELi2ELi1EEviiiiiiPKT_S3_S3_PS1_ii
    .private_segment_fixed_size: 0
    .sgpr_count:     29
    .sgpr_spill_count: 0
    .symbol:         _Z12wvSplitK_hf_I6__halfLi32ELi2ELi16ELi8ELi2ELi1EEviiiiiiPKT_S3_S3_PS1_ii.kd
    .uniform_work_group_size: 1
    .uses_dynamic_stack: false
    .vgpr_count:     45
    .vgpr_spill_count: 0
    .wavefront_size: 32
    .workgroup_processor_mode: 1
  - .args:
      - .offset:         0
        .size:           4
        .value_kind:     by_value
      - .offset:         4
        .size:           4
        .value_kind:     by_value
      - .offset:         8
        .size:           4
        .value_kind:     by_value
      - .offset:         12
        .size:           4
        .value_kind:     by_value
      - .offset:         16
        .size:           4
        .value_kind:     by_value
      - .offset:         20
        .size:           4
        .value_kind:     by_value
      - .address_space:  global
        .offset:         24
        .size:           8
        .value_kind:     global_buffer
      - .actual_access:  read_only
        .address_space:  global
        .offset:         32
        .size:           8
        .value_kind:     global_buffer
      - .actual_access:  read_only
        .address_space:  global
        .offset:         40
        .size:           8
        .value_kind:     global_buffer
      - .address_space:  global
        .offset:         48
        .size:           8
        .value_kind:     global_buffer
      - .offset:         56
        .size:           4
        .value_kind:     by_value
      - .offset:         60
        .size:           4
        .value_kind:     by_value
    .group_segment_fixed_size: 65536
    .kernarg_segment_align: 8
    .kernarg_segment_size: 64
    .language:       OpenCL C
    .language_version:
      - 2
      - 0
    .max_flat_workgroup_size: 512
    .name:           _Z16wvSplitK_hf_big_I6__halfLi32ELi2ELi16ELi8ELi2ELi1EEviiiiiiPKT_S3_S3_PS1_ii
    .private_segment_fixed_size: 0
    .sgpr_count:     39
    .sgpr_spill_count: 0
    .symbol:         _Z16wvSplitK_hf_big_I6__halfLi32ELi2ELi16ELi8ELi2ELi1EEviiiiiiPKT_S3_S3_PS1_ii.kd
    .uniform_work_group_size: 1
    .uses_dynamic_stack: false
    .vgpr_count:     43
    .vgpr_spill_count: 0
    .wavefront_size: 32
    .workgroup_processor_mode: 1
  - .args:
      - .offset:         0
        .size:           4
        .value_kind:     by_value
      - .offset:         4
        .size:           4
        .value_kind:     by_value
      - .offset:         8
        .size:           4
        .value_kind:     by_value
      - .offset:         12
        .size:           4
        .value_kind:     by_value
      - .offset:         16
        .size:           4
        .value_kind:     by_value
      - .offset:         20
        .size:           4
        .value_kind:     by_value
      - .address_space:  global
        .offset:         24
        .size:           8
        .value_kind:     global_buffer
      - .actual_access:  read_only
        .address_space:  global
        .offset:         32
        .size:           8
        .value_kind:     global_buffer
      - .actual_access:  read_only
        .address_space:  global
        .offset:         40
        .size:           8
        .value_kind:     global_buffer
      - .address_space:  global
        .offset:         48
        .size:           8
        .value_kind:     global_buffer
      - .offset:         56
        .size:           4
        .value_kind:     by_value
      - .offset:         60
        .size:           4
        .value_kind:     by_value
    .group_segment_fixed_size: 65536
    .kernarg_segment_align: 8
    .kernarg_segment_size: 64
    .language:       OpenCL C
    .language_version:
      - 2
      - 0
    .max_flat_workgroup_size: 512
    .name:           _Z16wvSplitK_hf_sml_I6__halfLi32ELi3ELi16ELi8ELi2ELi1EEviiiiiiPKT_S3_S3_PS1_ii
    .private_segment_fixed_size: 0
    .sgpr_count:     22
    .sgpr_spill_count: 0
    .symbol:         _Z16wvSplitK_hf_sml_I6__halfLi32ELi3ELi16ELi8ELi2ELi1EEviiiiiiPKT_S3_S3_PS1_ii.kd
    .uniform_work_group_size: 1
    .uses_dynamic_stack: false
    .vgpr_count:     53
    .vgpr_spill_count: 0
    .wavefront_size: 32
    .workgroup_processor_mode: 1
  - .args:
      - .offset:         0
        .size:           4
        .value_kind:     by_value
      - .offset:         4
        .size:           4
        .value_kind:     by_value
      - .offset:         8
        .size:           4
        .value_kind:     by_value
      - .offset:         12
        .size:           4
        .value_kind:     by_value
      - .offset:         16
        .size:           4
        .value_kind:     by_value
      - .offset:         20
        .size:           4
        .value_kind:     by_value
      - .address_space:  global
        .offset:         24
        .size:           8
        .value_kind:     global_buffer
      - .actual_access:  read_only
        .address_space:  global
        .offset:         32
        .size:           8
        .value_kind:     global_buffer
      - .actual_access:  read_only
        .address_space:  global
        .offset:         40
        .size:           8
        .value_kind:     global_buffer
      - .address_space:  global
        .offset:         48
        .size:           8
        .value_kind:     global_buffer
      - .offset:         56
        .size:           4
        .value_kind:     by_value
      - .offset:         60
        .size:           4
        .value_kind:     by_value
    .group_segment_fixed_size: 65536
    .kernarg_segment_align: 8
    .kernarg_segment_size: 64
    .language:       OpenCL C
    .language_version:
      - 2
      - 0
    .max_flat_workgroup_size: 512
    .name:           _Z12wvSplitK_hf_I6__halfLi32ELi3ELi16ELi8ELi2ELi1EEviiiiiiPKT_S3_S3_PS1_ii
    .private_segment_fixed_size: 0
    .sgpr_count:     30
    .sgpr_spill_count: 0
    .symbol:         _Z12wvSplitK_hf_I6__halfLi32ELi3ELi16ELi8ELi2ELi1EEviiiiiiPKT_S3_S3_PS1_ii.kd
    .uniform_work_group_size: 1
    .uses_dynamic_stack: false
    .vgpr_count:     58
    .vgpr_spill_count: 0
    .wavefront_size: 32
    .workgroup_processor_mode: 1
  - .args:
      - .offset:         0
        .size:           4
        .value_kind:     by_value
      - .offset:         4
        .size:           4
        .value_kind:     by_value
      - .offset:         8
        .size:           4
        .value_kind:     by_value
      - .offset:         12
        .size:           4
        .value_kind:     by_value
      - .offset:         16
        .size:           4
        .value_kind:     by_value
      - .offset:         20
        .size:           4
        .value_kind:     by_value
      - .address_space:  global
        .offset:         24
        .size:           8
        .value_kind:     global_buffer
      - .actual_access:  read_only
        .address_space:  global
        .offset:         32
        .size:           8
        .value_kind:     global_buffer
      - .actual_access:  read_only
        .address_space:  global
        .offset:         40
        .size:           8
        .value_kind:     global_buffer
      - .address_space:  global
        .offset:         48
        .size:           8
        .value_kind:     global_buffer
      - .offset:         56
        .size:           4
        .value_kind:     by_value
      - .offset:         60
        .size:           4
        .value_kind:     by_value
    .group_segment_fixed_size: 65536
    .kernarg_segment_align: 8
    .kernarg_segment_size: 64
    .language:       OpenCL C
    .language_version:
      - 2
      - 0
    .max_flat_workgroup_size: 512
    .name:           _Z16wvSplitK_hf_big_I6__halfLi32ELi3ELi16ELi8ELi2ELi1EEviiiiiiPKT_S3_S3_PS1_ii
    .private_segment_fixed_size: 0
    .sgpr_count:     40
    .sgpr_spill_count: 0
    .symbol:         _Z16wvSplitK_hf_big_I6__halfLi32ELi3ELi16ELi8ELi2ELi1EEviiiiiiPKT_S3_S3_PS1_ii.kd
    .uniform_work_group_size: 1
    .uses_dynamic_stack: false
    .vgpr_count:     55
    .vgpr_spill_count: 0
    .wavefront_size: 32
    .workgroup_processor_mode: 1
  - .args:
      - .offset:         0
        .size:           4
        .value_kind:     by_value
      - .offset:         4
        .size:           4
        .value_kind:     by_value
      - .offset:         8
        .size:           4
        .value_kind:     by_value
      - .offset:         12
        .size:           4
        .value_kind:     by_value
      - .offset:         16
        .size:           4
        .value_kind:     by_value
      - .offset:         20
        .size:           4
        .value_kind:     by_value
      - .address_space:  global
        .offset:         24
        .size:           8
        .value_kind:     global_buffer
      - .actual_access:  read_only
        .address_space:  global
        .offset:         32
        .size:           8
        .value_kind:     global_buffer
      - .actual_access:  read_only
        .address_space:  global
        .offset:         40
        .size:           8
        .value_kind:     global_buffer
      - .address_space:  global
        .offset:         48
        .size:           8
        .value_kind:     global_buffer
      - .offset:         56
        .size:           4
        .value_kind:     by_value
      - .offset:         60
        .size:           4
        .value_kind:     by_value
    .group_segment_fixed_size: 65536
    .kernarg_segment_align: 8
    .kernarg_segment_size: 64
    .language:       OpenCL C
    .language_version:
      - 2
      - 0
    .max_flat_workgroup_size: 512
    .name:           _Z16wvSplitK_hf_sml_I6__halfLi32ELi4ELi16ELi8ELi1ELi1EEviiiiiiPKT_S3_S3_PS1_ii
    .private_segment_fixed_size: 0
    .sgpr_count:     21
    .sgpr_spill_count: 0
    .symbol:         _Z16wvSplitK_hf_sml_I6__halfLi32ELi4ELi16ELi8ELi1ELi1EEviiiiiiPKT_S3_S3_PS1_ii.kd
    .uniform_work_group_size: 1
    .uses_dynamic_stack: false
    .vgpr_count:     45
    .vgpr_spill_count: 0
    .wavefront_size: 32
    .workgroup_processor_mode: 1
  - .args:
      - .offset:         0
        .size:           4
        .value_kind:     by_value
      - .offset:         4
        .size:           4
        .value_kind:     by_value
      - .offset:         8
        .size:           4
        .value_kind:     by_value
      - .offset:         12
        .size:           4
        .value_kind:     by_value
      - .offset:         16
        .size:           4
        .value_kind:     by_value
      - .offset:         20
        .size:           4
        .value_kind:     by_value
      - .address_space:  global
        .offset:         24
        .size:           8
        .value_kind:     global_buffer
      - .actual_access:  read_only
        .address_space:  global
        .offset:         32
        .size:           8
        .value_kind:     global_buffer
      - .actual_access:  read_only
        .address_space:  global
        .offset:         40
        .size:           8
        .value_kind:     global_buffer
      - .address_space:  global
        .offset:         48
        .size:           8
        .value_kind:     global_buffer
      - .offset:         56
        .size:           4
        .value_kind:     by_value
      - .offset:         60
        .size:           4
        .value_kind:     by_value
    .group_segment_fixed_size: 65536
    .kernarg_segment_align: 8
    .kernarg_segment_size: 64
    .language:       OpenCL C
    .language_version:
      - 2
      - 0
    .max_flat_workgroup_size: 512
    .name:           _Z12wvSplitK_hf_I6__halfLi32ELi4ELi16ELi8ELi1ELi1EEviiiiiiPKT_S3_S3_PS1_ii
    .private_segment_fixed_size: 0
    .sgpr_count:     30
    .sgpr_spill_count: 0
    .symbol:         _Z12wvSplitK_hf_I6__halfLi32ELi4ELi16ELi8ELi1ELi1EEviiiiiiPKT_S3_S3_PS1_ii.kd
    .uniform_work_group_size: 1
    .uses_dynamic_stack: false
    .vgpr_count:     50
    .vgpr_spill_count: 0
    .wavefront_size: 32
    .workgroup_processor_mode: 1
  - .args:
      - .offset:         0
        .size:           4
        .value_kind:     by_value
      - .offset:         4
        .size:           4
        .value_kind:     by_value
      - .offset:         8
        .size:           4
        .value_kind:     by_value
      - .offset:         12
        .size:           4
        .value_kind:     by_value
      - .offset:         16
        .size:           4
        .value_kind:     by_value
      - .offset:         20
        .size:           4
        .value_kind:     by_value
      - .address_space:  global
        .offset:         24
        .size:           8
        .value_kind:     global_buffer
      - .actual_access:  read_only
        .address_space:  global
        .offset:         32
        .size:           8
        .value_kind:     global_buffer
      - .actual_access:  read_only
        .address_space:  global
        .offset:         40
        .size:           8
        .value_kind:     global_buffer
      - .address_space:  global
        .offset:         48
        .size:           8
        .value_kind:     global_buffer
      - .offset:         56
        .size:           4
        .value_kind:     by_value
      - .offset:         60
        .size:           4
        .value_kind:     by_value
    .group_segment_fixed_size: 65536
    .kernarg_segment_align: 8
    .kernarg_segment_size: 64
    .language:       OpenCL C
    .language_version:
      - 2
      - 0
    .max_flat_workgroup_size: 512
    .name:           _Z16wvSplitK_hf_big_I6__halfLi32ELi4ELi16ELi8ELi1ELi1EEviiiiiiPKT_S3_S3_PS1_ii
    .private_segment_fixed_size: 0
    .sgpr_count:     40
    .sgpr_spill_count: 0
    .symbol:         _Z16wvSplitK_hf_big_I6__halfLi32ELi4ELi16ELi8ELi1ELi1EEviiiiiiPKT_S3_S3_PS1_ii.kd
    .uniform_work_group_size: 1
    .uses_dynamic_stack: false
    .vgpr_count:     46
    .vgpr_spill_count: 0
    .wavefront_size: 32
    .workgroup_processor_mode: 1
  - .args:
      - .offset:         0
        .size:           4
        .value_kind:     by_value
      - .offset:         4
        .size:           4
        .value_kind:     by_value
      - .offset:         8
        .size:           4
        .value_kind:     by_value
      - .offset:         12
        .size:           4
        .value_kind:     by_value
      - .offset:         16
        .size:           4
        .value_kind:     by_value
      - .offset:         20
        .size:           4
        .value_kind:     by_value
      - .address_space:  global
        .offset:         24
        .size:           8
        .value_kind:     global_buffer
      - .actual_access:  read_only
        .address_space:  global
        .offset:         32
        .size:           8
        .value_kind:     global_buffer
      - .actual_access:  read_only
        .address_space:  global
        .offset:         40
        .size:           8
        .value_kind:     global_buffer
      - .address_space:  global
        .offset:         48
        .size:           8
        .value_kind:     global_buffer
      - .offset:         56
        .size:           4
        .value_kind:     by_value
      - .offset:         60
        .size:           4
        .value_kind:     by_value
    .group_segment_fixed_size: 65536
    .kernarg_segment_align: 8
    .kernarg_segment_size: 64
    .language:       OpenCL C
    .language_version:
      - 2
      - 0
    .max_flat_workgroup_size: 512
    .name:           _Z16wvSplitK_hf_sml_I6__halfLi32ELi4ELi16ELi8ELi2ELi1EEviiiiiiPKT_S3_S3_PS1_ii
    .private_segment_fixed_size: 0
    .sgpr_count:     22
    .sgpr_spill_count: 0
    .symbol:         _Z16wvSplitK_hf_sml_I6__halfLi32ELi4ELi16ELi8ELi2ELi1EEviiiiiiPKT_S3_S3_PS1_ii.kd
    .uniform_work_group_size: 1
    .uses_dynamic_stack: false
    .vgpr_count:     65
    .vgpr_spill_count: 0
    .wavefront_size: 32
    .workgroup_processor_mode: 1
  - .args:
      - .offset:         0
        .size:           4
        .value_kind:     by_value
      - .offset:         4
        .size:           4
        .value_kind:     by_value
      - .offset:         8
        .size:           4
        .value_kind:     by_value
      - .offset:         12
        .size:           4
        .value_kind:     by_value
      - .offset:         16
        .size:           4
        .value_kind:     by_value
      - .offset:         20
        .size:           4
        .value_kind:     by_value
      - .address_space:  global
        .offset:         24
        .size:           8
        .value_kind:     global_buffer
      - .actual_access:  read_only
        .address_space:  global
        .offset:         32
        .size:           8
        .value_kind:     global_buffer
      - .actual_access:  read_only
        .address_space:  global
        .offset:         40
        .size:           8
        .value_kind:     global_buffer
      - .address_space:  global
        .offset:         48
        .size:           8
        .value_kind:     global_buffer
      - .offset:         56
        .size:           4
        .value_kind:     by_value
      - .offset:         60
        .size:           4
        .value_kind:     by_value
    .group_segment_fixed_size: 65536
    .kernarg_segment_align: 8
    .kernarg_segment_size: 64
    .language:       OpenCL C
    .language_version:
      - 2
      - 0
    .max_flat_workgroup_size: 512
    .name:           _Z12wvSplitK_hf_I6__halfLi32ELi4ELi16ELi8ELi2ELi1EEviiiiiiPKT_S3_S3_PS1_ii
    .private_segment_fixed_size: 0
    .sgpr_count:     30
    .sgpr_spill_count: 0
    .symbol:         _Z12wvSplitK_hf_I6__halfLi32ELi4ELi16ELi8ELi2ELi1EEviiiiiiPKT_S3_S3_PS1_ii.kd
    .uniform_work_group_size: 1
    .uses_dynamic_stack: false
    .vgpr_count:     70
    .vgpr_spill_count: 0
    .wavefront_size: 32
    .workgroup_processor_mode: 1
  - .args:
      - .offset:         0
        .size:           4
        .value_kind:     by_value
      - .offset:         4
        .size:           4
        .value_kind:     by_value
      - .offset:         8
        .size:           4
        .value_kind:     by_value
      - .offset:         12
        .size:           4
        .value_kind:     by_value
      - .offset:         16
        .size:           4
        .value_kind:     by_value
      - .offset:         20
        .size:           4
        .value_kind:     by_value
      - .address_space:  global
        .offset:         24
        .size:           8
        .value_kind:     global_buffer
      - .actual_access:  read_only
        .address_space:  global
        .offset:         32
        .size:           8
        .value_kind:     global_buffer
      - .actual_access:  read_only
        .address_space:  global
        .offset:         40
        .size:           8
        .value_kind:     global_buffer
      - .address_space:  global
        .offset:         48
        .size:           8
        .value_kind:     global_buffer
      - .offset:         56
        .size:           4
        .value_kind:     by_value
      - .offset:         60
        .size:           4
        .value_kind:     by_value
    .group_segment_fixed_size: 65536
    .kernarg_segment_align: 8
    .kernarg_segment_size: 64
    .language:       OpenCL C
    .language_version:
      - 2
      - 0
    .max_flat_workgroup_size: 512
    .name:           _Z16wvSplitK_hf_big_I6__halfLi32ELi4ELi16ELi8ELi2ELi1EEviiiiiiPKT_S3_S3_PS1_ii
    .private_segment_fixed_size: 0
    .sgpr_count:     40
    .sgpr_spill_count: 0
    .symbol:         _Z16wvSplitK_hf_big_I6__halfLi32ELi4ELi16ELi8ELi2ELi1EEviiiiiiPKT_S3_S3_PS1_ii.kd
    .uniform_work_group_size: 1
    .uses_dynamic_stack: false
    .vgpr_count:     66
    .vgpr_spill_count: 0
    .wavefront_size: 32
    .workgroup_processor_mode: 1
  - .args:
      - .offset:         0
        .size:           4
        .value_kind:     by_value
      - .offset:         4
        .size:           4
        .value_kind:     by_value
      - .offset:         8
        .size:           4
        .value_kind:     by_value
      - .offset:         12
        .size:           4
        .value_kind:     by_value
      - .offset:         16
        .size:           4
        .value_kind:     by_value
      - .offset:         20
        .size:           4
        .value_kind:     by_value
      - .address_space:  global
        .offset:         24
        .size:           8
        .value_kind:     global_buffer
      - .actual_access:  read_only
        .address_space:  global
        .offset:         32
        .size:           8
        .value_kind:     global_buffer
      - .actual_access:  read_only
        .address_space:  global
        .offset:         40
        .size:           8
        .value_kind:     global_buffer
      - .address_space:  global
        .offset:         48
        .size:           8
        .value_kind:     global_buffer
      - .offset:         56
        .size:           4
        .value_kind:     by_value
      - .offset:         60
        .size:           4
        .value_kind:     by_value
    .group_segment_fixed_size: 65536
    .kernarg_segment_align: 8
    .kernarg_segment_size: 64
    .language:       OpenCL C
    .language_version:
      - 2
      - 0
    .max_flat_workgroup_size: 1024
    .name:           _Z16wvSplitK_hf_sml_I6__halfLi64ELi1ELi16ELi8ELi4ELi1EEviiiiiiPKT_S3_S3_PS1_ii
    .private_segment_fixed_size: 0
    .sgpr_count:     24
    .sgpr_spill_count: 0
    .symbol:         _Z16wvSplitK_hf_sml_I6__halfLi64ELi1ELi16ELi8ELi4ELi1EEviiiiiiPKT_S3_S3_PS1_ii.kd
    .uniform_work_group_size: 1
    .uses_dynamic_stack: false
    .vgpr_count:     46
    .vgpr_spill_count: 0
    .wavefront_size: 32
    .workgroup_processor_mode: 1
  - .args:
      - .offset:         0
        .size:           4
        .value_kind:     by_value
      - .offset:         4
        .size:           4
        .value_kind:     by_value
      - .offset:         8
        .size:           4
        .value_kind:     by_value
      - .offset:         12
        .size:           4
        .value_kind:     by_value
      - .offset:         16
        .size:           4
        .value_kind:     by_value
      - .offset:         20
        .size:           4
        .value_kind:     by_value
      - .address_space:  global
        .offset:         24
        .size:           8
        .value_kind:     global_buffer
      - .actual_access:  read_only
        .address_space:  global
        .offset:         32
        .size:           8
        .value_kind:     global_buffer
      - .actual_access:  read_only
        .address_space:  global
        .offset:         40
        .size:           8
        .value_kind:     global_buffer
      - .address_space:  global
        .offset:         48
        .size:           8
        .value_kind:     global_buffer
      - .offset:         56
        .size:           4
        .value_kind:     by_value
      - .offset:         60
        .size:           4
        .value_kind:     by_value
    .group_segment_fixed_size: 65536
    .kernarg_segment_align: 8
    .kernarg_segment_size: 64
    .language:       OpenCL C
    .language_version:
      - 2
      - 0
    .max_flat_workgroup_size: 1024
    .name:           _Z12wvSplitK_hf_I6__halfLi64ELi1ELi16ELi8ELi4ELi1EEviiiiiiPKT_S3_S3_PS1_ii
    .private_segment_fixed_size: 0
    .sgpr_count:     28
    .sgpr_spill_count: 0
    .symbol:         _Z12wvSplitK_hf_I6__halfLi64ELi1ELi16ELi8ELi4ELi1EEviiiiiiPKT_S3_S3_PS1_ii.kd
    .uniform_work_group_size: 1
    .uses_dynamic_stack: false
    .vgpr_count:     49
    .vgpr_spill_count: 0
    .wavefront_size: 32
    .workgroup_processor_mode: 1
  - .args:
      - .offset:         0
        .size:           4
        .value_kind:     by_value
      - .offset:         4
        .size:           4
        .value_kind:     by_value
      - .offset:         8
        .size:           4
        .value_kind:     by_value
      - .offset:         12
        .size:           4
        .value_kind:     by_value
      - .offset:         16
        .size:           4
        .value_kind:     by_value
      - .offset:         20
        .size:           4
        .value_kind:     by_value
      - .address_space:  global
        .offset:         24
        .size:           8
        .value_kind:     global_buffer
      - .actual_access:  read_only
        .address_space:  global
        .offset:         32
        .size:           8
        .value_kind:     global_buffer
      - .actual_access:  read_only
        .address_space:  global
        .offset:         40
        .size:           8
        .value_kind:     global_buffer
      - .address_space:  global
        .offset:         48
        .size:           8
        .value_kind:     global_buffer
      - .offset:         56
        .size:           4
        .value_kind:     by_value
      - .offset:         60
        .size:           4
        .value_kind:     by_value
    .group_segment_fixed_size: 65536
    .kernarg_segment_align: 8
    .kernarg_segment_size: 64
    .language:       OpenCL C
    .language_version:
      - 2
      - 0
    .max_flat_workgroup_size: 1024
    .name:           _Z16wvSplitK_hf_big_I6__halfLi64ELi1ELi16ELi8ELi4ELi1EEviiiiiiPKT_S3_S3_PS1_ii
    .private_segment_fixed_size: 0
    .sgpr_count:     37
    .sgpr_spill_count: 0
    .symbol:         _Z16wvSplitK_hf_big_I6__halfLi64ELi1ELi16ELi8ELi4ELi1EEviiiiiiPKT_S3_S3_PS1_ii.kd
    .uniform_work_group_size: 1
    .uses_dynamic_stack: false
    .vgpr_count:     48
    .vgpr_spill_count: 0
    .wavefront_size: 32
    .workgroup_processor_mode: 1
  - .args:
      - .offset:         0
        .size:           4
        .value_kind:     by_value
      - .offset:         4
        .size:           4
        .value_kind:     by_value
      - .offset:         8
        .size:           4
        .value_kind:     by_value
      - .offset:         12
        .size:           4
        .value_kind:     by_value
      - .offset:         16
        .size:           4
        .value_kind:     by_value
      - .offset:         20
        .size:           4
        .value_kind:     by_value
      - .address_space:  global
        .offset:         24
        .size:           8
        .value_kind:     global_buffer
      - .actual_access:  read_only
        .address_space:  global
        .offset:         32
        .size:           8
        .value_kind:     global_buffer
      - .actual_access:  read_only
        .address_space:  global
        .offset:         40
        .size:           8
        .value_kind:     global_buffer
      - .address_space:  global
        .offset:         48
        .size:           8
        .value_kind:     global_buffer
      - .offset:         56
        .size:           4
        .value_kind:     by_value
      - .offset:         60
        .size:           4
        .value_kind:     by_value
    .group_segment_fixed_size: 65536
    .kernarg_segment_align: 8
    .kernarg_segment_size: 64
    .language:       OpenCL C
    .language_version:
      - 2
      - 0
    .max_flat_workgroup_size: 1024
    .name:           _Z16wvSplitK_hf_sml_I6__halfLi64ELi2ELi16ELi8ELi2ELi1EEviiiiiiPKT_S3_S3_PS1_ii
    .private_segment_fixed_size: 0
    .sgpr_count:     22
    .sgpr_spill_count: 0
    .symbol:         _Z16wvSplitK_hf_sml_I6__halfLi64ELi2ELi16ELi8ELi2ELi1EEviiiiiiPKT_S3_S3_PS1_ii.kd
    .uniform_work_group_size: 1
    .uses_dynamic_stack: false
    .vgpr_count:     40
    .vgpr_spill_count: 0
    .wavefront_size: 32
    .workgroup_processor_mode: 1
  - .args:
      - .offset:         0
        .size:           4
        .value_kind:     by_value
      - .offset:         4
        .size:           4
        .value_kind:     by_value
      - .offset:         8
        .size:           4
        .value_kind:     by_value
      - .offset:         12
        .size:           4
        .value_kind:     by_value
      - .offset:         16
        .size:           4
        .value_kind:     by_value
      - .offset:         20
        .size:           4
        .value_kind:     by_value
      - .address_space:  global
        .offset:         24
        .size:           8
        .value_kind:     global_buffer
      - .actual_access:  read_only
        .address_space:  global
        .offset:         32
        .size:           8
        .value_kind:     global_buffer
      - .actual_access:  read_only
        .address_space:  global
        .offset:         40
        .size:           8
        .value_kind:     global_buffer
      - .address_space:  global
        .offset:         48
        .size:           8
        .value_kind:     global_buffer
      - .offset:         56
        .size:           4
        .value_kind:     by_value
      - .offset:         60
        .size:           4
        .value_kind:     by_value
    .group_segment_fixed_size: 65536
    .kernarg_segment_align: 8
    .kernarg_segment_size: 64
    .language:       OpenCL C
    .language_version:
      - 2
      - 0
    .max_flat_workgroup_size: 1024
    .name:           _Z12wvSplitK_hf_I6__halfLi64ELi2ELi16ELi8ELi2ELi1EEviiiiiiPKT_S3_S3_PS1_ii
    .private_segment_fixed_size: 0
    .sgpr_count:     29
    .sgpr_spill_count: 0
    .symbol:         _Z12wvSplitK_hf_I6__halfLi64ELi2ELi16ELi8ELi2ELi1EEviiiiiiPKT_S3_S3_PS1_ii.kd
    .uniform_work_group_size: 1
    .uses_dynamic_stack: false
    .vgpr_count:     44
    .vgpr_spill_count: 0
    .wavefront_size: 32
    .workgroup_processor_mode: 1
  - .args:
      - .offset:         0
        .size:           4
        .value_kind:     by_value
      - .offset:         4
        .size:           4
        .value_kind:     by_value
      - .offset:         8
        .size:           4
        .value_kind:     by_value
      - .offset:         12
        .size:           4
        .value_kind:     by_value
      - .offset:         16
        .size:           4
        .value_kind:     by_value
      - .offset:         20
        .size:           4
        .value_kind:     by_value
      - .address_space:  global
        .offset:         24
        .size:           8
        .value_kind:     global_buffer
      - .actual_access:  read_only
        .address_space:  global
        .offset:         32
        .size:           8
        .value_kind:     global_buffer
      - .actual_access:  read_only
        .address_space:  global
        .offset:         40
        .size:           8
        .value_kind:     global_buffer
      - .address_space:  global
        .offset:         48
        .size:           8
        .value_kind:     global_buffer
      - .offset:         56
        .size:           4
        .value_kind:     by_value
      - .offset:         60
        .size:           4
        .value_kind:     by_value
    .group_segment_fixed_size: 65536
    .kernarg_segment_align: 8
    .kernarg_segment_size: 64
    .language:       OpenCL C
    .language_version:
      - 2
      - 0
    .max_flat_workgroup_size: 1024
    .name:           _Z16wvSplitK_hf_big_I6__halfLi64ELi2ELi16ELi8ELi2ELi1EEviiiiiiPKT_S3_S3_PS1_ii
    .private_segment_fixed_size: 0
    .sgpr_count:     39
    .sgpr_spill_count: 0
    .symbol:         _Z16wvSplitK_hf_big_I6__halfLi64ELi2ELi16ELi8ELi2ELi1EEviiiiiiPKT_S3_S3_PS1_ii.kd
    .uniform_work_group_size: 1
    .uses_dynamic_stack: false
    .vgpr_count:     42
    .vgpr_spill_count: 0
    .wavefront_size: 32
    .workgroup_processor_mode: 1
  - .args:
      - .offset:         0
        .size:           4
        .value_kind:     by_value
      - .offset:         4
        .size:           4
        .value_kind:     by_value
      - .offset:         8
        .size:           4
        .value_kind:     by_value
      - .offset:         12
        .size:           4
        .value_kind:     by_value
      - .offset:         16
        .size:           4
        .value_kind:     by_value
      - .offset:         20
        .size:           4
        .value_kind:     by_value
      - .address_space:  global
        .offset:         24
        .size:           8
        .value_kind:     global_buffer
      - .actual_access:  read_only
        .address_space:  global
        .offset:         32
        .size:           8
        .value_kind:     global_buffer
      - .actual_access:  read_only
        .address_space:  global
        .offset:         40
        .size:           8
        .value_kind:     global_buffer
      - .address_space:  global
        .offset:         48
        .size:           8
        .value_kind:     global_buffer
      - .offset:         56
        .size:           4
        .value_kind:     by_value
      - .offset:         60
        .size:           4
        .value_kind:     by_value
    .group_segment_fixed_size: 65536
    .kernarg_segment_align: 8
    .kernarg_segment_size: 64
    .language:       OpenCL C
    .language_version:
      - 2
      - 0
    .max_flat_workgroup_size: 1024
    .name:           _Z16wvSplitK_hf_sml_I6__halfLi64ELi3ELi16ELi8ELi2ELi1EEviiiiiiPKT_S3_S3_PS1_ii
    .private_segment_fixed_size: 0
    .sgpr_count:     22
    .sgpr_spill_count: 0
    .symbol:         _Z16wvSplitK_hf_sml_I6__halfLi64ELi3ELi16ELi8ELi2ELi1EEviiiiiiPKT_S3_S3_PS1_ii.kd
    .uniform_work_group_size: 1
    .uses_dynamic_stack: false
    .vgpr_count:     52
    .vgpr_spill_count: 0
    .wavefront_size: 32
    .workgroup_processor_mode: 1
  - .args:
      - .offset:         0
        .size:           4
        .value_kind:     by_value
      - .offset:         4
        .size:           4
        .value_kind:     by_value
      - .offset:         8
        .size:           4
        .value_kind:     by_value
      - .offset:         12
        .size:           4
        .value_kind:     by_value
      - .offset:         16
        .size:           4
        .value_kind:     by_value
      - .offset:         20
        .size:           4
        .value_kind:     by_value
      - .address_space:  global
        .offset:         24
        .size:           8
        .value_kind:     global_buffer
      - .actual_access:  read_only
        .address_space:  global
        .offset:         32
        .size:           8
        .value_kind:     global_buffer
      - .actual_access:  read_only
        .address_space:  global
        .offset:         40
        .size:           8
        .value_kind:     global_buffer
      - .address_space:  global
        .offset:         48
        .size:           8
        .value_kind:     global_buffer
      - .offset:         56
        .size:           4
        .value_kind:     by_value
      - .offset:         60
        .size:           4
        .value_kind:     by_value
    .group_segment_fixed_size: 65536
    .kernarg_segment_align: 8
    .kernarg_segment_size: 64
    .language:       OpenCL C
    .language_version:
      - 2
      - 0
    .max_flat_workgroup_size: 1024
    .name:           _Z12wvSplitK_hf_I6__halfLi64ELi3ELi16ELi8ELi2ELi1EEviiiiiiPKT_S3_S3_PS1_ii
    .private_segment_fixed_size: 0
    .sgpr_count:     30
    .sgpr_spill_count: 0
    .symbol:         _Z12wvSplitK_hf_I6__halfLi64ELi3ELi16ELi8ELi2ELi1EEviiiiiiPKT_S3_S3_PS1_ii.kd
    .uniform_work_group_size: 1
    .uses_dynamic_stack: false
    .vgpr_count:     57
    .vgpr_spill_count: 0
    .wavefront_size: 32
    .workgroup_processor_mode: 1
  - .args:
      - .offset:         0
        .size:           4
        .value_kind:     by_value
      - .offset:         4
        .size:           4
        .value_kind:     by_value
      - .offset:         8
        .size:           4
        .value_kind:     by_value
      - .offset:         12
        .size:           4
        .value_kind:     by_value
      - .offset:         16
        .size:           4
        .value_kind:     by_value
      - .offset:         20
        .size:           4
        .value_kind:     by_value
      - .address_space:  global
        .offset:         24
        .size:           8
        .value_kind:     global_buffer
      - .actual_access:  read_only
        .address_space:  global
        .offset:         32
        .size:           8
        .value_kind:     global_buffer
      - .actual_access:  read_only
        .address_space:  global
        .offset:         40
        .size:           8
        .value_kind:     global_buffer
      - .address_space:  global
        .offset:         48
        .size:           8
        .value_kind:     global_buffer
      - .offset:         56
        .size:           4
        .value_kind:     by_value
      - .offset:         60
        .size:           4
        .value_kind:     by_value
    .group_segment_fixed_size: 65536
    .kernarg_segment_align: 8
    .kernarg_segment_size: 64
    .language:       OpenCL C
    .language_version:
      - 2
      - 0
    .max_flat_workgroup_size: 1024
    .name:           _Z16wvSplitK_hf_big_I6__halfLi64ELi3ELi16ELi8ELi2ELi1EEviiiiiiPKT_S3_S3_PS1_ii
    .private_segment_fixed_size: 0
    .sgpr_count:     40
    .sgpr_spill_count: 0
    .symbol:         _Z16wvSplitK_hf_big_I6__halfLi64ELi3ELi16ELi8ELi2ELi1EEviiiiiiPKT_S3_S3_PS1_ii.kd
    .uniform_work_group_size: 1
    .uses_dynamic_stack: false
    .vgpr_count:     54
    .vgpr_spill_count: 0
    .wavefront_size: 32
    .workgroup_processor_mode: 1
  - .args:
      - .offset:         0
        .size:           4
        .value_kind:     by_value
      - .offset:         4
        .size:           4
        .value_kind:     by_value
      - .offset:         8
        .size:           4
        .value_kind:     by_value
      - .offset:         12
        .size:           4
        .value_kind:     by_value
      - .offset:         16
        .size:           4
        .value_kind:     by_value
      - .offset:         20
        .size:           4
        .value_kind:     by_value
      - .address_space:  global
        .offset:         24
        .size:           8
        .value_kind:     global_buffer
      - .actual_access:  read_only
        .address_space:  global
        .offset:         32
        .size:           8
        .value_kind:     global_buffer
      - .actual_access:  read_only
        .address_space:  global
        .offset:         40
        .size:           8
        .value_kind:     global_buffer
      - .address_space:  global
        .offset:         48
        .size:           8
        .value_kind:     global_buffer
      - .offset:         56
        .size:           4
        .value_kind:     by_value
      - .offset:         60
        .size:           4
        .value_kind:     by_value
    .group_segment_fixed_size: 65536
    .kernarg_segment_align: 8
    .kernarg_segment_size: 64
    .language:       OpenCL C
    .language_version:
      - 2
      - 0
    .max_flat_workgroup_size: 1024
    .name:           _Z16wvSplitK_hf_sml_I6__halfLi64ELi4ELi16ELi8ELi1ELi1EEviiiiiiPKT_S3_S3_PS1_ii
    .private_segment_fixed_size: 0
    .sgpr_count:     21
    .sgpr_spill_count: 0
    .symbol:         _Z16wvSplitK_hf_sml_I6__halfLi64ELi4ELi16ELi8ELi1ELi1EEviiiiiiPKT_S3_S3_PS1_ii.kd
    .uniform_work_group_size: 1
    .uses_dynamic_stack: false
    .vgpr_count:     45
    .vgpr_spill_count: 0
    .wavefront_size: 32
    .workgroup_processor_mode: 1
  - .args:
      - .offset:         0
        .size:           4
        .value_kind:     by_value
      - .offset:         4
        .size:           4
        .value_kind:     by_value
      - .offset:         8
        .size:           4
        .value_kind:     by_value
      - .offset:         12
        .size:           4
        .value_kind:     by_value
      - .offset:         16
        .size:           4
        .value_kind:     by_value
      - .offset:         20
        .size:           4
        .value_kind:     by_value
      - .address_space:  global
        .offset:         24
        .size:           8
        .value_kind:     global_buffer
      - .actual_access:  read_only
        .address_space:  global
        .offset:         32
        .size:           8
        .value_kind:     global_buffer
      - .actual_access:  read_only
        .address_space:  global
        .offset:         40
        .size:           8
        .value_kind:     global_buffer
      - .address_space:  global
        .offset:         48
        .size:           8
        .value_kind:     global_buffer
      - .offset:         56
        .size:           4
        .value_kind:     by_value
      - .offset:         60
        .size:           4
        .value_kind:     by_value
    .group_segment_fixed_size: 65536
    .kernarg_segment_align: 8
    .kernarg_segment_size: 64
    .language:       OpenCL C
    .language_version:
      - 2
      - 0
    .max_flat_workgroup_size: 1024
    .name:           _Z12wvSplitK_hf_I6__halfLi64ELi4ELi16ELi8ELi1ELi1EEviiiiiiPKT_S3_S3_PS1_ii
    .private_segment_fixed_size: 0
    .sgpr_count:     30
    .sgpr_spill_count: 0
    .symbol:         _Z12wvSplitK_hf_I6__halfLi64ELi4ELi16ELi8ELi1ELi1EEviiiiiiPKT_S3_S3_PS1_ii.kd
    .uniform_work_group_size: 1
    .uses_dynamic_stack: false
    .vgpr_count:     49
    .vgpr_spill_count: 0
    .wavefront_size: 32
    .workgroup_processor_mode: 1
  - .args:
      - .offset:         0
        .size:           4
        .value_kind:     by_value
      - .offset:         4
        .size:           4
        .value_kind:     by_value
      - .offset:         8
        .size:           4
        .value_kind:     by_value
      - .offset:         12
        .size:           4
        .value_kind:     by_value
      - .offset:         16
        .size:           4
        .value_kind:     by_value
      - .offset:         20
        .size:           4
        .value_kind:     by_value
      - .address_space:  global
        .offset:         24
        .size:           8
        .value_kind:     global_buffer
      - .actual_access:  read_only
        .address_space:  global
        .offset:         32
        .size:           8
        .value_kind:     global_buffer
      - .actual_access:  read_only
        .address_space:  global
        .offset:         40
        .size:           8
        .value_kind:     global_buffer
      - .address_space:  global
        .offset:         48
        .size:           8
        .value_kind:     global_buffer
      - .offset:         56
        .size:           4
        .value_kind:     by_value
      - .offset:         60
        .size:           4
        .value_kind:     by_value
    .group_segment_fixed_size: 65536
    .kernarg_segment_align: 8
    .kernarg_segment_size: 64
    .language:       OpenCL C
    .language_version:
      - 2
      - 0
    .max_flat_workgroup_size: 1024
    .name:           _Z16wvSplitK_hf_big_I6__halfLi64ELi4ELi16ELi8ELi1ELi1EEviiiiiiPKT_S3_S3_PS1_ii
    .private_segment_fixed_size: 0
    .sgpr_count:     40
    .sgpr_spill_count: 0
    .symbol:         _Z16wvSplitK_hf_big_I6__halfLi64ELi4ELi16ELi8ELi1ELi1EEviiiiiiPKT_S3_S3_PS1_ii.kd
    .uniform_work_group_size: 1
    .uses_dynamic_stack: false
    .vgpr_count:     45
    .vgpr_spill_count: 0
    .wavefront_size: 32
    .workgroup_processor_mode: 1
  - .args:
      - .offset:         0
        .size:           4
        .value_kind:     by_value
      - .offset:         4
        .size:           4
        .value_kind:     by_value
      - .offset:         8
        .size:           4
        .value_kind:     by_value
      - .offset:         12
        .size:           4
        .value_kind:     by_value
      - .offset:         16
        .size:           4
        .value_kind:     by_value
      - .offset:         20
        .size:           4
        .value_kind:     by_value
      - .address_space:  global
        .offset:         24
        .size:           8
        .value_kind:     global_buffer
      - .actual_access:  read_only
        .address_space:  global
        .offset:         32
        .size:           8
        .value_kind:     global_buffer
      - .actual_access:  read_only
        .address_space:  global
        .offset:         40
        .size:           8
        .value_kind:     global_buffer
      - .address_space:  global
        .offset:         48
        .size:           8
        .value_kind:     global_buffer
      - .offset:         56
        .size:           4
        .value_kind:     by_value
      - .offset:         60
        .size:           4
        .value_kind:     by_value
    .group_segment_fixed_size: 65536
    .kernarg_segment_align: 8
    .kernarg_segment_size: 64
    .language:       OpenCL C
    .language_version:
      - 2
      - 0
    .max_flat_workgroup_size: 1024
    .name:           _Z16wvSplitK_hf_sml_I6__halfLi64ELi4ELi16ELi8ELi2ELi1EEviiiiiiPKT_S3_S3_PS1_ii
    .private_segment_fixed_size: 0
    .sgpr_count:     22
    .sgpr_spill_count: 0
    .symbol:         _Z16wvSplitK_hf_sml_I6__halfLi64ELi4ELi16ELi8ELi2ELi1EEviiiiiiPKT_S3_S3_PS1_ii.kd
    .uniform_work_group_size: 1
    .uses_dynamic_stack: false
    .vgpr_count:     64
    .vgpr_spill_count: 0
    .wavefront_size: 32
    .workgroup_processor_mode: 1
  - .args:
      - .offset:         0
        .size:           4
        .value_kind:     by_value
      - .offset:         4
        .size:           4
        .value_kind:     by_value
      - .offset:         8
        .size:           4
        .value_kind:     by_value
      - .offset:         12
        .size:           4
        .value_kind:     by_value
      - .offset:         16
        .size:           4
        .value_kind:     by_value
      - .offset:         20
        .size:           4
        .value_kind:     by_value
      - .address_space:  global
        .offset:         24
        .size:           8
        .value_kind:     global_buffer
      - .actual_access:  read_only
        .address_space:  global
        .offset:         32
        .size:           8
        .value_kind:     global_buffer
      - .actual_access:  read_only
        .address_space:  global
        .offset:         40
        .size:           8
        .value_kind:     global_buffer
      - .address_space:  global
        .offset:         48
        .size:           8
        .value_kind:     global_buffer
      - .offset:         56
        .size:           4
        .value_kind:     by_value
      - .offset:         60
        .size:           4
        .value_kind:     by_value
    .group_segment_fixed_size: 65536
    .kernarg_segment_align: 8
    .kernarg_segment_size: 64
    .language:       OpenCL C
    .language_version:
      - 2
      - 0
    .max_flat_workgroup_size: 1024
    .name:           _Z12wvSplitK_hf_I6__halfLi64ELi4ELi16ELi8ELi2ELi1EEviiiiiiPKT_S3_S3_PS1_ii
    .private_segment_fixed_size: 0
    .sgpr_count:     30
    .sgpr_spill_count: 0
    .symbol:         _Z12wvSplitK_hf_I6__halfLi64ELi4ELi16ELi8ELi2ELi1EEviiiiiiPKT_S3_S3_PS1_ii.kd
    .uniform_work_group_size: 1
    .uses_dynamic_stack: false
    .vgpr_count:     70
    .vgpr_spill_count: 0
    .wavefront_size: 32
    .workgroup_processor_mode: 1
  - .args:
      - .offset:         0
        .size:           4
        .value_kind:     by_value
      - .offset:         4
        .size:           4
        .value_kind:     by_value
      - .offset:         8
        .size:           4
        .value_kind:     by_value
      - .offset:         12
        .size:           4
        .value_kind:     by_value
      - .offset:         16
        .size:           4
        .value_kind:     by_value
      - .offset:         20
        .size:           4
        .value_kind:     by_value
      - .address_space:  global
        .offset:         24
        .size:           8
        .value_kind:     global_buffer
      - .actual_access:  read_only
        .address_space:  global
        .offset:         32
        .size:           8
        .value_kind:     global_buffer
      - .actual_access:  read_only
        .address_space:  global
        .offset:         40
        .size:           8
        .value_kind:     global_buffer
      - .address_space:  global
        .offset:         48
        .size:           8
        .value_kind:     global_buffer
      - .offset:         56
        .size:           4
        .value_kind:     by_value
      - .offset:         60
        .size:           4
        .value_kind:     by_value
    .group_segment_fixed_size: 65536
    .kernarg_segment_align: 8
    .kernarg_segment_size: 64
    .language:       OpenCL C
    .language_version:
      - 2
      - 0
    .max_flat_workgroup_size: 1024
    .name:           _Z16wvSplitK_hf_big_I6__halfLi64ELi4ELi16ELi8ELi2ELi1EEviiiiiiPKT_S3_S3_PS1_ii
    .private_segment_fixed_size: 0
    .sgpr_count:     40
    .sgpr_spill_count: 0
    .symbol:         _Z16wvSplitK_hf_big_I6__halfLi64ELi4ELi16ELi8ELi2ELi1EEviiiiiiPKT_S3_S3_PS1_ii.kd
    .uniform_work_group_size: 1
    .uses_dynamic_stack: false
    .vgpr_count:     66
    .vgpr_spill_count: 0
    .wavefront_size: 32
    .workgroup_processor_mode: 1
  - .args:
      - .offset:         0
        .size:           4
        .value_kind:     by_value
      - .offset:         4
        .size:           4
        .value_kind:     by_value
      - .offset:         8
        .size:           4
        .value_kind:     by_value
      - .offset:         12
        .size:           4
        .value_kind:     by_value
      - .offset:         16
        .size:           4
        .value_kind:     by_value
      - .offset:         20
        .size:           4
        .value_kind:     by_value
      - .address_space:  global
        .offset:         24
        .size:           8
        .value_kind:     global_buffer
      - .actual_access:  read_only
        .address_space:  global
        .offset:         32
        .size:           8
        .value_kind:     global_buffer
      - .actual_access:  read_only
        .address_space:  global
        .offset:         40
        .size:           8
        .value_kind:     global_buffer
      - .address_space:  global
        .offset:         48
        .size:           8
        .value_kind:     global_buffer
      - .offset:         56
        .size:           4
        .value_kind:     by_value
      - .offset:         60
        .size:           4
        .value_kind:     by_value
    .group_segment_fixed_size: 65536
    .kernarg_segment_align: 8
    .kernarg_segment_size: 64
    .language:       OpenCL C
    .language_version:
      - 2
      - 0
    .max_flat_workgroup_size: 512
    .name:           _Z16wvSplitK_hf_sml_I6__halfLi32ELi1ELi16ELi8ELi4ELi2EEviiiiiiPKT_S3_S3_PS1_ii
    .private_segment_fixed_size: 0
    .sgpr_count:     26
    .sgpr_spill_count: 0
    .symbol:         _Z16wvSplitK_hf_sml_I6__halfLi32ELi1ELi16ELi8ELi4ELi2EEviiiiiiPKT_S3_S3_PS1_ii.kd
    .uniform_work_group_size: 1
    .uses_dynamic_stack: false
    .vgpr_count:     63
    .vgpr_spill_count: 0
    .wavefront_size: 32
    .workgroup_processor_mode: 1
  - .args:
      - .offset:         0
        .size:           4
        .value_kind:     by_value
      - .offset:         4
        .size:           4
        .value_kind:     by_value
      - .offset:         8
        .size:           4
        .value_kind:     by_value
      - .offset:         12
        .size:           4
        .value_kind:     by_value
      - .offset:         16
        .size:           4
        .value_kind:     by_value
      - .offset:         20
        .size:           4
        .value_kind:     by_value
      - .address_space:  global
        .offset:         24
        .size:           8
        .value_kind:     global_buffer
      - .actual_access:  read_only
        .address_space:  global
        .offset:         32
        .size:           8
        .value_kind:     global_buffer
      - .actual_access:  read_only
        .address_space:  global
        .offset:         40
        .size:           8
        .value_kind:     global_buffer
      - .address_space:  global
        .offset:         48
        .size:           8
        .value_kind:     global_buffer
      - .offset:         56
        .size:           4
        .value_kind:     by_value
      - .offset:         60
        .size:           4
        .value_kind:     by_value
    .group_segment_fixed_size: 65536
    .kernarg_segment_align: 8
    .kernarg_segment_size: 64
    .language:       OpenCL C
    .language_version:
      - 2
      - 0
    .max_flat_workgroup_size: 512
    .name:           _Z12wvSplitK_hf_I6__halfLi32ELi1ELi16ELi8ELi4ELi2EEviiiiiiPKT_S3_S3_PS1_ii
    .private_segment_fixed_size: 0
    .sgpr_count:     30
    .sgpr_spill_count: 0
    .symbol:         _Z12wvSplitK_hf_I6__halfLi32ELi1ELi16ELi8ELi4ELi2EEviiiiiiPKT_S3_S3_PS1_ii.kd
    .uniform_work_group_size: 1
    .uses_dynamic_stack: false
    .vgpr_count:     67
    .vgpr_spill_count: 0
    .wavefront_size: 32
    .workgroup_processor_mode: 1
  - .args:
      - .offset:         0
        .size:           4
        .value_kind:     by_value
      - .offset:         4
        .size:           4
        .value_kind:     by_value
      - .offset:         8
        .size:           4
        .value_kind:     by_value
      - .offset:         12
        .size:           4
        .value_kind:     by_value
      - .offset:         16
        .size:           4
        .value_kind:     by_value
      - .offset:         20
        .size:           4
        .value_kind:     by_value
      - .address_space:  global
        .offset:         24
        .size:           8
        .value_kind:     global_buffer
      - .actual_access:  read_only
        .address_space:  global
        .offset:         32
        .size:           8
        .value_kind:     global_buffer
      - .actual_access:  read_only
        .address_space:  global
        .offset:         40
        .size:           8
        .value_kind:     global_buffer
      - .address_space:  global
        .offset:         48
        .size:           8
        .value_kind:     global_buffer
      - .offset:         56
        .size:           4
        .value_kind:     by_value
      - .offset:         60
        .size:           4
        .value_kind:     by_value
    .group_segment_fixed_size: 65536
    .kernarg_segment_align: 8
    .kernarg_segment_size: 64
    .language:       OpenCL C
    .language_version:
      - 2
      - 0
    .max_flat_workgroup_size: 512
    .name:           _Z16wvSplitK_hf_big_I6__halfLi32ELi1ELi16ELi8ELi4ELi2EEviiiiiiPKT_S3_S3_PS1_ii
    .private_segment_fixed_size: 0
    .sgpr_count:     39
    .sgpr_spill_count: 0
    .symbol:         _Z16wvSplitK_hf_big_I6__halfLi32ELi1ELi16ELi8ELi4ELi2EEviiiiiiPKT_S3_S3_PS1_ii.kd
    .uniform_work_group_size: 1
    .uses_dynamic_stack: false
    .vgpr_count:     66
    .vgpr_spill_count: 0
    .wavefront_size: 32
    .workgroup_processor_mode: 1
  - .args:
      - .offset:         0
        .size:           4
        .value_kind:     by_value
      - .offset:         4
        .size:           4
        .value_kind:     by_value
      - .offset:         8
        .size:           4
        .value_kind:     by_value
      - .offset:         12
        .size:           4
        .value_kind:     by_value
      - .offset:         16
        .size:           4
        .value_kind:     by_value
      - .offset:         20
        .size:           4
        .value_kind:     by_value
      - .address_space:  global
        .offset:         24
        .size:           8
        .value_kind:     global_buffer
      - .actual_access:  read_only
        .address_space:  global
        .offset:         32
        .size:           8
        .value_kind:     global_buffer
      - .actual_access:  read_only
        .address_space:  global
        .offset:         40
        .size:           8
        .value_kind:     global_buffer
      - .address_space:  global
        .offset:         48
        .size:           8
        .value_kind:     global_buffer
      - .offset:         56
        .size:           4
        .value_kind:     by_value
      - .offset:         60
        .size:           4
        .value_kind:     by_value
    .group_segment_fixed_size: 65536
    .kernarg_segment_align: 8
    .kernarg_segment_size: 64
    .language:       OpenCL C
    .language_version:
      - 2
      - 0
    .max_flat_workgroup_size: 512
    .name:           _Z16wvSplitK_hf_sml_I6__halfLi32ELi2ELi16ELi8ELi2ELi2EEviiiiiiPKT_S3_S3_PS1_ii
    .private_segment_fixed_size: 0
    .sgpr_count:     24
    .sgpr_spill_count: 0
    .symbol:         _Z16wvSplitK_hf_sml_I6__halfLi32ELi2ELi16ELi8ELi2ELi2EEviiiiiiPKT_S3_S3_PS1_ii.kd
    .uniform_work_group_size: 1
    .uses_dynamic_stack: false
    .vgpr_count:     50
    .vgpr_spill_count: 0
    .wavefront_size: 32
    .workgroup_processor_mode: 1
  - .args:
      - .offset:         0
        .size:           4
        .value_kind:     by_value
      - .offset:         4
        .size:           4
        .value_kind:     by_value
      - .offset:         8
        .size:           4
        .value_kind:     by_value
      - .offset:         12
        .size:           4
        .value_kind:     by_value
      - .offset:         16
        .size:           4
        .value_kind:     by_value
      - .offset:         20
        .size:           4
        .value_kind:     by_value
      - .address_space:  global
        .offset:         24
        .size:           8
        .value_kind:     global_buffer
      - .actual_access:  read_only
        .address_space:  global
        .offset:         32
        .size:           8
        .value_kind:     global_buffer
      - .actual_access:  read_only
        .address_space:  global
        .offset:         40
        .size:           8
        .value_kind:     global_buffer
      - .address_space:  global
        .offset:         48
        .size:           8
        .value_kind:     global_buffer
      - .offset:         56
        .size:           4
        .value_kind:     by_value
      - .offset:         60
        .size:           4
        .value_kind:     by_value
    .group_segment_fixed_size: 65536
    .kernarg_segment_align: 8
    .kernarg_segment_size: 64
    .language:       OpenCL C
    .language_version:
      - 2
      - 0
    .max_flat_workgroup_size: 512
    .name:           _Z12wvSplitK_hf_I6__halfLi32ELi2ELi16ELi8ELi2ELi2EEviiiiiiPKT_S3_S3_PS1_ii
    .private_segment_fixed_size: 0
    .sgpr_count:     31
    .sgpr_spill_count: 0
    .symbol:         _Z12wvSplitK_hf_I6__halfLi32ELi2ELi16ELi8ELi2ELi2EEviiiiiiPKT_S3_S3_PS1_ii.kd
    .uniform_work_group_size: 1
    .uses_dynamic_stack: false
    .vgpr_count:     52
    .vgpr_spill_count: 0
    .wavefront_size: 32
    .workgroup_processor_mode: 1
  - .args:
      - .offset:         0
        .size:           4
        .value_kind:     by_value
      - .offset:         4
        .size:           4
        .value_kind:     by_value
      - .offset:         8
        .size:           4
        .value_kind:     by_value
      - .offset:         12
        .size:           4
        .value_kind:     by_value
      - .offset:         16
        .size:           4
        .value_kind:     by_value
      - .offset:         20
        .size:           4
        .value_kind:     by_value
      - .address_space:  global
        .offset:         24
        .size:           8
        .value_kind:     global_buffer
      - .actual_access:  read_only
        .address_space:  global
        .offset:         32
        .size:           8
        .value_kind:     global_buffer
      - .actual_access:  read_only
        .address_space:  global
        .offset:         40
        .size:           8
        .value_kind:     global_buffer
      - .address_space:  global
        .offset:         48
        .size:           8
        .value_kind:     global_buffer
      - .offset:         56
        .size:           4
        .value_kind:     by_value
      - .offset:         60
        .size:           4
        .value_kind:     by_value
    .group_segment_fixed_size: 65536
    .kernarg_segment_align: 8
    .kernarg_segment_size: 64
    .language:       OpenCL C
    .language_version:
      - 2
      - 0
    .max_flat_workgroup_size: 512
    .name:           _Z16wvSplitK_hf_big_I6__halfLi32ELi2ELi16ELi8ELi2ELi2EEviiiiiiPKT_S3_S3_PS1_ii
    .private_segment_fixed_size: 0
    .sgpr_count:     41
    .sgpr_spill_count: 0
    .symbol:         _Z16wvSplitK_hf_big_I6__halfLi32ELi2ELi16ELi8ELi2ELi2EEviiiiiiPKT_S3_S3_PS1_ii.kd
    .uniform_work_group_size: 1
    .uses_dynamic_stack: false
    .vgpr_count:     53
    .vgpr_spill_count: 0
    .wavefront_size: 32
    .workgroup_processor_mode: 1
  - .args:
      - .offset:         0
        .size:           4
        .value_kind:     by_value
      - .offset:         4
        .size:           4
        .value_kind:     by_value
      - .offset:         8
        .size:           4
        .value_kind:     by_value
      - .offset:         12
        .size:           4
        .value_kind:     by_value
      - .offset:         16
        .size:           4
        .value_kind:     by_value
      - .offset:         20
        .size:           4
        .value_kind:     by_value
      - .address_space:  global
        .offset:         24
        .size:           8
        .value_kind:     global_buffer
      - .actual_access:  read_only
        .address_space:  global
        .offset:         32
        .size:           8
        .value_kind:     global_buffer
      - .actual_access:  read_only
        .address_space:  global
        .offset:         40
        .size:           8
        .value_kind:     global_buffer
      - .address_space:  global
        .offset:         48
        .size:           8
        .value_kind:     global_buffer
      - .offset:         56
        .size:           4
        .value_kind:     by_value
      - .offset:         60
        .size:           4
        .value_kind:     by_value
    .group_segment_fixed_size: 65536
    .kernarg_segment_align: 8
    .kernarg_segment_size: 64
    .language:       OpenCL C
    .language_version:
      - 2
      - 0
    .max_flat_workgroup_size: 512
    .name:           _Z16wvSplitK_hf_sml_I6__halfLi32ELi3ELi16ELi8ELi2ELi2EEviiiiiiPKT_S3_S3_PS1_ii
    .private_segment_fixed_size: 0
    .sgpr_count:     24
    .sgpr_spill_count: 0
    .symbol:         _Z16wvSplitK_hf_sml_I6__halfLi32ELi3ELi16ELi8ELi2ELi2EEviiiiiiPKT_S3_S3_PS1_ii.kd
    .uniform_work_group_size: 1
    .uses_dynamic_stack: false
    .vgpr_count:     64
    .vgpr_spill_count: 0
    .wavefront_size: 32
    .workgroup_processor_mode: 1
  - .args:
      - .offset:         0
        .size:           4
        .value_kind:     by_value
      - .offset:         4
        .size:           4
        .value_kind:     by_value
      - .offset:         8
        .size:           4
        .value_kind:     by_value
      - .offset:         12
        .size:           4
        .value_kind:     by_value
      - .offset:         16
        .size:           4
        .value_kind:     by_value
      - .offset:         20
        .size:           4
        .value_kind:     by_value
      - .address_space:  global
        .offset:         24
        .size:           8
        .value_kind:     global_buffer
      - .actual_access:  read_only
        .address_space:  global
        .offset:         32
        .size:           8
        .value_kind:     global_buffer
      - .actual_access:  read_only
        .address_space:  global
        .offset:         40
        .size:           8
        .value_kind:     global_buffer
      - .address_space:  global
        .offset:         48
        .size:           8
        .value_kind:     global_buffer
      - .offset:         56
        .size:           4
        .value_kind:     by_value
      - .offset:         60
        .size:           4
        .value_kind:     by_value
    .group_segment_fixed_size: 65536
    .kernarg_segment_align: 8
    .kernarg_segment_size: 64
    .language:       OpenCL C
    .language_version:
      - 2
      - 0
    .max_flat_workgroup_size: 512
    .name:           _Z12wvSplitK_hf_I6__halfLi32ELi3ELi16ELi8ELi2ELi2EEviiiiiiPKT_S3_S3_PS1_ii
    .private_segment_fixed_size: 0
    .sgpr_count:     32
    .sgpr_spill_count: 0
    .symbol:         _Z12wvSplitK_hf_I6__halfLi32ELi3ELi16ELi8ELi2ELi2EEviiiiiiPKT_S3_S3_PS1_ii.kd
    .uniform_work_group_size: 1
    .uses_dynamic_stack: false
    .vgpr_count:     66
    .vgpr_spill_count: 0
    .wavefront_size: 32
    .workgroup_processor_mode: 1
  - .args:
      - .offset:         0
        .size:           4
        .value_kind:     by_value
      - .offset:         4
        .size:           4
        .value_kind:     by_value
      - .offset:         8
        .size:           4
        .value_kind:     by_value
      - .offset:         12
        .size:           4
        .value_kind:     by_value
      - .offset:         16
        .size:           4
        .value_kind:     by_value
      - .offset:         20
        .size:           4
        .value_kind:     by_value
      - .address_space:  global
        .offset:         24
        .size:           8
        .value_kind:     global_buffer
      - .actual_access:  read_only
        .address_space:  global
        .offset:         32
        .size:           8
        .value_kind:     global_buffer
      - .actual_access:  read_only
        .address_space:  global
        .offset:         40
        .size:           8
        .value_kind:     global_buffer
      - .address_space:  global
        .offset:         48
        .size:           8
        .value_kind:     global_buffer
      - .offset:         56
        .size:           4
        .value_kind:     by_value
      - .offset:         60
        .size:           4
        .value_kind:     by_value
    .group_segment_fixed_size: 65536
    .kernarg_segment_align: 8
    .kernarg_segment_size: 64
    .language:       OpenCL C
    .language_version:
      - 2
      - 0
    .max_flat_workgroup_size: 512
    .name:           _Z16wvSplitK_hf_big_I6__halfLi32ELi3ELi16ELi8ELi2ELi2EEviiiiiiPKT_S3_S3_PS1_ii
    .private_segment_fixed_size: 0
    .sgpr_count:     42
    .sgpr_spill_count: 0
    .symbol:         _Z16wvSplitK_hf_big_I6__halfLi32ELi3ELi16ELi8ELi2ELi2EEviiiiiiPKT_S3_S3_PS1_ii.kd
    .uniform_work_group_size: 1
    .uses_dynamic_stack: false
    .vgpr_count:     66
    .vgpr_spill_count: 0
    .wavefront_size: 32
    .workgroup_processor_mode: 1
  - .args:
      - .offset:         0
        .size:           4
        .value_kind:     by_value
      - .offset:         4
        .size:           4
        .value_kind:     by_value
      - .offset:         8
        .size:           4
        .value_kind:     by_value
      - .offset:         12
        .size:           4
        .value_kind:     by_value
      - .offset:         16
        .size:           4
        .value_kind:     by_value
      - .offset:         20
        .size:           4
        .value_kind:     by_value
      - .address_space:  global
        .offset:         24
        .size:           8
        .value_kind:     global_buffer
      - .actual_access:  read_only
        .address_space:  global
        .offset:         32
        .size:           8
        .value_kind:     global_buffer
      - .actual_access:  read_only
        .address_space:  global
        .offset:         40
        .size:           8
        .value_kind:     global_buffer
      - .address_space:  global
        .offset:         48
        .size:           8
        .value_kind:     global_buffer
      - .offset:         56
        .size:           4
        .value_kind:     by_value
      - .offset:         60
        .size:           4
        .value_kind:     by_value
    .group_segment_fixed_size: 65536
    .kernarg_segment_align: 8
    .kernarg_segment_size: 64
    .language:       OpenCL C
    .language_version:
      - 2
      - 0
    .max_flat_workgroup_size: 512
    .name:           _Z16wvSplitK_hf_sml_I6__halfLi32ELi4ELi16ELi8ELi1ELi2EEviiiiiiPKT_S3_S3_PS1_ii
    .private_segment_fixed_size: 0
    .sgpr_count:     23
    .sgpr_spill_count: 0
    .symbol:         _Z16wvSplitK_hf_sml_I6__halfLi32ELi4ELi16ELi8ELi1ELi2EEviiiiiiPKT_S3_S3_PS1_ii.kd
    .uniform_work_group_size: 1
    .uses_dynamic_stack: false
    .vgpr_count:     49
    .vgpr_spill_count: 0
    .wavefront_size: 32
    .workgroup_processor_mode: 1
  - .args:
      - .offset:         0
        .size:           4
        .value_kind:     by_value
      - .offset:         4
        .size:           4
        .value_kind:     by_value
      - .offset:         8
        .size:           4
        .value_kind:     by_value
      - .offset:         12
        .size:           4
        .value_kind:     by_value
      - .offset:         16
        .size:           4
        .value_kind:     by_value
      - .offset:         20
        .size:           4
        .value_kind:     by_value
      - .address_space:  global
        .offset:         24
        .size:           8
        .value_kind:     global_buffer
      - .actual_access:  read_only
        .address_space:  global
        .offset:         32
        .size:           8
        .value_kind:     global_buffer
      - .actual_access:  read_only
        .address_space:  global
        .offset:         40
        .size:           8
        .value_kind:     global_buffer
      - .address_space:  global
        .offset:         48
        .size:           8
        .value_kind:     global_buffer
      - .offset:         56
        .size:           4
        .value_kind:     by_value
      - .offset:         60
        .size:           4
        .value_kind:     by_value
    .group_segment_fixed_size: 65536
    .kernarg_segment_align: 8
    .kernarg_segment_size: 64
    .language:       OpenCL C
    .language_version:
      - 2
      - 0
    .max_flat_workgroup_size: 512
    .name:           _Z12wvSplitK_hf_I6__halfLi32ELi4ELi16ELi8ELi1ELi2EEviiiiiiPKT_S3_S3_PS1_ii
    .private_segment_fixed_size: 0
    .sgpr_count:     32
    .sgpr_spill_count: 0
    .symbol:         _Z12wvSplitK_hf_I6__halfLi32ELi4ELi16ELi8ELi1ELi2EEviiiiiiPKT_S3_S3_PS1_ii.kd
    .uniform_work_group_size: 1
    .uses_dynamic_stack: false
    .vgpr_count:     59
    .vgpr_spill_count: 0
    .wavefront_size: 32
    .workgroup_processor_mode: 1
  - .args:
      - .offset:         0
        .size:           4
        .value_kind:     by_value
      - .offset:         4
        .size:           4
        .value_kind:     by_value
      - .offset:         8
        .size:           4
        .value_kind:     by_value
      - .offset:         12
        .size:           4
        .value_kind:     by_value
      - .offset:         16
        .size:           4
        .value_kind:     by_value
      - .offset:         20
        .size:           4
        .value_kind:     by_value
      - .address_space:  global
        .offset:         24
        .size:           8
        .value_kind:     global_buffer
      - .actual_access:  read_only
        .address_space:  global
        .offset:         32
        .size:           8
        .value_kind:     global_buffer
      - .actual_access:  read_only
        .address_space:  global
        .offset:         40
        .size:           8
        .value_kind:     global_buffer
      - .address_space:  global
        .offset:         48
        .size:           8
        .value_kind:     global_buffer
      - .offset:         56
        .size:           4
        .value_kind:     by_value
      - .offset:         60
        .size:           4
        .value_kind:     by_value
    .group_segment_fixed_size: 65536
    .kernarg_segment_align: 8
    .kernarg_segment_size: 64
    .language:       OpenCL C
    .language_version:
      - 2
      - 0
    .max_flat_workgroup_size: 512
    .name:           _Z16wvSplitK_hf_big_I6__halfLi32ELi4ELi16ELi8ELi1ELi2EEviiiiiiPKT_S3_S3_PS1_ii
    .private_segment_fixed_size: 0
    .sgpr_count:     42
    .sgpr_spill_count: 0
    .symbol:         _Z16wvSplitK_hf_big_I6__halfLi32ELi4ELi16ELi8ELi1ELi2EEviiiiiiPKT_S3_S3_PS1_ii.kd
    .uniform_work_group_size: 1
    .uses_dynamic_stack: false
    .vgpr_count:     54
    .vgpr_spill_count: 0
    .wavefront_size: 32
    .workgroup_processor_mode: 1
  - .args:
      - .offset:         0
        .size:           4
        .value_kind:     by_value
      - .offset:         4
        .size:           4
        .value_kind:     by_value
      - .offset:         8
        .size:           4
        .value_kind:     by_value
      - .offset:         12
        .size:           4
        .value_kind:     by_value
      - .offset:         16
        .size:           4
        .value_kind:     by_value
      - .offset:         20
        .size:           4
        .value_kind:     by_value
      - .address_space:  global
        .offset:         24
        .size:           8
        .value_kind:     global_buffer
      - .actual_access:  read_only
        .address_space:  global
        .offset:         32
        .size:           8
        .value_kind:     global_buffer
      - .actual_access:  read_only
        .address_space:  global
        .offset:         40
        .size:           8
        .value_kind:     global_buffer
      - .address_space:  global
        .offset:         48
        .size:           8
        .value_kind:     global_buffer
      - .offset:         56
        .size:           4
        .value_kind:     by_value
      - .offset:         60
        .size:           4
        .value_kind:     by_value
    .group_segment_fixed_size: 65536
    .kernarg_segment_align: 8
    .kernarg_segment_size: 64
    .language:       OpenCL C
    .language_version:
      - 2
      - 0
    .max_flat_workgroup_size: 512
    .name:           _Z16wvSplitK_hf_sml_I6__halfLi32ELi4ELi16ELi8ELi2ELi2EEviiiiiiPKT_S3_S3_PS1_ii
    .private_segment_fixed_size: 0
    .sgpr_count:     24
    .sgpr_spill_count: 0
    .symbol:         _Z16wvSplitK_hf_sml_I6__halfLi32ELi4ELi16ELi8ELi2ELi2EEviiiiiiPKT_S3_S3_PS1_ii.kd
    .uniform_work_group_size: 1
    .uses_dynamic_stack: false
    .vgpr_count:     73
    .vgpr_spill_count: 0
    .wavefront_size: 32
    .workgroup_processor_mode: 1
  - .args:
      - .offset:         0
        .size:           4
        .value_kind:     by_value
      - .offset:         4
        .size:           4
        .value_kind:     by_value
      - .offset:         8
        .size:           4
        .value_kind:     by_value
      - .offset:         12
        .size:           4
        .value_kind:     by_value
      - .offset:         16
        .size:           4
        .value_kind:     by_value
      - .offset:         20
        .size:           4
        .value_kind:     by_value
      - .address_space:  global
        .offset:         24
        .size:           8
        .value_kind:     global_buffer
      - .actual_access:  read_only
        .address_space:  global
        .offset:         32
        .size:           8
        .value_kind:     global_buffer
      - .actual_access:  read_only
        .address_space:  global
        .offset:         40
        .size:           8
        .value_kind:     global_buffer
      - .address_space:  global
        .offset:         48
        .size:           8
        .value_kind:     global_buffer
      - .offset:         56
        .size:           4
        .value_kind:     by_value
      - .offset:         60
        .size:           4
        .value_kind:     by_value
    .group_segment_fixed_size: 65536
    .kernarg_segment_align: 8
    .kernarg_segment_size: 64
    .language:       OpenCL C
    .language_version:
      - 2
      - 0
    .max_flat_workgroup_size: 512
    .name:           _Z12wvSplitK_hf_I6__halfLi32ELi4ELi16ELi8ELi2ELi2EEviiiiiiPKT_S3_S3_PS1_ii
    .private_segment_fixed_size: 0
    .sgpr_count:     32
    .sgpr_spill_count: 0
    .symbol:         _Z12wvSplitK_hf_I6__halfLi32ELi4ELi16ELi8ELi2ELi2EEviiiiiiPKT_S3_S3_PS1_ii.kd
    .uniform_work_group_size: 1
    .uses_dynamic_stack: false
    .vgpr_count:     80
    .vgpr_spill_count: 0
    .wavefront_size: 32
    .workgroup_processor_mode: 1
  - .args:
      - .offset:         0
        .size:           4
        .value_kind:     by_value
      - .offset:         4
        .size:           4
        .value_kind:     by_value
      - .offset:         8
        .size:           4
        .value_kind:     by_value
      - .offset:         12
        .size:           4
        .value_kind:     by_value
      - .offset:         16
        .size:           4
        .value_kind:     by_value
      - .offset:         20
        .size:           4
        .value_kind:     by_value
      - .address_space:  global
        .offset:         24
        .size:           8
        .value_kind:     global_buffer
      - .actual_access:  read_only
        .address_space:  global
        .offset:         32
        .size:           8
        .value_kind:     global_buffer
      - .actual_access:  read_only
        .address_space:  global
        .offset:         40
        .size:           8
        .value_kind:     global_buffer
      - .address_space:  global
        .offset:         48
        .size:           8
        .value_kind:     global_buffer
      - .offset:         56
        .size:           4
        .value_kind:     by_value
      - .offset:         60
        .size:           4
        .value_kind:     by_value
    .group_segment_fixed_size: 65536
    .kernarg_segment_align: 8
    .kernarg_segment_size: 64
    .language:       OpenCL C
    .language_version:
      - 2
      - 0
    .max_flat_workgroup_size: 512
    .name:           _Z16wvSplitK_hf_big_I6__halfLi32ELi4ELi16ELi8ELi2ELi2EEviiiiiiPKT_S3_S3_PS1_ii
    .private_segment_fixed_size: 0
    .sgpr_count:     42
    .sgpr_spill_count: 0
    .symbol:         _Z16wvSplitK_hf_big_I6__halfLi32ELi4ELi16ELi8ELi2ELi2EEviiiiiiPKT_S3_S3_PS1_ii.kd
    .uniform_work_group_size: 1
    .uses_dynamic_stack: false
    .vgpr_count:     79
    .vgpr_spill_count: 0
    .wavefront_size: 32
    .workgroup_processor_mode: 1
  - .args:
      - .offset:         0
        .size:           4
        .value_kind:     by_value
      - .offset:         4
        .size:           4
        .value_kind:     by_value
      - .offset:         8
        .size:           4
        .value_kind:     by_value
      - .offset:         12
        .size:           4
        .value_kind:     by_value
      - .offset:         16
        .size:           4
        .value_kind:     by_value
      - .offset:         20
        .size:           4
        .value_kind:     by_value
      - .address_space:  global
        .offset:         24
        .size:           8
        .value_kind:     global_buffer
      - .actual_access:  read_only
        .address_space:  global
        .offset:         32
        .size:           8
        .value_kind:     global_buffer
      - .actual_access:  read_only
        .address_space:  global
        .offset:         40
        .size:           8
        .value_kind:     global_buffer
      - .address_space:  global
        .offset:         48
        .size:           8
        .value_kind:     global_buffer
      - .offset:         56
        .size:           4
        .value_kind:     by_value
      - .offset:         60
        .size:           4
        .value_kind:     by_value
    .group_segment_fixed_size: 65536
    .kernarg_segment_align: 8
    .kernarg_segment_size: 64
    .language:       OpenCL C
    .language_version:
      - 2
      - 0
    .max_flat_workgroup_size: 1024
    .name:           _Z16wvSplitK_hf_sml_I6__halfLi64ELi1ELi16ELi8ELi4ELi2EEviiiiiiPKT_S3_S3_PS1_ii
    .private_segment_fixed_size: 0
    .sgpr_count:     26
    .sgpr_spill_count: 0
    .symbol:         _Z16wvSplitK_hf_sml_I6__halfLi64ELi1ELi16ELi8ELi4ELi2EEviiiiiiPKT_S3_S3_PS1_ii.kd
    .uniform_work_group_size: 1
    .uses_dynamic_stack: false
    .vgpr_count:     63
    .vgpr_spill_count: 0
    .wavefront_size: 32
    .workgroup_processor_mode: 1
  - .args:
      - .offset:         0
        .size:           4
        .value_kind:     by_value
      - .offset:         4
        .size:           4
        .value_kind:     by_value
      - .offset:         8
        .size:           4
        .value_kind:     by_value
      - .offset:         12
        .size:           4
        .value_kind:     by_value
      - .offset:         16
        .size:           4
        .value_kind:     by_value
      - .offset:         20
        .size:           4
        .value_kind:     by_value
      - .address_space:  global
        .offset:         24
        .size:           8
        .value_kind:     global_buffer
      - .actual_access:  read_only
        .address_space:  global
        .offset:         32
        .size:           8
        .value_kind:     global_buffer
      - .actual_access:  read_only
        .address_space:  global
        .offset:         40
        .size:           8
        .value_kind:     global_buffer
      - .address_space:  global
        .offset:         48
        .size:           8
        .value_kind:     global_buffer
      - .offset:         56
        .size:           4
        .value_kind:     by_value
      - .offset:         60
        .size:           4
        .value_kind:     by_value
    .group_segment_fixed_size: 65536
    .kernarg_segment_align: 8
    .kernarg_segment_size: 64
    .language:       OpenCL C
    .language_version:
      - 2
      - 0
    .max_flat_workgroup_size: 1024
    .name:           _Z12wvSplitK_hf_I6__halfLi64ELi1ELi16ELi8ELi4ELi2EEviiiiiiPKT_S3_S3_PS1_ii
    .private_segment_fixed_size: 0
    .sgpr_count:     30
    .sgpr_spill_count: 0
    .symbol:         _Z12wvSplitK_hf_I6__halfLi64ELi1ELi16ELi8ELi4ELi2EEviiiiiiPKT_S3_S3_PS1_ii.kd
    .uniform_work_group_size: 1
    .uses_dynamic_stack: false
    .vgpr_count:     67
    .vgpr_spill_count: 0
    .wavefront_size: 32
    .workgroup_processor_mode: 1
  - .args:
      - .offset:         0
        .size:           4
        .value_kind:     by_value
      - .offset:         4
        .size:           4
        .value_kind:     by_value
      - .offset:         8
        .size:           4
        .value_kind:     by_value
      - .offset:         12
        .size:           4
        .value_kind:     by_value
      - .offset:         16
        .size:           4
        .value_kind:     by_value
      - .offset:         20
        .size:           4
        .value_kind:     by_value
      - .address_space:  global
        .offset:         24
        .size:           8
        .value_kind:     global_buffer
      - .actual_access:  read_only
        .address_space:  global
        .offset:         32
        .size:           8
        .value_kind:     global_buffer
      - .actual_access:  read_only
        .address_space:  global
        .offset:         40
        .size:           8
        .value_kind:     global_buffer
      - .address_space:  global
        .offset:         48
        .size:           8
        .value_kind:     global_buffer
      - .offset:         56
        .size:           4
        .value_kind:     by_value
      - .offset:         60
        .size:           4
        .value_kind:     by_value
    .group_segment_fixed_size: 65536
    .kernarg_segment_align: 8
    .kernarg_segment_size: 64
    .language:       OpenCL C
    .language_version:
      - 2
      - 0
    .max_flat_workgroup_size: 1024
    .name:           _Z16wvSplitK_hf_big_I6__halfLi64ELi1ELi16ELi8ELi4ELi2EEviiiiiiPKT_S3_S3_PS1_ii
    .private_segment_fixed_size: 0
    .sgpr_count:     39
    .sgpr_spill_count: 0
    .symbol:         _Z16wvSplitK_hf_big_I6__halfLi64ELi1ELi16ELi8ELi4ELi2EEviiiiiiPKT_S3_S3_PS1_ii.kd
    .uniform_work_group_size: 1
    .uses_dynamic_stack: false
    .vgpr_count:     66
    .vgpr_spill_count: 0
    .wavefront_size: 32
    .workgroup_processor_mode: 1
  - .args:
      - .offset:         0
        .size:           4
        .value_kind:     by_value
      - .offset:         4
        .size:           4
        .value_kind:     by_value
      - .offset:         8
        .size:           4
        .value_kind:     by_value
      - .offset:         12
        .size:           4
        .value_kind:     by_value
      - .offset:         16
        .size:           4
        .value_kind:     by_value
      - .offset:         20
        .size:           4
        .value_kind:     by_value
      - .address_space:  global
        .offset:         24
        .size:           8
        .value_kind:     global_buffer
      - .actual_access:  read_only
        .address_space:  global
        .offset:         32
        .size:           8
        .value_kind:     global_buffer
      - .actual_access:  read_only
        .address_space:  global
        .offset:         40
        .size:           8
        .value_kind:     global_buffer
      - .address_space:  global
        .offset:         48
        .size:           8
        .value_kind:     global_buffer
      - .offset:         56
        .size:           4
        .value_kind:     by_value
      - .offset:         60
        .size:           4
        .value_kind:     by_value
    .group_segment_fixed_size: 65536
    .kernarg_segment_align: 8
    .kernarg_segment_size: 64
    .language:       OpenCL C
    .language_version:
      - 2
      - 0
    .max_flat_workgroup_size: 1024
    .name:           _Z16wvSplitK_hf_sml_I6__halfLi64ELi2ELi16ELi8ELi2ELi2EEviiiiiiPKT_S3_S3_PS1_ii
    .private_segment_fixed_size: 0
    .sgpr_count:     24
    .sgpr_spill_count: 0
    .symbol:         _Z16wvSplitK_hf_sml_I6__halfLi64ELi2ELi16ELi8ELi2ELi2EEviiiiiiPKT_S3_S3_PS1_ii.kd
    .uniform_work_group_size: 1
    .uses_dynamic_stack: false
    .vgpr_count:     49
    .vgpr_spill_count: 0
    .wavefront_size: 32
    .workgroup_processor_mode: 1
  - .args:
      - .offset:         0
        .size:           4
        .value_kind:     by_value
      - .offset:         4
        .size:           4
        .value_kind:     by_value
      - .offset:         8
        .size:           4
        .value_kind:     by_value
      - .offset:         12
        .size:           4
        .value_kind:     by_value
      - .offset:         16
        .size:           4
        .value_kind:     by_value
      - .offset:         20
        .size:           4
        .value_kind:     by_value
      - .address_space:  global
        .offset:         24
        .size:           8
        .value_kind:     global_buffer
      - .actual_access:  read_only
        .address_space:  global
        .offset:         32
        .size:           8
        .value_kind:     global_buffer
      - .actual_access:  read_only
        .address_space:  global
        .offset:         40
        .size:           8
        .value_kind:     global_buffer
      - .address_space:  global
        .offset:         48
        .size:           8
        .value_kind:     global_buffer
      - .offset:         56
        .size:           4
        .value_kind:     by_value
      - .offset:         60
        .size:           4
        .value_kind:     by_value
    .group_segment_fixed_size: 65536
    .kernarg_segment_align: 8
    .kernarg_segment_size: 64
    .language:       OpenCL C
    .language_version:
      - 2
      - 0
    .max_flat_workgroup_size: 1024
    .name:           _Z12wvSplitK_hf_I6__halfLi64ELi2ELi16ELi8ELi2ELi2EEviiiiiiPKT_S3_S3_PS1_ii
    .private_segment_fixed_size: 0
    .sgpr_count:     31
    .sgpr_spill_count: 0
    .symbol:         _Z12wvSplitK_hf_I6__halfLi64ELi2ELi16ELi8ELi2ELi2EEviiiiiiPKT_S3_S3_PS1_ii.kd
    .uniform_work_group_size: 1
    .uses_dynamic_stack: false
    .vgpr_count:     52
    .vgpr_spill_count: 0
    .wavefront_size: 32
    .workgroup_processor_mode: 1
  - .args:
      - .offset:         0
        .size:           4
        .value_kind:     by_value
      - .offset:         4
        .size:           4
        .value_kind:     by_value
      - .offset:         8
        .size:           4
        .value_kind:     by_value
      - .offset:         12
        .size:           4
        .value_kind:     by_value
      - .offset:         16
        .size:           4
        .value_kind:     by_value
      - .offset:         20
        .size:           4
        .value_kind:     by_value
      - .address_space:  global
        .offset:         24
        .size:           8
        .value_kind:     global_buffer
      - .actual_access:  read_only
        .address_space:  global
        .offset:         32
        .size:           8
        .value_kind:     global_buffer
      - .actual_access:  read_only
        .address_space:  global
        .offset:         40
        .size:           8
        .value_kind:     global_buffer
      - .address_space:  global
        .offset:         48
        .size:           8
        .value_kind:     global_buffer
      - .offset:         56
        .size:           4
        .value_kind:     by_value
      - .offset:         60
        .size:           4
        .value_kind:     by_value
    .group_segment_fixed_size: 65536
    .kernarg_segment_align: 8
    .kernarg_segment_size: 64
    .language:       OpenCL C
    .language_version:
      - 2
      - 0
    .max_flat_workgroup_size: 1024
    .name:           _Z16wvSplitK_hf_big_I6__halfLi64ELi2ELi16ELi8ELi2ELi2EEviiiiiiPKT_S3_S3_PS1_ii
    .private_segment_fixed_size: 0
    .sgpr_count:     41
    .sgpr_spill_count: 0
    .symbol:         _Z16wvSplitK_hf_big_I6__halfLi64ELi2ELi16ELi8ELi2ELi2EEviiiiiiPKT_S3_S3_PS1_ii.kd
    .uniform_work_group_size: 1
    .uses_dynamic_stack: false
    .vgpr_count:     53
    .vgpr_spill_count: 0
    .wavefront_size: 32
    .workgroup_processor_mode: 1
  - .args:
      - .offset:         0
        .size:           4
        .value_kind:     by_value
      - .offset:         4
        .size:           4
        .value_kind:     by_value
      - .offset:         8
        .size:           4
        .value_kind:     by_value
      - .offset:         12
        .size:           4
        .value_kind:     by_value
      - .offset:         16
        .size:           4
        .value_kind:     by_value
      - .offset:         20
        .size:           4
        .value_kind:     by_value
      - .address_space:  global
        .offset:         24
        .size:           8
        .value_kind:     global_buffer
      - .actual_access:  read_only
        .address_space:  global
        .offset:         32
        .size:           8
        .value_kind:     global_buffer
      - .actual_access:  read_only
        .address_space:  global
        .offset:         40
        .size:           8
        .value_kind:     global_buffer
      - .address_space:  global
        .offset:         48
        .size:           8
        .value_kind:     global_buffer
      - .offset:         56
        .size:           4
        .value_kind:     by_value
      - .offset:         60
        .size:           4
        .value_kind:     by_value
    .group_segment_fixed_size: 65536
    .kernarg_segment_align: 8
    .kernarg_segment_size: 64
    .language:       OpenCL C
    .language_version:
      - 2
      - 0
    .max_flat_workgroup_size: 1024
    .name:           _Z16wvSplitK_hf_sml_I6__halfLi64ELi3ELi16ELi8ELi2ELi2EEviiiiiiPKT_S3_S3_PS1_ii
    .private_segment_fixed_size: 0
    .sgpr_count:     24
    .sgpr_spill_count: 0
    .symbol:         _Z16wvSplitK_hf_sml_I6__halfLi64ELi3ELi16ELi8ELi2ELi2EEviiiiiiPKT_S3_S3_PS1_ii.kd
    .uniform_work_group_size: 1
    .uses_dynamic_stack: false
    .vgpr_count:     63
    .vgpr_spill_count: 0
    .wavefront_size: 32
    .workgroup_processor_mode: 1
  - .args:
      - .offset:         0
        .size:           4
        .value_kind:     by_value
      - .offset:         4
        .size:           4
        .value_kind:     by_value
      - .offset:         8
        .size:           4
        .value_kind:     by_value
      - .offset:         12
        .size:           4
        .value_kind:     by_value
      - .offset:         16
        .size:           4
        .value_kind:     by_value
      - .offset:         20
        .size:           4
        .value_kind:     by_value
      - .address_space:  global
        .offset:         24
        .size:           8
        .value_kind:     global_buffer
      - .actual_access:  read_only
        .address_space:  global
        .offset:         32
        .size:           8
        .value_kind:     global_buffer
      - .actual_access:  read_only
        .address_space:  global
        .offset:         40
        .size:           8
        .value_kind:     global_buffer
      - .address_space:  global
        .offset:         48
        .size:           8
        .value_kind:     global_buffer
      - .offset:         56
        .size:           4
        .value_kind:     by_value
      - .offset:         60
        .size:           4
        .value_kind:     by_value
    .group_segment_fixed_size: 65536
    .kernarg_segment_align: 8
    .kernarg_segment_size: 64
    .language:       OpenCL C
    .language_version:
      - 2
      - 0
    .max_flat_workgroup_size: 1024
    .name:           _Z12wvSplitK_hf_I6__halfLi64ELi3ELi16ELi8ELi2ELi2EEviiiiiiPKT_S3_S3_PS1_ii
    .private_segment_fixed_size: 0
    .sgpr_count:     32
    .sgpr_spill_count: 0
    .symbol:         _Z12wvSplitK_hf_I6__halfLi64ELi3ELi16ELi8ELi2ELi2EEviiiiiiPKT_S3_S3_PS1_ii.kd
    .uniform_work_group_size: 1
    .uses_dynamic_stack: false
    .vgpr_count:     66
    .vgpr_spill_count: 0
    .wavefront_size: 32
    .workgroup_processor_mode: 1
  - .args:
      - .offset:         0
        .size:           4
        .value_kind:     by_value
      - .offset:         4
        .size:           4
        .value_kind:     by_value
      - .offset:         8
        .size:           4
        .value_kind:     by_value
      - .offset:         12
        .size:           4
        .value_kind:     by_value
      - .offset:         16
        .size:           4
        .value_kind:     by_value
      - .offset:         20
        .size:           4
        .value_kind:     by_value
      - .address_space:  global
        .offset:         24
        .size:           8
        .value_kind:     global_buffer
      - .actual_access:  read_only
        .address_space:  global
        .offset:         32
        .size:           8
        .value_kind:     global_buffer
      - .actual_access:  read_only
        .address_space:  global
        .offset:         40
        .size:           8
        .value_kind:     global_buffer
      - .address_space:  global
        .offset:         48
        .size:           8
        .value_kind:     global_buffer
      - .offset:         56
        .size:           4
        .value_kind:     by_value
      - .offset:         60
        .size:           4
        .value_kind:     by_value
    .group_segment_fixed_size: 65536
    .kernarg_segment_align: 8
    .kernarg_segment_size: 64
    .language:       OpenCL C
    .language_version:
      - 2
      - 0
    .max_flat_workgroup_size: 1024
    .name:           _Z16wvSplitK_hf_big_I6__halfLi64ELi3ELi16ELi8ELi2ELi2EEviiiiiiPKT_S3_S3_PS1_ii
    .private_segment_fixed_size: 0
    .sgpr_count:     42
    .sgpr_spill_count: 0
    .symbol:         _Z16wvSplitK_hf_big_I6__halfLi64ELi3ELi16ELi8ELi2ELi2EEviiiiiiPKT_S3_S3_PS1_ii.kd
    .uniform_work_group_size: 1
    .uses_dynamic_stack: false
    .vgpr_count:     66
    .vgpr_spill_count: 0
    .wavefront_size: 32
    .workgroup_processor_mode: 1
  - .args:
      - .offset:         0
        .size:           4
        .value_kind:     by_value
      - .offset:         4
        .size:           4
        .value_kind:     by_value
      - .offset:         8
        .size:           4
        .value_kind:     by_value
      - .offset:         12
        .size:           4
        .value_kind:     by_value
      - .offset:         16
        .size:           4
        .value_kind:     by_value
      - .offset:         20
        .size:           4
        .value_kind:     by_value
      - .address_space:  global
        .offset:         24
        .size:           8
        .value_kind:     global_buffer
      - .actual_access:  read_only
        .address_space:  global
        .offset:         32
        .size:           8
        .value_kind:     global_buffer
      - .actual_access:  read_only
        .address_space:  global
        .offset:         40
        .size:           8
        .value_kind:     global_buffer
      - .address_space:  global
        .offset:         48
        .size:           8
        .value_kind:     global_buffer
      - .offset:         56
        .size:           4
        .value_kind:     by_value
      - .offset:         60
        .size:           4
        .value_kind:     by_value
    .group_segment_fixed_size: 65536
    .kernarg_segment_align: 8
    .kernarg_segment_size: 64
    .language:       OpenCL C
    .language_version:
      - 2
      - 0
    .max_flat_workgroup_size: 1024
    .name:           _Z16wvSplitK_hf_sml_I6__halfLi64ELi4ELi16ELi8ELi1ELi2EEviiiiiiPKT_S3_S3_PS1_ii
    .private_segment_fixed_size: 0
    .sgpr_count:     23
    .sgpr_spill_count: 0
    .symbol:         _Z16wvSplitK_hf_sml_I6__halfLi64ELi4ELi16ELi8ELi1ELi2EEviiiiiiPKT_S3_S3_PS1_ii.kd
    .uniform_work_group_size: 1
    .uses_dynamic_stack: false
    .vgpr_count:     48
    .vgpr_spill_count: 0
    .wavefront_size: 32
    .workgroup_processor_mode: 1
  - .args:
      - .offset:         0
        .size:           4
        .value_kind:     by_value
      - .offset:         4
        .size:           4
        .value_kind:     by_value
      - .offset:         8
        .size:           4
        .value_kind:     by_value
      - .offset:         12
        .size:           4
        .value_kind:     by_value
      - .offset:         16
        .size:           4
        .value_kind:     by_value
      - .offset:         20
        .size:           4
        .value_kind:     by_value
      - .address_space:  global
        .offset:         24
        .size:           8
        .value_kind:     global_buffer
      - .actual_access:  read_only
        .address_space:  global
        .offset:         32
        .size:           8
        .value_kind:     global_buffer
      - .actual_access:  read_only
        .address_space:  global
        .offset:         40
        .size:           8
        .value_kind:     global_buffer
      - .address_space:  global
        .offset:         48
        .size:           8
        .value_kind:     global_buffer
      - .offset:         56
        .size:           4
        .value_kind:     by_value
      - .offset:         60
        .size:           4
        .value_kind:     by_value
    .group_segment_fixed_size: 65536
    .kernarg_segment_align: 8
    .kernarg_segment_size: 64
    .language:       OpenCL C
    .language_version:
      - 2
      - 0
    .max_flat_workgroup_size: 1024
    .name:           _Z12wvSplitK_hf_I6__halfLi64ELi4ELi16ELi8ELi1ELi2EEviiiiiiPKT_S3_S3_PS1_ii
    .private_segment_fixed_size: 0
    .sgpr_count:     32
    .sgpr_spill_count: 0
    .symbol:         _Z12wvSplitK_hf_I6__halfLi64ELi4ELi16ELi8ELi1ELi2EEviiiiiiPKT_S3_S3_PS1_ii.kd
    .uniform_work_group_size: 1
    .uses_dynamic_stack: false
    .vgpr_count:     58
    .vgpr_spill_count: 0
    .wavefront_size: 32
    .workgroup_processor_mode: 1
  - .args:
      - .offset:         0
        .size:           4
        .value_kind:     by_value
      - .offset:         4
        .size:           4
        .value_kind:     by_value
      - .offset:         8
        .size:           4
        .value_kind:     by_value
      - .offset:         12
        .size:           4
        .value_kind:     by_value
      - .offset:         16
        .size:           4
        .value_kind:     by_value
      - .offset:         20
        .size:           4
        .value_kind:     by_value
      - .address_space:  global
        .offset:         24
        .size:           8
        .value_kind:     global_buffer
      - .actual_access:  read_only
        .address_space:  global
        .offset:         32
        .size:           8
        .value_kind:     global_buffer
      - .actual_access:  read_only
        .address_space:  global
        .offset:         40
        .size:           8
        .value_kind:     global_buffer
      - .address_space:  global
        .offset:         48
        .size:           8
        .value_kind:     global_buffer
      - .offset:         56
        .size:           4
        .value_kind:     by_value
      - .offset:         60
        .size:           4
        .value_kind:     by_value
    .group_segment_fixed_size: 65536
    .kernarg_segment_align: 8
    .kernarg_segment_size: 64
    .language:       OpenCL C
    .language_version:
      - 2
      - 0
    .max_flat_workgroup_size: 1024
    .name:           _Z16wvSplitK_hf_big_I6__halfLi64ELi4ELi16ELi8ELi1ELi2EEviiiiiiPKT_S3_S3_PS1_ii
    .private_segment_fixed_size: 0
    .sgpr_count:     42
    .sgpr_spill_count: 0
    .symbol:         _Z16wvSplitK_hf_big_I6__halfLi64ELi4ELi16ELi8ELi1ELi2EEviiiiiiPKT_S3_S3_PS1_ii.kd
    .uniform_work_group_size: 1
    .uses_dynamic_stack: false
    .vgpr_count:     54
    .vgpr_spill_count: 0
    .wavefront_size: 32
    .workgroup_processor_mode: 1
  - .args:
      - .offset:         0
        .size:           4
        .value_kind:     by_value
      - .offset:         4
        .size:           4
        .value_kind:     by_value
      - .offset:         8
        .size:           4
        .value_kind:     by_value
      - .offset:         12
        .size:           4
        .value_kind:     by_value
      - .offset:         16
        .size:           4
        .value_kind:     by_value
      - .offset:         20
        .size:           4
        .value_kind:     by_value
      - .address_space:  global
        .offset:         24
        .size:           8
        .value_kind:     global_buffer
      - .actual_access:  read_only
        .address_space:  global
        .offset:         32
        .size:           8
        .value_kind:     global_buffer
      - .actual_access:  read_only
        .address_space:  global
        .offset:         40
        .size:           8
        .value_kind:     global_buffer
      - .address_space:  global
        .offset:         48
        .size:           8
        .value_kind:     global_buffer
      - .offset:         56
        .size:           4
        .value_kind:     by_value
      - .offset:         60
        .size:           4
        .value_kind:     by_value
    .group_segment_fixed_size: 65536
    .kernarg_segment_align: 8
    .kernarg_segment_size: 64
    .language:       OpenCL C
    .language_version:
      - 2
      - 0
    .max_flat_workgroup_size: 1024
    .name:           _Z16wvSplitK_hf_sml_I6__halfLi64ELi4ELi16ELi8ELi2ELi2EEviiiiiiPKT_S3_S3_PS1_ii
    .private_segment_fixed_size: 0
    .sgpr_count:     24
    .sgpr_spill_count: 0
    .symbol:         _Z16wvSplitK_hf_sml_I6__halfLi64ELi4ELi16ELi8ELi2ELi2EEviiiiiiPKT_S3_S3_PS1_ii.kd
    .uniform_work_group_size: 1
    .uses_dynamic_stack: false
    .vgpr_count:     73
    .vgpr_spill_count: 0
    .wavefront_size: 32
    .workgroup_processor_mode: 1
  - .args:
      - .offset:         0
        .size:           4
        .value_kind:     by_value
      - .offset:         4
        .size:           4
        .value_kind:     by_value
      - .offset:         8
        .size:           4
        .value_kind:     by_value
      - .offset:         12
        .size:           4
        .value_kind:     by_value
      - .offset:         16
        .size:           4
        .value_kind:     by_value
      - .offset:         20
        .size:           4
        .value_kind:     by_value
      - .address_space:  global
        .offset:         24
        .size:           8
        .value_kind:     global_buffer
      - .actual_access:  read_only
        .address_space:  global
        .offset:         32
        .size:           8
        .value_kind:     global_buffer
      - .actual_access:  read_only
        .address_space:  global
        .offset:         40
        .size:           8
        .value_kind:     global_buffer
      - .address_space:  global
        .offset:         48
        .size:           8
        .value_kind:     global_buffer
      - .offset:         56
        .size:           4
        .value_kind:     by_value
      - .offset:         60
        .size:           4
        .value_kind:     by_value
    .group_segment_fixed_size: 65536
    .kernarg_segment_align: 8
    .kernarg_segment_size: 64
    .language:       OpenCL C
    .language_version:
      - 2
      - 0
    .max_flat_workgroup_size: 1024
    .name:           _Z12wvSplitK_hf_I6__halfLi64ELi4ELi16ELi8ELi2ELi2EEviiiiiiPKT_S3_S3_PS1_ii
    .private_segment_fixed_size: 0
    .sgpr_count:     32
    .sgpr_spill_count: 0
    .symbol:         _Z12wvSplitK_hf_I6__halfLi64ELi4ELi16ELi8ELi2ELi2EEviiiiiiPKT_S3_S3_PS1_ii.kd
    .uniform_work_group_size: 1
    .uses_dynamic_stack: false
    .vgpr_count:     80
    .vgpr_spill_count: 0
    .wavefront_size: 32
    .workgroup_processor_mode: 1
  - .args:
      - .offset:         0
        .size:           4
        .value_kind:     by_value
      - .offset:         4
        .size:           4
        .value_kind:     by_value
      - .offset:         8
        .size:           4
        .value_kind:     by_value
      - .offset:         12
        .size:           4
        .value_kind:     by_value
      - .offset:         16
        .size:           4
        .value_kind:     by_value
      - .offset:         20
        .size:           4
        .value_kind:     by_value
      - .address_space:  global
        .offset:         24
        .size:           8
        .value_kind:     global_buffer
      - .actual_access:  read_only
        .address_space:  global
        .offset:         32
        .size:           8
        .value_kind:     global_buffer
      - .actual_access:  read_only
        .address_space:  global
        .offset:         40
        .size:           8
        .value_kind:     global_buffer
      - .address_space:  global
        .offset:         48
        .size:           8
        .value_kind:     global_buffer
      - .offset:         56
        .size:           4
        .value_kind:     by_value
      - .offset:         60
        .size:           4
        .value_kind:     by_value
    .group_segment_fixed_size: 65536
    .kernarg_segment_align: 8
    .kernarg_segment_size: 64
    .language:       OpenCL C
    .language_version:
      - 2
      - 0
    .max_flat_workgroup_size: 1024
    .name:           _Z16wvSplitK_hf_big_I6__halfLi64ELi4ELi16ELi8ELi2ELi2EEviiiiiiPKT_S3_S3_PS1_ii
    .private_segment_fixed_size: 0
    .sgpr_count:     42
    .sgpr_spill_count: 0
    .symbol:         _Z16wvSplitK_hf_big_I6__halfLi64ELi4ELi16ELi8ELi2ELi2EEviiiiiiPKT_S3_S3_PS1_ii.kd
    .uniform_work_group_size: 1
    .uses_dynamic_stack: false
    .vgpr_count:     79
    .vgpr_spill_count: 0
    .wavefront_size: 32
    .workgroup_processor_mode: 1
  - .args:
      - .offset:         0
        .size:           4
        .value_kind:     by_value
      - .offset:         4
        .size:           4
        .value_kind:     by_value
      - .offset:         8
        .size:           4
        .value_kind:     by_value
      - .offset:         12
        .size:           4
        .value_kind:     by_value
      - .offset:         16
        .size:           4
        .value_kind:     by_value
      - .offset:         20
        .size:           4
        .value_kind:     by_value
      - .address_space:  global
        .offset:         24
        .size:           8
        .value_kind:     global_buffer
      - .actual_access:  read_only
        .address_space:  global
        .offset:         32
        .size:           8
        .value_kind:     global_buffer
      - .actual_access:  read_only
        .address_space:  global
        .offset:         40
        .size:           8
        .value_kind:     global_buffer
      - .address_space:  global
        .offset:         48
        .size:           8
        .value_kind:     global_buffer
      - .offset:         56
        .size:           4
        .value_kind:     by_value
      - .offset:         60
        .size:           4
        .value_kind:     by_value
    .group_segment_fixed_size: 65536
    .kernarg_segment_align: 8
    .kernarg_segment_size: 64
    .language:       OpenCL C
    .language_version:
      - 2
      - 0
    .max_flat_workgroup_size: 512
    .name:           _Z16wvSplitK_hf_sml_I6__halfLi32ELi1ELi16ELi8ELi4ELi3EEviiiiiiPKT_S3_S3_PS1_ii
    .private_segment_fixed_size: 0
    .sgpr_count:     28
    .sgpr_spill_count: 0
    .symbol:         _Z16wvSplitK_hf_sml_I6__halfLi32ELi1ELi16ELi8ELi4ELi3EEviiiiiiPKT_S3_S3_PS1_ii.kd
    .uniform_work_group_size: 1
    .uses_dynamic_stack: false
    .vgpr_count:     81
    .vgpr_spill_count: 0
    .wavefront_size: 32
    .workgroup_processor_mode: 1
  - .args:
      - .offset:         0
        .size:           4
        .value_kind:     by_value
      - .offset:         4
        .size:           4
        .value_kind:     by_value
      - .offset:         8
        .size:           4
        .value_kind:     by_value
      - .offset:         12
        .size:           4
        .value_kind:     by_value
      - .offset:         16
        .size:           4
        .value_kind:     by_value
      - .offset:         20
        .size:           4
        .value_kind:     by_value
      - .address_space:  global
        .offset:         24
        .size:           8
        .value_kind:     global_buffer
      - .actual_access:  read_only
        .address_space:  global
        .offset:         32
        .size:           8
        .value_kind:     global_buffer
      - .actual_access:  read_only
        .address_space:  global
        .offset:         40
        .size:           8
        .value_kind:     global_buffer
      - .address_space:  global
        .offset:         48
        .size:           8
        .value_kind:     global_buffer
      - .offset:         56
        .size:           4
        .value_kind:     by_value
      - .offset:         60
        .size:           4
        .value_kind:     by_value
    .group_segment_fixed_size: 65536
    .kernarg_segment_align: 8
    .kernarg_segment_size: 64
    .language:       OpenCL C
    .language_version:
      - 2
      - 0
    .max_flat_workgroup_size: 512
    .name:           _Z12wvSplitK_hf_I6__halfLi32ELi1ELi16ELi8ELi4ELi3EEviiiiiiPKT_S3_S3_PS1_ii
    .private_segment_fixed_size: 0
    .sgpr_count:     32
    .sgpr_spill_count: 0
    .symbol:         _Z12wvSplitK_hf_I6__halfLi32ELi1ELi16ELi8ELi4ELi3EEviiiiiiPKT_S3_S3_PS1_ii.kd
    .uniform_work_group_size: 1
    .uses_dynamic_stack: false
    .vgpr_count:     88
    .vgpr_spill_count: 0
    .wavefront_size: 32
    .workgroup_processor_mode: 1
  - .args:
      - .offset:         0
        .size:           4
        .value_kind:     by_value
      - .offset:         4
        .size:           4
        .value_kind:     by_value
      - .offset:         8
        .size:           4
        .value_kind:     by_value
      - .offset:         12
        .size:           4
        .value_kind:     by_value
      - .offset:         16
        .size:           4
        .value_kind:     by_value
      - .offset:         20
        .size:           4
        .value_kind:     by_value
      - .address_space:  global
        .offset:         24
        .size:           8
        .value_kind:     global_buffer
      - .actual_access:  read_only
        .address_space:  global
        .offset:         32
        .size:           8
        .value_kind:     global_buffer
      - .actual_access:  read_only
        .address_space:  global
        .offset:         40
        .size:           8
        .value_kind:     global_buffer
      - .address_space:  global
        .offset:         48
        .size:           8
        .value_kind:     global_buffer
      - .offset:         56
        .size:           4
        .value_kind:     by_value
      - .offset:         60
        .size:           4
        .value_kind:     by_value
    .group_segment_fixed_size: 65536
    .kernarg_segment_align: 8
    .kernarg_segment_size: 64
    .language:       OpenCL C
    .language_version:
      - 2
      - 0
    .max_flat_workgroup_size: 512
    .name:           _Z16wvSplitK_hf_big_I6__halfLi32ELi1ELi16ELi8ELi4ELi3EEviiiiiiPKT_S3_S3_PS1_ii
    .private_segment_fixed_size: 0
    .sgpr_count:     41
    .sgpr_spill_count: 0
    .symbol:         _Z16wvSplitK_hf_big_I6__halfLi32ELi1ELi16ELi8ELi4ELi3EEviiiiiiPKT_S3_S3_PS1_ii.kd
    .uniform_work_group_size: 1
    .uses_dynamic_stack: false
    .vgpr_count:     84
    .vgpr_spill_count: 0
    .wavefront_size: 32
    .workgroup_processor_mode: 1
  - .args:
      - .offset:         0
        .size:           4
        .value_kind:     by_value
      - .offset:         4
        .size:           4
        .value_kind:     by_value
      - .offset:         8
        .size:           4
        .value_kind:     by_value
      - .offset:         12
        .size:           4
        .value_kind:     by_value
      - .offset:         16
        .size:           4
        .value_kind:     by_value
      - .offset:         20
        .size:           4
        .value_kind:     by_value
      - .address_space:  global
        .offset:         24
        .size:           8
        .value_kind:     global_buffer
      - .actual_access:  read_only
        .address_space:  global
        .offset:         32
        .size:           8
        .value_kind:     global_buffer
      - .actual_access:  read_only
        .address_space:  global
        .offset:         40
        .size:           8
        .value_kind:     global_buffer
      - .address_space:  global
        .offset:         48
        .size:           8
        .value_kind:     global_buffer
      - .offset:         56
        .size:           4
        .value_kind:     by_value
      - .offset:         60
        .size:           4
        .value_kind:     by_value
    .group_segment_fixed_size: 65536
    .kernarg_segment_align: 8
    .kernarg_segment_size: 64
    .language:       OpenCL C
    .language_version:
      - 2
      - 0
    .max_flat_workgroup_size: 512
    .name:           _Z16wvSplitK_hf_sml_I6__halfLi32ELi2ELi16ELi8ELi2ELi3EEviiiiiiPKT_S3_S3_PS1_ii
    .private_segment_fixed_size: 0
    .sgpr_count:     26
    .sgpr_spill_count: 0
    .symbol:         _Z16wvSplitK_hf_sml_I6__halfLi32ELi2ELi16ELi8ELi2ELi3EEviiiiiiPKT_S3_S3_PS1_ii.kd
    .uniform_work_group_size: 1
    .uses_dynamic_stack: false
    .vgpr_count:     61
    .vgpr_spill_count: 0
    .wavefront_size: 32
    .workgroup_processor_mode: 1
  - .args:
      - .offset:         0
        .size:           4
        .value_kind:     by_value
      - .offset:         4
        .size:           4
        .value_kind:     by_value
      - .offset:         8
        .size:           4
        .value_kind:     by_value
      - .offset:         12
        .size:           4
        .value_kind:     by_value
      - .offset:         16
        .size:           4
        .value_kind:     by_value
      - .offset:         20
        .size:           4
        .value_kind:     by_value
      - .address_space:  global
        .offset:         24
        .size:           8
        .value_kind:     global_buffer
      - .actual_access:  read_only
        .address_space:  global
        .offset:         32
        .size:           8
        .value_kind:     global_buffer
      - .actual_access:  read_only
        .address_space:  global
        .offset:         40
        .size:           8
        .value_kind:     global_buffer
      - .address_space:  global
        .offset:         48
        .size:           8
        .value_kind:     global_buffer
      - .offset:         56
        .size:           4
        .value_kind:     by_value
      - .offset:         60
        .size:           4
        .value_kind:     by_value
    .group_segment_fixed_size: 65536
    .kernarg_segment_align: 8
    .kernarg_segment_size: 64
    .language:       OpenCL C
    .language_version:
      - 2
      - 0
    .max_flat_workgroup_size: 512
    .name:           _Z12wvSplitK_hf_I6__halfLi32ELi2ELi16ELi8ELi2ELi3EEviiiiiiPKT_S3_S3_PS1_ii
    .private_segment_fixed_size: 0
    .sgpr_count:     33
    .sgpr_spill_count: 0
    .symbol:         _Z12wvSplitK_hf_I6__halfLi32ELi2ELi16ELi8ELi2ELi3EEviiiiiiPKT_S3_S3_PS1_ii.kd
    .uniform_work_group_size: 1
    .uses_dynamic_stack: false
    .vgpr_count:     67
    .vgpr_spill_count: 0
    .wavefront_size: 32
    .workgroup_processor_mode: 1
  - .args:
      - .offset:         0
        .size:           4
        .value_kind:     by_value
      - .offset:         4
        .size:           4
        .value_kind:     by_value
      - .offset:         8
        .size:           4
        .value_kind:     by_value
      - .offset:         12
        .size:           4
        .value_kind:     by_value
      - .offset:         16
        .size:           4
        .value_kind:     by_value
      - .offset:         20
        .size:           4
        .value_kind:     by_value
      - .address_space:  global
        .offset:         24
        .size:           8
        .value_kind:     global_buffer
      - .actual_access:  read_only
        .address_space:  global
        .offset:         32
        .size:           8
        .value_kind:     global_buffer
      - .actual_access:  read_only
        .address_space:  global
        .offset:         40
        .size:           8
        .value_kind:     global_buffer
      - .address_space:  global
        .offset:         48
        .size:           8
        .value_kind:     global_buffer
      - .offset:         56
        .size:           4
        .value_kind:     by_value
      - .offset:         60
        .size:           4
        .value_kind:     by_value
    .group_segment_fixed_size: 65536
    .kernarg_segment_align: 8
    .kernarg_segment_size: 64
    .language:       OpenCL C
    .language_version:
      - 2
      - 0
    .max_flat_workgroup_size: 512
    .name:           _Z16wvSplitK_hf_big_I6__halfLi32ELi2ELi16ELi8ELi2ELi3EEviiiiiiPKT_S3_S3_PS1_ii
    .private_segment_fixed_size: 0
    .sgpr_count:     43
    .sgpr_spill_count: 0
    .symbol:         _Z16wvSplitK_hf_big_I6__halfLi32ELi2ELi16ELi8ELi2ELi3EEviiiiiiPKT_S3_S3_PS1_ii.kd
    .uniform_work_group_size: 1
    .uses_dynamic_stack: false
    .vgpr_count:     65
    .vgpr_spill_count: 0
    .wavefront_size: 32
    .workgroup_processor_mode: 1
  - .args:
      - .offset:         0
        .size:           4
        .value_kind:     by_value
      - .offset:         4
        .size:           4
        .value_kind:     by_value
      - .offset:         8
        .size:           4
        .value_kind:     by_value
      - .offset:         12
        .size:           4
        .value_kind:     by_value
      - .offset:         16
        .size:           4
        .value_kind:     by_value
      - .offset:         20
        .size:           4
        .value_kind:     by_value
      - .address_space:  global
        .offset:         24
        .size:           8
        .value_kind:     global_buffer
      - .actual_access:  read_only
        .address_space:  global
        .offset:         32
        .size:           8
        .value_kind:     global_buffer
      - .actual_access:  read_only
        .address_space:  global
        .offset:         40
        .size:           8
        .value_kind:     global_buffer
      - .address_space:  global
        .offset:         48
        .size:           8
        .value_kind:     global_buffer
      - .offset:         56
        .size:           4
        .value_kind:     by_value
      - .offset:         60
        .size:           4
        .value_kind:     by_value
    .group_segment_fixed_size: 65536
    .kernarg_segment_align: 8
    .kernarg_segment_size: 64
    .language:       OpenCL C
    .language_version:
      - 2
      - 0
    .max_flat_workgroup_size: 512
    .name:           _Z16wvSplitK_hf_sml_I6__halfLi32ELi3ELi16ELi8ELi2ELi3EEviiiiiiPKT_S3_S3_PS1_ii
    .private_segment_fixed_size: 0
    .sgpr_count:     26
    .sgpr_spill_count: 0
    .symbol:         _Z16wvSplitK_hf_sml_I6__halfLi32ELi3ELi16ELi8ELi2ELi3EEviiiiiiPKT_S3_S3_PS1_ii.kd
    .uniform_work_group_size: 1
    .uses_dynamic_stack: false
    .vgpr_count:     75
    .vgpr_spill_count: 0
    .wavefront_size: 32
    .workgroup_processor_mode: 1
  - .args:
      - .offset:         0
        .size:           4
        .value_kind:     by_value
      - .offset:         4
        .size:           4
        .value_kind:     by_value
      - .offset:         8
        .size:           4
        .value_kind:     by_value
      - .offset:         12
        .size:           4
        .value_kind:     by_value
      - .offset:         16
        .size:           4
        .value_kind:     by_value
      - .offset:         20
        .size:           4
        .value_kind:     by_value
      - .address_space:  global
        .offset:         24
        .size:           8
        .value_kind:     global_buffer
      - .actual_access:  read_only
        .address_space:  global
        .offset:         32
        .size:           8
        .value_kind:     global_buffer
      - .actual_access:  read_only
        .address_space:  global
        .offset:         40
        .size:           8
        .value_kind:     global_buffer
      - .address_space:  global
        .offset:         48
        .size:           8
        .value_kind:     global_buffer
      - .offset:         56
        .size:           4
        .value_kind:     by_value
      - .offset:         60
        .size:           4
        .value_kind:     by_value
    .group_segment_fixed_size: 65536
    .kernarg_segment_align: 8
    .kernarg_segment_size: 64
    .language:       OpenCL C
    .language_version:
      - 2
      - 0
    .max_flat_workgroup_size: 512
    .name:           _Z12wvSplitK_hf_I6__halfLi32ELi3ELi16ELi8ELi2ELi3EEviiiiiiPKT_S3_S3_PS1_ii
    .private_segment_fixed_size: 0
    .sgpr_count:     34
    .sgpr_spill_count: 0
    .symbol:         _Z12wvSplitK_hf_I6__halfLi32ELi3ELi16ELi8ELi2ELi3EEviiiiiiPKT_S3_S3_PS1_ii.kd
    .uniform_work_group_size: 1
    .uses_dynamic_stack: false
    .vgpr_count:     82
    .vgpr_spill_count: 0
    .wavefront_size: 32
    .workgroup_processor_mode: 1
  - .args:
      - .offset:         0
        .size:           4
        .value_kind:     by_value
      - .offset:         4
        .size:           4
        .value_kind:     by_value
      - .offset:         8
        .size:           4
        .value_kind:     by_value
      - .offset:         12
        .size:           4
        .value_kind:     by_value
      - .offset:         16
        .size:           4
        .value_kind:     by_value
      - .offset:         20
        .size:           4
        .value_kind:     by_value
      - .address_space:  global
        .offset:         24
        .size:           8
        .value_kind:     global_buffer
      - .actual_access:  read_only
        .address_space:  global
        .offset:         32
        .size:           8
        .value_kind:     global_buffer
      - .actual_access:  read_only
        .address_space:  global
        .offset:         40
        .size:           8
        .value_kind:     global_buffer
      - .address_space:  global
        .offset:         48
        .size:           8
        .value_kind:     global_buffer
      - .offset:         56
        .size:           4
        .value_kind:     by_value
      - .offset:         60
        .size:           4
        .value_kind:     by_value
    .group_segment_fixed_size: 65536
    .kernarg_segment_align: 8
    .kernarg_segment_size: 64
    .language:       OpenCL C
    .language_version:
      - 2
      - 0
    .max_flat_workgroup_size: 512
    .name:           _Z16wvSplitK_hf_big_I6__halfLi32ELi3ELi16ELi8ELi2ELi3EEviiiiiiPKT_S3_S3_PS1_ii
    .private_segment_fixed_size: 0
    .sgpr_count:     44
    .sgpr_spill_count: 0
    .symbol:         _Z16wvSplitK_hf_big_I6__halfLi32ELi3ELi16ELi8ELi2ELi3EEviiiiiiPKT_S3_S3_PS1_ii.kd
    .uniform_work_group_size: 1
    .uses_dynamic_stack: false
    .vgpr_count:     79
    .vgpr_spill_count: 0
    .wavefront_size: 32
    .workgroup_processor_mode: 1
  - .args:
      - .offset:         0
        .size:           4
        .value_kind:     by_value
      - .offset:         4
        .size:           4
        .value_kind:     by_value
      - .offset:         8
        .size:           4
        .value_kind:     by_value
      - .offset:         12
        .size:           4
        .value_kind:     by_value
      - .offset:         16
        .size:           4
        .value_kind:     by_value
      - .offset:         20
        .size:           4
        .value_kind:     by_value
      - .address_space:  global
        .offset:         24
        .size:           8
        .value_kind:     global_buffer
      - .actual_access:  read_only
        .address_space:  global
        .offset:         32
        .size:           8
        .value_kind:     global_buffer
      - .actual_access:  read_only
        .address_space:  global
        .offset:         40
        .size:           8
        .value_kind:     global_buffer
      - .address_space:  global
        .offset:         48
        .size:           8
        .value_kind:     global_buffer
      - .offset:         56
        .size:           4
        .value_kind:     by_value
      - .offset:         60
        .size:           4
        .value_kind:     by_value
    .group_segment_fixed_size: 65536
    .kernarg_segment_align: 8
    .kernarg_segment_size: 64
    .language:       OpenCL C
    .language_version:
      - 2
      - 0
    .max_flat_workgroup_size: 512
    .name:           _Z16wvSplitK_hf_sml_I6__halfLi32ELi4ELi16ELi8ELi1ELi3EEviiiiiiPKT_S3_S3_PS1_ii
    .private_segment_fixed_size: 0
    .sgpr_count:     25
    .sgpr_spill_count: 0
    .symbol:         _Z16wvSplitK_hf_sml_I6__halfLi32ELi4ELi16ELi8ELi1ELi3EEviiiiiiPKT_S3_S3_PS1_ii.kd
    .uniform_work_group_size: 1
    .uses_dynamic_stack: false
    .vgpr_count:     60
    .vgpr_spill_count: 0
    .wavefront_size: 32
    .workgroup_processor_mode: 1
  - .args:
      - .offset:         0
        .size:           4
        .value_kind:     by_value
      - .offset:         4
        .size:           4
        .value_kind:     by_value
      - .offset:         8
        .size:           4
        .value_kind:     by_value
      - .offset:         12
        .size:           4
        .value_kind:     by_value
      - .offset:         16
        .size:           4
        .value_kind:     by_value
      - .offset:         20
        .size:           4
        .value_kind:     by_value
      - .address_space:  global
        .offset:         24
        .size:           8
        .value_kind:     global_buffer
      - .actual_access:  read_only
        .address_space:  global
        .offset:         32
        .size:           8
        .value_kind:     global_buffer
      - .actual_access:  read_only
        .address_space:  global
        .offset:         40
        .size:           8
        .value_kind:     global_buffer
      - .address_space:  global
        .offset:         48
        .size:           8
        .value_kind:     global_buffer
      - .offset:         56
        .size:           4
        .value_kind:     by_value
      - .offset:         60
        .size:           4
        .value_kind:     by_value
    .group_segment_fixed_size: 65536
    .kernarg_segment_align: 8
    .kernarg_segment_size: 64
    .language:       OpenCL C
    .language_version:
      - 2
      - 0
    .max_flat_workgroup_size: 512
    .name:           _Z12wvSplitK_hf_I6__halfLi32ELi4ELi16ELi8ELi1ELi3EEviiiiiiPKT_S3_S3_PS1_ii
    .private_segment_fixed_size: 0
    .sgpr_count:     34
    .sgpr_spill_count: 0
    .symbol:         _Z12wvSplitK_hf_I6__halfLi32ELi4ELi16ELi8ELi1ELi3EEviiiiiiPKT_S3_S3_PS1_ii.kd
    .uniform_work_group_size: 1
    .uses_dynamic_stack: false
    .vgpr_count:     67
    .vgpr_spill_count: 0
    .wavefront_size: 32
    .workgroup_processor_mode: 1
  - .args:
      - .offset:         0
        .size:           4
        .value_kind:     by_value
      - .offset:         4
        .size:           4
        .value_kind:     by_value
      - .offset:         8
        .size:           4
        .value_kind:     by_value
      - .offset:         12
        .size:           4
        .value_kind:     by_value
      - .offset:         16
        .size:           4
        .value_kind:     by_value
      - .offset:         20
        .size:           4
        .value_kind:     by_value
      - .address_space:  global
        .offset:         24
        .size:           8
        .value_kind:     global_buffer
      - .actual_access:  read_only
        .address_space:  global
        .offset:         32
        .size:           8
        .value_kind:     global_buffer
      - .actual_access:  read_only
        .address_space:  global
        .offset:         40
        .size:           8
        .value_kind:     global_buffer
      - .address_space:  global
        .offset:         48
        .size:           8
        .value_kind:     global_buffer
      - .offset:         56
        .size:           4
        .value_kind:     by_value
      - .offset:         60
        .size:           4
        .value_kind:     by_value
    .group_segment_fixed_size: 65536
    .kernarg_segment_align: 8
    .kernarg_segment_size: 64
    .language:       OpenCL C
    .language_version:
      - 2
      - 0
    .max_flat_workgroup_size: 512
    .name:           _Z16wvSplitK_hf_big_I6__halfLi32ELi4ELi16ELi8ELi1ELi3EEviiiiiiPKT_S3_S3_PS1_ii
    .private_segment_fixed_size: 0
    .sgpr_count:     44
    .sgpr_spill_count: 0
    .symbol:         _Z16wvSplitK_hf_big_I6__halfLi32ELi4ELi16ELi8ELi1ELi3EEviiiiiiPKT_S3_S3_PS1_ii.kd
    .uniform_work_group_size: 1
    .uses_dynamic_stack: false
    .vgpr_count:     68
    .vgpr_spill_count: 0
    .wavefront_size: 32
    .workgroup_processor_mode: 1
  - .args:
      - .offset:         0
        .size:           4
        .value_kind:     by_value
      - .offset:         4
        .size:           4
        .value_kind:     by_value
      - .offset:         8
        .size:           4
        .value_kind:     by_value
      - .offset:         12
        .size:           4
        .value_kind:     by_value
      - .offset:         16
        .size:           4
        .value_kind:     by_value
      - .offset:         20
        .size:           4
        .value_kind:     by_value
      - .address_space:  global
        .offset:         24
        .size:           8
        .value_kind:     global_buffer
      - .actual_access:  read_only
        .address_space:  global
        .offset:         32
        .size:           8
        .value_kind:     global_buffer
      - .actual_access:  read_only
        .address_space:  global
        .offset:         40
        .size:           8
        .value_kind:     global_buffer
      - .address_space:  global
        .offset:         48
        .size:           8
        .value_kind:     global_buffer
      - .offset:         56
        .size:           4
        .value_kind:     by_value
      - .offset:         60
        .size:           4
        .value_kind:     by_value
    .group_segment_fixed_size: 65536
    .kernarg_segment_align: 8
    .kernarg_segment_size: 64
    .language:       OpenCL C
    .language_version:
      - 2
      - 0
    .max_flat_workgroup_size: 512
    .name:           _Z16wvSplitK_hf_sml_I6__halfLi32ELi4ELi16ELi8ELi2ELi3EEviiiiiiPKT_S3_S3_PS1_ii
    .private_segment_fixed_size: 0
    .sgpr_count:     26
    .sgpr_spill_count: 0
    .symbol:         _Z16wvSplitK_hf_sml_I6__halfLi32ELi4ELi16ELi8ELi2ELi3EEviiiiiiPKT_S3_S3_PS1_ii.kd
    .uniform_work_group_size: 1
    .uses_dynamic_stack: false
    .vgpr_count:     86
    .vgpr_spill_count: 0
    .wavefront_size: 32
    .workgroup_processor_mode: 1
  - .args:
      - .offset:         0
        .size:           4
        .value_kind:     by_value
      - .offset:         4
        .size:           4
        .value_kind:     by_value
      - .offset:         8
        .size:           4
        .value_kind:     by_value
      - .offset:         12
        .size:           4
        .value_kind:     by_value
      - .offset:         16
        .size:           4
        .value_kind:     by_value
      - .offset:         20
        .size:           4
        .value_kind:     by_value
      - .address_space:  global
        .offset:         24
        .size:           8
        .value_kind:     global_buffer
      - .actual_access:  read_only
        .address_space:  global
        .offset:         32
        .size:           8
        .value_kind:     global_buffer
      - .actual_access:  read_only
        .address_space:  global
        .offset:         40
        .size:           8
        .value_kind:     global_buffer
      - .address_space:  global
        .offset:         48
        .size:           8
        .value_kind:     global_buffer
      - .offset:         56
        .size:           4
        .value_kind:     by_value
      - .offset:         60
        .size:           4
        .value_kind:     by_value
    .group_segment_fixed_size: 65536
    .kernarg_segment_align: 8
    .kernarg_segment_size: 64
    .language:       OpenCL C
    .language_version:
      - 2
      - 0
    .max_flat_workgroup_size: 512
    .name:           _Z12wvSplitK_hf_I6__halfLi32ELi4ELi16ELi8ELi2ELi3EEviiiiiiPKT_S3_S3_PS1_ii
    .private_segment_fixed_size: 0
    .sgpr_count:     34
    .sgpr_spill_count: 0
    .symbol:         _Z12wvSplitK_hf_I6__halfLi32ELi4ELi16ELi8ELi2ELi3EEviiiiiiPKT_S3_S3_PS1_ii.kd
    .uniform_work_group_size: 1
    .uses_dynamic_stack: false
    .vgpr_count:     97
    .vgpr_spill_count: 0
    .wavefront_size: 32
    .workgroup_processor_mode: 1
  - .args:
      - .offset:         0
        .size:           4
        .value_kind:     by_value
      - .offset:         4
        .size:           4
        .value_kind:     by_value
      - .offset:         8
        .size:           4
        .value_kind:     by_value
      - .offset:         12
        .size:           4
        .value_kind:     by_value
      - .offset:         16
        .size:           4
        .value_kind:     by_value
      - .offset:         20
        .size:           4
        .value_kind:     by_value
      - .address_space:  global
        .offset:         24
        .size:           8
        .value_kind:     global_buffer
      - .actual_access:  read_only
        .address_space:  global
        .offset:         32
        .size:           8
        .value_kind:     global_buffer
      - .actual_access:  read_only
        .address_space:  global
        .offset:         40
        .size:           8
        .value_kind:     global_buffer
      - .address_space:  global
        .offset:         48
        .size:           8
        .value_kind:     global_buffer
      - .offset:         56
        .size:           4
        .value_kind:     by_value
      - .offset:         60
        .size:           4
        .value_kind:     by_value
    .group_segment_fixed_size: 65536
    .kernarg_segment_align: 8
    .kernarg_segment_size: 64
    .language:       OpenCL C
    .language_version:
      - 2
      - 0
    .max_flat_workgroup_size: 512
    .name:           _Z16wvSplitK_hf_big_I6__halfLi32ELi4ELi16ELi8ELi2ELi3EEviiiiiiPKT_S3_S3_PS1_ii
    .private_segment_fixed_size: 0
    .sgpr_count:     44
    .sgpr_spill_count: 0
    .symbol:         _Z16wvSplitK_hf_big_I6__halfLi32ELi4ELi16ELi8ELi2ELi3EEviiiiiiPKT_S3_S3_PS1_ii.kd
    .uniform_work_group_size: 1
    .uses_dynamic_stack: false
    .vgpr_count:     93
    .vgpr_spill_count: 0
    .wavefront_size: 32
    .workgroup_processor_mode: 1
  - .args:
      - .offset:         0
        .size:           4
        .value_kind:     by_value
      - .offset:         4
        .size:           4
        .value_kind:     by_value
      - .offset:         8
        .size:           4
        .value_kind:     by_value
      - .offset:         12
        .size:           4
        .value_kind:     by_value
      - .offset:         16
        .size:           4
        .value_kind:     by_value
      - .offset:         20
        .size:           4
        .value_kind:     by_value
      - .address_space:  global
        .offset:         24
        .size:           8
        .value_kind:     global_buffer
      - .actual_access:  read_only
        .address_space:  global
        .offset:         32
        .size:           8
        .value_kind:     global_buffer
      - .actual_access:  read_only
        .address_space:  global
        .offset:         40
        .size:           8
        .value_kind:     global_buffer
      - .address_space:  global
        .offset:         48
        .size:           8
        .value_kind:     global_buffer
      - .offset:         56
        .size:           4
        .value_kind:     by_value
      - .offset:         60
        .size:           4
        .value_kind:     by_value
    .group_segment_fixed_size: 65536
    .kernarg_segment_align: 8
    .kernarg_segment_size: 64
    .language:       OpenCL C
    .language_version:
      - 2
      - 0
    .max_flat_workgroup_size: 1024
    .name:           _Z16wvSplitK_hf_sml_I6__halfLi64ELi1ELi16ELi8ELi4ELi3EEviiiiiiPKT_S3_S3_PS1_ii
    .private_segment_fixed_size: 0
    .sgpr_count:     28
    .sgpr_spill_count: 0
    .symbol:         _Z16wvSplitK_hf_sml_I6__halfLi64ELi1ELi16ELi8ELi4ELi3EEviiiiiiPKT_S3_S3_PS1_ii.kd
    .uniform_work_group_size: 1
    .uses_dynamic_stack: false
    .vgpr_count:     81
    .vgpr_spill_count: 0
    .wavefront_size: 32
    .workgroup_processor_mode: 1
  - .args:
      - .offset:         0
        .size:           4
        .value_kind:     by_value
      - .offset:         4
        .size:           4
        .value_kind:     by_value
      - .offset:         8
        .size:           4
        .value_kind:     by_value
      - .offset:         12
        .size:           4
        .value_kind:     by_value
      - .offset:         16
        .size:           4
        .value_kind:     by_value
      - .offset:         20
        .size:           4
        .value_kind:     by_value
      - .address_space:  global
        .offset:         24
        .size:           8
        .value_kind:     global_buffer
      - .actual_access:  read_only
        .address_space:  global
        .offset:         32
        .size:           8
        .value_kind:     global_buffer
      - .actual_access:  read_only
        .address_space:  global
        .offset:         40
        .size:           8
        .value_kind:     global_buffer
      - .address_space:  global
        .offset:         48
        .size:           8
        .value_kind:     global_buffer
      - .offset:         56
        .size:           4
        .value_kind:     by_value
      - .offset:         60
        .size:           4
        .value_kind:     by_value
    .group_segment_fixed_size: 65536
    .kernarg_segment_align: 8
    .kernarg_segment_size: 64
    .language:       OpenCL C
    .language_version:
      - 2
      - 0
    .max_flat_workgroup_size: 1024
    .name:           _Z12wvSplitK_hf_I6__halfLi64ELi1ELi16ELi8ELi4ELi3EEviiiiiiPKT_S3_S3_PS1_ii
    .private_segment_fixed_size: 0
    .sgpr_count:     32
    .sgpr_spill_count: 0
    .symbol:         _Z12wvSplitK_hf_I6__halfLi64ELi1ELi16ELi8ELi4ELi3EEviiiiiiPKT_S3_S3_PS1_ii.kd
    .uniform_work_group_size: 1
    .uses_dynamic_stack: false
    .vgpr_count:     88
    .vgpr_spill_count: 0
    .wavefront_size: 32
    .workgroup_processor_mode: 1
  - .args:
      - .offset:         0
        .size:           4
        .value_kind:     by_value
      - .offset:         4
        .size:           4
        .value_kind:     by_value
      - .offset:         8
        .size:           4
        .value_kind:     by_value
      - .offset:         12
        .size:           4
        .value_kind:     by_value
      - .offset:         16
        .size:           4
        .value_kind:     by_value
      - .offset:         20
        .size:           4
        .value_kind:     by_value
      - .address_space:  global
        .offset:         24
        .size:           8
        .value_kind:     global_buffer
      - .actual_access:  read_only
        .address_space:  global
        .offset:         32
        .size:           8
        .value_kind:     global_buffer
      - .actual_access:  read_only
        .address_space:  global
        .offset:         40
        .size:           8
        .value_kind:     global_buffer
      - .address_space:  global
        .offset:         48
        .size:           8
        .value_kind:     global_buffer
      - .offset:         56
        .size:           4
        .value_kind:     by_value
      - .offset:         60
        .size:           4
        .value_kind:     by_value
    .group_segment_fixed_size: 65536
    .kernarg_segment_align: 8
    .kernarg_segment_size: 64
    .language:       OpenCL C
    .language_version:
      - 2
      - 0
    .max_flat_workgroup_size: 1024
    .name:           _Z16wvSplitK_hf_big_I6__halfLi64ELi1ELi16ELi8ELi4ELi3EEviiiiiiPKT_S3_S3_PS1_ii
    .private_segment_fixed_size: 0
    .sgpr_count:     41
    .sgpr_spill_count: 0
    .symbol:         _Z16wvSplitK_hf_big_I6__halfLi64ELi1ELi16ELi8ELi4ELi3EEviiiiiiPKT_S3_S3_PS1_ii.kd
    .uniform_work_group_size: 1
    .uses_dynamic_stack: false
    .vgpr_count:     84
    .vgpr_spill_count: 0
    .wavefront_size: 32
    .workgroup_processor_mode: 1
  - .args:
      - .offset:         0
        .size:           4
        .value_kind:     by_value
      - .offset:         4
        .size:           4
        .value_kind:     by_value
      - .offset:         8
        .size:           4
        .value_kind:     by_value
      - .offset:         12
        .size:           4
        .value_kind:     by_value
      - .offset:         16
        .size:           4
        .value_kind:     by_value
      - .offset:         20
        .size:           4
        .value_kind:     by_value
      - .address_space:  global
        .offset:         24
        .size:           8
        .value_kind:     global_buffer
      - .actual_access:  read_only
        .address_space:  global
        .offset:         32
        .size:           8
        .value_kind:     global_buffer
      - .actual_access:  read_only
        .address_space:  global
        .offset:         40
        .size:           8
        .value_kind:     global_buffer
      - .address_space:  global
        .offset:         48
        .size:           8
        .value_kind:     global_buffer
      - .offset:         56
        .size:           4
        .value_kind:     by_value
      - .offset:         60
        .size:           4
        .value_kind:     by_value
    .group_segment_fixed_size: 65536
    .kernarg_segment_align: 8
    .kernarg_segment_size: 64
    .language:       OpenCL C
    .language_version:
      - 2
      - 0
    .max_flat_workgroup_size: 1024
    .name:           _Z16wvSplitK_hf_sml_I6__halfLi64ELi2ELi16ELi8ELi2ELi3EEviiiiiiPKT_S3_S3_PS1_ii
    .private_segment_fixed_size: 0
    .sgpr_count:     26
    .sgpr_spill_count: 0
    .symbol:         _Z16wvSplitK_hf_sml_I6__halfLi64ELi2ELi16ELi8ELi2ELi3EEviiiiiiPKT_S3_S3_PS1_ii.kd
    .uniform_work_group_size: 1
    .uses_dynamic_stack: false
    .vgpr_count:     60
    .vgpr_spill_count: 0
    .wavefront_size: 32
    .workgroup_processor_mode: 1
  - .args:
      - .offset:         0
        .size:           4
        .value_kind:     by_value
      - .offset:         4
        .size:           4
        .value_kind:     by_value
      - .offset:         8
        .size:           4
        .value_kind:     by_value
      - .offset:         12
        .size:           4
        .value_kind:     by_value
      - .offset:         16
        .size:           4
        .value_kind:     by_value
      - .offset:         20
        .size:           4
        .value_kind:     by_value
      - .address_space:  global
        .offset:         24
        .size:           8
        .value_kind:     global_buffer
      - .actual_access:  read_only
        .address_space:  global
        .offset:         32
        .size:           8
        .value_kind:     global_buffer
      - .actual_access:  read_only
        .address_space:  global
        .offset:         40
        .size:           8
        .value_kind:     global_buffer
      - .address_space:  global
        .offset:         48
        .size:           8
        .value_kind:     global_buffer
      - .offset:         56
        .size:           4
        .value_kind:     by_value
      - .offset:         60
        .size:           4
        .value_kind:     by_value
    .group_segment_fixed_size: 65536
    .kernarg_segment_align: 8
    .kernarg_segment_size: 64
    .language:       OpenCL C
    .language_version:
      - 2
      - 0
    .max_flat_workgroup_size: 1024
    .name:           _Z12wvSplitK_hf_I6__halfLi64ELi2ELi16ELi8ELi2ELi3EEviiiiiiPKT_S3_S3_PS1_ii
    .private_segment_fixed_size: 0
    .sgpr_count:     33
    .sgpr_spill_count: 0
    .symbol:         _Z12wvSplitK_hf_I6__halfLi64ELi2ELi16ELi8ELi2ELi3EEviiiiiiPKT_S3_S3_PS1_ii.kd
    .uniform_work_group_size: 1
    .uses_dynamic_stack: false
    .vgpr_count:     67
    .vgpr_spill_count: 0
    .wavefront_size: 32
    .workgroup_processor_mode: 1
  - .args:
      - .offset:         0
        .size:           4
        .value_kind:     by_value
      - .offset:         4
        .size:           4
        .value_kind:     by_value
      - .offset:         8
        .size:           4
        .value_kind:     by_value
      - .offset:         12
        .size:           4
        .value_kind:     by_value
      - .offset:         16
        .size:           4
        .value_kind:     by_value
      - .offset:         20
        .size:           4
        .value_kind:     by_value
      - .address_space:  global
        .offset:         24
        .size:           8
        .value_kind:     global_buffer
      - .actual_access:  read_only
        .address_space:  global
        .offset:         32
        .size:           8
        .value_kind:     global_buffer
      - .actual_access:  read_only
        .address_space:  global
        .offset:         40
        .size:           8
        .value_kind:     global_buffer
      - .address_space:  global
        .offset:         48
        .size:           8
        .value_kind:     global_buffer
      - .offset:         56
        .size:           4
        .value_kind:     by_value
      - .offset:         60
        .size:           4
        .value_kind:     by_value
    .group_segment_fixed_size: 65536
    .kernarg_segment_align: 8
    .kernarg_segment_size: 64
    .language:       OpenCL C
    .language_version:
      - 2
      - 0
    .max_flat_workgroup_size: 1024
    .name:           _Z16wvSplitK_hf_big_I6__halfLi64ELi2ELi16ELi8ELi2ELi3EEviiiiiiPKT_S3_S3_PS1_ii
    .private_segment_fixed_size: 0
    .sgpr_count:     43
    .sgpr_spill_count: 0
    .symbol:         _Z16wvSplitK_hf_big_I6__halfLi64ELi2ELi16ELi8ELi2ELi3EEviiiiiiPKT_S3_S3_PS1_ii.kd
    .uniform_work_group_size: 1
    .uses_dynamic_stack: false
    .vgpr_count:     65
    .vgpr_spill_count: 0
    .wavefront_size: 32
    .workgroup_processor_mode: 1
  - .args:
      - .offset:         0
        .size:           4
        .value_kind:     by_value
      - .offset:         4
        .size:           4
        .value_kind:     by_value
      - .offset:         8
        .size:           4
        .value_kind:     by_value
      - .offset:         12
        .size:           4
        .value_kind:     by_value
      - .offset:         16
        .size:           4
        .value_kind:     by_value
      - .offset:         20
        .size:           4
        .value_kind:     by_value
      - .address_space:  global
        .offset:         24
        .size:           8
        .value_kind:     global_buffer
      - .actual_access:  read_only
        .address_space:  global
        .offset:         32
        .size:           8
        .value_kind:     global_buffer
      - .actual_access:  read_only
        .address_space:  global
        .offset:         40
        .size:           8
        .value_kind:     global_buffer
      - .address_space:  global
        .offset:         48
        .size:           8
        .value_kind:     global_buffer
      - .offset:         56
        .size:           4
        .value_kind:     by_value
      - .offset:         60
        .size:           4
        .value_kind:     by_value
    .group_segment_fixed_size: 65536
    .kernarg_segment_align: 8
    .kernarg_segment_size: 64
    .language:       OpenCL C
    .language_version:
      - 2
      - 0
    .max_flat_workgroup_size: 1024
    .name:           _Z16wvSplitK_hf_sml_I6__halfLi64ELi3ELi16ELi8ELi2ELi3EEviiiiiiPKT_S3_S3_PS1_ii
    .private_segment_fixed_size: 0
    .sgpr_count:     26
    .sgpr_spill_count: 0
    .symbol:         _Z16wvSplitK_hf_sml_I6__halfLi64ELi3ELi16ELi8ELi2ELi3EEviiiiiiPKT_S3_S3_PS1_ii.kd
    .uniform_work_group_size: 1
    .uses_dynamic_stack: false
    .vgpr_count:     75
    .vgpr_spill_count: 0
    .wavefront_size: 32
    .workgroup_processor_mode: 1
  - .args:
      - .offset:         0
        .size:           4
        .value_kind:     by_value
      - .offset:         4
        .size:           4
        .value_kind:     by_value
      - .offset:         8
        .size:           4
        .value_kind:     by_value
      - .offset:         12
        .size:           4
        .value_kind:     by_value
      - .offset:         16
        .size:           4
        .value_kind:     by_value
      - .offset:         20
        .size:           4
        .value_kind:     by_value
      - .address_space:  global
        .offset:         24
        .size:           8
        .value_kind:     global_buffer
      - .actual_access:  read_only
        .address_space:  global
        .offset:         32
        .size:           8
        .value_kind:     global_buffer
      - .actual_access:  read_only
        .address_space:  global
        .offset:         40
        .size:           8
        .value_kind:     global_buffer
      - .address_space:  global
        .offset:         48
        .size:           8
        .value_kind:     global_buffer
      - .offset:         56
        .size:           4
        .value_kind:     by_value
      - .offset:         60
        .size:           4
        .value_kind:     by_value
    .group_segment_fixed_size: 65536
    .kernarg_segment_align: 8
    .kernarg_segment_size: 64
    .language:       OpenCL C
    .language_version:
      - 2
      - 0
    .max_flat_workgroup_size: 1024
    .name:           _Z12wvSplitK_hf_I6__halfLi64ELi3ELi16ELi8ELi2ELi3EEviiiiiiPKT_S3_S3_PS1_ii
    .private_segment_fixed_size: 0
    .sgpr_count:     34
    .sgpr_spill_count: 0
    .symbol:         _Z12wvSplitK_hf_I6__halfLi64ELi3ELi16ELi8ELi2ELi3EEviiiiiiPKT_S3_S3_PS1_ii.kd
    .uniform_work_group_size: 1
    .uses_dynamic_stack: false
    .vgpr_count:     82
    .vgpr_spill_count: 0
    .wavefront_size: 32
    .workgroup_processor_mode: 1
  - .args:
      - .offset:         0
        .size:           4
        .value_kind:     by_value
      - .offset:         4
        .size:           4
        .value_kind:     by_value
      - .offset:         8
        .size:           4
        .value_kind:     by_value
      - .offset:         12
        .size:           4
        .value_kind:     by_value
      - .offset:         16
        .size:           4
        .value_kind:     by_value
      - .offset:         20
        .size:           4
        .value_kind:     by_value
      - .address_space:  global
        .offset:         24
        .size:           8
        .value_kind:     global_buffer
      - .actual_access:  read_only
        .address_space:  global
        .offset:         32
        .size:           8
        .value_kind:     global_buffer
      - .actual_access:  read_only
        .address_space:  global
        .offset:         40
        .size:           8
        .value_kind:     global_buffer
      - .address_space:  global
        .offset:         48
        .size:           8
        .value_kind:     global_buffer
      - .offset:         56
        .size:           4
        .value_kind:     by_value
      - .offset:         60
        .size:           4
        .value_kind:     by_value
    .group_segment_fixed_size: 65536
    .kernarg_segment_align: 8
    .kernarg_segment_size: 64
    .language:       OpenCL C
    .language_version:
      - 2
      - 0
    .max_flat_workgroup_size: 1024
    .name:           _Z16wvSplitK_hf_big_I6__halfLi64ELi3ELi16ELi8ELi2ELi3EEviiiiiiPKT_S3_S3_PS1_ii
    .private_segment_fixed_size: 0
    .sgpr_count:     44
    .sgpr_spill_count: 0
    .symbol:         _Z16wvSplitK_hf_big_I6__halfLi64ELi3ELi16ELi8ELi2ELi3EEviiiiiiPKT_S3_S3_PS1_ii.kd
    .uniform_work_group_size: 1
    .uses_dynamic_stack: false
    .vgpr_count:     79
    .vgpr_spill_count: 0
    .wavefront_size: 32
    .workgroup_processor_mode: 1
  - .args:
      - .offset:         0
        .size:           4
        .value_kind:     by_value
      - .offset:         4
        .size:           4
        .value_kind:     by_value
      - .offset:         8
        .size:           4
        .value_kind:     by_value
      - .offset:         12
        .size:           4
        .value_kind:     by_value
      - .offset:         16
        .size:           4
        .value_kind:     by_value
      - .offset:         20
        .size:           4
        .value_kind:     by_value
      - .address_space:  global
        .offset:         24
        .size:           8
        .value_kind:     global_buffer
      - .actual_access:  read_only
        .address_space:  global
        .offset:         32
        .size:           8
        .value_kind:     global_buffer
      - .actual_access:  read_only
        .address_space:  global
        .offset:         40
        .size:           8
        .value_kind:     global_buffer
      - .address_space:  global
        .offset:         48
        .size:           8
        .value_kind:     global_buffer
      - .offset:         56
        .size:           4
        .value_kind:     by_value
      - .offset:         60
        .size:           4
        .value_kind:     by_value
    .group_segment_fixed_size: 65536
    .kernarg_segment_align: 8
    .kernarg_segment_size: 64
    .language:       OpenCL C
    .language_version:
      - 2
      - 0
    .max_flat_workgroup_size: 1024
    .name:           _Z16wvSplitK_hf_sml_I6__halfLi64ELi4ELi16ELi8ELi1ELi3EEviiiiiiPKT_S3_S3_PS1_ii
    .private_segment_fixed_size: 0
    .sgpr_count:     25
    .sgpr_spill_count: 0
    .symbol:         _Z16wvSplitK_hf_sml_I6__halfLi64ELi4ELi16ELi8ELi1ELi3EEviiiiiiPKT_S3_S3_PS1_ii.kd
    .uniform_work_group_size: 1
    .uses_dynamic_stack: false
    .vgpr_count:     59
    .vgpr_spill_count: 0
    .wavefront_size: 32
    .workgroup_processor_mode: 1
  - .args:
      - .offset:         0
        .size:           4
        .value_kind:     by_value
      - .offset:         4
        .size:           4
        .value_kind:     by_value
      - .offset:         8
        .size:           4
        .value_kind:     by_value
      - .offset:         12
        .size:           4
        .value_kind:     by_value
      - .offset:         16
        .size:           4
        .value_kind:     by_value
      - .offset:         20
        .size:           4
        .value_kind:     by_value
      - .address_space:  global
        .offset:         24
        .size:           8
        .value_kind:     global_buffer
      - .actual_access:  read_only
        .address_space:  global
        .offset:         32
        .size:           8
        .value_kind:     global_buffer
      - .actual_access:  read_only
        .address_space:  global
        .offset:         40
        .size:           8
        .value_kind:     global_buffer
      - .address_space:  global
        .offset:         48
        .size:           8
        .value_kind:     global_buffer
      - .offset:         56
        .size:           4
        .value_kind:     by_value
      - .offset:         60
        .size:           4
        .value_kind:     by_value
    .group_segment_fixed_size: 65536
    .kernarg_segment_align: 8
    .kernarg_segment_size: 64
    .language:       OpenCL C
    .language_version:
      - 2
      - 0
    .max_flat_workgroup_size: 1024
    .name:           _Z12wvSplitK_hf_I6__halfLi64ELi4ELi16ELi8ELi1ELi3EEviiiiiiPKT_S3_S3_PS1_ii
    .private_segment_fixed_size: 0
    .sgpr_count:     34
    .sgpr_spill_count: 0
    .symbol:         _Z12wvSplitK_hf_I6__halfLi64ELi4ELi16ELi8ELi1ELi3EEviiiiiiPKT_S3_S3_PS1_ii.kd
    .uniform_work_group_size: 1
    .uses_dynamic_stack: false
    .vgpr_count:     67
    .vgpr_spill_count: 0
    .wavefront_size: 32
    .workgroup_processor_mode: 1
  - .args:
      - .offset:         0
        .size:           4
        .value_kind:     by_value
      - .offset:         4
        .size:           4
        .value_kind:     by_value
      - .offset:         8
        .size:           4
        .value_kind:     by_value
      - .offset:         12
        .size:           4
        .value_kind:     by_value
      - .offset:         16
        .size:           4
        .value_kind:     by_value
      - .offset:         20
        .size:           4
        .value_kind:     by_value
      - .address_space:  global
        .offset:         24
        .size:           8
        .value_kind:     global_buffer
      - .actual_access:  read_only
        .address_space:  global
        .offset:         32
        .size:           8
        .value_kind:     global_buffer
      - .actual_access:  read_only
        .address_space:  global
        .offset:         40
        .size:           8
        .value_kind:     global_buffer
      - .address_space:  global
        .offset:         48
        .size:           8
        .value_kind:     global_buffer
      - .offset:         56
        .size:           4
        .value_kind:     by_value
      - .offset:         60
        .size:           4
        .value_kind:     by_value
    .group_segment_fixed_size: 65536
    .kernarg_segment_align: 8
    .kernarg_segment_size: 64
    .language:       OpenCL C
    .language_version:
      - 2
      - 0
    .max_flat_workgroup_size: 1024
    .name:           _Z16wvSplitK_hf_big_I6__halfLi64ELi4ELi16ELi8ELi1ELi3EEviiiiiiPKT_S3_S3_PS1_ii
    .private_segment_fixed_size: 0
    .sgpr_count:     44
    .sgpr_spill_count: 0
    .symbol:         _Z16wvSplitK_hf_big_I6__halfLi64ELi4ELi16ELi8ELi1ELi3EEviiiiiiPKT_S3_S3_PS1_ii.kd
    .uniform_work_group_size: 1
    .uses_dynamic_stack: false
    .vgpr_count:     68
    .vgpr_spill_count: 0
    .wavefront_size: 32
    .workgroup_processor_mode: 1
  - .args:
      - .offset:         0
        .size:           4
        .value_kind:     by_value
      - .offset:         4
        .size:           4
        .value_kind:     by_value
      - .offset:         8
        .size:           4
        .value_kind:     by_value
      - .offset:         12
        .size:           4
        .value_kind:     by_value
      - .offset:         16
        .size:           4
        .value_kind:     by_value
      - .offset:         20
        .size:           4
        .value_kind:     by_value
      - .address_space:  global
        .offset:         24
        .size:           8
        .value_kind:     global_buffer
      - .actual_access:  read_only
        .address_space:  global
        .offset:         32
        .size:           8
        .value_kind:     global_buffer
      - .actual_access:  read_only
        .address_space:  global
        .offset:         40
        .size:           8
        .value_kind:     global_buffer
      - .address_space:  global
        .offset:         48
        .size:           8
        .value_kind:     global_buffer
      - .offset:         56
        .size:           4
        .value_kind:     by_value
      - .offset:         60
        .size:           4
        .value_kind:     by_value
    .group_segment_fixed_size: 65536
    .kernarg_segment_align: 8
    .kernarg_segment_size: 64
    .language:       OpenCL C
    .language_version:
      - 2
      - 0
    .max_flat_workgroup_size: 1024
    .name:           _Z16wvSplitK_hf_sml_I6__halfLi64ELi4ELi16ELi8ELi2ELi3EEviiiiiiPKT_S3_S3_PS1_ii
    .private_segment_fixed_size: 0
    .sgpr_count:     26
    .sgpr_spill_count: 0
    .symbol:         _Z16wvSplitK_hf_sml_I6__halfLi64ELi4ELi16ELi8ELi2ELi3EEviiiiiiPKT_S3_S3_PS1_ii.kd
    .uniform_work_group_size: 1
    .uses_dynamic_stack: false
    .vgpr_count:     86
    .vgpr_spill_count: 0
    .wavefront_size: 32
    .workgroup_processor_mode: 1
  - .args:
      - .offset:         0
        .size:           4
        .value_kind:     by_value
      - .offset:         4
        .size:           4
        .value_kind:     by_value
      - .offset:         8
        .size:           4
        .value_kind:     by_value
      - .offset:         12
        .size:           4
        .value_kind:     by_value
      - .offset:         16
        .size:           4
        .value_kind:     by_value
      - .offset:         20
        .size:           4
        .value_kind:     by_value
      - .address_space:  global
        .offset:         24
        .size:           8
        .value_kind:     global_buffer
      - .actual_access:  read_only
        .address_space:  global
        .offset:         32
        .size:           8
        .value_kind:     global_buffer
      - .actual_access:  read_only
        .address_space:  global
        .offset:         40
        .size:           8
        .value_kind:     global_buffer
      - .address_space:  global
        .offset:         48
        .size:           8
        .value_kind:     global_buffer
      - .offset:         56
        .size:           4
        .value_kind:     by_value
      - .offset:         60
        .size:           4
        .value_kind:     by_value
    .group_segment_fixed_size: 65536
    .kernarg_segment_align: 8
    .kernarg_segment_size: 64
    .language:       OpenCL C
    .language_version:
      - 2
      - 0
    .max_flat_workgroup_size: 1024
    .name:           _Z12wvSplitK_hf_I6__halfLi64ELi4ELi16ELi8ELi2ELi3EEviiiiiiPKT_S3_S3_PS1_ii
    .private_segment_fixed_size: 0
    .sgpr_count:     34
    .sgpr_spill_count: 0
    .symbol:         _Z12wvSplitK_hf_I6__halfLi64ELi4ELi16ELi8ELi2ELi3EEviiiiiiPKT_S3_S3_PS1_ii.kd
    .uniform_work_group_size: 1
    .uses_dynamic_stack: false
    .vgpr_count:     97
    .vgpr_spill_count: 0
    .wavefront_size: 32
    .workgroup_processor_mode: 1
  - .args:
      - .offset:         0
        .size:           4
        .value_kind:     by_value
      - .offset:         4
        .size:           4
        .value_kind:     by_value
      - .offset:         8
        .size:           4
        .value_kind:     by_value
      - .offset:         12
        .size:           4
        .value_kind:     by_value
      - .offset:         16
        .size:           4
        .value_kind:     by_value
      - .offset:         20
        .size:           4
        .value_kind:     by_value
      - .address_space:  global
        .offset:         24
        .size:           8
        .value_kind:     global_buffer
      - .actual_access:  read_only
        .address_space:  global
        .offset:         32
        .size:           8
        .value_kind:     global_buffer
      - .actual_access:  read_only
        .address_space:  global
        .offset:         40
        .size:           8
        .value_kind:     global_buffer
      - .address_space:  global
        .offset:         48
        .size:           8
        .value_kind:     global_buffer
      - .offset:         56
        .size:           4
        .value_kind:     by_value
      - .offset:         60
        .size:           4
        .value_kind:     by_value
    .group_segment_fixed_size: 65536
    .kernarg_segment_align: 8
    .kernarg_segment_size: 64
    .language:       OpenCL C
    .language_version:
      - 2
      - 0
    .max_flat_workgroup_size: 1024
    .name:           _Z16wvSplitK_hf_big_I6__halfLi64ELi4ELi16ELi8ELi2ELi3EEviiiiiiPKT_S3_S3_PS1_ii
    .private_segment_fixed_size: 0
    .sgpr_count:     44
    .sgpr_spill_count: 0
    .symbol:         _Z16wvSplitK_hf_big_I6__halfLi64ELi4ELi16ELi8ELi2ELi3EEviiiiiiPKT_S3_S3_PS1_ii.kd
    .uniform_work_group_size: 1
    .uses_dynamic_stack: false
    .vgpr_count:     93
    .vgpr_spill_count: 0
    .wavefront_size: 32
    .workgroup_processor_mode: 1
  - .args:
      - .offset:         0
        .size:           4
        .value_kind:     by_value
      - .offset:         4
        .size:           4
        .value_kind:     by_value
      - .offset:         8
        .size:           4
        .value_kind:     by_value
      - .offset:         12
        .size:           4
        .value_kind:     by_value
      - .offset:         16
        .size:           4
        .value_kind:     by_value
      - .offset:         20
        .size:           4
        .value_kind:     by_value
      - .address_space:  global
        .offset:         24
        .size:           8
        .value_kind:     global_buffer
      - .actual_access:  read_only
        .address_space:  global
        .offset:         32
        .size:           8
        .value_kind:     global_buffer
      - .actual_access:  read_only
        .address_space:  global
        .offset:         40
        .size:           8
        .value_kind:     global_buffer
      - .address_space:  global
        .offset:         48
        .size:           8
        .value_kind:     global_buffer
      - .offset:         56
        .size:           4
        .value_kind:     by_value
      - .offset:         60
        .size:           4
        .value_kind:     by_value
    .group_segment_fixed_size: 65536
    .kernarg_segment_align: 8
    .kernarg_segment_size: 64
    .language:       OpenCL C
    .language_version:
      - 2
      - 0
    .max_flat_workgroup_size: 512
    .name:           _Z16wvSplitK_hf_sml_I6__halfLi32ELi1ELi16ELi8ELi4ELi4EEviiiiiiPKT_S3_S3_PS1_ii
    .private_segment_fixed_size: 0
    .sgpr_count:     30
    .sgpr_spill_count: 0
    .symbol:         _Z16wvSplitK_hf_sml_I6__halfLi32ELi1ELi16ELi8ELi4ELi4EEviiiiiiPKT_S3_S3_PS1_ii.kd
    .uniform_work_group_size: 1
    .uses_dynamic_stack: false
    .vgpr_count:     99
    .vgpr_spill_count: 0
    .wavefront_size: 32
    .workgroup_processor_mode: 1
  - .args:
      - .offset:         0
        .size:           4
        .value_kind:     by_value
      - .offset:         4
        .size:           4
        .value_kind:     by_value
      - .offset:         8
        .size:           4
        .value_kind:     by_value
      - .offset:         12
        .size:           4
        .value_kind:     by_value
      - .offset:         16
        .size:           4
        .value_kind:     by_value
      - .offset:         20
        .size:           4
        .value_kind:     by_value
      - .address_space:  global
        .offset:         24
        .size:           8
        .value_kind:     global_buffer
      - .actual_access:  read_only
        .address_space:  global
        .offset:         32
        .size:           8
        .value_kind:     global_buffer
      - .actual_access:  read_only
        .address_space:  global
        .offset:         40
        .size:           8
        .value_kind:     global_buffer
      - .address_space:  global
        .offset:         48
        .size:           8
        .value_kind:     global_buffer
      - .offset:         56
        .size:           4
        .value_kind:     by_value
      - .offset:         60
        .size:           4
        .value_kind:     by_value
    .group_segment_fixed_size: 65536
    .kernarg_segment_align: 8
    .kernarg_segment_size: 64
    .language:       OpenCL C
    .language_version:
      - 2
      - 0
    .max_flat_workgroup_size: 512
    .name:           _Z12wvSplitK_hf_I6__halfLi32ELi1ELi16ELi8ELi4ELi4EEviiiiiiPKT_S3_S3_PS1_ii
    .private_segment_fixed_size: 0
    .sgpr_count:     34
    .sgpr_spill_count: 0
    .symbol:         _Z12wvSplitK_hf_I6__halfLi32ELi1ELi16ELi8ELi4ELi4EEviiiiiiPKT_S3_S3_PS1_ii.kd
    .uniform_work_group_size: 1
    .uses_dynamic_stack: false
    .vgpr_count:     107
    .vgpr_spill_count: 0
    .wavefront_size: 32
    .workgroup_processor_mode: 1
  - .args:
      - .offset:         0
        .size:           4
        .value_kind:     by_value
      - .offset:         4
        .size:           4
        .value_kind:     by_value
      - .offset:         8
        .size:           4
        .value_kind:     by_value
      - .offset:         12
        .size:           4
        .value_kind:     by_value
      - .offset:         16
        .size:           4
        .value_kind:     by_value
      - .offset:         20
        .size:           4
        .value_kind:     by_value
      - .address_space:  global
        .offset:         24
        .size:           8
        .value_kind:     global_buffer
      - .actual_access:  read_only
        .address_space:  global
        .offset:         32
        .size:           8
        .value_kind:     global_buffer
      - .actual_access:  read_only
        .address_space:  global
        .offset:         40
        .size:           8
        .value_kind:     global_buffer
      - .address_space:  global
        .offset:         48
        .size:           8
        .value_kind:     global_buffer
      - .offset:         56
        .size:           4
        .value_kind:     by_value
      - .offset:         60
        .size:           4
        .value_kind:     by_value
    .group_segment_fixed_size: 65536
    .kernarg_segment_align: 8
    .kernarg_segment_size: 64
    .language:       OpenCL C
    .language_version:
      - 2
      - 0
    .max_flat_workgroup_size: 512
    .name:           _Z16wvSplitK_hf_big_I6__halfLi32ELi1ELi16ELi8ELi4ELi4EEviiiiiiPKT_S3_S3_PS1_ii
    .private_segment_fixed_size: 0
    .sgpr_count:     43
    .sgpr_spill_count: 0
    .symbol:         _Z16wvSplitK_hf_big_I6__halfLi32ELi1ELi16ELi8ELi4ELi4EEviiiiiiPKT_S3_S3_PS1_ii.kd
    .uniform_work_group_size: 1
    .uses_dynamic_stack: false
    .vgpr_count:     103
    .vgpr_spill_count: 0
    .wavefront_size: 32
    .workgroup_processor_mode: 1
  - .args:
      - .offset:         0
        .size:           4
        .value_kind:     by_value
      - .offset:         4
        .size:           4
        .value_kind:     by_value
      - .offset:         8
        .size:           4
        .value_kind:     by_value
      - .offset:         12
        .size:           4
        .value_kind:     by_value
      - .offset:         16
        .size:           4
        .value_kind:     by_value
      - .offset:         20
        .size:           4
        .value_kind:     by_value
      - .address_space:  global
        .offset:         24
        .size:           8
        .value_kind:     global_buffer
      - .actual_access:  read_only
        .address_space:  global
        .offset:         32
        .size:           8
        .value_kind:     global_buffer
      - .actual_access:  read_only
        .address_space:  global
        .offset:         40
        .size:           8
        .value_kind:     global_buffer
      - .address_space:  global
        .offset:         48
        .size:           8
        .value_kind:     global_buffer
      - .offset:         56
        .size:           4
        .value_kind:     by_value
      - .offset:         60
        .size:           4
        .value_kind:     by_value
    .group_segment_fixed_size: 65536
    .kernarg_segment_align: 8
    .kernarg_segment_size: 64
    .language:       OpenCL C
    .language_version:
      - 2
      - 0
    .max_flat_workgroup_size: 512
    .name:           _Z16wvSplitK_hf_sml_I6__halfLi32ELi2ELi16ELi8ELi2ELi4EEviiiiiiPKT_S3_S3_PS1_ii
    .private_segment_fixed_size: 0
    .sgpr_count:     28
    .sgpr_spill_count: 0
    .symbol:         _Z16wvSplitK_hf_sml_I6__halfLi32ELi2ELi16ELi8ELi2ELi4EEviiiiiiPKT_S3_S3_PS1_ii.kd
    .uniform_work_group_size: 1
    .uses_dynamic_stack: false
    .vgpr_count:     71
    .vgpr_spill_count: 0
    .wavefront_size: 32
    .workgroup_processor_mode: 1
  - .args:
      - .offset:         0
        .size:           4
        .value_kind:     by_value
      - .offset:         4
        .size:           4
        .value_kind:     by_value
      - .offset:         8
        .size:           4
        .value_kind:     by_value
      - .offset:         12
        .size:           4
        .value_kind:     by_value
      - .offset:         16
        .size:           4
        .value_kind:     by_value
      - .offset:         20
        .size:           4
        .value_kind:     by_value
      - .address_space:  global
        .offset:         24
        .size:           8
        .value_kind:     global_buffer
      - .actual_access:  read_only
        .address_space:  global
        .offset:         32
        .size:           8
        .value_kind:     global_buffer
      - .actual_access:  read_only
        .address_space:  global
        .offset:         40
        .size:           8
        .value_kind:     global_buffer
      - .address_space:  global
        .offset:         48
        .size:           8
        .value_kind:     global_buffer
      - .offset:         56
        .size:           4
        .value_kind:     by_value
      - .offset:         60
        .size:           4
        .value_kind:     by_value
    .group_segment_fixed_size: 65536
    .kernarg_segment_align: 8
    .kernarg_segment_size: 64
    .language:       OpenCL C
    .language_version:
      - 2
      - 0
    .max_flat_workgroup_size: 512
    .name:           _Z12wvSplitK_hf_I6__halfLi32ELi2ELi16ELi8ELi2ELi4EEviiiiiiPKT_S3_S3_PS1_ii
    .private_segment_fixed_size: 0
    .sgpr_count:     36
    .sgpr_spill_count: 0
    .symbol:         _Z12wvSplitK_hf_I6__halfLi32ELi2ELi16ELi8ELi2ELi4EEviiiiiiPKT_S3_S3_PS1_ii.kd
    .uniform_work_group_size: 1
    .uses_dynamic_stack: false
    .vgpr_count:     80
    .vgpr_spill_count: 0
    .wavefront_size: 32
    .workgroup_processor_mode: 1
  - .args:
      - .offset:         0
        .size:           4
        .value_kind:     by_value
      - .offset:         4
        .size:           4
        .value_kind:     by_value
      - .offset:         8
        .size:           4
        .value_kind:     by_value
      - .offset:         12
        .size:           4
        .value_kind:     by_value
      - .offset:         16
        .size:           4
        .value_kind:     by_value
      - .offset:         20
        .size:           4
        .value_kind:     by_value
      - .address_space:  global
        .offset:         24
        .size:           8
        .value_kind:     global_buffer
      - .actual_access:  read_only
        .address_space:  global
        .offset:         32
        .size:           8
        .value_kind:     global_buffer
      - .actual_access:  read_only
        .address_space:  global
        .offset:         40
        .size:           8
        .value_kind:     global_buffer
      - .address_space:  global
        .offset:         48
        .size:           8
        .value_kind:     global_buffer
      - .offset:         56
        .size:           4
        .value_kind:     by_value
      - .offset:         60
        .size:           4
        .value_kind:     by_value
    .group_segment_fixed_size: 65536
    .kernarg_segment_align: 8
    .kernarg_segment_size: 64
    .language:       OpenCL C
    .language_version:
      - 2
      - 0
    .max_flat_workgroup_size: 512
    .name:           _Z16wvSplitK_hf_big_I6__halfLi32ELi2ELi16ELi8ELi2ELi4EEviiiiiiPKT_S3_S3_PS1_ii
    .private_segment_fixed_size: 0
    .sgpr_count:     45
    .sgpr_spill_count: 0
    .symbol:         _Z16wvSplitK_hf_big_I6__halfLi32ELi2ELi16ELi8ELi2ELi4EEviiiiiiPKT_S3_S3_PS1_ii.kd
    .uniform_work_group_size: 1
    .uses_dynamic_stack: false
    .vgpr_count:     77
    .vgpr_spill_count: 0
    .wavefront_size: 32
    .workgroup_processor_mode: 1
  - .args:
      - .offset:         0
        .size:           4
        .value_kind:     by_value
      - .offset:         4
        .size:           4
        .value_kind:     by_value
      - .offset:         8
        .size:           4
        .value_kind:     by_value
      - .offset:         12
        .size:           4
        .value_kind:     by_value
      - .offset:         16
        .size:           4
        .value_kind:     by_value
      - .offset:         20
        .size:           4
        .value_kind:     by_value
      - .address_space:  global
        .offset:         24
        .size:           8
        .value_kind:     global_buffer
      - .actual_access:  read_only
        .address_space:  global
        .offset:         32
        .size:           8
        .value_kind:     global_buffer
      - .actual_access:  read_only
        .address_space:  global
        .offset:         40
        .size:           8
        .value_kind:     global_buffer
      - .address_space:  global
        .offset:         48
        .size:           8
        .value_kind:     global_buffer
      - .offset:         56
        .size:           4
        .value_kind:     by_value
      - .offset:         60
        .size:           4
        .value_kind:     by_value
    .group_segment_fixed_size: 65536
    .kernarg_segment_align: 8
    .kernarg_segment_size: 64
    .language:       OpenCL C
    .language_version:
      - 2
      - 0
    .max_flat_workgroup_size: 512
    .name:           _Z16wvSplitK_hf_sml_I6__halfLi32ELi3ELi16ELi8ELi2ELi4EEviiiiiiPKT_S3_S3_PS1_ii
    .private_segment_fixed_size: 0
    .sgpr_count:     28
    .sgpr_spill_count: 0
    .symbol:         _Z16wvSplitK_hf_sml_I6__halfLi32ELi3ELi16ELi8ELi2ELi4EEviiiiiiPKT_S3_S3_PS1_ii.kd
    .uniform_work_group_size: 1
    .uses_dynamic_stack: false
    .vgpr_count:     87
    .vgpr_spill_count: 0
    .wavefront_size: 32
    .workgroup_processor_mode: 1
  - .args:
      - .offset:         0
        .size:           4
        .value_kind:     by_value
      - .offset:         4
        .size:           4
        .value_kind:     by_value
      - .offset:         8
        .size:           4
        .value_kind:     by_value
      - .offset:         12
        .size:           4
        .value_kind:     by_value
      - .offset:         16
        .size:           4
        .value_kind:     by_value
      - .offset:         20
        .size:           4
        .value_kind:     by_value
      - .address_space:  global
        .offset:         24
        .size:           8
        .value_kind:     global_buffer
      - .actual_access:  read_only
        .address_space:  global
        .offset:         32
        .size:           8
        .value_kind:     global_buffer
      - .actual_access:  read_only
        .address_space:  global
        .offset:         40
        .size:           8
        .value_kind:     global_buffer
      - .address_space:  global
        .offset:         48
        .size:           8
        .value_kind:     global_buffer
      - .offset:         56
        .size:           4
        .value_kind:     by_value
      - .offset:         60
        .size:           4
        .value_kind:     by_value
    .group_segment_fixed_size: 65536
    .kernarg_segment_align: 8
    .kernarg_segment_size: 64
    .language:       OpenCL C
    .language_version:
      - 2
      - 0
    .max_flat_workgroup_size: 512
    .name:           _Z12wvSplitK_hf_I6__halfLi32ELi3ELi16ELi8ELi2ELi4EEviiiiiiPKT_S3_S3_PS1_ii
    .private_segment_fixed_size: 0
    .sgpr_count:     37
    .sgpr_spill_count: 0
    .symbol:         _Z12wvSplitK_hf_I6__halfLi32ELi3ELi16ELi8ELi2ELi4EEviiiiiiPKT_S3_S3_PS1_ii.kd
    .uniform_work_group_size: 1
    .uses_dynamic_stack: false
    .vgpr_count:     96
    .vgpr_spill_count: 0
    .wavefront_size: 32
    .workgroup_processor_mode: 1
  - .args:
      - .offset:         0
        .size:           4
        .value_kind:     by_value
      - .offset:         4
        .size:           4
        .value_kind:     by_value
      - .offset:         8
        .size:           4
        .value_kind:     by_value
      - .offset:         12
        .size:           4
        .value_kind:     by_value
      - .offset:         16
        .size:           4
        .value_kind:     by_value
      - .offset:         20
        .size:           4
        .value_kind:     by_value
      - .address_space:  global
        .offset:         24
        .size:           8
        .value_kind:     global_buffer
      - .actual_access:  read_only
        .address_space:  global
        .offset:         32
        .size:           8
        .value_kind:     global_buffer
      - .actual_access:  read_only
        .address_space:  global
        .offset:         40
        .size:           8
        .value_kind:     global_buffer
      - .address_space:  global
        .offset:         48
        .size:           8
        .value_kind:     global_buffer
      - .offset:         56
        .size:           4
        .value_kind:     by_value
      - .offset:         60
        .size:           4
        .value_kind:     by_value
    .group_segment_fixed_size: 65536
    .kernarg_segment_align: 8
    .kernarg_segment_size: 64
    .language:       OpenCL C
    .language_version:
      - 2
      - 0
    .max_flat_workgroup_size: 512
    .name:           _Z16wvSplitK_hf_big_I6__halfLi32ELi3ELi16ELi8ELi2ELi4EEviiiiiiPKT_S3_S3_PS1_ii
    .private_segment_fixed_size: 0
    .sgpr_count:     46
    .sgpr_spill_count: 0
    .symbol:         _Z16wvSplitK_hf_big_I6__halfLi32ELi3ELi16ELi8ELi2ELi4EEviiiiiiPKT_S3_S3_PS1_ii.kd
    .uniform_work_group_size: 1
    .uses_dynamic_stack: false
    .vgpr_count:     92
    .vgpr_spill_count: 0
    .wavefront_size: 32
    .workgroup_processor_mode: 1
  - .args:
      - .offset:         0
        .size:           4
        .value_kind:     by_value
      - .offset:         4
        .size:           4
        .value_kind:     by_value
      - .offset:         8
        .size:           4
        .value_kind:     by_value
      - .offset:         12
        .size:           4
        .value_kind:     by_value
      - .offset:         16
        .size:           4
        .value_kind:     by_value
      - .offset:         20
        .size:           4
        .value_kind:     by_value
      - .address_space:  global
        .offset:         24
        .size:           8
        .value_kind:     global_buffer
      - .actual_access:  read_only
        .address_space:  global
        .offset:         32
        .size:           8
        .value_kind:     global_buffer
      - .actual_access:  read_only
        .address_space:  global
        .offset:         40
        .size:           8
        .value_kind:     global_buffer
      - .address_space:  global
        .offset:         48
        .size:           8
        .value_kind:     global_buffer
      - .offset:         56
        .size:           4
        .value_kind:     by_value
      - .offset:         60
        .size:           4
        .value_kind:     by_value
    .group_segment_fixed_size: 65536
    .kernarg_segment_align: 8
    .kernarg_segment_size: 64
    .language:       OpenCL C
    .language_version:
      - 2
      - 0
    .max_flat_workgroup_size: 512
    .name:           _Z16wvSplitK_hf_sml_I6__halfLi32ELi4ELi16ELi8ELi1ELi4EEviiiiiiPKT_S3_S3_PS1_ii
    .private_segment_fixed_size: 0
    .sgpr_count:     27
    .sgpr_spill_count: 0
    .symbol:         _Z16wvSplitK_hf_sml_I6__halfLi32ELi4ELi16ELi8ELi1ELi4EEviiiiiiPKT_S3_S3_PS1_ii.kd
    .uniform_work_group_size: 1
    .uses_dynamic_stack: false
    .vgpr_count:     70
    .vgpr_spill_count: 0
    .wavefront_size: 32
    .workgroup_processor_mode: 1
  - .args:
      - .offset:         0
        .size:           4
        .value_kind:     by_value
      - .offset:         4
        .size:           4
        .value_kind:     by_value
      - .offset:         8
        .size:           4
        .value_kind:     by_value
      - .offset:         12
        .size:           4
        .value_kind:     by_value
      - .offset:         16
        .size:           4
        .value_kind:     by_value
      - .offset:         20
        .size:           4
        .value_kind:     by_value
      - .address_space:  global
        .offset:         24
        .size:           8
        .value_kind:     global_buffer
      - .actual_access:  read_only
        .address_space:  global
        .offset:         32
        .size:           8
        .value_kind:     global_buffer
      - .actual_access:  read_only
        .address_space:  global
        .offset:         40
        .size:           8
        .value_kind:     global_buffer
      - .address_space:  global
        .offset:         48
        .size:           8
        .value_kind:     global_buffer
      - .offset:         56
        .size:           4
        .value_kind:     by_value
      - .offset:         60
        .size:           4
        .value_kind:     by_value
    .group_segment_fixed_size: 65536
    .kernarg_segment_align: 8
    .kernarg_segment_size: 64
    .language:       OpenCL C
    .language_version:
      - 2
      - 0
    .max_flat_workgroup_size: 512
    .name:           _Z12wvSplitK_hf_I6__halfLi32ELi4ELi16ELi8ELi1ELi4EEviiiiiiPKT_S3_S3_PS1_ii
    .private_segment_fixed_size: 0
    .sgpr_count:     37
    .sgpr_spill_count: 0
    .symbol:         _Z12wvSplitK_hf_I6__halfLi32ELi4ELi16ELi8ELi1ELi4EEviiiiiiPKT_S3_S3_PS1_ii.kd
    .uniform_work_group_size: 1
    .uses_dynamic_stack: false
    .vgpr_count:     79
    .vgpr_spill_count: 0
    .wavefront_size: 32
    .workgroup_processor_mode: 1
  - .args:
      - .offset:         0
        .size:           4
        .value_kind:     by_value
      - .offset:         4
        .size:           4
        .value_kind:     by_value
      - .offset:         8
        .size:           4
        .value_kind:     by_value
      - .offset:         12
        .size:           4
        .value_kind:     by_value
      - .offset:         16
        .size:           4
        .value_kind:     by_value
      - .offset:         20
        .size:           4
        .value_kind:     by_value
      - .address_space:  global
        .offset:         24
        .size:           8
        .value_kind:     global_buffer
      - .actual_access:  read_only
        .address_space:  global
        .offset:         32
        .size:           8
        .value_kind:     global_buffer
      - .actual_access:  read_only
        .address_space:  global
        .offset:         40
        .size:           8
        .value_kind:     global_buffer
      - .address_space:  global
        .offset:         48
        .size:           8
        .value_kind:     global_buffer
      - .offset:         56
        .size:           4
        .value_kind:     by_value
      - .offset:         60
        .size:           4
        .value_kind:     by_value
    .group_segment_fixed_size: 65536
    .kernarg_segment_align: 8
    .kernarg_segment_size: 64
    .language:       OpenCL C
    .language_version:
      - 2
      - 0
    .max_flat_workgroup_size: 512
    .name:           _Z16wvSplitK_hf_big_I6__halfLi32ELi4ELi16ELi8ELi1ELi4EEviiiiiiPKT_S3_S3_PS1_ii
    .private_segment_fixed_size: 0
    .sgpr_count:     46
    .sgpr_spill_count: 0
    .symbol:         _Z16wvSplitK_hf_big_I6__halfLi32ELi4ELi16ELi8ELi1ELi4EEviiiiiiPKT_S3_S3_PS1_ii.kd
    .uniform_work_group_size: 1
    .uses_dynamic_stack: false
    .vgpr_count:     79
    .vgpr_spill_count: 0
    .wavefront_size: 32
    .workgroup_processor_mode: 1
  - .args:
      - .offset:         0
        .size:           4
        .value_kind:     by_value
      - .offset:         4
        .size:           4
        .value_kind:     by_value
      - .offset:         8
        .size:           4
        .value_kind:     by_value
      - .offset:         12
        .size:           4
        .value_kind:     by_value
      - .offset:         16
        .size:           4
        .value_kind:     by_value
      - .offset:         20
        .size:           4
        .value_kind:     by_value
      - .address_space:  global
        .offset:         24
        .size:           8
        .value_kind:     global_buffer
      - .actual_access:  read_only
        .address_space:  global
        .offset:         32
        .size:           8
        .value_kind:     global_buffer
      - .actual_access:  read_only
        .address_space:  global
        .offset:         40
        .size:           8
        .value_kind:     global_buffer
      - .address_space:  global
        .offset:         48
        .size:           8
        .value_kind:     global_buffer
      - .offset:         56
        .size:           4
        .value_kind:     by_value
      - .offset:         60
        .size:           4
        .value_kind:     by_value
    .group_segment_fixed_size: 65536
    .kernarg_segment_align: 8
    .kernarg_segment_size: 64
    .language:       OpenCL C
    .language_version:
      - 2
      - 0
    .max_flat_workgroup_size: 512
    .name:           _Z16wvSplitK_hf_sml_I6__halfLi32ELi4ELi16ELi8ELi2ELi4EEviiiiiiPKT_S3_S3_PS1_ii
    .private_segment_fixed_size: 0
    .sgpr_count:     28
    .sgpr_spill_count: 0
    .symbol:         _Z16wvSplitK_hf_sml_I6__halfLi32ELi4ELi16ELi8ELi2ELi4EEviiiiiiPKT_S3_S3_PS1_ii.kd
    .uniform_work_group_size: 1
    .uses_dynamic_stack: false
    .vgpr_count:     99
    .vgpr_spill_count: 0
    .wavefront_size: 32
    .workgroup_processor_mode: 1
  - .args:
      - .offset:         0
        .size:           4
        .value_kind:     by_value
      - .offset:         4
        .size:           4
        .value_kind:     by_value
      - .offset:         8
        .size:           4
        .value_kind:     by_value
      - .offset:         12
        .size:           4
        .value_kind:     by_value
      - .offset:         16
        .size:           4
        .value_kind:     by_value
      - .offset:         20
        .size:           4
        .value_kind:     by_value
      - .address_space:  global
        .offset:         24
        .size:           8
        .value_kind:     global_buffer
      - .actual_access:  read_only
        .address_space:  global
        .offset:         32
        .size:           8
        .value_kind:     global_buffer
      - .actual_access:  read_only
        .address_space:  global
        .offset:         40
        .size:           8
        .value_kind:     global_buffer
      - .address_space:  global
        .offset:         48
        .size:           8
        .value_kind:     global_buffer
      - .offset:         56
        .size:           4
        .value_kind:     by_value
      - .offset:         60
        .size:           4
        .value_kind:     by_value
    .group_segment_fixed_size: 65536
    .kernarg_segment_align: 8
    .kernarg_segment_size: 64
    .language:       OpenCL C
    .language_version:
      - 2
      - 0
    .max_flat_workgroup_size: 512
    .name:           _Z12wvSplitK_hf_I6__halfLi32ELi4ELi16ELi8ELi2ELi4EEviiiiiiPKT_S3_S3_PS1_ii
    .private_segment_fixed_size: 0
    .sgpr_count:     37
    .sgpr_spill_count: 0
    .symbol:         _Z12wvSplitK_hf_I6__halfLi32ELi4ELi16ELi8ELi2ELi4EEviiiiiiPKT_S3_S3_PS1_ii.kd
    .uniform_work_group_size: 1
    .uses_dynamic_stack: false
    .vgpr_count:     112
    .vgpr_spill_count: 0
    .wavefront_size: 32
    .workgroup_processor_mode: 1
  - .args:
      - .offset:         0
        .size:           4
        .value_kind:     by_value
      - .offset:         4
        .size:           4
        .value_kind:     by_value
      - .offset:         8
        .size:           4
        .value_kind:     by_value
      - .offset:         12
        .size:           4
        .value_kind:     by_value
      - .offset:         16
        .size:           4
        .value_kind:     by_value
      - .offset:         20
        .size:           4
        .value_kind:     by_value
      - .address_space:  global
        .offset:         24
        .size:           8
        .value_kind:     global_buffer
      - .actual_access:  read_only
        .address_space:  global
        .offset:         32
        .size:           8
        .value_kind:     global_buffer
      - .actual_access:  read_only
        .address_space:  global
        .offset:         40
        .size:           8
        .value_kind:     global_buffer
      - .address_space:  global
        .offset:         48
        .size:           8
        .value_kind:     global_buffer
      - .offset:         56
        .size:           4
        .value_kind:     by_value
      - .offset:         60
        .size:           4
        .value_kind:     by_value
    .group_segment_fixed_size: 65536
    .kernarg_segment_align: 8
    .kernarg_segment_size: 64
    .language:       OpenCL C
    .language_version:
      - 2
      - 0
    .max_flat_workgroup_size: 512
    .name:           _Z16wvSplitK_hf_big_I6__halfLi32ELi4ELi16ELi8ELi2ELi4EEviiiiiiPKT_S3_S3_PS1_ii
    .private_segment_fixed_size: 0
    .sgpr_count:     46
    .sgpr_spill_count: 0
    .symbol:         _Z16wvSplitK_hf_big_I6__halfLi32ELi4ELi16ELi8ELi2ELi4EEviiiiiiPKT_S3_S3_PS1_ii.kd
    .uniform_work_group_size: 1
    .uses_dynamic_stack: false
    .vgpr_count:     107
    .vgpr_spill_count: 0
    .wavefront_size: 32
    .workgroup_processor_mode: 1
  - .args:
      - .offset:         0
        .size:           4
        .value_kind:     by_value
      - .offset:         4
        .size:           4
        .value_kind:     by_value
      - .offset:         8
        .size:           4
        .value_kind:     by_value
      - .offset:         12
        .size:           4
        .value_kind:     by_value
      - .offset:         16
        .size:           4
        .value_kind:     by_value
      - .offset:         20
        .size:           4
        .value_kind:     by_value
      - .address_space:  global
        .offset:         24
        .size:           8
        .value_kind:     global_buffer
      - .actual_access:  read_only
        .address_space:  global
        .offset:         32
        .size:           8
        .value_kind:     global_buffer
      - .actual_access:  read_only
        .address_space:  global
        .offset:         40
        .size:           8
        .value_kind:     global_buffer
      - .address_space:  global
        .offset:         48
        .size:           8
        .value_kind:     global_buffer
      - .offset:         56
        .size:           4
        .value_kind:     by_value
      - .offset:         60
        .size:           4
        .value_kind:     by_value
    .group_segment_fixed_size: 65536
    .kernarg_segment_align: 8
    .kernarg_segment_size: 64
    .language:       OpenCL C
    .language_version:
      - 2
      - 0
    .max_flat_workgroup_size: 1024
    .name:           _Z16wvSplitK_hf_sml_I6__halfLi64ELi1ELi16ELi8ELi4ELi4EEviiiiiiPKT_S3_S3_PS1_ii
    .private_segment_fixed_size: 0
    .sgpr_count:     30
    .sgpr_spill_count: 0
    .symbol:         _Z16wvSplitK_hf_sml_I6__halfLi64ELi1ELi16ELi8ELi4ELi4EEviiiiiiPKT_S3_S3_PS1_ii.kd
    .uniform_work_group_size: 1
    .uses_dynamic_stack: false
    .vgpr_count:     99
    .vgpr_spill_count: 0
    .wavefront_size: 32
    .workgroup_processor_mode: 1
  - .args:
      - .offset:         0
        .size:           4
        .value_kind:     by_value
      - .offset:         4
        .size:           4
        .value_kind:     by_value
      - .offset:         8
        .size:           4
        .value_kind:     by_value
      - .offset:         12
        .size:           4
        .value_kind:     by_value
      - .offset:         16
        .size:           4
        .value_kind:     by_value
      - .offset:         20
        .size:           4
        .value_kind:     by_value
      - .address_space:  global
        .offset:         24
        .size:           8
        .value_kind:     global_buffer
      - .actual_access:  read_only
        .address_space:  global
        .offset:         32
        .size:           8
        .value_kind:     global_buffer
      - .actual_access:  read_only
        .address_space:  global
        .offset:         40
        .size:           8
        .value_kind:     global_buffer
      - .address_space:  global
        .offset:         48
        .size:           8
        .value_kind:     global_buffer
      - .offset:         56
        .size:           4
        .value_kind:     by_value
      - .offset:         60
        .size:           4
        .value_kind:     by_value
    .group_segment_fixed_size: 65536
    .kernarg_segment_align: 8
    .kernarg_segment_size: 64
    .language:       OpenCL C
    .language_version:
      - 2
      - 0
    .max_flat_workgroup_size: 1024
    .name:           _Z12wvSplitK_hf_I6__halfLi64ELi1ELi16ELi8ELi4ELi4EEviiiiiiPKT_S3_S3_PS1_ii
    .private_segment_fixed_size: 0
    .sgpr_count:     34
    .sgpr_spill_count: 0
    .symbol:         _Z12wvSplitK_hf_I6__halfLi64ELi1ELi16ELi8ELi4ELi4EEviiiiiiPKT_S3_S3_PS1_ii.kd
    .uniform_work_group_size: 1
    .uses_dynamic_stack: false
    .vgpr_count:     107
    .vgpr_spill_count: 0
    .wavefront_size: 32
    .workgroup_processor_mode: 1
  - .args:
      - .offset:         0
        .size:           4
        .value_kind:     by_value
      - .offset:         4
        .size:           4
        .value_kind:     by_value
      - .offset:         8
        .size:           4
        .value_kind:     by_value
      - .offset:         12
        .size:           4
        .value_kind:     by_value
      - .offset:         16
        .size:           4
        .value_kind:     by_value
      - .offset:         20
        .size:           4
        .value_kind:     by_value
      - .address_space:  global
        .offset:         24
        .size:           8
        .value_kind:     global_buffer
      - .actual_access:  read_only
        .address_space:  global
        .offset:         32
        .size:           8
        .value_kind:     global_buffer
      - .actual_access:  read_only
        .address_space:  global
        .offset:         40
        .size:           8
        .value_kind:     global_buffer
      - .address_space:  global
        .offset:         48
        .size:           8
        .value_kind:     global_buffer
      - .offset:         56
        .size:           4
        .value_kind:     by_value
      - .offset:         60
        .size:           4
        .value_kind:     by_value
    .group_segment_fixed_size: 65536
    .kernarg_segment_align: 8
    .kernarg_segment_size: 64
    .language:       OpenCL C
    .language_version:
      - 2
      - 0
    .max_flat_workgroup_size: 1024
    .name:           _Z16wvSplitK_hf_big_I6__halfLi64ELi1ELi16ELi8ELi4ELi4EEviiiiiiPKT_S3_S3_PS1_ii
    .private_segment_fixed_size: 0
    .sgpr_count:     43
    .sgpr_spill_count: 0
    .symbol:         _Z16wvSplitK_hf_big_I6__halfLi64ELi1ELi16ELi8ELi4ELi4EEviiiiiiPKT_S3_S3_PS1_ii.kd
    .uniform_work_group_size: 1
    .uses_dynamic_stack: false
    .vgpr_count:     103
    .vgpr_spill_count: 0
    .wavefront_size: 32
    .workgroup_processor_mode: 1
  - .args:
      - .offset:         0
        .size:           4
        .value_kind:     by_value
      - .offset:         4
        .size:           4
        .value_kind:     by_value
      - .offset:         8
        .size:           4
        .value_kind:     by_value
      - .offset:         12
        .size:           4
        .value_kind:     by_value
      - .offset:         16
        .size:           4
        .value_kind:     by_value
      - .offset:         20
        .size:           4
        .value_kind:     by_value
      - .address_space:  global
        .offset:         24
        .size:           8
        .value_kind:     global_buffer
      - .actual_access:  read_only
        .address_space:  global
        .offset:         32
        .size:           8
        .value_kind:     global_buffer
      - .actual_access:  read_only
        .address_space:  global
        .offset:         40
        .size:           8
        .value_kind:     global_buffer
      - .address_space:  global
        .offset:         48
        .size:           8
        .value_kind:     global_buffer
      - .offset:         56
        .size:           4
        .value_kind:     by_value
      - .offset:         60
        .size:           4
        .value_kind:     by_value
    .group_segment_fixed_size: 65536
    .kernarg_segment_align: 8
    .kernarg_segment_size: 64
    .language:       OpenCL C
    .language_version:
      - 2
      - 0
    .max_flat_workgroup_size: 1024
    .name:           _Z16wvSplitK_hf_sml_I6__halfLi64ELi2ELi16ELi8ELi2ELi4EEviiiiiiPKT_S3_S3_PS1_ii
    .private_segment_fixed_size: 0
    .sgpr_count:     28
    .sgpr_spill_count: 0
    .symbol:         _Z16wvSplitK_hf_sml_I6__halfLi64ELi2ELi16ELi8ELi2ELi4EEviiiiiiPKT_S3_S3_PS1_ii.kd
    .uniform_work_group_size: 1
    .uses_dynamic_stack: false
    .vgpr_count:     71
    .vgpr_spill_count: 0
    .wavefront_size: 32
    .workgroup_processor_mode: 1
  - .args:
      - .offset:         0
        .size:           4
        .value_kind:     by_value
      - .offset:         4
        .size:           4
        .value_kind:     by_value
      - .offset:         8
        .size:           4
        .value_kind:     by_value
      - .offset:         12
        .size:           4
        .value_kind:     by_value
      - .offset:         16
        .size:           4
        .value_kind:     by_value
      - .offset:         20
        .size:           4
        .value_kind:     by_value
      - .address_space:  global
        .offset:         24
        .size:           8
        .value_kind:     global_buffer
      - .actual_access:  read_only
        .address_space:  global
        .offset:         32
        .size:           8
        .value_kind:     global_buffer
      - .actual_access:  read_only
        .address_space:  global
        .offset:         40
        .size:           8
        .value_kind:     global_buffer
      - .address_space:  global
        .offset:         48
        .size:           8
        .value_kind:     global_buffer
      - .offset:         56
        .size:           4
        .value_kind:     by_value
      - .offset:         60
        .size:           4
        .value_kind:     by_value
    .group_segment_fixed_size: 65536
    .kernarg_segment_align: 8
    .kernarg_segment_size: 64
    .language:       OpenCL C
    .language_version:
      - 2
      - 0
    .max_flat_workgroup_size: 1024
    .name:           _Z12wvSplitK_hf_I6__halfLi64ELi2ELi16ELi8ELi2ELi4EEviiiiiiPKT_S3_S3_PS1_ii
    .private_segment_fixed_size: 0
    .sgpr_count:     36
    .sgpr_spill_count: 0
    .symbol:         _Z12wvSplitK_hf_I6__halfLi64ELi2ELi16ELi8ELi2ELi4EEviiiiiiPKT_S3_S3_PS1_ii.kd
    .uniform_work_group_size: 1
    .uses_dynamic_stack: false
    .vgpr_count:     80
    .vgpr_spill_count: 0
    .wavefront_size: 32
    .workgroup_processor_mode: 1
  - .args:
      - .offset:         0
        .size:           4
        .value_kind:     by_value
      - .offset:         4
        .size:           4
        .value_kind:     by_value
      - .offset:         8
        .size:           4
        .value_kind:     by_value
      - .offset:         12
        .size:           4
        .value_kind:     by_value
      - .offset:         16
        .size:           4
        .value_kind:     by_value
      - .offset:         20
        .size:           4
        .value_kind:     by_value
      - .address_space:  global
        .offset:         24
        .size:           8
        .value_kind:     global_buffer
      - .actual_access:  read_only
        .address_space:  global
        .offset:         32
        .size:           8
        .value_kind:     global_buffer
      - .actual_access:  read_only
        .address_space:  global
        .offset:         40
        .size:           8
        .value_kind:     global_buffer
      - .address_space:  global
        .offset:         48
        .size:           8
        .value_kind:     global_buffer
      - .offset:         56
        .size:           4
        .value_kind:     by_value
      - .offset:         60
        .size:           4
        .value_kind:     by_value
    .group_segment_fixed_size: 65536
    .kernarg_segment_align: 8
    .kernarg_segment_size: 64
    .language:       OpenCL C
    .language_version:
      - 2
      - 0
    .max_flat_workgroup_size: 1024
    .name:           _Z16wvSplitK_hf_big_I6__halfLi64ELi2ELi16ELi8ELi2ELi4EEviiiiiiPKT_S3_S3_PS1_ii
    .private_segment_fixed_size: 0
    .sgpr_count:     45
    .sgpr_spill_count: 0
    .symbol:         _Z16wvSplitK_hf_big_I6__halfLi64ELi2ELi16ELi8ELi2ELi4EEviiiiiiPKT_S3_S3_PS1_ii.kd
    .uniform_work_group_size: 1
    .uses_dynamic_stack: false
    .vgpr_count:     77
    .vgpr_spill_count: 0
    .wavefront_size: 32
    .workgroup_processor_mode: 1
  - .args:
      - .offset:         0
        .size:           4
        .value_kind:     by_value
      - .offset:         4
        .size:           4
        .value_kind:     by_value
      - .offset:         8
        .size:           4
        .value_kind:     by_value
      - .offset:         12
        .size:           4
        .value_kind:     by_value
      - .offset:         16
        .size:           4
        .value_kind:     by_value
      - .offset:         20
        .size:           4
        .value_kind:     by_value
      - .address_space:  global
        .offset:         24
        .size:           8
        .value_kind:     global_buffer
      - .actual_access:  read_only
        .address_space:  global
        .offset:         32
        .size:           8
        .value_kind:     global_buffer
      - .actual_access:  read_only
        .address_space:  global
        .offset:         40
        .size:           8
        .value_kind:     global_buffer
      - .address_space:  global
        .offset:         48
        .size:           8
        .value_kind:     global_buffer
      - .offset:         56
        .size:           4
        .value_kind:     by_value
      - .offset:         60
        .size:           4
        .value_kind:     by_value
    .group_segment_fixed_size: 65536
    .kernarg_segment_align: 8
    .kernarg_segment_size: 64
    .language:       OpenCL C
    .language_version:
      - 2
      - 0
    .max_flat_workgroup_size: 1024
    .name:           _Z16wvSplitK_hf_sml_I6__halfLi64ELi3ELi16ELi8ELi2ELi4EEviiiiiiPKT_S3_S3_PS1_ii
    .private_segment_fixed_size: 0
    .sgpr_count:     28
    .sgpr_spill_count: 0
    .symbol:         _Z16wvSplitK_hf_sml_I6__halfLi64ELi3ELi16ELi8ELi2ELi4EEviiiiiiPKT_S3_S3_PS1_ii.kd
    .uniform_work_group_size: 1
    .uses_dynamic_stack: false
    .vgpr_count:     87
    .vgpr_spill_count: 0
    .wavefront_size: 32
    .workgroup_processor_mode: 1
  - .args:
      - .offset:         0
        .size:           4
        .value_kind:     by_value
      - .offset:         4
        .size:           4
        .value_kind:     by_value
      - .offset:         8
        .size:           4
        .value_kind:     by_value
      - .offset:         12
        .size:           4
        .value_kind:     by_value
      - .offset:         16
        .size:           4
        .value_kind:     by_value
      - .offset:         20
        .size:           4
        .value_kind:     by_value
      - .address_space:  global
        .offset:         24
        .size:           8
        .value_kind:     global_buffer
      - .actual_access:  read_only
        .address_space:  global
        .offset:         32
        .size:           8
        .value_kind:     global_buffer
      - .actual_access:  read_only
        .address_space:  global
        .offset:         40
        .size:           8
        .value_kind:     global_buffer
      - .address_space:  global
        .offset:         48
        .size:           8
        .value_kind:     global_buffer
      - .offset:         56
        .size:           4
        .value_kind:     by_value
      - .offset:         60
        .size:           4
        .value_kind:     by_value
    .group_segment_fixed_size: 65536
    .kernarg_segment_align: 8
    .kernarg_segment_size: 64
    .language:       OpenCL C
    .language_version:
      - 2
      - 0
    .max_flat_workgroup_size: 1024
    .name:           _Z12wvSplitK_hf_I6__halfLi64ELi3ELi16ELi8ELi2ELi4EEviiiiiiPKT_S3_S3_PS1_ii
    .private_segment_fixed_size: 0
    .sgpr_count:     37
    .sgpr_spill_count: 0
    .symbol:         _Z12wvSplitK_hf_I6__halfLi64ELi3ELi16ELi8ELi2ELi4EEviiiiiiPKT_S3_S3_PS1_ii.kd
    .uniform_work_group_size: 1
    .uses_dynamic_stack: false
    .vgpr_count:     96
    .vgpr_spill_count: 0
    .wavefront_size: 32
    .workgroup_processor_mode: 1
  - .args:
      - .offset:         0
        .size:           4
        .value_kind:     by_value
      - .offset:         4
        .size:           4
        .value_kind:     by_value
      - .offset:         8
        .size:           4
        .value_kind:     by_value
      - .offset:         12
        .size:           4
        .value_kind:     by_value
      - .offset:         16
        .size:           4
        .value_kind:     by_value
      - .offset:         20
        .size:           4
        .value_kind:     by_value
      - .address_space:  global
        .offset:         24
        .size:           8
        .value_kind:     global_buffer
      - .actual_access:  read_only
        .address_space:  global
        .offset:         32
        .size:           8
        .value_kind:     global_buffer
      - .actual_access:  read_only
        .address_space:  global
        .offset:         40
        .size:           8
        .value_kind:     global_buffer
      - .address_space:  global
        .offset:         48
        .size:           8
        .value_kind:     global_buffer
      - .offset:         56
        .size:           4
        .value_kind:     by_value
      - .offset:         60
        .size:           4
        .value_kind:     by_value
    .group_segment_fixed_size: 65536
    .kernarg_segment_align: 8
    .kernarg_segment_size: 64
    .language:       OpenCL C
    .language_version:
      - 2
      - 0
    .max_flat_workgroup_size: 1024
    .name:           _Z16wvSplitK_hf_big_I6__halfLi64ELi3ELi16ELi8ELi2ELi4EEviiiiiiPKT_S3_S3_PS1_ii
    .private_segment_fixed_size: 0
    .sgpr_count:     46
    .sgpr_spill_count: 0
    .symbol:         _Z16wvSplitK_hf_big_I6__halfLi64ELi3ELi16ELi8ELi2ELi4EEviiiiiiPKT_S3_S3_PS1_ii.kd
    .uniform_work_group_size: 1
    .uses_dynamic_stack: false
    .vgpr_count:     92
    .vgpr_spill_count: 0
    .wavefront_size: 32
    .workgroup_processor_mode: 1
  - .args:
      - .offset:         0
        .size:           4
        .value_kind:     by_value
      - .offset:         4
        .size:           4
        .value_kind:     by_value
      - .offset:         8
        .size:           4
        .value_kind:     by_value
      - .offset:         12
        .size:           4
        .value_kind:     by_value
      - .offset:         16
        .size:           4
        .value_kind:     by_value
      - .offset:         20
        .size:           4
        .value_kind:     by_value
      - .address_space:  global
        .offset:         24
        .size:           8
        .value_kind:     global_buffer
      - .actual_access:  read_only
        .address_space:  global
        .offset:         32
        .size:           8
        .value_kind:     global_buffer
      - .actual_access:  read_only
        .address_space:  global
        .offset:         40
        .size:           8
        .value_kind:     global_buffer
      - .address_space:  global
        .offset:         48
        .size:           8
        .value_kind:     global_buffer
      - .offset:         56
        .size:           4
        .value_kind:     by_value
      - .offset:         60
        .size:           4
        .value_kind:     by_value
    .group_segment_fixed_size: 65536
    .kernarg_segment_align: 8
    .kernarg_segment_size: 64
    .language:       OpenCL C
    .language_version:
      - 2
      - 0
    .max_flat_workgroup_size: 1024
    .name:           _Z16wvSplitK_hf_sml_I6__halfLi64ELi4ELi16ELi8ELi1ELi4EEviiiiiiPKT_S3_S3_PS1_ii
    .private_segment_fixed_size: 0
    .sgpr_count:     27
    .sgpr_spill_count: 0
    .symbol:         _Z16wvSplitK_hf_sml_I6__halfLi64ELi4ELi16ELi8ELi1ELi4EEviiiiiiPKT_S3_S3_PS1_ii.kd
    .uniform_work_group_size: 1
    .uses_dynamic_stack: false
    .vgpr_count:     69
    .vgpr_spill_count: 0
    .wavefront_size: 32
    .workgroup_processor_mode: 1
  - .args:
      - .offset:         0
        .size:           4
        .value_kind:     by_value
      - .offset:         4
        .size:           4
        .value_kind:     by_value
      - .offset:         8
        .size:           4
        .value_kind:     by_value
      - .offset:         12
        .size:           4
        .value_kind:     by_value
      - .offset:         16
        .size:           4
        .value_kind:     by_value
      - .offset:         20
        .size:           4
        .value_kind:     by_value
      - .address_space:  global
        .offset:         24
        .size:           8
        .value_kind:     global_buffer
      - .actual_access:  read_only
        .address_space:  global
        .offset:         32
        .size:           8
        .value_kind:     global_buffer
      - .actual_access:  read_only
        .address_space:  global
        .offset:         40
        .size:           8
        .value_kind:     global_buffer
      - .address_space:  global
        .offset:         48
        .size:           8
        .value_kind:     global_buffer
      - .offset:         56
        .size:           4
        .value_kind:     by_value
      - .offset:         60
        .size:           4
        .value_kind:     by_value
    .group_segment_fixed_size: 65536
    .kernarg_segment_align: 8
    .kernarg_segment_size: 64
    .language:       OpenCL C
    .language_version:
      - 2
      - 0
    .max_flat_workgroup_size: 1024
    .name:           _Z12wvSplitK_hf_I6__halfLi64ELi4ELi16ELi8ELi1ELi4EEviiiiiiPKT_S3_S3_PS1_ii
    .private_segment_fixed_size: 0
    .sgpr_count:     37
    .sgpr_spill_count: 0
    .symbol:         _Z12wvSplitK_hf_I6__halfLi64ELi4ELi16ELi8ELi1ELi4EEviiiiiiPKT_S3_S3_PS1_ii.kd
    .uniform_work_group_size: 1
    .uses_dynamic_stack: false
    .vgpr_count:     79
    .vgpr_spill_count: 0
    .wavefront_size: 32
    .workgroup_processor_mode: 1
  - .args:
      - .offset:         0
        .size:           4
        .value_kind:     by_value
      - .offset:         4
        .size:           4
        .value_kind:     by_value
      - .offset:         8
        .size:           4
        .value_kind:     by_value
      - .offset:         12
        .size:           4
        .value_kind:     by_value
      - .offset:         16
        .size:           4
        .value_kind:     by_value
      - .offset:         20
        .size:           4
        .value_kind:     by_value
      - .address_space:  global
        .offset:         24
        .size:           8
        .value_kind:     global_buffer
      - .actual_access:  read_only
        .address_space:  global
        .offset:         32
        .size:           8
        .value_kind:     global_buffer
      - .actual_access:  read_only
        .address_space:  global
        .offset:         40
        .size:           8
        .value_kind:     global_buffer
      - .address_space:  global
        .offset:         48
        .size:           8
        .value_kind:     global_buffer
      - .offset:         56
        .size:           4
        .value_kind:     by_value
      - .offset:         60
        .size:           4
        .value_kind:     by_value
    .group_segment_fixed_size: 65536
    .kernarg_segment_align: 8
    .kernarg_segment_size: 64
    .language:       OpenCL C
    .language_version:
      - 2
      - 0
    .max_flat_workgroup_size: 1024
    .name:           _Z16wvSplitK_hf_big_I6__halfLi64ELi4ELi16ELi8ELi1ELi4EEviiiiiiPKT_S3_S3_PS1_ii
    .private_segment_fixed_size: 0
    .sgpr_count:     46
    .sgpr_spill_count: 0
    .symbol:         _Z16wvSplitK_hf_big_I6__halfLi64ELi4ELi16ELi8ELi1ELi4EEviiiiiiPKT_S3_S3_PS1_ii.kd
    .uniform_work_group_size: 1
    .uses_dynamic_stack: false
    .vgpr_count:     79
    .vgpr_spill_count: 0
    .wavefront_size: 32
    .workgroup_processor_mode: 1
  - .args:
      - .offset:         0
        .size:           4
        .value_kind:     by_value
      - .offset:         4
        .size:           4
        .value_kind:     by_value
      - .offset:         8
        .size:           4
        .value_kind:     by_value
      - .offset:         12
        .size:           4
        .value_kind:     by_value
      - .offset:         16
        .size:           4
        .value_kind:     by_value
      - .offset:         20
        .size:           4
        .value_kind:     by_value
      - .address_space:  global
        .offset:         24
        .size:           8
        .value_kind:     global_buffer
      - .actual_access:  read_only
        .address_space:  global
        .offset:         32
        .size:           8
        .value_kind:     global_buffer
      - .actual_access:  read_only
        .address_space:  global
        .offset:         40
        .size:           8
        .value_kind:     global_buffer
      - .address_space:  global
        .offset:         48
        .size:           8
        .value_kind:     global_buffer
      - .offset:         56
        .size:           4
        .value_kind:     by_value
      - .offset:         60
        .size:           4
        .value_kind:     by_value
    .group_segment_fixed_size: 65536
    .kernarg_segment_align: 8
    .kernarg_segment_size: 64
    .language:       OpenCL C
    .language_version:
      - 2
      - 0
    .max_flat_workgroup_size: 1024
    .name:           _Z16wvSplitK_hf_sml_I6__halfLi64ELi4ELi16ELi8ELi2ELi4EEviiiiiiPKT_S3_S3_PS1_ii
    .private_segment_fixed_size: 0
    .sgpr_count:     28
    .sgpr_spill_count: 0
    .symbol:         _Z16wvSplitK_hf_sml_I6__halfLi64ELi4ELi16ELi8ELi2ELi4EEviiiiiiPKT_S3_S3_PS1_ii.kd
    .uniform_work_group_size: 1
    .uses_dynamic_stack: false
    .vgpr_count:     99
    .vgpr_spill_count: 0
    .wavefront_size: 32
    .workgroup_processor_mode: 1
  - .args:
      - .offset:         0
        .size:           4
        .value_kind:     by_value
      - .offset:         4
        .size:           4
        .value_kind:     by_value
      - .offset:         8
        .size:           4
        .value_kind:     by_value
      - .offset:         12
        .size:           4
        .value_kind:     by_value
      - .offset:         16
        .size:           4
        .value_kind:     by_value
      - .offset:         20
        .size:           4
        .value_kind:     by_value
      - .address_space:  global
        .offset:         24
        .size:           8
        .value_kind:     global_buffer
      - .actual_access:  read_only
        .address_space:  global
        .offset:         32
        .size:           8
        .value_kind:     global_buffer
      - .actual_access:  read_only
        .address_space:  global
        .offset:         40
        .size:           8
        .value_kind:     global_buffer
      - .address_space:  global
        .offset:         48
        .size:           8
        .value_kind:     global_buffer
      - .offset:         56
        .size:           4
        .value_kind:     by_value
      - .offset:         60
        .size:           4
        .value_kind:     by_value
    .group_segment_fixed_size: 65536
    .kernarg_segment_align: 8
    .kernarg_segment_size: 64
    .language:       OpenCL C
    .language_version:
      - 2
      - 0
    .max_flat_workgroup_size: 1024
    .name:           _Z12wvSplitK_hf_I6__halfLi64ELi4ELi16ELi8ELi2ELi4EEviiiiiiPKT_S3_S3_PS1_ii
    .private_segment_fixed_size: 0
    .sgpr_count:     37
    .sgpr_spill_count: 0
    .symbol:         _Z12wvSplitK_hf_I6__halfLi64ELi4ELi16ELi8ELi2ELi4EEviiiiiiPKT_S3_S3_PS1_ii.kd
    .uniform_work_group_size: 1
    .uses_dynamic_stack: false
    .vgpr_count:     112
    .vgpr_spill_count: 0
    .wavefront_size: 32
    .workgroup_processor_mode: 1
  - .args:
      - .offset:         0
        .size:           4
        .value_kind:     by_value
      - .offset:         4
        .size:           4
        .value_kind:     by_value
      - .offset:         8
        .size:           4
        .value_kind:     by_value
      - .offset:         12
        .size:           4
        .value_kind:     by_value
      - .offset:         16
        .size:           4
        .value_kind:     by_value
      - .offset:         20
        .size:           4
        .value_kind:     by_value
      - .address_space:  global
        .offset:         24
        .size:           8
        .value_kind:     global_buffer
      - .actual_access:  read_only
        .address_space:  global
        .offset:         32
        .size:           8
        .value_kind:     global_buffer
      - .actual_access:  read_only
        .address_space:  global
        .offset:         40
        .size:           8
        .value_kind:     global_buffer
      - .address_space:  global
        .offset:         48
        .size:           8
        .value_kind:     global_buffer
      - .offset:         56
        .size:           4
        .value_kind:     by_value
      - .offset:         60
        .size:           4
        .value_kind:     by_value
    .group_segment_fixed_size: 65536
    .kernarg_segment_align: 8
    .kernarg_segment_size: 64
    .language:       OpenCL C
    .language_version:
      - 2
      - 0
    .max_flat_workgroup_size: 1024
    .name:           _Z16wvSplitK_hf_big_I6__halfLi64ELi4ELi16ELi8ELi2ELi4EEviiiiiiPKT_S3_S3_PS1_ii
    .private_segment_fixed_size: 0
    .sgpr_count:     46
    .sgpr_spill_count: 0
    .symbol:         _Z16wvSplitK_hf_big_I6__halfLi64ELi4ELi16ELi8ELi2ELi4EEviiiiiiPKT_S3_S3_PS1_ii.kd
    .uniform_work_group_size: 1
    .uses_dynamic_stack: false
    .vgpr_count:     107
    .vgpr_spill_count: 0
    .wavefront_size: 32
    .workgroup_processor_mode: 1
  - .args:
      - .offset:         0
        .size:           4
        .value_kind:     by_value
      - .offset:         4
        .size:           4
        .value_kind:     by_value
      - .offset:         8
        .size:           4
        .value_kind:     by_value
      - .offset:         12
        .size:           4
        .value_kind:     by_value
      - .offset:         16
        .size:           4
        .value_kind:     by_value
      - .offset:         20
        .size:           4
        .value_kind:     by_value
      - .address_space:  global
        .offset:         24
        .size:           8
        .value_kind:     global_buffer
      - .actual_access:  read_only
        .address_space:  global
        .offset:         32
        .size:           8
        .value_kind:     global_buffer
      - .actual_access:  read_only
        .address_space:  global
        .offset:         40
        .size:           8
        .value_kind:     global_buffer
      - .address_space:  global
        .offset:         48
        .size:           8
        .value_kind:     global_buffer
      - .offset:         56
        .size:           4
        .value_kind:     by_value
      - .offset:         60
        .size:           4
        .value_kind:     by_value
    .group_segment_fixed_size: 65536
    .kernarg_segment_align: 8
    .kernarg_segment_size: 64
    .language:       OpenCL C
    .language_version:
      - 2
      - 0
    .max_flat_workgroup_size: 512
    .name:           _Z16wvSplitK_hf_sml_I6__halfLi32ELi1ELi16ELi8ELi4ELi5EEviiiiiiPKT_S3_S3_PS1_ii
    .private_segment_fixed_size: 0
    .sgpr_count:     32
    .sgpr_spill_count: 0
    .symbol:         _Z16wvSplitK_hf_sml_I6__halfLi32ELi1ELi16ELi8ELi4ELi5EEviiiiiiPKT_S3_S3_PS1_ii.kd
    .uniform_work_group_size: 1
    .uses_dynamic_stack: false
    .vgpr_count:     117
    .vgpr_spill_count: 0
    .wavefront_size: 32
    .workgroup_processor_mode: 1
  - .args:
      - .offset:         0
        .size:           4
        .value_kind:     by_value
      - .offset:         4
        .size:           4
        .value_kind:     by_value
      - .offset:         8
        .size:           4
        .value_kind:     by_value
      - .offset:         12
        .size:           4
        .value_kind:     by_value
      - .offset:         16
        .size:           4
        .value_kind:     by_value
      - .offset:         20
        .size:           4
        .value_kind:     by_value
      - .address_space:  global
        .offset:         24
        .size:           8
        .value_kind:     global_buffer
      - .actual_access:  read_only
        .address_space:  global
        .offset:         32
        .size:           8
        .value_kind:     global_buffer
      - .actual_access:  read_only
        .address_space:  global
        .offset:         40
        .size:           8
        .value_kind:     global_buffer
      - .address_space:  global
        .offset:         48
        .size:           8
        .value_kind:     global_buffer
      - .offset:         56
        .size:           4
        .value_kind:     by_value
      - .offset:         60
        .size:           4
        .value_kind:     by_value
    .group_segment_fixed_size: 65536
    .kernarg_segment_align: 8
    .kernarg_segment_size: 64
    .language:       OpenCL C
    .language_version:
      - 2
      - 0
    .max_flat_workgroup_size: 512
    .name:           _Z12wvSplitK_hf_I6__halfLi32ELi1ELi16ELi8ELi4ELi5EEviiiiiiPKT_S3_S3_PS1_ii
    .private_segment_fixed_size: 0
    .sgpr_count:     37
    .sgpr_spill_count: 0
    .symbol:         _Z12wvSplitK_hf_I6__halfLi32ELi1ELi16ELi8ELi4ELi5EEviiiiiiPKT_S3_S3_PS1_ii.kd
    .uniform_work_group_size: 1
    .uses_dynamic_stack: false
    .vgpr_count:     127
    .vgpr_spill_count: 0
    .wavefront_size: 32
    .workgroup_processor_mode: 1
  - .args:
      - .offset:         0
        .size:           4
        .value_kind:     by_value
      - .offset:         4
        .size:           4
        .value_kind:     by_value
      - .offset:         8
        .size:           4
        .value_kind:     by_value
      - .offset:         12
        .size:           4
        .value_kind:     by_value
      - .offset:         16
        .size:           4
        .value_kind:     by_value
      - .offset:         20
        .size:           4
        .value_kind:     by_value
      - .address_space:  global
        .offset:         24
        .size:           8
        .value_kind:     global_buffer
      - .actual_access:  read_only
        .address_space:  global
        .offset:         32
        .size:           8
        .value_kind:     global_buffer
      - .actual_access:  read_only
        .address_space:  global
        .offset:         40
        .size:           8
        .value_kind:     global_buffer
      - .address_space:  global
        .offset:         48
        .size:           8
        .value_kind:     global_buffer
      - .offset:         56
        .size:           4
        .value_kind:     by_value
      - .offset:         60
        .size:           4
        .value_kind:     by_value
    .group_segment_fixed_size: 65536
    .kernarg_segment_align: 8
    .kernarg_segment_size: 64
    .language:       OpenCL C
    .language_version:
      - 2
      - 0
    .max_flat_workgroup_size: 512
    .name:           _Z16wvSplitK_hf_big_I6__halfLi32ELi1ELi16ELi8ELi4ELi5EEviiiiiiPKT_S3_S3_PS1_ii
    .private_segment_fixed_size: 0
    .sgpr_count:     45
    .sgpr_spill_count: 0
    .symbol:         _Z16wvSplitK_hf_big_I6__halfLi32ELi1ELi16ELi8ELi4ELi5EEviiiiiiPKT_S3_S3_PS1_ii.kd
    .uniform_work_group_size: 1
    .uses_dynamic_stack: false
    .vgpr_count:     122
    .vgpr_spill_count: 0
    .wavefront_size: 32
    .workgroup_processor_mode: 1
  - .args:
      - .offset:         0
        .size:           4
        .value_kind:     by_value
      - .offset:         4
        .size:           4
        .value_kind:     by_value
      - .offset:         8
        .size:           4
        .value_kind:     by_value
      - .offset:         12
        .size:           4
        .value_kind:     by_value
      - .offset:         16
        .size:           4
        .value_kind:     by_value
      - .offset:         20
        .size:           4
        .value_kind:     by_value
      - .address_space:  global
        .offset:         24
        .size:           8
        .value_kind:     global_buffer
      - .actual_access:  read_only
        .address_space:  global
        .offset:         32
        .size:           8
        .value_kind:     global_buffer
      - .actual_access:  read_only
        .address_space:  global
        .offset:         40
        .size:           8
        .value_kind:     global_buffer
      - .address_space:  global
        .offset:         48
        .size:           8
        .value_kind:     global_buffer
      - .offset:         56
        .size:           4
        .value_kind:     by_value
      - .offset:         60
        .size:           4
        .value_kind:     by_value
    .group_segment_fixed_size: 65536
    .kernarg_segment_align: 8
    .kernarg_segment_size: 64
    .language:       OpenCL C
    .language_version:
      - 2
      - 0
    .max_flat_workgroup_size: 512
    .name:           _Z16wvSplitK_hf_sml_I6__halfLi32ELi2ELi16ELi8ELi2ELi5EEviiiiiiPKT_S3_S3_PS1_ii
    .private_segment_fixed_size: 0
    .sgpr_count:     30
    .sgpr_spill_count: 0
    .symbol:         _Z16wvSplitK_hf_sml_I6__halfLi32ELi2ELi16ELi8ELi2ELi5EEviiiiiiPKT_S3_S3_PS1_ii.kd
    .uniform_work_group_size: 1
    .uses_dynamic_stack: false
    .vgpr_count:     82
    .vgpr_spill_count: 0
    .wavefront_size: 32
    .workgroup_processor_mode: 1
  - .args:
      - .offset:         0
        .size:           4
        .value_kind:     by_value
      - .offset:         4
        .size:           4
        .value_kind:     by_value
      - .offset:         8
        .size:           4
        .value_kind:     by_value
      - .offset:         12
        .size:           4
        .value_kind:     by_value
      - .offset:         16
        .size:           4
        .value_kind:     by_value
      - .offset:         20
        .size:           4
        .value_kind:     by_value
      - .address_space:  global
        .offset:         24
        .size:           8
        .value_kind:     global_buffer
      - .actual_access:  read_only
        .address_space:  global
        .offset:         32
        .size:           8
        .value_kind:     global_buffer
      - .actual_access:  read_only
        .address_space:  global
        .offset:         40
        .size:           8
        .value_kind:     global_buffer
      - .address_space:  global
        .offset:         48
        .size:           8
        .value_kind:     global_buffer
      - .offset:         56
        .size:           4
        .value_kind:     by_value
      - .offset:         60
        .size:           4
        .value_kind:     by_value
    .group_segment_fixed_size: 65536
    .kernarg_segment_align: 8
    .kernarg_segment_size: 64
    .language:       OpenCL C
    .language_version:
      - 2
      - 0
    .max_flat_workgroup_size: 512
    .name:           _Z12wvSplitK_hf_I6__halfLi32ELi2ELi16ELi8ELi2ELi5EEviiiiiiPKT_S3_S3_PS1_ii
    .private_segment_fixed_size: 0
    .sgpr_count:     38
    .sgpr_spill_count: 0
    .symbol:         _Z12wvSplitK_hf_I6__halfLi32ELi2ELi16ELi8ELi2ELi5EEviiiiiiPKT_S3_S3_PS1_ii.kd
    .uniform_work_group_size: 1
    .uses_dynamic_stack: false
    .vgpr_count:     93
    .vgpr_spill_count: 0
    .wavefront_size: 32
    .workgroup_processor_mode: 1
  - .args:
      - .offset:         0
        .size:           4
        .value_kind:     by_value
      - .offset:         4
        .size:           4
        .value_kind:     by_value
      - .offset:         8
        .size:           4
        .value_kind:     by_value
      - .offset:         12
        .size:           4
        .value_kind:     by_value
      - .offset:         16
        .size:           4
        .value_kind:     by_value
      - .offset:         20
        .size:           4
        .value_kind:     by_value
      - .address_space:  global
        .offset:         24
        .size:           8
        .value_kind:     global_buffer
      - .actual_access:  read_only
        .address_space:  global
        .offset:         32
        .size:           8
        .value_kind:     global_buffer
      - .actual_access:  read_only
        .address_space:  global
        .offset:         40
        .size:           8
        .value_kind:     global_buffer
      - .address_space:  global
        .offset:         48
        .size:           8
        .value_kind:     global_buffer
      - .offset:         56
        .size:           4
        .value_kind:     by_value
      - .offset:         60
        .size:           4
        .value_kind:     by_value
    .group_segment_fixed_size: 65536
    .kernarg_segment_align: 8
    .kernarg_segment_size: 64
    .language:       OpenCL C
    .language_version:
      - 2
      - 0
    .max_flat_workgroup_size: 512
    .name:           _Z16wvSplitK_hf_big_I6__halfLi32ELi2ELi16ELi8ELi2ELi5EEviiiiiiPKT_S3_S3_PS1_ii
    .private_segment_fixed_size: 0
    .sgpr_count:     47
    .sgpr_spill_count: 0
    .symbol:         _Z16wvSplitK_hf_big_I6__halfLi32ELi2ELi16ELi8ELi2ELi5EEviiiiiiPKT_S3_S3_PS1_ii.kd
    .uniform_work_group_size: 1
    .uses_dynamic_stack: false
    .vgpr_count:     88
    .vgpr_spill_count: 0
    .wavefront_size: 32
    .workgroup_processor_mode: 1
  - .args:
      - .offset:         0
        .size:           4
        .value_kind:     by_value
      - .offset:         4
        .size:           4
        .value_kind:     by_value
      - .offset:         8
        .size:           4
        .value_kind:     by_value
      - .offset:         12
        .size:           4
        .value_kind:     by_value
      - .offset:         16
        .size:           4
        .value_kind:     by_value
      - .offset:         20
        .size:           4
        .value_kind:     by_value
      - .address_space:  global
        .offset:         24
        .size:           8
        .value_kind:     global_buffer
      - .actual_access:  read_only
        .address_space:  global
        .offset:         32
        .size:           8
        .value_kind:     global_buffer
      - .actual_access:  read_only
        .address_space:  global
        .offset:         40
        .size:           8
        .value_kind:     global_buffer
      - .address_space:  global
        .offset:         48
        .size:           8
        .value_kind:     global_buffer
      - .offset:         56
        .size:           4
        .value_kind:     by_value
      - .offset:         60
        .size:           4
        .value_kind:     by_value
    .group_segment_fixed_size: 65536
    .kernarg_segment_align: 8
    .kernarg_segment_size: 64
    .language:       OpenCL C
    .language_version:
      - 2
      - 0
    .max_flat_workgroup_size: 512
    .name:           _Z16wvSplitK_hf_sml_I6__halfLi32ELi3ELi16ELi8ELi2ELi5EEviiiiiiPKT_S3_S3_PS1_ii
    .private_segment_fixed_size: 0
    .sgpr_count:     30
    .sgpr_spill_count: 0
    .symbol:         _Z16wvSplitK_hf_sml_I6__halfLi32ELi3ELi16ELi8ELi2ELi5EEviiiiiiPKT_S3_S3_PS1_ii.kd
    .uniform_work_group_size: 1
    .uses_dynamic_stack: false
    .vgpr_count:     99
    .vgpr_spill_count: 0
    .wavefront_size: 32
    .workgroup_processor_mode: 1
  - .args:
      - .offset:         0
        .size:           4
        .value_kind:     by_value
      - .offset:         4
        .size:           4
        .value_kind:     by_value
      - .offset:         8
        .size:           4
        .value_kind:     by_value
      - .offset:         12
        .size:           4
        .value_kind:     by_value
      - .offset:         16
        .size:           4
        .value_kind:     by_value
      - .offset:         20
        .size:           4
        .value_kind:     by_value
      - .address_space:  global
        .offset:         24
        .size:           8
        .value_kind:     global_buffer
      - .actual_access:  read_only
        .address_space:  global
        .offset:         32
        .size:           8
        .value_kind:     global_buffer
      - .actual_access:  read_only
        .address_space:  global
        .offset:         40
        .size:           8
        .value_kind:     global_buffer
      - .address_space:  global
        .offset:         48
        .size:           8
        .value_kind:     global_buffer
      - .offset:         56
        .size:           4
        .value_kind:     by_value
      - .offset:         60
        .size:           4
        .value_kind:     by_value
    .group_segment_fixed_size: 65536
    .kernarg_segment_align: 8
    .kernarg_segment_size: 64
    .language:       OpenCL C
    .language_version:
      - 2
      - 0
    .max_flat_workgroup_size: 512
    .name:           _Z12wvSplitK_hf_I6__halfLi32ELi3ELi16ELi8ELi2ELi5EEviiiiiiPKT_S3_S3_PS1_ii
    .private_segment_fixed_size: 0
    .sgpr_count:     39
    .sgpr_spill_count: 0
    .symbol:         _Z12wvSplitK_hf_I6__halfLi32ELi3ELi16ELi8ELi2ELi5EEviiiiiiPKT_S3_S3_PS1_ii.kd
    .uniform_work_group_size: 1
    .uses_dynamic_stack: false
    .vgpr_count:     110
    .vgpr_spill_count: 0
    .wavefront_size: 32
    .workgroup_processor_mode: 1
  - .args:
      - .offset:         0
        .size:           4
        .value_kind:     by_value
      - .offset:         4
        .size:           4
        .value_kind:     by_value
      - .offset:         8
        .size:           4
        .value_kind:     by_value
      - .offset:         12
        .size:           4
        .value_kind:     by_value
      - .offset:         16
        .size:           4
        .value_kind:     by_value
      - .offset:         20
        .size:           4
        .value_kind:     by_value
      - .address_space:  global
        .offset:         24
        .size:           8
        .value_kind:     global_buffer
      - .actual_access:  read_only
        .address_space:  global
        .offset:         32
        .size:           8
        .value_kind:     global_buffer
      - .actual_access:  read_only
        .address_space:  global
        .offset:         40
        .size:           8
        .value_kind:     global_buffer
      - .address_space:  global
        .offset:         48
        .size:           8
        .value_kind:     global_buffer
      - .offset:         56
        .size:           4
        .value_kind:     by_value
      - .offset:         60
        .size:           4
        .value_kind:     by_value
    .group_segment_fixed_size: 65536
    .kernarg_segment_align: 8
    .kernarg_segment_size: 64
    .language:       OpenCL C
    .language_version:
      - 2
      - 0
    .max_flat_workgroup_size: 512
    .name:           _Z16wvSplitK_hf_big_I6__halfLi32ELi3ELi16ELi8ELi2ELi5EEviiiiiiPKT_S3_S3_PS1_ii
    .private_segment_fixed_size: 0
    .sgpr_count:     48
    .sgpr_spill_count: 0
    .symbol:         _Z16wvSplitK_hf_big_I6__halfLi32ELi3ELi16ELi8ELi2ELi5EEviiiiiiPKT_S3_S3_PS1_ii.kd
    .uniform_work_group_size: 1
    .uses_dynamic_stack: false
    .vgpr_count:     104
    .vgpr_spill_count: 0
    .wavefront_size: 32
    .workgroup_processor_mode: 1
  - .args:
      - .offset:         0
        .size:           4
        .value_kind:     by_value
      - .offset:         4
        .size:           4
        .value_kind:     by_value
      - .offset:         8
        .size:           4
        .value_kind:     by_value
      - .offset:         12
        .size:           4
        .value_kind:     by_value
      - .offset:         16
        .size:           4
        .value_kind:     by_value
      - .offset:         20
        .size:           4
        .value_kind:     by_value
      - .address_space:  global
        .offset:         24
        .size:           8
        .value_kind:     global_buffer
      - .actual_access:  read_only
        .address_space:  global
        .offset:         32
        .size:           8
        .value_kind:     global_buffer
      - .actual_access:  read_only
        .address_space:  global
        .offset:         40
        .size:           8
        .value_kind:     global_buffer
      - .address_space:  global
        .offset:         48
        .size:           8
        .value_kind:     global_buffer
      - .offset:         56
        .size:           4
        .value_kind:     by_value
      - .offset:         60
        .size:           4
        .value_kind:     by_value
    .group_segment_fixed_size: 65536
    .kernarg_segment_align: 8
    .kernarg_segment_size: 64
    .language:       OpenCL C
    .language_version:
      - 2
      - 0
    .max_flat_workgroup_size: 512
    .name:           _Z16wvSplitK_hf_sml_I6__halfLi32ELi4ELi16ELi8ELi1ELi5EEviiiiiiPKT_S3_S3_PS1_ii
    .private_segment_fixed_size: 0
    .sgpr_count:     29
    .sgpr_spill_count: 0
    .symbol:         _Z16wvSplitK_hf_sml_I6__halfLi32ELi4ELi16ELi8ELi1ELi5EEviiiiiiPKT_S3_S3_PS1_ii.kd
    .uniform_work_group_size: 1
    .uses_dynamic_stack: false
    .vgpr_count:     86
    .vgpr_spill_count: 0
    .wavefront_size: 32
    .workgroup_processor_mode: 1
  - .args:
      - .offset:         0
        .size:           4
        .value_kind:     by_value
      - .offset:         4
        .size:           4
        .value_kind:     by_value
      - .offset:         8
        .size:           4
        .value_kind:     by_value
      - .offset:         12
        .size:           4
        .value_kind:     by_value
      - .offset:         16
        .size:           4
        .value_kind:     by_value
      - .offset:         20
        .size:           4
        .value_kind:     by_value
      - .address_space:  global
        .offset:         24
        .size:           8
        .value_kind:     global_buffer
      - .actual_access:  read_only
        .address_space:  global
        .offset:         32
        .size:           8
        .value_kind:     global_buffer
      - .actual_access:  read_only
        .address_space:  global
        .offset:         40
        .size:           8
        .value_kind:     global_buffer
      - .address_space:  global
        .offset:         48
        .size:           8
        .value_kind:     global_buffer
      - .offset:         56
        .size:           4
        .value_kind:     by_value
      - .offset:         60
        .size:           4
        .value_kind:     by_value
    .group_segment_fixed_size: 65536
    .kernarg_segment_align: 8
    .kernarg_segment_size: 64
    .language:       OpenCL C
    .language_version:
      - 2
      - 0
    .max_flat_workgroup_size: 512
    .name:           _Z12wvSplitK_hf_I6__halfLi32ELi4ELi16ELi8ELi1ELi5EEviiiiiiPKT_S3_S3_PS1_ii
    .private_segment_fixed_size: 0
    .sgpr_count:     39
    .sgpr_spill_count: 0
    .symbol:         _Z12wvSplitK_hf_I6__halfLi32ELi4ELi16ELi8ELi1ELi5EEviiiiiiPKT_S3_S3_PS1_ii.kd
    .uniform_work_group_size: 1
    .uses_dynamic_stack: false
    .vgpr_count:     98
    .vgpr_spill_count: 0
    .wavefront_size: 32
    .workgroup_processor_mode: 1
  - .args:
      - .offset:         0
        .size:           4
        .value_kind:     by_value
      - .offset:         4
        .size:           4
        .value_kind:     by_value
      - .offset:         8
        .size:           4
        .value_kind:     by_value
      - .offset:         12
        .size:           4
        .value_kind:     by_value
      - .offset:         16
        .size:           4
        .value_kind:     by_value
      - .offset:         20
        .size:           4
        .value_kind:     by_value
      - .address_space:  global
        .offset:         24
        .size:           8
        .value_kind:     global_buffer
      - .actual_access:  read_only
        .address_space:  global
        .offset:         32
        .size:           8
        .value_kind:     global_buffer
      - .actual_access:  read_only
        .address_space:  global
        .offset:         40
        .size:           8
        .value_kind:     global_buffer
      - .address_space:  global
        .offset:         48
        .size:           8
        .value_kind:     global_buffer
      - .offset:         56
        .size:           4
        .value_kind:     by_value
      - .offset:         60
        .size:           4
        .value_kind:     by_value
    .group_segment_fixed_size: 65536
    .kernarg_segment_align: 8
    .kernarg_segment_size: 64
    .language:       OpenCL C
    .language_version:
      - 2
      - 0
    .max_flat_workgroup_size: 512
    .name:           _Z16wvSplitK_hf_big_I6__halfLi32ELi4ELi16ELi8ELi1ELi5EEviiiiiiPKT_S3_S3_PS1_ii
    .private_segment_fixed_size: 0
    .sgpr_count:     48
    .sgpr_spill_count: 0
    .symbol:         _Z16wvSplitK_hf_big_I6__halfLi32ELi4ELi16ELi8ELi1ELi5EEviiiiiiPKT_S3_S3_PS1_ii.kd
    .uniform_work_group_size: 1
    .uses_dynamic_stack: false
    .vgpr_count:     96
    .vgpr_spill_count: 0
    .wavefront_size: 32
    .workgroup_processor_mode: 1
  - .args:
      - .offset:         0
        .size:           4
        .value_kind:     by_value
      - .offset:         4
        .size:           4
        .value_kind:     by_value
      - .offset:         8
        .size:           4
        .value_kind:     by_value
      - .offset:         12
        .size:           4
        .value_kind:     by_value
      - .offset:         16
        .size:           4
        .value_kind:     by_value
      - .offset:         20
        .size:           4
        .value_kind:     by_value
      - .address_space:  global
        .offset:         24
        .size:           8
        .value_kind:     global_buffer
      - .actual_access:  read_only
        .address_space:  global
        .offset:         32
        .size:           8
        .value_kind:     global_buffer
      - .actual_access:  read_only
        .address_space:  global
        .offset:         40
        .size:           8
        .value_kind:     global_buffer
      - .address_space:  global
        .offset:         48
        .size:           8
        .value_kind:     global_buffer
      - .offset:         56
        .size:           4
        .value_kind:     by_value
      - .offset:         60
        .size:           4
        .value_kind:     by_value
    .group_segment_fixed_size: 65536
    .kernarg_segment_align: 8
    .kernarg_segment_size: 64
    .language:       OpenCL C
    .language_version:
      - 2
      - 0
    .max_flat_workgroup_size: 512
    .name:           _Z16wvSplitK_hf_sml_I6__halfLi32ELi4ELi16ELi8ELi2ELi5EEviiiiiiPKT_S3_S3_PS1_ii
    .private_segment_fixed_size: 0
    .sgpr_count:     30
    .sgpr_spill_count: 0
    .symbol:         _Z16wvSplitK_hf_sml_I6__halfLi32ELi4ELi16ELi8ELi2ELi5EEviiiiiiPKT_S3_S3_PS1_ii.kd
    .uniform_work_group_size: 1
    .uses_dynamic_stack: false
    .vgpr_count:     112
    .vgpr_spill_count: 0
    .wavefront_size: 32
    .workgroup_processor_mode: 1
  - .args:
      - .offset:         0
        .size:           4
        .value_kind:     by_value
      - .offset:         4
        .size:           4
        .value_kind:     by_value
      - .offset:         8
        .size:           4
        .value_kind:     by_value
      - .offset:         12
        .size:           4
        .value_kind:     by_value
      - .offset:         16
        .size:           4
        .value_kind:     by_value
      - .offset:         20
        .size:           4
        .value_kind:     by_value
      - .address_space:  global
        .offset:         24
        .size:           8
        .value_kind:     global_buffer
      - .actual_access:  read_only
        .address_space:  global
        .offset:         32
        .size:           8
        .value_kind:     global_buffer
      - .actual_access:  read_only
        .address_space:  global
        .offset:         40
        .size:           8
        .value_kind:     global_buffer
      - .address_space:  global
        .offset:         48
        .size:           8
        .value_kind:     global_buffer
      - .offset:         56
        .size:           4
        .value_kind:     by_value
      - .offset:         60
        .size:           4
        .value_kind:     by_value
    .group_segment_fixed_size: 65536
    .kernarg_segment_align: 8
    .kernarg_segment_size: 64
    .language:       OpenCL C
    .language_version:
      - 2
      - 0
    .max_flat_workgroup_size: 512
    .name:           _Z12wvSplitK_hf_I6__halfLi32ELi4ELi16ELi8ELi2ELi5EEviiiiiiPKT_S3_S3_PS1_ii
    .private_segment_fixed_size: 0
    .sgpr_count:     39
    .sgpr_spill_count: 0
    .symbol:         _Z12wvSplitK_hf_I6__halfLi32ELi4ELi16ELi8ELi2ELi5EEviiiiiiPKT_S3_S3_PS1_ii.kd
    .uniform_work_group_size: 1
    .uses_dynamic_stack: false
    .vgpr_count:     127
    .vgpr_spill_count: 0
    .wavefront_size: 32
    .workgroup_processor_mode: 1
  - .args:
      - .offset:         0
        .size:           4
        .value_kind:     by_value
      - .offset:         4
        .size:           4
        .value_kind:     by_value
      - .offset:         8
        .size:           4
        .value_kind:     by_value
      - .offset:         12
        .size:           4
        .value_kind:     by_value
      - .offset:         16
        .size:           4
        .value_kind:     by_value
      - .offset:         20
        .size:           4
        .value_kind:     by_value
      - .address_space:  global
        .offset:         24
        .size:           8
        .value_kind:     global_buffer
      - .actual_access:  read_only
        .address_space:  global
        .offset:         32
        .size:           8
        .value_kind:     global_buffer
      - .actual_access:  read_only
        .address_space:  global
        .offset:         40
        .size:           8
        .value_kind:     global_buffer
      - .address_space:  global
        .offset:         48
        .size:           8
        .value_kind:     global_buffer
      - .offset:         56
        .size:           4
        .value_kind:     by_value
      - .offset:         60
        .size:           4
        .value_kind:     by_value
    .group_segment_fixed_size: 65536
    .kernarg_segment_align: 8
    .kernarg_segment_size: 64
    .language:       OpenCL C
    .language_version:
      - 2
      - 0
    .max_flat_workgroup_size: 512
    .name:           _Z16wvSplitK_hf_big_I6__halfLi32ELi4ELi16ELi8ELi2ELi5EEviiiiiiPKT_S3_S3_PS1_ii
    .private_segment_fixed_size: 0
    .sgpr_count:     48
    .sgpr_spill_count: 0
    .symbol:         _Z16wvSplitK_hf_big_I6__halfLi32ELi4ELi16ELi8ELi2ELi5EEviiiiiiPKT_S3_S3_PS1_ii.kd
    .uniform_work_group_size: 1
    .uses_dynamic_stack: false
    .vgpr_count:     120
    .vgpr_spill_count: 0
    .wavefront_size: 32
    .workgroup_processor_mode: 1
  - .args:
      - .offset:         0
        .size:           4
        .value_kind:     by_value
      - .offset:         4
        .size:           4
        .value_kind:     by_value
      - .offset:         8
        .size:           4
        .value_kind:     by_value
      - .offset:         12
        .size:           4
        .value_kind:     by_value
      - .offset:         16
        .size:           4
        .value_kind:     by_value
      - .offset:         20
        .size:           4
        .value_kind:     by_value
      - .address_space:  global
        .offset:         24
        .size:           8
        .value_kind:     global_buffer
      - .actual_access:  read_only
        .address_space:  global
        .offset:         32
        .size:           8
        .value_kind:     global_buffer
      - .actual_access:  read_only
        .address_space:  global
        .offset:         40
        .size:           8
        .value_kind:     global_buffer
      - .address_space:  global
        .offset:         48
        .size:           8
        .value_kind:     global_buffer
      - .offset:         56
        .size:           4
        .value_kind:     by_value
      - .offset:         60
        .size:           4
        .value_kind:     by_value
    .group_segment_fixed_size: 65536
    .kernarg_segment_align: 8
    .kernarg_segment_size: 64
    .language:       OpenCL C
    .language_version:
      - 2
      - 0
    .max_flat_workgroup_size: 1024
    .name:           _Z16wvSplitK_hf_sml_I6__halfLi64ELi1ELi16ELi8ELi4ELi5EEviiiiiiPKT_S3_S3_PS1_ii
    .private_segment_fixed_size: 0
    .sgpr_count:     32
    .sgpr_spill_count: 0
    .symbol:         _Z16wvSplitK_hf_sml_I6__halfLi64ELi1ELi16ELi8ELi4ELi5EEviiiiiiPKT_S3_S3_PS1_ii.kd
    .uniform_work_group_size: 1
    .uses_dynamic_stack: false
    .vgpr_count:     117
    .vgpr_spill_count: 0
    .wavefront_size: 32
    .workgroup_processor_mode: 1
  - .args:
      - .offset:         0
        .size:           4
        .value_kind:     by_value
      - .offset:         4
        .size:           4
        .value_kind:     by_value
      - .offset:         8
        .size:           4
        .value_kind:     by_value
      - .offset:         12
        .size:           4
        .value_kind:     by_value
      - .offset:         16
        .size:           4
        .value_kind:     by_value
      - .offset:         20
        .size:           4
        .value_kind:     by_value
      - .address_space:  global
        .offset:         24
        .size:           8
        .value_kind:     global_buffer
      - .actual_access:  read_only
        .address_space:  global
        .offset:         32
        .size:           8
        .value_kind:     global_buffer
      - .actual_access:  read_only
        .address_space:  global
        .offset:         40
        .size:           8
        .value_kind:     global_buffer
      - .address_space:  global
        .offset:         48
        .size:           8
        .value_kind:     global_buffer
      - .offset:         56
        .size:           4
        .value_kind:     by_value
      - .offset:         60
        .size:           4
        .value_kind:     by_value
    .group_segment_fixed_size: 65536
    .kernarg_segment_align: 8
    .kernarg_segment_size: 64
    .language:       OpenCL C
    .language_version:
      - 2
      - 0
    .max_flat_workgroup_size: 1024
    .name:           _Z12wvSplitK_hf_I6__halfLi64ELi1ELi16ELi8ELi4ELi5EEviiiiiiPKT_S3_S3_PS1_ii
    .private_segment_fixed_size: 0
    .sgpr_count:     37
    .sgpr_spill_count: 0
    .symbol:         _Z12wvSplitK_hf_I6__halfLi64ELi1ELi16ELi8ELi4ELi5EEviiiiiiPKT_S3_S3_PS1_ii.kd
    .uniform_work_group_size: 1
    .uses_dynamic_stack: false
    .vgpr_count:     127
    .vgpr_spill_count: 0
    .wavefront_size: 32
    .workgroup_processor_mode: 1
  - .args:
      - .offset:         0
        .size:           4
        .value_kind:     by_value
      - .offset:         4
        .size:           4
        .value_kind:     by_value
      - .offset:         8
        .size:           4
        .value_kind:     by_value
      - .offset:         12
        .size:           4
        .value_kind:     by_value
      - .offset:         16
        .size:           4
        .value_kind:     by_value
      - .offset:         20
        .size:           4
        .value_kind:     by_value
      - .address_space:  global
        .offset:         24
        .size:           8
        .value_kind:     global_buffer
      - .actual_access:  read_only
        .address_space:  global
        .offset:         32
        .size:           8
        .value_kind:     global_buffer
      - .actual_access:  read_only
        .address_space:  global
        .offset:         40
        .size:           8
        .value_kind:     global_buffer
      - .address_space:  global
        .offset:         48
        .size:           8
        .value_kind:     global_buffer
      - .offset:         56
        .size:           4
        .value_kind:     by_value
      - .offset:         60
        .size:           4
        .value_kind:     by_value
    .group_segment_fixed_size: 65536
    .kernarg_segment_align: 8
    .kernarg_segment_size: 64
    .language:       OpenCL C
    .language_version:
      - 2
      - 0
    .max_flat_workgroup_size: 1024
    .name:           _Z16wvSplitK_hf_big_I6__halfLi64ELi1ELi16ELi8ELi4ELi5EEviiiiiiPKT_S3_S3_PS1_ii
    .private_segment_fixed_size: 0
    .sgpr_count:     45
    .sgpr_spill_count: 0
    .symbol:         _Z16wvSplitK_hf_big_I6__halfLi64ELi1ELi16ELi8ELi4ELi5EEviiiiiiPKT_S3_S3_PS1_ii.kd
    .uniform_work_group_size: 1
    .uses_dynamic_stack: false
    .vgpr_count:     122
    .vgpr_spill_count: 0
    .wavefront_size: 32
    .workgroup_processor_mode: 1
  - .args:
      - .offset:         0
        .size:           4
        .value_kind:     by_value
      - .offset:         4
        .size:           4
        .value_kind:     by_value
      - .offset:         8
        .size:           4
        .value_kind:     by_value
      - .offset:         12
        .size:           4
        .value_kind:     by_value
      - .offset:         16
        .size:           4
        .value_kind:     by_value
      - .offset:         20
        .size:           4
        .value_kind:     by_value
      - .address_space:  global
        .offset:         24
        .size:           8
        .value_kind:     global_buffer
      - .actual_access:  read_only
        .address_space:  global
        .offset:         32
        .size:           8
        .value_kind:     global_buffer
      - .actual_access:  read_only
        .address_space:  global
        .offset:         40
        .size:           8
        .value_kind:     global_buffer
      - .address_space:  global
        .offset:         48
        .size:           8
        .value_kind:     global_buffer
      - .offset:         56
        .size:           4
        .value_kind:     by_value
      - .offset:         60
        .size:           4
        .value_kind:     by_value
    .group_segment_fixed_size: 65536
    .kernarg_segment_align: 8
    .kernarg_segment_size: 64
    .language:       OpenCL C
    .language_version:
      - 2
      - 0
    .max_flat_workgroup_size: 1024
    .name:           _Z16wvSplitK_hf_sml_I6__halfLi64ELi2ELi16ELi8ELi2ELi5EEviiiiiiPKT_S3_S3_PS1_ii
    .private_segment_fixed_size: 0
    .sgpr_count:     30
    .sgpr_spill_count: 0
    .symbol:         _Z16wvSplitK_hf_sml_I6__halfLi64ELi2ELi16ELi8ELi2ELi5EEviiiiiiPKT_S3_S3_PS1_ii.kd
    .uniform_work_group_size: 1
    .uses_dynamic_stack: false
    .vgpr_count:     82
    .vgpr_spill_count: 0
    .wavefront_size: 32
    .workgroup_processor_mode: 1
  - .args:
      - .offset:         0
        .size:           4
        .value_kind:     by_value
      - .offset:         4
        .size:           4
        .value_kind:     by_value
      - .offset:         8
        .size:           4
        .value_kind:     by_value
      - .offset:         12
        .size:           4
        .value_kind:     by_value
      - .offset:         16
        .size:           4
        .value_kind:     by_value
      - .offset:         20
        .size:           4
        .value_kind:     by_value
      - .address_space:  global
        .offset:         24
        .size:           8
        .value_kind:     global_buffer
      - .actual_access:  read_only
        .address_space:  global
        .offset:         32
        .size:           8
        .value_kind:     global_buffer
      - .actual_access:  read_only
        .address_space:  global
        .offset:         40
        .size:           8
        .value_kind:     global_buffer
      - .address_space:  global
        .offset:         48
        .size:           8
        .value_kind:     global_buffer
      - .offset:         56
        .size:           4
        .value_kind:     by_value
      - .offset:         60
        .size:           4
        .value_kind:     by_value
    .group_segment_fixed_size: 65536
    .kernarg_segment_align: 8
    .kernarg_segment_size: 64
    .language:       OpenCL C
    .language_version:
      - 2
      - 0
    .max_flat_workgroup_size: 1024
    .name:           _Z12wvSplitK_hf_I6__halfLi64ELi2ELi16ELi8ELi2ELi5EEviiiiiiPKT_S3_S3_PS1_ii
    .private_segment_fixed_size: 0
    .sgpr_count:     38
    .sgpr_spill_count: 0
    .symbol:         _Z12wvSplitK_hf_I6__halfLi64ELi2ELi16ELi8ELi2ELi5EEviiiiiiPKT_S3_S3_PS1_ii.kd
    .uniform_work_group_size: 1
    .uses_dynamic_stack: false
    .vgpr_count:     93
    .vgpr_spill_count: 0
    .wavefront_size: 32
    .workgroup_processor_mode: 1
  - .args:
      - .offset:         0
        .size:           4
        .value_kind:     by_value
      - .offset:         4
        .size:           4
        .value_kind:     by_value
      - .offset:         8
        .size:           4
        .value_kind:     by_value
      - .offset:         12
        .size:           4
        .value_kind:     by_value
      - .offset:         16
        .size:           4
        .value_kind:     by_value
      - .offset:         20
        .size:           4
        .value_kind:     by_value
      - .address_space:  global
        .offset:         24
        .size:           8
        .value_kind:     global_buffer
      - .actual_access:  read_only
        .address_space:  global
        .offset:         32
        .size:           8
        .value_kind:     global_buffer
      - .actual_access:  read_only
        .address_space:  global
        .offset:         40
        .size:           8
        .value_kind:     global_buffer
      - .address_space:  global
        .offset:         48
        .size:           8
        .value_kind:     global_buffer
      - .offset:         56
        .size:           4
        .value_kind:     by_value
      - .offset:         60
        .size:           4
        .value_kind:     by_value
    .group_segment_fixed_size: 65536
    .kernarg_segment_align: 8
    .kernarg_segment_size: 64
    .language:       OpenCL C
    .language_version:
      - 2
      - 0
    .max_flat_workgroup_size: 1024
    .name:           _Z16wvSplitK_hf_big_I6__halfLi64ELi2ELi16ELi8ELi2ELi5EEviiiiiiPKT_S3_S3_PS1_ii
    .private_segment_fixed_size: 0
    .sgpr_count:     47
    .sgpr_spill_count: 0
    .symbol:         _Z16wvSplitK_hf_big_I6__halfLi64ELi2ELi16ELi8ELi2ELi5EEviiiiiiPKT_S3_S3_PS1_ii.kd
    .uniform_work_group_size: 1
    .uses_dynamic_stack: false
    .vgpr_count:     88
    .vgpr_spill_count: 0
    .wavefront_size: 32
    .workgroup_processor_mode: 1
  - .args:
      - .offset:         0
        .size:           4
        .value_kind:     by_value
      - .offset:         4
        .size:           4
        .value_kind:     by_value
      - .offset:         8
        .size:           4
        .value_kind:     by_value
      - .offset:         12
        .size:           4
        .value_kind:     by_value
      - .offset:         16
        .size:           4
        .value_kind:     by_value
      - .offset:         20
        .size:           4
        .value_kind:     by_value
      - .address_space:  global
        .offset:         24
        .size:           8
        .value_kind:     global_buffer
      - .actual_access:  read_only
        .address_space:  global
        .offset:         32
        .size:           8
        .value_kind:     global_buffer
      - .actual_access:  read_only
        .address_space:  global
        .offset:         40
        .size:           8
        .value_kind:     global_buffer
      - .address_space:  global
        .offset:         48
        .size:           8
        .value_kind:     global_buffer
      - .offset:         56
        .size:           4
        .value_kind:     by_value
      - .offset:         60
        .size:           4
        .value_kind:     by_value
    .group_segment_fixed_size: 65536
    .kernarg_segment_align: 8
    .kernarg_segment_size: 64
    .language:       OpenCL C
    .language_version:
      - 2
      - 0
    .max_flat_workgroup_size: 1024
    .name:           _Z16wvSplitK_hf_sml_I6__halfLi64ELi3ELi16ELi8ELi2ELi5EEviiiiiiPKT_S3_S3_PS1_ii
    .private_segment_fixed_size: 0
    .sgpr_count:     30
    .sgpr_spill_count: 0
    .symbol:         _Z16wvSplitK_hf_sml_I6__halfLi64ELi3ELi16ELi8ELi2ELi5EEviiiiiiPKT_S3_S3_PS1_ii.kd
    .uniform_work_group_size: 1
    .uses_dynamic_stack: false
    .vgpr_count:     99
    .vgpr_spill_count: 0
    .wavefront_size: 32
    .workgroup_processor_mode: 1
  - .args:
      - .offset:         0
        .size:           4
        .value_kind:     by_value
      - .offset:         4
        .size:           4
        .value_kind:     by_value
      - .offset:         8
        .size:           4
        .value_kind:     by_value
      - .offset:         12
        .size:           4
        .value_kind:     by_value
      - .offset:         16
        .size:           4
        .value_kind:     by_value
      - .offset:         20
        .size:           4
        .value_kind:     by_value
      - .address_space:  global
        .offset:         24
        .size:           8
        .value_kind:     global_buffer
      - .actual_access:  read_only
        .address_space:  global
        .offset:         32
        .size:           8
        .value_kind:     global_buffer
      - .actual_access:  read_only
        .address_space:  global
        .offset:         40
        .size:           8
        .value_kind:     global_buffer
      - .address_space:  global
        .offset:         48
        .size:           8
        .value_kind:     global_buffer
      - .offset:         56
        .size:           4
        .value_kind:     by_value
      - .offset:         60
        .size:           4
        .value_kind:     by_value
    .group_segment_fixed_size: 65536
    .kernarg_segment_align: 8
    .kernarg_segment_size: 64
    .language:       OpenCL C
    .language_version:
      - 2
      - 0
    .max_flat_workgroup_size: 1024
    .name:           _Z12wvSplitK_hf_I6__halfLi64ELi3ELi16ELi8ELi2ELi5EEviiiiiiPKT_S3_S3_PS1_ii
    .private_segment_fixed_size: 0
    .sgpr_count:     39
    .sgpr_spill_count: 0
    .symbol:         _Z12wvSplitK_hf_I6__halfLi64ELi3ELi16ELi8ELi2ELi5EEviiiiiiPKT_S3_S3_PS1_ii.kd
    .uniform_work_group_size: 1
    .uses_dynamic_stack: false
    .vgpr_count:     110
    .vgpr_spill_count: 0
    .wavefront_size: 32
    .workgroup_processor_mode: 1
  - .args:
      - .offset:         0
        .size:           4
        .value_kind:     by_value
      - .offset:         4
        .size:           4
        .value_kind:     by_value
      - .offset:         8
        .size:           4
        .value_kind:     by_value
      - .offset:         12
        .size:           4
        .value_kind:     by_value
      - .offset:         16
        .size:           4
        .value_kind:     by_value
      - .offset:         20
        .size:           4
        .value_kind:     by_value
      - .address_space:  global
        .offset:         24
        .size:           8
        .value_kind:     global_buffer
      - .actual_access:  read_only
        .address_space:  global
        .offset:         32
        .size:           8
        .value_kind:     global_buffer
      - .actual_access:  read_only
        .address_space:  global
        .offset:         40
        .size:           8
        .value_kind:     global_buffer
      - .address_space:  global
        .offset:         48
        .size:           8
        .value_kind:     global_buffer
      - .offset:         56
        .size:           4
        .value_kind:     by_value
      - .offset:         60
        .size:           4
        .value_kind:     by_value
    .group_segment_fixed_size: 65536
    .kernarg_segment_align: 8
    .kernarg_segment_size: 64
    .language:       OpenCL C
    .language_version:
      - 2
      - 0
    .max_flat_workgroup_size: 1024
    .name:           _Z16wvSplitK_hf_big_I6__halfLi64ELi3ELi16ELi8ELi2ELi5EEviiiiiiPKT_S3_S3_PS1_ii
    .private_segment_fixed_size: 0
    .sgpr_count:     48
    .sgpr_spill_count: 0
    .symbol:         _Z16wvSplitK_hf_big_I6__halfLi64ELi3ELi16ELi8ELi2ELi5EEviiiiiiPKT_S3_S3_PS1_ii.kd
    .uniform_work_group_size: 1
    .uses_dynamic_stack: false
    .vgpr_count:     104
    .vgpr_spill_count: 0
    .wavefront_size: 32
    .workgroup_processor_mode: 1
  - .args:
      - .offset:         0
        .size:           4
        .value_kind:     by_value
      - .offset:         4
        .size:           4
        .value_kind:     by_value
      - .offset:         8
        .size:           4
        .value_kind:     by_value
      - .offset:         12
        .size:           4
        .value_kind:     by_value
      - .offset:         16
        .size:           4
        .value_kind:     by_value
      - .offset:         20
        .size:           4
        .value_kind:     by_value
      - .address_space:  global
        .offset:         24
        .size:           8
        .value_kind:     global_buffer
      - .actual_access:  read_only
        .address_space:  global
        .offset:         32
        .size:           8
        .value_kind:     global_buffer
      - .actual_access:  read_only
        .address_space:  global
        .offset:         40
        .size:           8
        .value_kind:     global_buffer
      - .address_space:  global
        .offset:         48
        .size:           8
        .value_kind:     global_buffer
      - .offset:         56
        .size:           4
        .value_kind:     by_value
      - .offset:         60
        .size:           4
        .value_kind:     by_value
    .group_segment_fixed_size: 65536
    .kernarg_segment_align: 8
    .kernarg_segment_size: 64
    .language:       OpenCL C
    .language_version:
      - 2
      - 0
    .max_flat_workgroup_size: 1024
    .name:           _Z16wvSplitK_hf_sml_I6__halfLi64ELi4ELi16ELi8ELi1ELi5EEviiiiiiPKT_S3_S3_PS1_ii
    .private_segment_fixed_size: 0
    .sgpr_count:     29
    .sgpr_spill_count: 0
    .symbol:         _Z16wvSplitK_hf_sml_I6__halfLi64ELi4ELi16ELi8ELi1ELi5EEviiiiiiPKT_S3_S3_PS1_ii.kd
    .uniform_work_group_size: 1
    .uses_dynamic_stack: false
    .vgpr_count:     86
    .vgpr_spill_count: 0
    .wavefront_size: 32
    .workgroup_processor_mode: 1
  - .args:
      - .offset:         0
        .size:           4
        .value_kind:     by_value
      - .offset:         4
        .size:           4
        .value_kind:     by_value
      - .offset:         8
        .size:           4
        .value_kind:     by_value
      - .offset:         12
        .size:           4
        .value_kind:     by_value
      - .offset:         16
        .size:           4
        .value_kind:     by_value
      - .offset:         20
        .size:           4
        .value_kind:     by_value
      - .address_space:  global
        .offset:         24
        .size:           8
        .value_kind:     global_buffer
      - .actual_access:  read_only
        .address_space:  global
        .offset:         32
        .size:           8
        .value_kind:     global_buffer
      - .actual_access:  read_only
        .address_space:  global
        .offset:         40
        .size:           8
        .value_kind:     global_buffer
      - .address_space:  global
        .offset:         48
        .size:           8
        .value_kind:     global_buffer
      - .offset:         56
        .size:           4
        .value_kind:     by_value
      - .offset:         60
        .size:           4
        .value_kind:     by_value
    .group_segment_fixed_size: 65536
    .kernarg_segment_align: 8
    .kernarg_segment_size: 64
    .language:       OpenCL C
    .language_version:
      - 2
      - 0
    .max_flat_workgroup_size: 1024
    .name:           _Z12wvSplitK_hf_I6__halfLi64ELi4ELi16ELi8ELi1ELi5EEviiiiiiPKT_S3_S3_PS1_ii
    .private_segment_fixed_size: 0
    .sgpr_count:     39
    .sgpr_spill_count: 0
    .symbol:         _Z12wvSplitK_hf_I6__halfLi64ELi4ELi16ELi8ELi1ELi5EEviiiiiiPKT_S3_S3_PS1_ii.kd
    .uniform_work_group_size: 1
    .uses_dynamic_stack: false
    .vgpr_count:     98
    .vgpr_spill_count: 0
    .wavefront_size: 32
    .workgroup_processor_mode: 1
  - .args:
      - .offset:         0
        .size:           4
        .value_kind:     by_value
      - .offset:         4
        .size:           4
        .value_kind:     by_value
      - .offset:         8
        .size:           4
        .value_kind:     by_value
      - .offset:         12
        .size:           4
        .value_kind:     by_value
      - .offset:         16
        .size:           4
        .value_kind:     by_value
      - .offset:         20
        .size:           4
        .value_kind:     by_value
      - .address_space:  global
        .offset:         24
        .size:           8
        .value_kind:     global_buffer
      - .actual_access:  read_only
        .address_space:  global
        .offset:         32
        .size:           8
        .value_kind:     global_buffer
      - .actual_access:  read_only
        .address_space:  global
        .offset:         40
        .size:           8
        .value_kind:     global_buffer
      - .address_space:  global
        .offset:         48
        .size:           8
        .value_kind:     global_buffer
      - .offset:         56
        .size:           4
        .value_kind:     by_value
      - .offset:         60
        .size:           4
        .value_kind:     by_value
    .group_segment_fixed_size: 65536
    .kernarg_segment_align: 8
    .kernarg_segment_size: 64
    .language:       OpenCL C
    .language_version:
      - 2
      - 0
    .max_flat_workgroup_size: 1024
    .name:           _Z16wvSplitK_hf_big_I6__halfLi64ELi4ELi16ELi8ELi1ELi5EEviiiiiiPKT_S3_S3_PS1_ii
    .private_segment_fixed_size: 0
    .sgpr_count:     48
    .sgpr_spill_count: 0
    .symbol:         _Z16wvSplitK_hf_big_I6__halfLi64ELi4ELi16ELi8ELi1ELi5EEviiiiiiPKT_S3_S3_PS1_ii.kd
    .uniform_work_group_size: 1
    .uses_dynamic_stack: false
    .vgpr_count:     96
    .vgpr_spill_count: 0
    .wavefront_size: 32
    .workgroup_processor_mode: 1
  - .args:
      - .offset:         0
        .size:           4
        .value_kind:     by_value
      - .offset:         4
        .size:           4
        .value_kind:     by_value
      - .offset:         8
        .size:           4
        .value_kind:     by_value
      - .offset:         12
        .size:           4
        .value_kind:     by_value
      - .offset:         16
        .size:           4
        .value_kind:     by_value
      - .offset:         20
        .size:           4
        .value_kind:     by_value
      - .address_space:  global
        .offset:         24
        .size:           8
        .value_kind:     global_buffer
      - .actual_access:  read_only
        .address_space:  global
        .offset:         32
        .size:           8
        .value_kind:     global_buffer
      - .actual_access:  read_only
        .address_space:  global
        .offset:         40
        .size:           8
        .value_kind:     global_buffer
      - .address_space:  global
        .offset:         48
        .size:           8
        .value_kind:     global_buffer
      - .offset:         56
        .size:           4
        .value_kind:     by_value
      - .offset:         60
        .size:           4
        .value_kind:     by_value
    .group_segment_fixed_size: 65536
    .kernarg_segment_align: 8
    .kernarg_segment_size: 64
    .language:       OpenCL C
    .language_version:
      - 2
      - 0
    .max_flat_workgroup_size: 1024
    .name:           _Z16wvSplitK_hf_sml_I6__halfLi64ELi4ELi16ELi8ELi2ELi5EEviiiiiiPKT_S3_S3_PS1_ii
    .private_segment_fixed_size: 0
    .sgpr_count:     30
    .sgpr_spill_count: 0
    .symbol:         _Z16wvSplitK_hf_sml_I6__halfLi64ELi4ELi16ELi8ELi2ELi5EEviiiiiiPKT_S3_S3_PS1_ii.kd
    .uniform_work_group_size: 1
    .uses_dynamic_stack: false
    .vgpr_count:     112
    .vgpr_spill_count: 0
    .wavefront_size: 32
    .workgroup_processor_mode: 1
  - .args:
      - .offset:         0
        .size:           4
        .value_kind:     by_value
      - .offset:         4
        .size:           4
        .value_kind:     by_value
      - .offset:         8
        .size:           4
        .value_kind:     by_value
      - .offset:         12
        .size:           4
        .value_kind:     by_value
      - .offset:         16
        .size:           4
        .value_kind:     by_value
      - .offset:         20
        .size:           4
        .value_kind:     by_value
      - .address_space:  global
        .offset:         24
        .size:           8
        .value_kind:     global_buffer
      - .actual_access:  read_only
        .address_space:  global
        .offset:         32
        .size:           8
        .value_kind:     global_buffer
      - .actual_access:  read_only
        .address_space:  global
        .offset:         40
        .size:           8
        .value_kind:     global_buffer
      - .address_space:  global
        .offset:         48
        .size:           8
        .value_kind:     global_buffer
      - .offset:         56
        .size:           4
        .value_kind:     by_value
      - .offset:         60
        .size:           4
        .value_kind:     by_value
    .group_segment_fixed_size: 65536
    .kernarg_segment_align: 8
    .kernarg_segment_size: 64
    .language:       OpenCL C
    .language_version:
      - 2
      - 0
    .max_flat_workgroup_size: 1024
    .name:           _Z12wvSplitK_hf_I6__halfLi64ELi4ELi16ELi8ELi2ELi5EEviiiiiiPKT_S3_S3_PS1_ii
    .private_segment_fixed_size: 0
    .sgpr_count:     39
    .sgpr_spill_count: 0
    .symbol:         _Z12wvSplitK_hf_I6__halfLi64ELi4ELi16ELi8ELi2ELi5EEviiiiiiPKT_S3_S3_PS1_ii.kd
    .uniform_work_group_size: 1
    .uses_dynamic_stack: false
    .vgpr_count:     127
    .vgpr_spill_count: 0
    .wavefront_size: 32
    .workgroup_processor_mode: 1
  - .args:
      - .offset:         0
        .size:           4
        .value_kind:     by_value
      - .offset:         4
        .size:           4
        .value_kind:     by_value
      - .offset:         8
        .size:           4
        .value_kind:     by_value
      - .offset:         12
        .size:           4
        .value_kind:     by_value
      - .offset:         16
        .size:           4
        .value_kind:     by_value
      - .offset:         20
        .size:           4
        .value_kind:     by_value
      - .address_space:  global
        .offset:         24
        .size:           8
        .value_kind:     global_buffer
      - .actual_access:  read_only
        .address_space:  global
        .offset:         32
        .size:           8
        .value_kind:     global_buffer
      - .actual_access:  read_only
        .address_space:  global
        .offset:         40
        .size:           8
        .value_kind:     global_buffer
      - .address_space:  global
        .offset:         48
        .size:           8
        .value_kind:     global_buffer
      - .offset:         56
        .size:           4
        .value_kind:     by_value
      - .offset:         60
        .size:           4
        .value_kind:     by_value
    .group_segment_fixed_size: 65536
    .kernarg_segment_align: 8
    .kernarg_segment_size: 64
    .language:       OpenCL C
    .language_version:
      - 2
      - 0
    .max_flat_workgroup_size: 1024
    .name:           _Z16wvSplitK_hf_big_I6__halfLi64ELi4ELi16ELi8ELi2ELi5EEviiiiiiPKT_S3_S3_PS1_ii
    .private_segment_fixed_size: 0
    .sgpr_count:     48
    .sgpr_spill_count: 0
    .symbol:         _Z16wvSplitK_hf_big_I6__halfLi64ELi4ELi16ELi8ELi2ELi5EEviiiiiiPKT_S3_S3_PS1_ii.kd
    .uniform_work_group_size: 1
    .uses_dynamic_stack: false
    .vgpr_count:     120
    .vgpr_spill_count: 0
    .wavefront_size: 32
    .workgroup_processor_mode: 1
  - .args:
      - .offset:         0
        .size:           4
        .value_kind:     by_value
      - .offset:         4
        .size:           4
        .value_kind:     by_value
      - .offset:         8
        .size:           4
        .value_kind:     by_value
      - .offset:         12
        .size:           4
        .value_kind:     by_value
      - .offset:         16
        .size:           4
        .value_kind:     by_value
      - .offset:         20
        .size:           4
        .value_kind:     by_value
      - .address_space:  global
        .offset:         24
        .size:           8
        .value_kind:     global_buffer
      - .actual_access:  read_only
        .address_space:  global
        .offset:         32
        .size:           8
        .value_kind:     global_buffer
      - .actual_access:  read_only
        .address_space:  global
        .offset:         40
        .size:           8
        .value_kind:     global_buffer
      - .address_space:  global
        .offset:         48
        .size:           8
        .value_kind:     global_buffer
      - .offset:         56
        .size:           4
        .value_kind:     by_value
      - .offset:         60
        .size:           4
        .value_kind:     by_value
    .group_segment_fixed_size: 65536
    .kernarg_segment_align: 8
    .kernarg_segment_size: 64
    .language:       OpenCL C
    .language_version:
      - 2
      - 0
    .max_flat_workgroup_size: 512
    .name:           _Z16wvSplitK_hf_sml_I14__hip_bfloat16Li32ELi1ELi16ELi8ELi4ELi1EEviiiiiiPKT_S3_S3_PS1_ii
    .private_segment_fixed_size: 0
    .sgpr_count:     24
    .sgpr_spill_count: 0
    .symbol:         _Z16wvSplitK_hf_sml_I14__hip_bfloat16Li32ELi1ELi16ELi8ELi4ELi1EEviiiiiiPKT_S3_S3_PS1_ii.kd
    .uniform_work_group_size: 1
    .uses_dynamic_stack: false
    .vgpr_count:     46
    .vgpr_spill_count: 0
    .wavefront_size: 32
    .workgroup_processor_mode: 1
  - .args:
      - .offset:         0
        .size:           4
        .value_kind:     by_value
      - .offset:         4
        .size:           4
        .value_kind:     by_value
      - .offset:         8
        .size:           4
        .value_kind:     by_value
      - .offset:         12
        .size:           4
        .value_kind:     by_value
      - .offset:         16
        .size:           4
        .value_kind:     by_value
      - .offset:         20
        .size:           4
        .value_kind:     by_value
      - .address_space:  global
        .offset:         24
        .size:           8
        .value_kind:     global_buffer
      - .actual_access:  read_only
        .address_space:  global
        .offset:         32
        .size:           8
        .value_kind:     global_buffer
      - .actual_access:  read_only
        .address_space:  global
        .offset:         40
        .size:           8
        .value_kind:     global_buffer
      - .address_space:  global
        .offset:         48
        .size:           8
        .value_kind:     global_buffer
      - .offset:         56
        .size:           4
        .value_kind:     by_value
      - .offset:         60
        .size:           4
        .value_kind:     by_value
    .group_segment_fixed_size: 65536
    .kernarg_segment_align: 8
    .kernarg_segment_size: 64
    .language:       OpenCL C
    .language_version:
      - 2
      - 0
    .max_flat_workgroup_size: 512
    .name:           _Z12wvSplitK_hf_I14__hip_bfloat16Li32ELi1ELi16ELi8ELi4ELi1EEviiiiiiPKT_S3_S3_PS1_ii
    .private_segment_fixed_size: 0
    .sgpr_count:     28
    .sgpr_spill_count: 0
    .symbol:         _Z12wvSplitK_hf_I14__hip_bfloat16Li32ELi1ELi16ELi8ELi4ELi1EEviiiiiiPKT_S3_S3_PS1_ii.kd
    .uniform_work_group_size: 1
    .uses_dynamic_stack: false
    .vgpr_count:     49
    .vgpr_spill_count: 0
    .wavefront_size: 32
    .workgroup_processor_mode: 1
  - .args:
      - .offset:         0
        .size:           4
        .value_kind:     by_value
      - .offset:         4
        .size:           4
        .value_kind:     by_value
      - .offset:         8
        .size:           4
        .value_kind:     by_value
      - .offset:         12
        .size:           4
        .value_kind:     by_value
      - .offset:         16
        .size:           4
        .value_kind:     by_value
      - .offset:         20
        .size:           4
        .value_kind:     by_value
      - .address_space:  global
        .offset:         24
        .size:           8
        .value_kind:     global_buffer
      - .actual_access:  read_only
        .address_space:  global
        .offset:         32
        .size:           8
        .value_kind:     global_buffer
      - .actual_access:  read_only
        .address_space:  global
        .offset:         40
        .size:           8
        .value_kind:     global_buffer
      - .address_space:  global
        .offset:         48
        .size:           8
        .value_kind:     global_buffer
      - .offset:         56
        .size:           4
        .value_kind:     by_value
      - .offset:         60
        .size:           4
        .value_kind:     by_value
    .group_segment_fixed_size: 65536
    .kernarg_segment_align: 8
    .kernarg_segment_size: 64
    .language:       OpenCL C
    .language_version:
      - 2
      - 0
    .max_flat_workgroup_size: 512
    .name:           _Z16wvSplitK_hf_big_I14__hip_bfloat16Li32ELi1ELi16ELi8ELi4ELi1EEviiiiiiPKT_S3_S3_PS1_ii
    .private_segment_fixed_size: 0
    .sgpr_count:     37
    .sgpr_spill_count: 0
    .symbol:         _Z16wvSplitK_hf_big_I14__hip_bfloat16Li32ELi1ELi16ELi8ELi4ELi1EEviiiiiiPKT_S3_S3_PS1_ii.kd
    .uniform_work_group_size: 1
    .uses_dynamic_stack: false
    .vgpr_count:     49
    .vgpr_spill_count: 0
    .wavefront_size: 32
    .workgroup_processor_mode: 1
  - .args:
      - .offset:         0
        .size:           4
        .value_kind:     by_value
      - .offset:         4
        .size:           4
        .value_kind:     by_value
      - .offset:         8
        .size:           4
        .value_kind:     by_value
      - .offset:         12
        .size:           4
        .value_kind:     by_value
      - .offset:         16
        .size:           4
        .value_kind:     by_value
      - .offset:         20
        .size:           4
        .value_kind:     by_value
      - .address_space:  global
        .offset:         24
        .size:           8
        .value_kind:     global_buffer
      - .actual_access:  read_only
        .address_space:  global
        .offset:         32
        .size:           8
        .value_kind:     global_buffer
      - .actual_access:  read_only
        .address_space:  global
        .offset:         40
        .size:           8
        .value_kind:     global_buffer
      - .address_space:  global
        .offset:         48
        .size:           8
        .value_kind:     global_buffer
      - .offset:         56
        .size:           4
        .value_kind:     by_value
      - .offset:         60
        .size:           4
        .value_kind:     by_value
    .group_segment_fixed_size: 65536
    .kernarg_segment_align: 8
    .kernarg_segment_size: 64
    .language:       OpenCL C
    .language_version:
      - 2
      - 0
    .max_flat_workgroup_size: 512
    .name:           _Z16wvSplitK_hf_sml_I14__hip_bfloat16Li32ELi2ELi16ELi8ELi2ELi1EEviiiiiiPKT_S3_S3_PS1_ii
    .private_segment_fixed_size: 0
    .sgpr_count:     22
    .sgpr_spill_count: 0
    .symbol:         _Z16wvSplitK_hf_sml_I14__hip_bfloat16Li32ELi2ELi16ELi8ELi2ELi1EEviiiiiiPKT_S3_S3_PS1_ii.kd
    .uniform_work_group_size: 1
    .uses_dynamic_stack: false
    .vgpr_count:     43
    .vgpr_spill_count: 0
    .wavefront_size: 32
    .workgroup_processor_mode: 1
  - .args:
      - .offset:         0
        .size:           4
        .value_kind:     by_value
      - .offset:         4
        .size:           4
        .value_kind:     by_value
      - .offset:         8
        .size:           4
        .value_kind:     by_value
      - .offset:         12
        .size:           4
        .value_kind:     by_value
      - .offset:         16
        .size:           4
        .value_kind:     by_value
      - .offset:         20
        .size:           4
        .value_kind:     by_value
      - .address_space:  global
        .offset:         24
        .size:           8
        .value_kind:     global_buffer
      - .actual_access:  read_only
        .address_space:  global
        .offset:         32
        .size:           8
        .value_kind:     global_buffer
      - .actual_access:  read_only
        .address_space:  global
        .offset:         40
        .size:           8
        .value_kind:     global_buffer
      - .address_space:  global
        .offset:         48
        .size:           8
        .value_kind:     global_buffer
      - .offset:         56
        .size:           4
        .value_kind:     by_value
      - .offset:         60
        .size:           4
        .value_kind:     by_value
    .group_segment_fixed_size: 65536
    .kernarg_segment_align: 8
    .kernarg_segment_size: 64
    .language:       OpenCL C
    .language_version:
      - 2
      - 0
    .max_flat_workgroup_size: 512
    .name:           _Z12wvSplitK_hf_I14__hip_bfloat16Li32ELi2ELi16ELi8ELi2ELi1EEviiiiiiPKT_S3_S3_PS1_ii
    .private_segment_fixed_size: 0
    .sgpr_count:     29
    .sgpr_spill_count: 0
    .symbol:         _Z12wvSplitK_hf_I14__hip_bfloat16Li32ELi2ELi16ELi8ELi2ELi1EEviiiiiiPKT_S3_S3_PS1_ii.kd
    .uniform_work_group_size: 1
    .uses_dynamic_stack: false
    .vgpr_count:     46
    .vgpr_spill_count: 0
    .wavefront_size: 32
    .workgroup_processor_mode: 1
  - .args:
      - .offset:         0
        .size:           4
        .value_kind:     by_value
      - .offset:         4
        .size:           4
        .value_kind:     by_value
      - .offset:         8
        .size:           4
        .value_kind:     by_value
      - .offset:         12
        .size:           4
        .value_kind:     by_value
      - .offset:         16
        .size:           4
        .value_kind:     by_value
      - .offset:         20
        .size:           4
        .value_kind:     by_value
      - .address_space:  global
        .offset:         24
        .size:           8
        .value_kind:     global_buffer
      - .actual_access:  read_only
        .address_space:  global
        .offset:         32
        .size:           8
        .value_kind:     global_buffer
      - .actual_access:  read_only
        .address_space:  global
        .offset:         40
        .size:           8
        .value_kind:     global_buffer
      - .address_space:  global
        .offset:         48
        .size:           8
        .value_kind:     global_buffer
      - .offset:         56
        .size:           4
        .value_kind:     by_value
      - .offset:         60
        .size:           4
        .value_kind:     by_value
    .group_segment_fixed_size: 65536
    .kernarg_segment_align: 8
    .kernarg_segment_size: 64
    .language:       OpenCL C
    .language_version:
      - 2
      - 0
    .max_flat_workgroup_size: 512
    .name:           _Z16wvSplitK_hf_big_I14__hip_bfloat16Li32ELi2ELi16ELi8ELi2ELi1EEviiiiiiPKT_S3_S3_PS1_ii
    .private_segment_fixed_size: 0
    .sgpr_count:     39
    .sgpr_spill_count: 0
    .symbol:         _Z16wvSplitK_hf_big_I14__hip_bfloat16Li32ELi2ELi16ELi8ELi2ELi1EEviiiiiiPKT_S3_S3_PS1_ii.kd
    .uniform_work_group_size: 1
    .uses_dynamic_stack: false
    .vgpr_count:     46
    .vgpr_spill_count: 0
    .wavefront_size: 32
    .workgroup_processor_mode: 1
  - .args:
      - .offset:         0
        .size:           4
        .value_kind:     by_value
      - .offset:         4
        .size:           4
        .value_kind:     by_value
      - .offset:         8
        .size:           4
        .value_kind:     by_value
      - .offset:         12
        .size:           4
        .value_kind:     by_value
      - .offset:         16
        .size:           4
        .value_kind:     by_value
      - .offset:         20
        .size:           4
        .value_kind:     by_value
      - .address_space:  global
        .offset:         24
        .size:           8
        .value_kind:     global_buffer
      - .actual_access:  read_only
        .address_space:  global
        .offset:         32
        .size:           8
        .value_kind:     global_buffer
      - .actual_access:  read_only
        .address_space:  global
        .offset:         40
        .size:           8
        .value_kind:     global_buffer
      - .address_space:  global
        .offset:         48
        .size:           8
        .value_kind:     global_buffer
      - .offset:         56
        .size:           4
        .value_kind:     by_value
      - .offset:         60
        .size:           4
        .value_kind:     by_value
    .group_segment_fixed_size: 65536
    .kernarg_segment_align: 8
    .kernarg_segment_size: 64
    .language:       OpenCL C
    .language_version:
      - 2
      - 0
    .max_flat_workgroup_size: 512
    .name:           _Z16wvSplitK_hf_sml_I14__hip_bfloat16Li32ELi3ELi16ELi8ELi2ELi1EEviiiiiiPKT_S3_S3_PS1_ii
    .private_segment_fixed_size: 0
    .sgpr_count:     22
    .sgpr_spill_count: 0
    .symbol:         _Z16wvSplitK_hf_sml_I14__hip_bfloat16Li32ELi3ELi16ELi8ELi2ELi1EEviiiiiiPKT_S3_S3_PS1_ii.kd
    .uniform_work_group_size: 1
    .uses_dynamic_stack: false
    .vgpr_count:     55
    .vgpr_spill_count: 0
    .wavefront_size: 32
    .workgroup_processor_mode: 1
  - .args:
      - .offset:         0
        .size:           4
        .value_kind:     by_value
      - .offset:         4
        .size:           4
        .value_kind:     by_value
      - .offset:         8
        .size:           4
        .value_kind:     by_value
      - .offset:         12
        .size:           4
        .value_kind:     by_value
      - .offset:         16
        .size:           4
        .value_kind:     by_value
      - .offset:         20
        .size:           4
        .value_kind:     by_value
      - .address_space:  global
        .offset:         24
        .size:           8
        .value_kind:     global_buffer
      - .actual_access:  read_only
        .address_space:  global
        .offset:         32
        .size:           8
        .value_kind:     global_buffer
      - .actual_access:  read_only
        .address_space:  global
        .offset:         40
        .size:           8
        .value_kind:     global_buffer
      - .address_space:  global
        .offset:         48
        .size:           8
        .value_kind:     global_buffer
      - .offset:         56
        .size:           4
        .value_kind:     by_value
      - .offset:         60
        .size:           4
        .value_kind:     by_value
    .group_segment_fixed_size: 65536
    .kernarg_segment_align: 8
    .kernarg_segment_size: 64
    .language:       OpenCL C
    .language_version:
      - 2
      - 0
    .max_flat_workgroup_size: 512
    .name:           _Z12wvSplitK_hf_I14__hip_bfloat16Li32ELi3ELi16ELi8ELi2ELi1EEviiiiiiPKT_S3_S3_PS1_ii
    .private_segment_fixed_size: 0
    .sgpr_count:     30
    .sgpr_spill_count: 0
    .symbol:         _Z12wvSplitK_hf_I14__hip_bfloat16Li32ELi3ELi16ELi8ELi2ELi1EEviiiiiiPKT_S3_S3_PS1_ii.kd
    .uniform_work_group_size: 1
    .uses_dynamic_stack: false
    .vgpr_count:     58
    .vgpr_spill_count: 0
    .wavefront_size: 32
    .workgroup_processor_mode: 1
  - .args:
      - .offset:         0
        .size:           4
        .value_kind:     by_value
      - .offset:         4
        .size:           4
        .value_kind:     by_value
      - .offset:         8
        .size:           4
        .value_kind:     by_value
      - .offset:         12
        .size:           4
        .value_kind:     by_value
      - .offset:         16
        .size:           4
        .value_kind:     by_value
      - .offset:         20
        .size:           4
        .value_kind:     by_value
      - .address_space:  global
        .offset:         24
        .size:           8
        .value_kind:     global_buffer
      - .actual_access:  read_only
        .address_space:  global
        .offset:         32
        .size:           8
        .value_kind:     global_buffer
      - .actual_access:  read_only
        .address_space:  global
        .offset:         40
        .size:           8
        .value_kind:     global_buffer
      - .address_space:  global
        .offset:         48
        .size:           8
        .value_kind:     global_buffer
      - .offset:         56
        .size:           4
        .value_kind:     by_value
      - .offset:         60
        .size:           4
        .value_kind:     by_value
    .group_segment_fixed_size: 65536
    .kernarg_segment_align: 8
    .kernarg_segment_size: 64
    .language:       OpenCL C
    .language_version:
      - 2
      - 0
    .max_flat_workgroup_size: 512
    .name:           _Z16wvSplitK_hf_big_I14__hip_bfloat16Li32ELi3ELi16ELi8ELi2ELi1EEviiiiiiPKT_S3_S3_PS1_ii
    .private_segment_fixed_size: 0
    .sgpr_count:     40
    .sgpr_spill_count: 0
    .symbol:         _Z16wvSplitK_hf_big_I14__hip_bfloat16Li32ELi3ELi16ELi8ELi2ELi1EEviiiiiiPKT_S3_S3_PS1_ii.kd
    .uniform_work_group_size: 1
    .uses_dynamic_stack: false
    .vgpr_count:     57
    .vgpr_spill_count: 0
    .wavefront_size: 32
    .workgroup_processor_mode: 1
  - .args:
      - .offset:         0
        .size:           4
        .value_kind:     by_value
      - .offset:         4
        .size:           4
        .value_kind:     by_value
      - .offset:         8
        .size:           4
        .value_kind:     by_value
      - .offset:         12
        .size:           4
        .value_kind:     by_value
      - .offset:         16
        .size:           4
        .value_kind:     by_value
      - .offset:         20
        .size:           4
        .value_kind:     by_value
      - .address_space:  global
        .offset:         24
        .size:           8
        .value_kind:     global_buffer
      - .actual_access:  read_only
        .address_space:  global
        .offset:         32
        .size:           8
        .value_kind:     global_buffer
      - .actual_access:  read_only
        .address_space:  global
        .offset:         40
        .size:           8
        .value_kind:     global_buffer
      - .address_space:  global
        .offset:         48
        .size:           8
        .value_kind:     global_buffer
      - .offset:         56
        .size:           4
        .value_kind:     by_value
      - .offset:         60
        .size:           4
        .value_kind:     by_value
    .group_segment_fixed_size: 65536
    .kernarg_segment_align: 8
    .kernarg_segment_size: 64
    .language:       OpenCL C
    .language_version:
      - 2
      - 0
    .max_flat_workgroup_size: 512
    .name:           _Z16wvSplitK_hf_sml_I14__hip_bfloat16Li32ELi4ELi16ELi8ELi1ELi1EEviiiiiiPKT_S3_S3_PS1_ii
    .private_segment_fixed_size: 0
    .sgpr_count:     21
    .sgpr_spill_count: 0
    .symbol:         _Z16wvSplitK_hf_sml_I14__hip_bfloat16Li32ELi4ELi16ELi8ELi1ELi1EEviiiiiiPKT_S3_S3_PS1_ii.kd
    .uniform_work_group_size: 1
    .uses_dynamic_stack: false
    .vgpr_count:     44
    .vgpr_spill_count: 0
    .wavefront_size: 32
    .workgroup_processor_mode: 1
  - .args:
      - .offset:         0
        .size:           4
        .value_kind:     by_value
      - .offset:         4
        .size:           4
        .value_kind:     by_value
      - .offset:         8
        .size:           4
        .value_kind:     by_value
      - .offset:         12
        .size:           4
        .value_kind:     by_value
      - .offset:         16
        .size:           4
        .value_kind:     by_value
      - .offset:         20
        .size:           4
        .value_kind:     by_value
      - .address_space:  global
        .offset:         24
        .size:           8
        .value_kind:     global_buffer
      - .actual_access:  read_only
        .address_space:  global
        .offset:         32
        .size:           8
        .value_kind:     global_buffer
      - .actual_access:  read_only
        .address_space:  global
        .offset:         40
        .size:           8
        .value_kind:     global_buffer
      - .address_space:  global
        .offset:         48
        .size:           8
        .value_kind:     global_buffer
      - .offset:         56
        .size:           4
        .value_kind:     by_value
      - .offset:         60
        .size:           4
        .value_kind:     by_value
    .group_segment_fixed_size: 65536
    .kernarg_segment_align: 8
    .kernarg_segment_size: 64
    .language:       OpenCL C
    .language_version:
      - 2
      - 0
    .max_flat_workgroup_size: 512
    .name:           _Z12wvSplitK_hf_I14__hip_bfloat16Li32ELi4ELi16ELi8ELi1ELi1EEviiiiiiPKT_S3_S3_PS1_ii
    .private_segment_fixed_size: 0
    .sgpr_count:     30
    .sgpr_spill_count: 0
    .symbol:         _Z12wvSplitK_hf_I14__hip_bfloat16Li32ELi4ELi16ELi8ELi1ELi1EEviiiiiiPKT_S3_S3_PS1_ii.kd
    .uniform_work_group_size: 1
    .uses_dynamic_stack: false
    .vgpr_count:     51
    .vgpr_spill_count: 0
    .wavefront_size: 32
    .workgroup_processor_mode: 1
  - .args:
      - .offset:         0
        .size:           4
        .value_kind:     by_value
      - .offset:         4
        .size:           4
        .value_kind:     by_value
      - .offset:         8
        .size:           4
        .value_kind:     by_value
      - .offset:         12
        .size:           4
        .value_kind:     by_value
      - .offset:         16
        .size:           4
        .value_kind:     by_value
      - .offset:         20
        .size:           4
        .value_kind:     by_value
      - .address_space:  global
        .offset:         24
        .size:           8
        .value_kind:     global_buffer
      - .actual_access:  read_only
        .address_space:  global
        .offset:         32
        .size:           8
        .value_kind:     global_buffer
      - .actual_access:  read_only
        .address_space:  global
        .offset:         40
        .size:           8
        .value_kind:     global_buffer
      - .address_space:  global
        .offset:         48
        .size:           8
        .value_kind:     global_buffer
      - .offset:         56
        .size:           4
        .value_kind:     by_value
      - .offset:         60
        .size:           4
        .value_kind:     by_value
    .group_segment_fixed_size: 65536
    .kernarg_segment_align: 8
    .kernarg_segment_size: 64
    .language:       OpenCL C
    .language_version:
      - 2
      - 0
    .max_flat_workgroup_size: 512
    .name:           _Z16wvSplitK_hf_big_I14__hip_bfloat16Li32ELi4ELi16ELi8ELi1ELi1EEviiiiiiPKT_S3_S3_PS1_ii
    .private_segment_fixed_size: 0
    .sgpr_count:     40
    .sgpr_spill_count: 0
    .symbol:         _Z16wvSplitK_hf_big_I14__hip_bfloat16Li32ELi4ELi16ELi8ELi1ELi1EEviiiiiiPKT_S3_S3_PS1_ii.kd
    .uniform_work_group_size: 1
    .uses_dynamic_stack: false
    .vgpr_count:     49
    .vgpr_spill_count: 0
    .wavefront_size: 32
    .workgroup_processor_mode: 1
  - .args:
      - .offset:         0
        .size:           4
        .value_kind:     by_value
      - .offset:         4
        .size:           4
        .value_kind:     by_value
      - .offset:         8
        .size:           4
        .value_kind:     by_value
      - .offset:         12
        .size:           4
        .value_kind:     by_value
      - .offset:         16
        .size:           4
        .value_kind:     by_value
      - .offset:         20
        .size:           4
        .value_kind:     by_value
      - .address_space:  global
        .offset:         24
        .size:           8
        .value_kind:     global_buffer
      - .actual_access:  read_only
        .address_space:  global
        .offset:         32
        .size:           8
        .value_kind:     global_buffer
      - .actual_access:  read_only
        .address_space:  global
        .offset:         40
        .size:           8
        .value_kind:     global_buffer
      - .address_space:  global
        .offset:         48
        .size:           8
        .value_kind:     global_buffer
      - .offset:         56
        .size:           4
        .value_kind:     by_value
      - .offset:         60
        .size:           4
        .value_kind:     by_value
    .group_segment_fixed_size: 65536
    .kernarg_segment_align: 8
    .kernarg_segment_size: 64
    .language:       OpenCL C
    .language_version:
      - 2
      - 0
    .max_flat_workgroup_size: 512
    .name:           _Z16wvSplitK_hf_sml_I14__hip_bfloat16Li32ELi4ELi16ELi8ELi2ELi1EEviiiiiiPKT_S3_S3_PS1_ii
    .private_segment_fixed_size: 0
    .sgpr_count:     22
    .sgpr_spill_count: 0
    .symbol:         _Z16wvSplitK_hf_sml_I14__hip_bfloat16Li32ELi4ELi16ELi8ELi2ELi1EEviiiiiiPKT_S3_S3_PS1_ii.kd
    .uniform_work_group_size: 1
    .uses_dynamic_stack: false
    .vgpr_count:     64
    .vgpr_spill_count: 0
    .wavefront_size: 32
    .workgroup_processor_mode: 1
  - .args:
      - .offset:         0
        .size:           4
        .value_kind:     by_value
      - .offset:         4
        .size:           4
        .value_kind:     by_value
      - .offset:         8
        .size:           4
        .value_kind:     by_value
      - .offset:         12
        .size:           4
        .value_kind:     by_value
      - .offset:         16
        .size:           4
        .value_kind:     by_value
      - .offset:         20
        .size:           4
        .value_kind:     by_value
      - .address_space:  global
        .offset:         24
        .size:           8
        .value_kind:     global_buffer
      - .actual_access:  read_only
        .address_space:  global
        .offset:         32
        .size:           8
        .value_kind:     global_buffer
      - .actual_access:  read_only
        .address_space:  global
        .offset:         40
        .size:           8
        .value_kind:     global_buffer
      - .address_space:  global
        .offset:         48
        .size:           8
        .value_kind:     global_buffer
      - .offset:         56
        .size:           4
        .value_kind:     by_value
      - .offset:         60
        .size:           4
        .value_kind:     by_value
    .group_segment_fixed_size: 65536
    .kernarg_segment_align: 8
    .kernarg_segment_size: 64
    .language:       OpenCL C
    .language_version:
      - 2
      - 0
    .max_flat_workgroup_size: 512
    .name:           _Z12wvSplitK_hf_I14__hip_bfloat16Li32ELi4ELi16ELi8ELi2ELi1EEviiiiiiPKT_S3_S3_PS1_ii
    .private_segment_fixed_size: 0
    .sgpr_count:     30
    .sgpr_spill_count: 0
    .symbol:         _Z12wvSplitK_hf_I14__hip_bfloat16Li32ELi4ELi16ELi8ELi2ELi1EEviiiiiiPKT_S3_S3_PS1_ii.kd
    .uniform_work_group_size: 1
    .uses_dynamic_stack: false
    .vgpr_count:     71
    .vgpr_spill_count: 0
    .wavefront_size: 32
    .workgroup_processor_mode: 1
  - .args:
      - .offset:         0
        .size:           4
        .value_kind:     by_value
      - .offset:         4
        .size:           4
        .value_kind:     by_value
      - .offset:         8
        .size:           4
        .value_kind:     by_value
      - .offset:         12
        .size:           4
        .value_kind:     by_value
      - .offset:         16
        .size:           4
        .value_kind:     by_value
      - .offset:         20
        .size:           4
        .value_kind:     by_value
      - .address_space:  global
        .offset:         24
        .size:           8
        .value_kind:     global_buffer
      - .actual_access:  read_only
        .address_space:  global
        .offset:         32
        .size:           8
        .value_kind:     global_buffer
      - .actual_access:  read_only
        .address_space:  global
        .offset:         40
        .size:           8
        .value_kind:     global_buffer
      - .address_space:  global
        .offset:         48
        .size:           8
        .value_kind:     global_buffer
      - .offset:         56
        .size:           4
        .value_kind:     by_value
      - .offset:         60
        .size:           4
        .value_kind:     by_value
    .group_segment_fixed_size: 65536
    .kernarg_segment_align: 8
    .kernarg_segment_size: 64
    .language:       OpenCL C
    .language_version:
      - 2
      - 0
    .max_flat_workgroup_size: 512
    .name:           _Z16wvSplitK_hf_big_I14__hip_bfloat16Li32ELi4ELi16ELi8ELi2ELi1EEviiiiiiPKT_S3_S3_PS1_ii
    .private_segment_fixed_size: 0
    .sgpr_count:     40
    .sgpr_spill_count: 0
    .symbol:         _Z16wvSplitK_hf_big_I14__hip_bfloat16Li32ELi4ELi16ELi8ELi2ELi1EEviiiiiiPKT_S3_S3_PS1_ii.kd
    .uniform_work_group_size: 1
    .uses_dynamic_stack: false
    .vgpr_count:     69
    .vgpr_spill_count: 0
    .wavefront_size: 32
    .workgroup_processor_mode: 1
  - .args:
      - .offset:         0
        .size:           4
        .value_kind:     by_value
      - .offset:         4
        .size:           4
        .value_kind:     by_value
      - .offset:         8
        .size:           4
        .value_kind:     by_value
      - .offset:         12
        .size:           4
        .value_kind:     by_value
      - .offset:         16
        .size:           4
        .value_kind:     by_value
      - .offset:         20
        .size:           4
        .value_kind:     by_value
      - .address_space:  global
        .offset:         24
        .size:           8
        .value_kind:     global_buffer
      - .actual_access:  read_only
        .address_space:  global
        .offset:         32
        .size:           8
        .value_kind:     global_buffer
      - .actual_access:  read_only
        .address_space:  global
        .offset:         40
        .size:           8
        .value_kind:     global_buffer
      - .address_space:  global
        .offset:         48
        .size:           8
        .value_kind:     global_buffer
      - .offset:         56
        .size:           4
        .value_kind:     by_value
      - .offset:         60
        .size:           4
        .value_kind:     by_value
    .group_segment_fixed_size: 65536
    .kernarg_segment_align: 8
    .kernarg_segment_size: 64
    .language:       OpenCL C
    .language_version:
      - 2
      - 0
    .max_flat_workgroup_size: 1024
    .name:           _Z16wvSplitK_hf_sml_I14__hip_bfloat16Li64ELi1ELi16ELi8ELi4ELi1EEviiiiiiPKT_S3_S3_PS1_ii
    .private_segment_fixed_size: 0
    .sgpr_count:     24
    .sgpr_spill_count: 0
    .symbol:         _Z16wvSplitK_hf_sml_I14__hip_bfloat16Li64ELi1ELi16ELi8ELi4ELi1EEviiiiiiPKT_S3_S3_PS1_ii.kd
    .uniform_work_group_size: 1
    .uses_dynamic_stack: false
    .vgpr_count:     46
    .vgpr_spill_count: 0
    .wavefront_size: 32
    .workgroup_processor_mode: 1
  - .args:
      - .offset:         0
        .size:           4
        .value_kind:     by_value
      - .offset:         4
        .size:           4
        .value_kind:     by_value
      - .offset:         8
        .size:           4
        .value_kind:     by_value
      - .offset:         12
        .size:           4
        .value_kind:     by_value
      - .offset:         16
        .size:           4
        .value_kind:     by_value
      - .offset:         20
        .size:           4
        .value_kind:     by_value
      - .address_space:  global
        .offset:         24
        .size:           8
        .value_kind:     global_buffer
      - .actual_access:  read_only
        .address_space:  global
        .offset:         32
        .size:           8
        .value_kind:     global_buffer
      - .actual_access:  read_only
        .address_space:  global
        .offset:         40
        .size:           8
        .value_kind:     global_buffer
      - .address_space:  global
        .offset:         48
        .size:           8
        .value_kind:     global_buffer
      - .offset:         56
        .size:           4
        .value_kind:     by_value
      - .offset:         60
        .size:           4
        .value_kind:     by_value
    .group_segment_fixed_size: 65536
    .kernarg_segment_align: 8
    .kernarg_segment_size: 64
    .language:       OpenCL C
    .language_version:
      - 2
      - 0
    .max_flat_workgroup_size: 1024
    .name:           _Z12wvSplitK_hf_I14__hip_bfloat16Li64ELi1ELi16ELi8ELi4ELi1EEviiiiiiPKT_S3_S3_PS1_ii
    .private_segment_fixed_size: 0
    .sgpr_count:     28
    .sgpr_spill_count: 0
    .symbol:         _Z12wvSplitK_hf_I14__hip_bfloat16Li64ELi1ELi16ELi8ELi4ELi1EEviiiiiiPKT_S3_S3_PS1_ii.kd
    .uniform_work_group_size: 1
    .uses_dynamic_stack: false
    .vgpr_count:     49
    .vgpr_spill_count: 0
    .wavefront_size: 32
    .workgroup_processor_mode: 1
  - .args:
      - .offset:         0
        .size:           4
        .value_kind:     by_value
      - .offset:         4
        .size:           4
        .value_kind:     by_value
      - .offset:         8
        .size:           4
        .value_kind:     by_value
      - .offset:         12
        .size:           4
        .value_kind:     by_value
      - .offset:         16
        .size:           4
        .value_kind:     by_value
      - .offset:         20
        .size:           4
        .value_kind:     by_value
      - .address_space:  global
        .offset:         24
        .size:           8
        .value_kind:     global_buffer
      - .actual_access:  read_only
        .address_space:  global
        .offset:         32
        .size:           8
        .value_kind:     global_buffer
      - .actual_access:  read_only
        .address_space:  global
        .offset:         40
        .size:           8
        .value_kind:     global_buffer
      - .address_space:  global
        .offset:         48
        .size:           8
        .value_kind:     global_buffer
      - .offset:         56
        .size:           4
        .value_kind:     by_value
      - .offset:         60
        .size:           4
        .value_kind:     by_value
    .group_segment_fixed_size: 65536
    .kernarg_segment_align: 8
    .kernarg_segment_size: 64
    .language:       OpenCL C
    .language_version:
      - 2
      - 0
    .max_flat_workgroup_size: 1024
    .name:           _Z16wvSplitK_hf_big_I14__hip_bfloat16Li64ELi1ELi16ELi8ELi4ELi1EEviiiiiiPKT_S3_S3_PS1_ii
    .private_segment_fixed_size: 0
    .sgpr_count:     37
    .sgpr_spill_count: 0
    .symbol:         _Z16wvSplitK_hf_big_I14__hip_bfloat16Li64ELi1ELi16ELi8ELi4ELi1EEviiiiiiPKT_S3_S3_PS1_ii.kd
    .uniform_work_group_size: 1
    .uses_dynamic_stack: false
    .vgpr_count:     48
    .vgpr_spill_count: 0
    .wavefront_size: 32
    .workgroup_processor_mode: 1
  - .args:
      - .offset:         0
        .size:           4
        .value_kind:     by_value
      - .offset:         4
        .size:           4
        .value_kind:     by_value
      - .offset:         8
        .size:           4
        .value_kind:     by_value
      - .offset:         12
        .size:           4
        .value_kind:     by_value
      - .offset:         16
        .size:           4
        .value_kind:     by_value
      - .offset:         20
        .size:           4
        .value_kind:     by_value
      - .address_space:  global
        .offset:         24
        .size:           8
        .value_kind:     global_buffer
      - .actual_access:  read_only
        .address_space:  global
        .offset:         32
        .size:           8
        .value_kind:     global_buffer
      - .actual_access:  read_only
        .address_space:  global
        .offset:         40
        .size:           8
        .value_kind:     global_buffer
      - .address_space:  global
        .offset:         48
        .size:           8
        .value_kind:     global_buffer
      - .offset:         56
        .size:           4
        .value_kind:     by_value
      - .offset:         60
        .size:           4
        .value_kind:     by_value
    .group_segment_fixed_size: 65536
    .kernarg_segment_align: 8
    .kernarg_segment_size: 64
    .language:       OpenCL C
    .language_version:
      - 2
      - 0
    .max_flat_workgroup_size: 1024
    .name:           _Z16wvSplitK_hf_sml_I14__hip_bfloat16Li64ELi2ELi16ELi8ELi2ELi1EEviiiiiiPKT_S3_S3_PS1_ii
    .private_segment_fixed_size: 0
    .sgpr_count:     22
    .sgpr_spill_count: 0
    .symbol:         _Z16wvSplitK_hf_sml_I14__hip_bfloat16Li64ELi2ELi16ELi8ELi2ELi1EEviiiiiiPKT_S3_S3_PS1_ii.kd
    .uniform_work_group_size: 1
    .uses_dynamic_stack: false
    .vgpr_count:     43
    .vgpr_spill_count: 0
    .wavefront_size: 32
    .workgroup_processor_mode: 1
  - .args:
      - .offset:         0
        .size:           4
        .value_kind:     by_value
      - .offset:         4
        .size:           4
        .value_kind:     by_value
      - .offset:         8
        .size:           4
        .value_kind:     by_value
      - .offset:         12
        .size:           4
        .value_kind:     by_value
      - .offset:         16
        .size:           4
        .value_kind:     by_value
      - .offset:         20
        .size:           4
        .value_kind:     by_value
      - .address_space:  global
        .offset:         24
        .size:           8
        .value_kind:     global_buffer
      - .actual_access:  read_only
        .address_space:  global
        .offset:         32
        .size:           8
        .value_kind:     global_buffer
      - .actual_access:  read_only
        .address_space:  global
        .offset:         40
        .size:           8
        .value_kind:     global_buffer
      - .address_space:  global
        .offset:         48
        .size:           8
        .value_kind:     global_buffer
      - .offset:         56
        .size:           4
        .value_kind:     by_value
      - .offset:         60
        .size:           4
        .value_kind:     by_value
    .group_segment_fixed_size: 65536
    .kernarg_segment_align: 8
    .kernarg_segment_size: 64
    .language:       OpenCL C
    .language_version:
      - 2
      - 0
    .max_flat_workgroup_size: 1024
    .name:           _Z12wvSplitK_hf_I14__hip_bfloat16Li64ELi2ELi16ELi8ELi2ELi1EEviiiiiiPKT_S3_S3_PS1_ii
    .private_segment_fixed_size: 0
    .sgpr_count:     29
    .sgpr_spill_count: 0
    .symbol:         _Z12wvSplitK_hf_I14__hip_bfloat16Li64ELi2ELi16ELi8ELi2ELi1EEviiiiiiPKT_S3_S3_PS1_ii.kd
    .uniform_work_group_size: 1
    .uses_dynamic_stack: false
    .vgpr_count:     46
    .vgpr_spill_count: 0
    .wavefront_size: 32
    .workgroup_processor_mode: 1
  - .args:
      - .offset:         0
        .size:           4
        .value_kind:     by_value
      - .offset:         4
        .size:           4
        .value_kind:     by_value
      - .offset:         8
        .size:           4
        .value_kind:     by_value
      - .offset:         12
        .size:           4
        .value_kind:     by_value
      - .offset:         16
        .size:           4
        .value_kind:     by_value
      - .offset:         20
        .size:           4
        .value_kind:     by_value
      - .address_space:  global
        .offset:         24
        .size:           8
        .value_kind:     global_buffer
      - .actual_access:  read_only
        .address_space:  global
        .offset:         32
        .size:           8
        .value_kind:     global_buffer
      - .actual_access:  read_only
        .address_space:  global
        .offset:         40
        .size:           8
        .value_kind:     global_buffer
      - .address_space:  global
        .offset:         48
        .size:           8
        .value_kind:     global_buffer
      - .offset:         56
        .size:           4
        .value_kind:     by_value
      - .offset:         60
        .size:           4
        .value_kind:     by_value
    .group_segment_fixed_size: 65536
    .kernarg_segment_align: 8
    .kernarg_segment_size: 64
    .language:       OpenCL C
    .language_version:
      - 2
      - 0
    .max_flat_workgroup_size: 1024
    .name:           _Z16wvSplitK_hf_big_I14__hip_bfloat16Li64ELi2ELi16ELi8ELi2ELi1EEviiiiiiPKT_S3_S3_PS1_ii
    .private_segment_fixed_size: 0
    .sgpr_count:     39
    .sgpr_spill_count: 0
    .symbol:         _Z16wvSplitK_hf_big_I14__hip_bfloat16Li64ELi2ELi16ELi8ELi2ELi1EEviiiiiiPKT_S3_S3_PS1_ii.kd
    .uniform_work_group_size: 1
    .uses_dynamic_stack: false
    .vgpr_count:     45
    .vgpr_spill_count: 0
    .wavefront_size: 32
    .workgroup_processor_mode: 1
  - .args:
      - .offset:         0
        .size:           4
        .value_kind:     by_value
      - .offset:         4
        .size:           4
        .value_kind:     by_value
      - .offset:         8
        .size:           4
        .value_kind:     by_value
      - .offset:         12
        .size:           4
        .value_kind:     by_value
      - .offset:         16
        .size:           4
        .value_kind:     by_value
      - .offset:         20
        .size:           4
        .value_kind:     by_value
      - .address_space:  global
        .offset:         24
        .size:           8
        .value_kind:     global_buffer
      - .actual_access:  read_only
        .address_space:  global
        .offset:         32
        .size:           8
        .value_kind:     global_buffer
      - .actual_access:  read_only
        .address_space:  global
        .offset:         40
        .size:           8
        .value_kind:     global_buffer
      - .address_space:  global
        .offset:         48
        .size:           8
        .value_kind:     global_buffer
      - .offset:         56
        .size:           4
        .value_kind:     by_value
      - .offset:         60
        .size:           4
        .value_kind:     by_value
    .group_segment_fixed_size: 65536
    .kernarg_segment_align: 8
    .kernarg_segment_size: 64
    .language:       OpenCL C
    .language_version:
      - 2
      - 0
    .max_flat_workgroup_size: 1024
    .name:           _Z16wvSplitK_hf_sml_I14__hip_bfloat16Li64ELi3ELi16ELi8ELi2ELi1EEviiiiiiPKT_S3_S3_PS1_ii
    .private_segment_fixed_size: 0
    .sgpr_count:     22
    .sgpr_spill_count: 0
    .symbol:         _Z16wvSplitK_hf_sml_I14__hip_bfloat16Li64ELi3ELi16ELi8ELi2ELi1EEviiiiiiPKT_S3_S3_PS1_ii.kd
    .uniform_work_group_size: 1
    .uses_dynamic_stack: false
    .vgpr_count:     55
    .vgpr_spill_count: 0
    .wavefront_size: 32
    .workgroup_processor_mode: 1
  - .args:
      - .offset:         0
        .size:           4
        .value_kind:     by_value
      - .offset:         4
        .size:           4
        .value_kind:     by_value
      - .offset:         8
        .size:           4
        .value_kind:     by_value
      - .offset:         12
        .size:           4
        .value_kind:     by_value
      - .offset:         16
        .size:           4
        .value_kind:     by_value
      - .offset:         20
        .size:           4
        .value_kind:     by_value
      - .address_space:  global
        .offset:         24
        .size:           8
        .value_kind:     global_buffer
      - .actual_access:  read_only
        .address_space:  global
        .offset:         32
        .size:           8
        .value_kind:     global_buffer
      - .actual_access:  read_only
        .address_space:  global
        .offset:         40
        .size:           8
        .value_kind:     global_buffer
      - .address_space:  global
        .offset:         48
        .size:           8
        .value_kind:     global_buffer
      - .offset:         56
        .size:           4
        .value_kind:     by_value
      - .offset:         60
        .size:           4
        .value_kind:     by_value
    .group_segment_fixed_size: 65536
    .kernarg_segment_align: 8
    .kernarg_segment_size: 64
    .language:       OpenCL C
    .language_version:
      - 2
      - 0
    .max_flat_workgroup_size: 1024
    .name:           _Z12wvSplitK_hf_I14__hip_bfloat16Li64ELi3ELi16ELi8ELi2ELi1EEviiiiiiPKT_S3_S3_PS1_ii
    .private_segment_fixed_size: 0
    .sgpr_count:     30
    .sgpr_spill_count: 0
    .symbol:         _Z12wvSplitK_hf_I14__hip_bfloat16Li64ELi3ELi16ELi8ELi2ELi1EEviiiiiiPKT_S3_S3_PS1_ii.kd
    .uniform_work_group_size: 1
    .uses_dynamic_stack: false
    .vgpr_count:     58
    .vgpr_spill_count: 0
    .wavefront_size: 32
    .workgroup_processor_mode: 1
  - .args:
      - .offset:         0
        .size:           4
        .value_kind:     by_value
      - .offset:         4
        .size:           4
        .value_kind:     by_value
      - .offset:         8
        .size:           4
        .value_kind:     by_value
      - .offset:         12
        .size:           4
        .value_kind:     by_value
      - .offset:         16
        .size:           4
        .value_kind:     by_value
      - .offset:         20
        .size:           4
        .value_kind:     by_value
      - .address_space:  global
        .offset:         24
        .size:           8
        .value_kind:     global_buffer
      - .actual_access:  read_only
        .address_space:  global
        .offset:         32
        .size:           8
        .value_kind:     global_buffer
      - .actual_access:  read_only
        .address_space:  global
        .offset:         40
        .size:           8
        .value_kind:     global_buffer
      - .address_space:  global
        .offset:         48
        .size:           8
        .value_kind:     global_buffer
      - .offset:         56
        .size:           4
        .value_kind:     by_value
      - .offset:         60
        .size:           4
        .value_kind:     by_value
    .group_segment_fixed_size: 65536
    .kernarg_segment_align: 8
    .kernarg_segment_size: 64
    .language:       OpenCL C
    .language_version:
      - 2
      - 0
    .max_flat_workgroup_size: 1024
    .name:           _Z16wvSplitK_hf_big_I14__hip_bfloat16Li64ELi3ELi16ELi8ELi2ELi1EEviiiiiiPKT_S3_S3_PS1_ii
    .private_segment_fixed_size: 0
    .sgpr_count:     40
    .sgpr_spill_count: 0
    .symbol:         _Z16wvSplitK_hf_big_I14__hip_bfloat16Li64ELi3ELi16ELi8ELi2ELi1EEviiiiiiPKT_S3_S3_PS1_ii.kd
    .uniform_work_group_size: 1
    .uses_dynamic_stack: false
    .vgpr_count:     56
    .vgpr_spill_count: 0
    .wavefront_size: 32
    .workgroup_processor_mode: 1
  - .args:
      - .offset:         0
        .size:           4
        .value_kind:     by_value
      - .offset:         4
        .size:           4
        .value_kind:     by_value
      - .offset:         8
        .size:           4
        .value_kind:     by_value
      - .offset:         12
        .size:           4
        .value_kind:     by_value
      - .offset:         16
        .size:           4
        .value_kind:     by_value
      - .offset:         20
        .size:           4
        .value_kind:     by_value
      - .address_space:  global
        .offset:         24
        .size:           8
        .value_kind:     global_buffer
      - .actual_access:  read_only
        .address_space:  global
        .offset:         32
        .size:           8
        .value_kind:     global_buffer
      - .actual_access:  read_only
        .address_space:  global
        .offset:         40
        .size:           8
        .value_kind:     global_buffer
      - .address_space:  global
        .offset:         48
        .size:           8
        .value_kind:     global_buffer
      - .offset:         56
        .size:           4
        .value_kind:     by_value
      - .offset:         60
        .size:           4
        .value_kind:     by_value
    .group_segment_fixed_size: 65536
    .kernarg_segment_align: 8
    .kernarg_segment_size: 64
    .language:       OpenCL C
    .language_version:
      - 2
      - 0
    .max_flat_workgroup_size: 1024
    .name:           _Z16wvSplitK_hf_sml_I14__hip_bfloat16Li64ELi4ELi16ELi8ELi1ELi1EEviiiiiiPKT_S3_S3_PS1_ii
    .private_segment_fixed_size: 0
    .sgpr_count:     21
    .sgpr_spill_count: 0
    .symbol:         _Z16wvSplitK_hf_sml_I14__hip_bfloat16Li64ELi4ELi16ELi8ELi1ELi1EEviiiiiiPKT_S3_S3_PS1_ii.kd
    .uniform_work_group_size: 1
    .uses_dynamic_stack: false
    .vgpr_count:     44
    .vgpr_spill_count: 0
    .wavefront_size: 32
    .workgroup_processor_mode: 1
  - .args:
      - .offset:         0
        .size:           4
        .value_kind:     by_value
      - .offset:         4
        .size:           4
        .value_kind:     by_value
      - .offset:         8
        .size:           4
        .value_kind:     by_value
      - .offset:         12
        .size:           4
        .value_kind:     by_value
      - .offset:         16
        .size:           4
        .value_kind:     by_value
      - .offset:         20
        .size:           4
        .value_kind:     by_value
      - .address_space:  global
        .offset:         24
        .size:           8
        .value_kind:     global_buffer
      - .actual_access:  read_only
        .address_space:  global
        .offset:         32
        .size:           8
        .value_kind:     global_buffer
      - .actual_access:  read_only
        .address_space:  global
        .offset:         40
        .size:           8
        .value_kind:     global_buffer
      - .address_space:  global
        .offset:         48
        .size:           8
        .value_kind:     global_buffer
      - .offset:         56
        .size:           4
        .value_kind:     by_value
      - .offset:         60
        .size:           4
        .value_kind:     by_value
    .group_segment_fixed_size: 65536
    .kernarg_segment_align: 8
    .kernarg_segment_size: 64
    .language:       OpenCL C
    .language_version:
      - 2
      - 0
    .max_flat_workgroup_size: 1024
    .name:           _Z12wvSplitK_hf_I14__hip_bfloat16Li64ELi4ELi16ELi8ELi1ELi1EEviiiiiiPKT_S3_S3_PS1_ii
    .private_segment_fixed_size: 0
    .sgpr_count:     30
    .sgpr_spill_count: 0
    .symbol:         _Z12wvSplitK_hf_I14__hip_bfloat16Li64ELi4ELi16ELi8ELi1ELi1EEviiiiiiPKT_S3_S3_PS1_ii.kd
    .uniform_work_group_size: 1
    .uses_dynamic_stack: false
    .vgpr_count:     51
    .vgpr_spill_count: 0
    .wavefront_size: 32
    .workgroup_processor_mode: 1
  - .args:
      - .offset:         0
        .size:           4
        .value_kind:     by_value
      - .offset:         4
        .size:           4
        .value_kind:     by_value
      - .offset:         8
        .size:           4
        .value_kind:     by_value
      - .offset:         12
        .size:           4
        .value_kind:     by_value
      - .offset:         16
        .size:           4
        .value_kind:     by_value
      - .offset:         20
        .size:           4
        .value_kind:     by_value
      - .address_space:  global
        .offset:         24
        .size:           8
        .value_kind:     global_buffer
      - .actual_access:  read_only
        .address_space:  global
        .offset:         32
        .size:           8
        .value_kind:     global_buffer
      - .actual_access:  read_only
        .address_space:  global
        .offset:         40
        .size:           8
        .value_kind:     global_buffer
      - .address_space:  global
        .offset:         48
        .size:           8
        .value_kind:     global_buffer
      - .offset:         56
        .size:           4
        .value_kind:     by_value
      - .offset:         60
        .size:           4
        .value_kind:     by_value
    .group_segment_fixed_size: 65536
    .kernarg_segment_align: 8
    .kernarg_segment_size: 64
    .language:       OpenCL C
    .language_version:
      - 2
      - 0
    .max_flat_workgroup_size: 1024
    .name:           _Z16wvSplitK_hf_big_I14__hip_bfloat16Li64ELi4ELi16ELi8ELi1ELi1EEviiiiiiPKT_S3_S3_PS1_ii
    .private_segment_fixed_size: 0
    .sgpr_count:     40
    .sgpr_spill_count: 0
    .symbol:         _Z16wvSplitK_hf_big_I14__hip_bfloat16Li64ELi4ELi16ELi8ELi1ELi1EEviiiiiiPKT_S3_S3_PS1_ii.kd
    .uniform_work_group_size: 1
    .uses_dynamic_stack: false
    .vgpr_count:     48
    .vgpr_spill_count: 0
    .wavefront_size: 32
    .workgroup_processor_mode: 1
  - .args:
      - .offset:         0
        .size:           4
        .value_kind:     by_value
      - .offset:         4
        .size:           4
        .value_kind:     by_value
      - .offset:         8
        .size:           4
        .value_kind:     by_value
      - .offset:         12
        .size:           4
        .value_kind:     by_value
      - .offset:         16
        .size:           4
        .value_kind:     by_value
      - .offset:         20
        .size:           4
        .value_kind:     by_value
      - .address_space:  global
        .offset:         24
        .size:           8
        .value_kind:     global_buffer
      - .actual_access:  read_only
        .address_space:  global
        .offset:         32
        .size:           8
        .value_kind:     global_buffer
      - .actual_access:  read_only
        .address_space:  global
        .offset:         40
        .size:           8
        .value_kind:     global_buffer
      - .address_space:  global
        .offset:         48
        .size:           8
        .value_kind:     global_buffer
      - .offset:         56
        .size:           4
        .value_kind:     by_value
      - .offset:         60
        .size:           4
        .value_kind:     by_value
    .group_segment_fixed_size: 65536
    .kernarg_segment_align: 8
    .kernarg_segment_size: 64
    .language:       OpenCL C
    .language_version:
      - 2
      - 0
    .max_flat_workgroup_size: 1024
    .name:           _Z16wvSplitK_hf_sml_I14__hip_bfloat16Li64ELi4ELi16ELi8ELi2ELi1EEviiiiiiPKT_S3_S3_PS1_ii
    .private_segment_fixed_size: 0
    .sgpr_count:     22
    .sgpr_spill_count: 0
    .symbol:         _Z16wvSplitK_hf_sml_I14__hip_bfloat16Li64ELi4ELi16ELi8ELi2ELi1EEviiiiiiPKT_S3_S3_PS1_ii.kd
    .uniform_work_group_size: 1
    .uses_dynamic_stack: false
    .vgpr_count:     64
    .vgpr_spill_count: 0
    .wavefront_size: 32
    .workgroup_processor_mode: 1
  - .args:
      - .offset:         0
        .size:           4
        .value_kind:     by_value
      - .offset:         4
        .size:           4
        .value_kind:     by_value
      - .offset:         8
        .size:           4
        .value_kind:     by_value
      - .offset:         12
        .size:           4
        .value_kind:     by_value
      - .offset:         16
        .size:           4
        .value_kind:     by_value
      - .offset:         20
        .size:           4
        .value_kind:     by_value
      - .address_space:  global
        .offset:         24
        .size:           8
        .value_kind:     global_buffer
      - .actual_access:  read_only
        .address_space:  global
        .offset:         32
        .size:           8
        .value_kind:     global_buffer
      - .actual_access:  read_only
        .address_space:  global
        .offset:         40
        .size:           8
        .value_kind:     global_buffer
      - .address_space:  global
        .offset:         48
        .size:           8
        .value_kind:     global_buffer
      - .offset:         56
        .size:           4
        .value_kind:     by_value
      - .offset:         60
        .size:           4
        .value_kind:     by_value
    .group_segment_fixed_size: 65536
    .kernarg_segment_align: 8
    .kernarg_segment_size: 64
    .language:       OpenCL C
    .language_version:
      - 2
      - 0
    .max_flat_workgroup_size: 1024
    .name:           _Z12wvSplitK_hf_I14__hip_bfloat16Li64ELi4ELi16ELi8ELi2ELi1EEviiiiiiPKT_S3_S3_PS1_ii
    .private_segment_fixed_size: 0
    .sgpr_count:     30
    .sgpr_spill_count: 0
    .symbol:         _Z12wvSplitK_hf_I14__hip_bfloat16Li64ELi4ELi16ELi8ELi2ELi1EEviiiiiiPKT_S3_S3_PS1_ii.kd
    .uniform_work_group_size: 1
    .uses_dynamic_stack: false
    .vgpr_count:     71
    .vgpr_spill_count: 0
    .wavefront_size: 32
    .workgroup_processor_mode: 1
  - .args:
      - .offset:         0
        .size:           4
        .value_kind:     by_value
      - .offset:         4
        .size:           4
        .value_kind:     by_value
      - .offset:         8
        .size:           4
        .value_kind:     by_value
      - .offset:         12
        .size:           4
        .value_kind:     by_value
      - .offset:         16
        .size:           4
        .value_kind:     by_value
      - .offset:         20
        .size:           4
        .value_kind:     by_value
      - .address_space:  global
        .offset:         24
        .size:           8
        .value_kind:     global_buffer
      - .actual_access:  read_only
        .address_space:  global
        .offset:         32
        .size:           8
        .value_kind:     global_buffer
      - .actual_access:  read_only
        .address_space:  global
        .offset:         40
        .size:           8
        .value_kind:     global_buffer
      - .address_space:  global
        .offset:         48
        .size:           8
        .value_kind:     global_buffer
      - .offset:         56
        .size:           4
        .value_kind:     by_value
      - .offset:         60
        .size:           4
        .value_kind:     by_value
    .group_segment_fixed_size: 65536
    .kernarg_segment_align: 8
    .kernarg_segment_size: 64
    .language:       OpenCL C
    .language_version:
      - 2
      - 0
    .max_flat_workgroup_size: 1024
    .name:           _Z16wvSplitK_hf_big_I14__hip_bfloat16Li64ELi4ELi16ELi8ELi2ELi1EEviiiiiiPKT_S3_S3_PS1_ii
    .private_segment_fixed_size: 0
    .sgpr_count:     40
    .sgpr_spill_count: 0
    .symbol:         _Z16wvSplitK_hf_big_I14__hip_bfloat16Li64ELi4ELi16ELi8ELi2ELi1EEviiiiiiPKT_S3_S3_PS1_ii.kd
    .uniform_work_group_size: 1
    .uses_dynamic_stack: false
    .vgpr_count:     68
    .vgpr_spill_count: 0
    .wavefront_size: 32
    .workgroup_processor_mode: 1
  - .args:
      - .offset:         0
        .size:           4
        .value_kind:     by_value
      - .offset:         4
        .size:           4
        .value_kind:     by_value
      - .offset:         8
        .size:           4
        .value_kind:     by_value
      - .offset:         12
        .size:           4
        .value_kind:     by_value
      - .offset:         16
        .size:           4
        .value_kind:     by_value
      - .offset:         20
        .size:           4
        .value_kind:     by_value
      - .address_space:  global
        .offset:         24
        .size:           8
        .value_kind:     global_buffer
      - .actual_access:  read_only
        .address_space:  global
        .offset:         32
        .size:           8
        .value_kind:     global_buffer
      - .actual_access:  read_only
        .address_space:  global
        .offset:         40
        .size:           8
        .value_kind:     global_buffer
      - .address_space:  global
        .offset:         48
        .size:           8
        .value_kind:     global_buffer
      - .offset:         56
        .size:           4
        .value_kind:     by_value
      - .offset:         60
        .size:           4
        .value_kind:     by_value
    .group_segment_fixed_size: 65536
    .kernarg_segment_align: 8
    .kernarg_segment_size: 64
    .language:       OpenCL C
    .language_version:
      - 2
      - 0
    .max_flat_workgroup_size: 512
    .name:           _Z16wvSplitK_hf_sml_I14__hip_bfloat16Li32ELi1ELi16ELi8ELi4ELi2EEviiiiiiPKT_S3_S3_PS1_ii
    .private_segment_fixed_size: 0
    .sgpr_count:     26
    .sgpr_spill_count: 0
    .symbol:         _Z16wvSplitK_hf_sml_I14__hip_bfloat16Li32ELi1ELi16ELi8ELi4ELi2EEviiiiiiPKT_S3_S3_PS1_ii.kd
    .uniform_work_group_size: 1
    .uses_dynamic_stack: false
    .vgpr_count:     64
    .vgpr_spill_count: 0
    .wavefront_size: 32
    .workgroup_processor_mode: 1
  - .args:
      - .offset:         0
        .size:           4
        .value_kind:     by_value
      - .offset:         4
        .size:           4
        .value_kind:     by_value
      - .offset:         8
        .size:           4
        .value_kind:     by_value
      - .offset:         12
        .size:           4
        .value_kind:     by_value
      - .offset:         16
        .size:           4
        .value_kind:     by_value
      - .offset:         20
        .size:           4
        .value_kind:     by_value
      - .address_space:  global
        .offset:         24
        .size:           8
        .value_kind:     global_buffer
      - .actual_access:  read_only
        .address_space:  global
        .offset:         32
        .size:           8
        .value_kind:     global_buffer
      - .actual_access:  read_only
        .address_space:  global
        .offset:         40
        .size:           8
        .value_kind:     global_buffer
      - .address_space:  global
        .offset:         48
        .size:           8
        .value_kind:     global_buffer
      - .offset:         56
        .size:           4
        .value_kind:     by_value
      - .offset:         60
        .size:           4
        .value_kind:     by_value
    .group_segment_fixed_size: 65536
    .kernarg_segment_align: 8
    .kernarg_segment_size: 64
    .language:       OpenCL C
    .language_version:
      - 2
      - 0
    .max_flat_workgroup_size: 512
    .name:           _Z12wvSplitK_hf_I14__hip_bfloat16Li32ELi1ELi16ELi8ELi4ELi2EEviiiiiiPKT_S3_S3_PS1_ii
    .private_segment_fixed_size: 0
    .sgpr_count:     30
    .sgpr_spill_count: 0
    .symbol:         _Z12wvSplitK_hf_I14__hip_bfloat16Li32ELi1ELi16ELi8ELi4ELi2EEviiiiiiPKT_S3_S3_PS1_ii.kd
    .uniform_work_group_size: 1
    .uses_dynamic_stack: false
    .vgpr_count:     67
    .vgpr_spill_count: 0
    .wavefront_size: 32
    .workgroup_processor_mode: 1
  - .args:
      - .offset:         0
        .size:           4
        .value_kind:     by_value
      - .offset:         4
        .size:           4
        .value_kind:     by_value
      - .offset:         8
        .size:           4
        .value_kind:     by_value
      - .offset:         12
        .size:           4
        .value_kind:     by_value
      - .offset:         16
        .size:           4
        .value_kind:     by_value
      - .offset:         20
        .size:           4
        .value_kind:     by_value
      - .address_space:  global
        .offset:         24
        .size:           8
        .value_kind:     global_buffer
      - .actual_access:  read_only
        .address_space:  global
        .offset:         32
        .size:           8
        .value_kind:     global_buffer
      - .actual_access:  read_only
        .address_space:  global
        .offset:         40
        .size:           8
        .value_kind:     global_buffer
      - .address_space:  global
        .offset:         48
        .size:           8
        .value_kind:     global_buffer
      - .offset:         56
        .size:           4
        .value_kind:     by_value
      - .offset:         60
        .size:           4
        .value_kind:     by_value
    .group_segment_fixed_size: 65536
    .kernarg_segment_align: 8
    .kernarg_segment_size: 64
    .language:       OpenCL C
    .language_version:
      - 2
      - 0
    .max_flat_workgroup_size: 512
    .name:           _Z16wvSplitK_hf_big_I14__hip_bfloat16Li32ELi1ELi16ELi8ELi4ELi2EEviiiiiiPKT_S3_S3_PS1_ii
    .private_segment_fixed_size: 0
    .sgpr_count:     39
    .sgpr_spill_count: 0
    .symbol:         _Z16wvSplitK_hf_big_I14__hip_bfloat16Li32ELi1ELi16ELi8ELi4ELi2EEviiiiiiPKT_S3_S3_PS1_ii.kd
    .uniform_work_group_size: 1
    .uses_dynamic_stack: false
    .vgpr_count:     66
    .vgpr_spill_count: 0
    .wavefront_size: 32
    .workgroup_processor_mode: 1
  - .args:
      - .offset:         0
        .size:           4
        .value_kind:     by_value
      - .offset:         4
        .size:           4
        .value_kind:     by_value
      - .offset:         8
        .size:           4
        .value_kind:     by_value
      - .offset:         12
        .size:           4
        .value_kind:     by_value
      - .offset:         16
        .size:           4
        .value_kind:     by_value
      - .offset:         20
        .size:           4
        .value_kind:     by_value
      - .address_space:  global
        .offset:         24
        .size:           8
        .value_kind:     global_buffer
      - .actual_access:  read_only
        .address_space:  global
        .offset:         32
        .size:           8
        .value_kind:     global_buffer
      - .actual_access:  read_only
        .address_space:  global
        .offset:         40
        .size:           8
        .value_kind:     global_buffer
      - .address_space:  global
        .offset:         48
        .size:           8
        .value_kind:     global_buffer
      - .offset:         56
        .size:           4
        .value_kind:     by_value
      - .offset:         60
        .size:           4
        .value_kind:     by_value
    .group_segment_fixed_size: 65536
    .kernarg_segment_align: 8
    .kernarg_segment_size: 64
    .language:       OpenCL C
    .language_version:
      - 2
      - 0
    .max_flat_workgroup_size: 512
    .name:           _Z16wvSplitK_hf_sml_I14__hip_bfloat16Li32ELi2ELi16ELi8ELi2ELi2EEviiiiiiPKT_S3_S3_PS1_ii
    .private_segment_fixed_size: 0
    .sgpr_count:     24
    .sgpr_spill_count: 0
    .symbol:         _Z16wvSplitK_hf_sml_I14__hip_bfloat16Li32ELi2ELi16ELi8ELi2ELi2EEviiiiiiPKT_S3_S3_PS1_ii.kd
    .uniform_work_group_size: 1
    .uses_dynamic_stack: false
    .vgpr_count:     59
    .vgpr_spill_count: 0
    .wavefront_size: 32
    .workgroup_processor_mode: 1
  - .args:
      - .offset:         0
        .size:           4
        .value_kind:     by_value
      - .offset:         4
        .size:           4
        .value_kind:     by_value
      - .offset:         8
        .size:           4
        .value_kind:     by_value
      - .offset:         12
        .size:           4
        .value_kind:     by_value
      - .offset:         16
        .size:           4
        .value_kind:     by_value
      - .offset:         20
        .size:           4
        .value_kind:     by_value
      - .address_space:  global
        .offset:         24
        .size:           8
        .value_kind:     global_buffer
      - .actual_access:  read_only
        .address_space:  global
        .offset:         32
        .size:           8
        .value_kind:     global_buffer
      - .actual_access:  read_only
        .address_space:  global
        .offset:         40
        .size:           8
        .value_kind:     global_buffer
      - .address_space:  global
        .offset:         48
        .size:           8
        .value_kind:     global_buffer
      - .offset:         56
        .size:           4
        .value_kind:     by_value
      - .offset:         60
        .size:           4
        .value_kind:     by_value
    .group_segment_fixed_size: 65536
    .kernarg_segment_align: 8
    .kernarg_segment_size: 64
    .language:       OpenCL C
    .language_version:
      - 2
      - 0
    .max_flat_workgroup_size: 512
    .name:           _Z12wvSplitK_hf_I14__hip_bfloat16Li32ELi2ELi16ELi8ELi2ELi2EEviiiiiiPKT_S3_S3_PS1_ii
    .private_segment_fixed_size: 0
    .sgpr_count:     31
    .sgpr_spill_count: 0
    .symbol:         _Z12wvSplitK_hf_I14__hip_bfloat16Li32ELi2ELi16ELi8ELi2ELi2EEviiiiiiPKT_S3_S3_PS1_ii.kd
    .uniform_work_group_size: 1
    .uses_dynamic_stack: false
    .vgpr_count:     63
    .vgpr_spill_count: 0
    .wavefront_size: 32
    .workgroup_processor_mode: 1
  - .args:
      - .offset:         0
        .size:           4
        .value_kind:     by_value
      - .offset:         4
        .size:           4
        .value_kind:     by_value
      - .offset:         8
        .size:           4
        .value_kind:     by_value
      - .offset:         12
        .size:           4
        .value_kind:     by_value
      - .offset:         16
        .size:           4
        .value_kind:     by_value
      - .offset:         20
        .size:           4
        .value_kind:     by_value
      - .address_space:  global
        .offset:         24
        .size:           8
        .value_kind:     global_buffer
      - .actual_access:  read_only
        .address_space:  global
        .offset:         32
        .size:           8
        .value_kind:     global_buffer
      - .actual_access:  read_only
        .address_space:  global
        .offset:         40
        .size:           8
        .value_kind:     global_buffer
      - .address_space:  global
        .offset:         48
        .size:           8
        .value_kind:     global_buffer
      - .offset:         56
        .size:           4
        .value_kind:     by_value
      - .offset:         60
        .size:           4
        .value_kind:     by_value
    .group_segment_fixed_size: 65536
    .kernarg_segment_align: 8
    .kernarg_segment_size: 64
    .language:       OpenCL C
    .language_version:
      - 2
      - 0
    .max_flat_workgroup_size: 512
    .name:           _Z16wvSplitK_hf_big_I14__hip_bfloat16Li32ELi2ELi16ELi8ELi2ELi2EEviiiiiiPKT_S3_S3_PS1_ii
    .private_segment_fixed_size: 0
    .sgpr_count:     41
    .sgpr_spill_count: 0
    .symbol:         _Z16wvSplitK_hf_big_I14__hip_bfloat16Li32ELi2ELi16ELi8ELi2ELi2EEviiiiiiPKT_S3_S3_PS1_ii.kd
    .uniform_work_group_size: 1
    .uses_dynamic_stack: false
    .vgpr_count:     62
    .vgpr_spill_count: 0
    .wavefront_size: 32
    .workgroup_processor_mode: 1
  - .args:
      - .offset:         0
        .size:           4
        .value_kind:     by_value
      - .offset:         4
        .size:           4
        .value_kind:     by_value
      - .offset:         8
        .size:           4
        .value_kind:     by_value
      - .offset:         12
        .size:           4
        .value_kind:     by_value
      - .offset:         16
        .size:           4
        .value_kind:     by_value
      - .offset:         20
        .size:           4
        .value_kind:     by_value
      - .address_space:  global
        .offset:         24
        .size:           8
        .value_kind:     global_buffer
      - .actual_access:  read_only
        .address_space:  global
        .offset:         32
        .size:           8
        .value_kind:     global_buffer
      - .actual_access:  read_only
        .address_space:  global
        .offset:         40
        .size:           8
        .value_kind:     global_buffer
      - .address_space:  global
        .offset:         48
        .size:           8
        .value_kind:     global_buffer
      - .offset:         56
        .size:           4
        .value_kind:     by_value
      - .offset:         60
        .size:           4
        .value_kind:     by_value
    .group_segment_fixed_size: 65536
    .kernarg_segment_align: 8
    .kernarg_segment_size: 64
    .language:       OpenCL C
    .language_version:
      - 2
      - 0
    .max_flat_workgroup_size: 512
    .name:           _Z16wvSplitK_hf_sml_I14__hip_bfloat16Li32ELi3ELi16ELi8ELi2ELi2EEviiiiiiPKT_S3_S3_PS1_ii
    .private_segment_fixed_size: 0
    .sgpr_count:     24
    .sgpr_spill_count: 0
    .symbol:         _Z16wvSplitK_hf_sml_I14__hip_bfloat16Li32ELi3ELi16ELi8ELi2ELi2EEviiiiiiPKT_S3_S3_PS1_ii.kd
    .uniform_work_group_size: 1
    .uses_dynamic_stack: false
    .vgpr_count:     75
    .vgpr_spill_count: 0
    .wavefront_size: 32
    .workgroup_processor_mode: 1
  - .args:
      - .offset:         0
        .size:           4
        .value_kind:     by_value
      - .offset:         4
        .size:           4
        .value_kind:     by_value
      - .offset:         8
        .size:           4
        .value_kind:     by_value
      - .offset:         12
        .size:           4
        .value_kind:     by_value
      - .offset:         16
        .size:           4
        .value_kind:     by_value
      - .offset:         20
        .size:           4
        .value_kind:     by_value
      - .address_space:  global
        .offset:         24
        .size:           8
        .value_kind:     global_buffer
      - .actual_access:  read_only
        .address_space:  global
        .offset:         32
        .size:           8
        .value_kind:     global_buffer
      - .actual_access:  read_only
        .address_space:  global
        .offset:         40
        .size:           8
        .value_kind:     global_buffer
      - .address_space:  global
        .offset:         48
        .size:           8
        .value_kind:     global_buffer
      - .offset:         56
        .size:           4
        .value_kind:     by_value
      - .offset:         60
        .size:           4
        .value_kind:     by_value
    .group_segment_fixed_size: 65536
    .kernarg_segment_align: 8
    .kernarg_segment_size: 64
    .language:       OpenCL C
    .language_version:
      - 2
      - 0
    .max_flat_workgroup_size: 512
    .name:           _Z12wvSplitK_hf_I14__hip_bfloat16Li32ELi3ELi16ELi8ELi2ELi2EEviiiiiiPKT_S3_S3_PS1_ii
    .private_segment_fixed_size: 0
    .sgpr_count:     32
    .sgpr_spill_count: 0
    .symbol:         _Z12wvSplitK_hf_I14__hip_bfloat16Li32ELi3ELi16ELi8ELi2ELi2EEviiiiiiPKT_S3_S3_PS1_ii.kd
    .uniform_work_group_size: 1
    .uses_dynamic_stack: false
    .vgpr_count:     85
    .vgpr_spill_count: 0
    .wavefront_size: 32
    .workgroup_processor_mode: 1
  - .args:
      - .offset:         0
        .size:           4
        .value_kind:     by_value
      - .offset:         4
        .size:           4
        .value_kind:     by_value
      - .offset:         8
        .size:           4
        .value_kind:     by_value
      - .offset:         12
        .size:           4
        .value_kind:     by_value
      - .offset:         16
        .size:           4
        .value_kind:     by_value
      - .offset:         20
        .size:           4
        .value_kind:     by_value
      - .address_space:  global
        .offset:         24
        .size:           8
        .value_kind:     global_buffer
      - .actual_access:  read_only
        .address_space:  global
        .offset:         32
        .size:           8
        .value_kind:     global_buffer
      - .actual_access:  read_only
        .address_space:  global
        .offset:         40
        .size:           8
        .value_kind:     global_buffer
      - .address_space:  global
        .offset:         48
        .size:           8
        .value_kind:     global_buffer
      - .offset:         56
        .size:           4
        .value_kind:     by_value
      - .offset:         60
        .size:           4
        .value_kind:     by_value
    .group_segment_fixed_size: 65536
    .kernarg_segment_align: 8
    .kernarg_segment_size: 64
    .language:       OpenCL C
    .language_version:
      - 2
      - 0
    .max_flat_workgroup_size: 512
    .name:           _Z16wvSplitK_hf_big_I14__hip_bfloat16Li32ELi3ELi16ELi8ELi2ELi2EEviiiiiiPKT_S3_S3_PS1_ii
    .private_segment_fixed_size: 0
    .sgpr_count:     42
    .sgpr_spill_count: 0
    .symbol:         _Z16wvSplitK_hf_big_I14__hip_bfloat16Li32ELi3ELi16ELi8ELi2ELi2EEviiiiiiPKT_S3_S3_PS1_ii.kd
    .uniform_work_group_size: 1
    .uses_dynamic_stack: false
    .vgpr_count:     78
    .vgpr_spill_count: 0
    .wavefront_size: 32
    .workgroup_processor_mode: 1
  - .args:
      - .offset:         0
        .size:           4
        .value_kind:     by_value
      - .offset:         4
        .size:           4
        .value_kind:     by_value
      - .offset:         8
        .size:           4
        .value_kind:     by_value
      - .offset:         12
        .size:           4
        .value_kind:     by_value
      - .offset:         16
        .size:           4
        .value_kind:     by_value
      - .offset:         20
        .size:           4
        .value_kind:     by_value
      - .address_space:  global
        .offset:         24
        .size:           8
        .value_kind:     global_buffer
      - .actual_access:  read_only
        .address_space:  global
        .offset:         32
        .size:           8
        .value_kind:     global_buffer
      - .actual_access:  read_only
        .address_space:  global
        .offset:         40
        .size:           8
        .value_kind:     global_buffer
      - .address_space:  global
        .offset:         48
        .size:           8
        .value_kind:     global_buffer
      - .offset:         56
        .size:           4
        .value_kind:     by_value
      - .offset:         60
        .size:           4
        .value_kind:     by_value
    .group_segment_fixed_size: 65536
    .kernarg_segment_align: 8
    .kernarg_segment_size: 64
    .language:       OpenCL C
    .language_version:
      - 2
      - 0
    .max_flat_workgroup_size: 512
    .name:           _Z16wvSplitK_hf_sml_I14__hip_bfloat16Li32ELi4ELi16ELi8ELi1ELi2EEviiiiiiPKT_S3_S3_PS1_ii
    .private_segment_fixed_size: 0
    .sgpr_count:     23
    .sgpr_spill_count: 0
    .symbol:         _Z16wvSplitK_hf_sml_I14__hip_bfloat16Li32ELi4ELi16ELi8ELi1ELi2EEviiiiiiPKT_S3_S3_PS1_ii.kd
    .uniform_work_group_size: 1
    .uses_dynamic_stack: false
    .vgpr_count:     69
    .vgpr_spill_count: 0
    .wavefront_size: 32
    .workgroup_processor_mode: 1
  - .args:
      - .offset:         0
        .size:           4
        .value_kind:     by_value
      - .offset:         4
        .size:           4
        .value_kind:     by_value
      - .offset:         8
        .size:           4
        .value_kind:     by_value
      - .offset:         12
        .size:           4
        .value_kind:     by_value
      - .offset:         16
        .size:           4
        .value_kind:     by_value
      - .offset:         20
        .size:           4
        .value_kind:     by_value
      - .address_space:  global
        .offset:         24
        .size:           8
        .value_kind:     global_buffer
      - .actual_access:  read_only
        .address_space:  global
        .offset:         32
        .size:           8
        .value_kind:     global_buffer
      - .actual_access:  read_only
        .address_space:  global
        .offset:         40
        .size:           8
        .value_kind:     global_buffer
      - .address_space:  global
        .offset:         48
        .size:           8
        .value_kind:     global_buffer
      - .offset:         56
        .size:           4
        .value_kind:     by_value
      - .offset:         60
        .size:           4
        .value_kind:     by_value
    .group_segment_fixed_size: 65536
    .kernarg_segment_align: 8
    .kernarg_segment_size: 64
    .language:       OpenCL C
    .language_version:
      - 2
      - 0
    .max_flat_workgroup_size: 512
    .name:           _Z12wvSplitK_hf_I14__hip_bfloat16Li32ELi4ELi16ELi8ELi1ELi2EEviiiiiiPKT_S3_S3_PS1_ii
    .private_segment_fixed_size: 0
    .sgpr_count:     32
    .sgpr_spill_count: 0
    .symbol:         _Z12wvSplitK_hf_I14__hip_bfloat16Li32ELi4ELi16ELi8ELi1ELi2EEviiiiiiPKT_S3_S3_PS1_ii.kd
    .uniform_work_group_size: 1
    .uses_dynamic_stack: false
    .vgpr_count:     77
    .vgpr_spill_count: 0
    .wavefront_size: 32
    .workgroup_processor_mode: 1
  - .args:
      - .offset:         0
        .size:           4
        .value_kind:     by_value
      - .offset:         4
        .size:           4
        .value_kind:     by_value
      - .offset:         8
        .size:           4
        .value_kind:     by_value
      - .offset:         12
        .size:           4
        .value_kind:     by_value
      - .offset:         16
        .size:           4
        .value_kind:     by_value
      - .offset:         20
        .size:           4
        .value_kind:     by_value
      - .address_space:  global
        .offset:         24
        .size:           8
        .value_kind:     global_buffer
      - .actual_access:  read_only
        .address_space:  global
        .offset:         32
        .size:           8
        .value_kind:     global_buffer
      - .actual_access:  read_only
        .address_space:  global
        .offset:         40
        .size:           8
        .value_kind:     global_buffer
      - .address_space:  global
        .offset:         48
        .size:           8
        .value_kind:     global_buffer
      - .offset:         56
        .size:           4
        .value_kind:     by_value
      - .offset:         60
        .size:           4
        .value_kind:     by_value
    .group_segment_fixed_size: 65536
    .kernarg_segment_align: 8
    .kernarg_segment_size: 64
    .language:       OpenCL C
    .language_version:
      - 2
      - 0
    .max_flat_workgroup_size: 512
    .name:           _Z16wvSplitK_hf_big_I14__hip_bfloat16Li32ELi4ELi16ELi8ELi1ELi2EEviiiiiiPKT_S3_S3_PS1_ii
    .private_segment_fixed_size: 0
    .sgpr_count:     42
    .sgpr_spill_count: 0
    .symbol:         _Z16wvSplitK_hf_big_I14__hip_bfloat16Li32ELi4ELi16ELi8ELi1ELi2EEviiiiiiPKT_S3_S3_PS1_ii.kd
    .uniform_work_group_size: 1
    .uses_dynamic_stack: false
    .vgpr_count:     74
    .vgpr_spill_count: 0
    .wavefront_size: 32
    .workgroup_processor_mode: 1
  - .args:
      - .offset:         0
        .size:           4
        .value_kind:     by_value
      - .offset:         4
        .size:           4
        .value_kind:     by_value
      - .offset:         8
        .size:           4
        .value_kind:     by_value
      - .offset:         12
        .size:           4
        .value_kind:     by_value
      - .offset:         16
        .size:           4
        .value_kind:     by_value
      - .offset:         20
        .size:           4
        .value_kind:     by_value
      - .address_space:  global
        .offset:         24
        .size:           8
        .value_kind:     global_buffer
      - .actual_access:  read_only
        .address_space:  global
        .offset:         32
        .size:           8
        .value_kind:     global_buffer
      - .actual_access:  read_only
        .address_space:  global
        .offset:         40
        .size:           8
        .value_kind:     global_buffer
      - .address_space:  global
        .offset:         48
        .size:           8
        .value_kind:     global_buffer
      - .offset:         56
        .size:           4
        .value_kind:     by_value
      - .offset:         60
        .size:           4
        .value_kind:     by_value
    .group_segment_fixed_size: 65536
    .kernarg_segment_align: 8
    .kernarg_segment_size: 64
    .language:       OpenCL C
    .language_version:
      - 2
      - 0
    .max_flat_workgroup_size: 512
    .name:           _Z16wvSplitK_hf_sml_I14__hip_bfloat16Li32ELi4ELi16ELi8ELi2ELi2EEviiiiiiPKT_S3_S3_PS1_ii
    .private_segment_fixed_size: 0
    .sgpr_count:     24
    .sgpr_spill_count: 0
    .symbol:         _Z16wvSplitK_hf_sml_I14__hip_bfloat16Li32ELi4ELi16ELi8ELi2ELi2EEviiiiiiPKT_S3_S3_PS1_ii.kd
    .uniform_work_group_size: 1
    .uses_dynamic_stack: false
    .vgpr_count:     91
    .vgpr_spill_count: 0
    .wavefront_size: 32
    .workgroup_processor_mode: 1
  - .args:
      - .offset:         0
        .size:           4
        .value_kind:     by_value
      - .offset:         4
        .size:           4
        .value_kind:     by_value
      - .offset:         8
        .size:           4
        .value_kind:     by_value
      - .offset:         12
        .size:           4
        .value_kind:     by_value
      - .offset:         16
        .size:           4
        .value_kind:     by_value
      - .offset:         20
        .size:           4
        .value_kind:     by_value
      - .address_space:  global
        .offset:         24
        .size:           8
        .value_kind:     global_buffer
      - .actual_access:  read_only
        .address_space:  global
        .offset:         32
        .size:           8
        .value_kind:     global_buffer
      - .actual_access:  read_only
        .address_space:  global
        .offset:         40
        .size:           8
        .value_kind:     global_buffer
      - .address_space:  global
        .offset:         48
        .size:           8
        .value_kind:     global_buffer
      - .offset:         56
        .size:           4
        .value_kind:     by_value
      - .offset:         60
        .size:           4
        .value_kind:     by_value
    .group_segment_fixed_size: 65536
    .kernarg_segment_align: 8
    .kernarg_segment_size: 64
    .language:       OpenCL C
    .language_version:
      - 2
      - 0
    .max_flat_workgroup_size: 512
    .name:           _Z12wvSplitK_hf_I14__hip_bfloat16Li32ELi4ELi16ELi8ELi2ELi2EEviiiiiiPKT_S3_S3_PS1_ii
    .private_segment_fixed_size: 0
    .sgpr_count:     32
    .sgpr_spill_count: 0
    .symbol:         _Z12wvSplitK_hf_I14__hip_bfloat16Li32ELi4ELi16ELi8ELi2ELi2EEviiiiiiPKT_S3_S3_PS1_ii.kd
    .uniform_work_group_size: 1
    .uses_dynamic_stack: false
    .vgpr_count:     109
    .vgpr_spill_count: 0
    .wavefront_size: 32
    .workgroup_processor_mode: 1
  - .args:
      - .offset:         0
        .size:           4
        .value_kind:     by_value
      - .offset:         4
        .size:           4
        .value_kind:     by_value
      - .offset:         8
        .size:           4
        .value_kind:     by_value
      - .offset:         12
        .size:           4
        .value_kind:     by_value
      - .offset:         16
        .size:           4
        .value_kind:     by_value
      - .offset:         20
        .size:           4
        .value_kind:     by_value
      - .address_space:  global
        .offset:         24
        .size:           8
        .value_kind:     global_buffer
      - .actual_access:  read_only
        .address_space:  global
        .offset:         32
        .size:           8
        .value_kind:     global_buffer
      - .actual_access:  read_only
        .address_space:  global
        .offset:         40
        .size:           8
        .value_kind:     global_buffer
      - .address_space:  global
        .offset:         48
        .size:           8
        .value_kind:     global_buffer
      - .offset:         56
        .size:           4
        .value_kind:     by_value
      - .offset:         60
        .size:           4
        .value_kind:     by_value
    .group_segment_fixed_size: 65536
    .kernarg_segment_align: 8
    .kernarg_segment_size: 64
    .language:       OpenCL C
    .language_version:
      - 2
      - 0
    .max_flat_workgroup_size: 512
    .name:           _Z16wvSplitK_hf_big_I14__hip_bfloat16Li32ELi4ELi16ELi8ELi2ELi2EEviiiiiiPKT_S3_S3_PS1_ii
    .private_segment_fixed_size: 0
    .sgpr_count:     42
    .sgpr_spill_count: 0
    .symbol:         _Z16wvSplitK_hf_big_I14__hip_bfloat16Li32ELi4ELi16ELi8ELi2ELi2EEviiiiiiPKT_S3_S3_PS1_ii.kd
    .uniform_work_group_size: 1
    .uses_dynamic_stack: false
    .vgpr_count:     96
    .vgpr_spill_count: 0
    .wavefront_size: 32
    .workgroup_processor_mode: 1
  - .args:
      - .offset:         0
        .size:           4
        .value_kind:     by_value
      - .offset:         4
        .size:           4
        .value_kind:     by_value
      - .offset:         8
        .size:           4
        .value_kind:     by_value
      - .offset:         12
        .size:           4
        .value_kind:     by_value
      - .offset:         16
        .size:           4
        .value_kind:     by_value
      - .offset:         20
        .size:           4
        .value_kind:     by_value
      - .address_space:  global
        .offset:         24
        .size:           8
        .value_kind:     global_buffer
      - .actual_access:  read_only
        .address_space:  global
        .offset:         32
        .size:           8
        .value_kind:     global_buffer
      - .actual_access:  read_only
        .address_space:  global
        .offset:         40
        .size:           8
        .value_kind:     global_buffer
      - .address_space:  global
        .offset:         48
        .size:           8
        .value_kind:     global_buffer
      - .offset:         56
        .size:           4
        .value_kind:     by_value
      - .offset:         60
        .size:           4
        .value_kind:     by_value
    .group_segment_fixed_size: 65536
    .kernarg_segment_align: 8
    .kernarg_segment_size: 64
    .language:       OpenCL C
    .language_version:
      - 2
      - 0
    .max_flat_workgroup_size: 1024
    .name:           _Z16wvSplitK_hf_sml_I14__hip_bfloat16Li64ELi1ELi16ELi8ELi4ELi2EEviiiiiiPKT_S3_S3_PS1_ii
    .private_segment_fixed_size: 0
    .sgpr_count:     26
    .sgpr_spill_count: 0
    .symbol:         _Z16wvSplitK_hf_sml_I14__hip_bfloat16Li64ELi1ELi16ELi8ELi4ELi2EEviiiiiiPKT_S3_S3_PS1_ii.kd
    .uniform_work_group_size: 1
    .uses_dynamic_stack: false
    .vgpr_count:     64
    .vgpr_spill_count: 0
    .wavefront_size: 32
    .workgroup_processor_mode: 1
  - .args:
      - .offset:         0
        .size:           4
        .value_kind:     by_value
      - .offset:         4
        .size:           4
        .value_kind:     by_value
      - .offset:         8
        .size:           4
        .value_kind:     by_value
      - .offset:         12
        .size:           4
        .value_kind:     by_value
      - .offset:         16
        .size:           4
        .value_kind:     by_value
      - .offset:         20
        .size:           4
        .value_kind:     by_value
      - .address_space:  global
        .offset:         24
        .size:           8
        .value_kind:     global_buffer
      - .actual_access:  read_only
        .address_space:  global
        .offset:         32
        .size:           8
        .value_kind:     global_buffer
      - .actual_access:  read_only
        .address_space:  global
        .offset:         40
        .size:           8
        .value_kind:     global_buffer
      - .address_space:  global
        .offset:         48
        .size:           8
        .value_kind:     global_buffer
      - .offset:         56
        .size:           4
        .value_kind:     by_value
      - .offset:         60
        .size:           4
        .value_kind:     by_value
    .group_segment_fixed_size: 65536
    .kernarg_segment_align: 8
    .kernarg_segment_size: 64
    .language:       OpenCL C
    .language_version:
      - 2
      - 0
    .max_flat_workgroup_size: 1024
    .name:           _Z12wvSplitK_hf_I14__hip_bfloat16Li64ELi1ELi16ELi8ELi4ELi2EEviiiiiiPKT_S3_S3_PS1_ii
    .private_segment_fixed_size: 0
    .sgpr_count:     30
    .sgpr_spill_count: 0
    .symbol:         _Z12wvSplitK_hf_I14__hip_bfloat16Li64ELi1ELi16ELi8ELi4ELi2EEviiiiiiPKT_S3_S3_PS1_ii.kd
    .uniform_work_group_size: 1
    .uses_dynamic_stack: false
    .vgpr_count:     67
    .vgpr_spill_count: 0
    .wavefront_size: 32
    .workgroup_processor_mode: 1
  - .args:
      - .offset:         0
        .size:           4
        .value_kind:     by_value
      - .offset:         4
        .size:           4
        .value_kind:     by_value
      - .offset:         8
        .size:           4
        .value_kind:     by_value
      - .offset:         12
        .size:           4
        .value_kind:     by_value
      - .offset:         16
        .size:           4
        .value_kind:     by_value
      - .offset:         20
        .size:           4
        .value_kind:     by_value
      - .address_space:  global
        .offset:         24
        .size:           8
        .value_kind:     global_buffer
      - .actual_access:  read_only
        .address_space:  global
        .offset:         32
        .size:           8
        .value_kind:     global_buffer
      - .actual_access:  read_only
        .address_space:  global
        .offset:         40
        .size:           8
        .value_kind:     global_buffer
      - .address_space:  global
        .offset:         48
        .size:           8
        .value_kind:     global_buffer
      - .offset:         56
        .size:           4
        .value_kind:     by_value
      - .offset:         60
        .size:           4
        .value_kind:     by_value
    .group_segment_fixed_size: 65536
    .kernarg_segment_align: 8
    .kernarg_segment_size: 64
    .language:       OpenCL C
    .language_version:
      - 2
      - 0
    .max_flat_workgroup_size: 1024
    .name:           _Z16wvSplitK_hf_big_I14__hip_bfloat16Li64ELi1ELi16ELi8ELi4ELi2EEviiiiiiPKT_S3_S3_PS1_ii
    .private_segment_fixed_size: 0
    .sgpr_count:     39
    .sgpr_spill_count: 0
    .symbol:         _Z16wvSplitK_hf_big_I14__hip_bfloat16Li64ELi1ELi16ELi8ELi4ELi2EEviiiiiiPKT_S3_S3_PS1_ii.kd
    .uniform_work_group_size: 1
    .uses_dynamic_stack: false
    .vgpr_count:     66
    .vgpr_spill_count: 0
    .wavefront_size: 32
    .workgroup_processor_mode: 1
  - .args:
      - .offset:         0
        .size:           4
        .value_kind:     by_value
      - .offset:         4
        .size:           4
        .value_kind:     by_value
      - .offset:         8
        .size:           4
        .value_kind:     by_value
      - .offset:         12
        .size:           4
        .value_kind:     by_value
      - .offset:         16
        .size:           4
        .value_kind:     by_value
      - .offset:         20
        .size:           4
        .value_kind:     by_value
      - .address_space:  global
        .offset:         24
        .size:           8
        .value_kind:     global_buffer
      - .actual_access:  read_only
        .address_space:  global
        .offset:         32
        .size:           8
        .value_kind:     global_buffer
      - .actual_access:  read_only
        .address_space:  global
        .offset:         40
        .size:           8
        .value_kind:     global_buffer
      - .address_space:  global
        .offset:         48
        .size:           8
        .value_kind:     global_buffer
      - .offset:         56
        .size:           4
        .value_kind:     by_value
      - .offset:         60
        .size:           4
        .value_kind:     by_value
    .group_segment_fixed_size: 65536
    .kernarg_segment_align: 8
    .kernarg_segment_size: 64
    .language:       OpenCL C
    .language_version:
      - 2
      - 0
    .max_flat_workgroup_size: 1024
    .name:           _Z16wvSplitK_hf_sml_I14__hip_bfloat16Li64ELi2ELi16ELi8ELi2ELi2EEviiiiiiPKT_S3_S3_PS1_ii
    .private_segment_fixed_size: 0
    .sgpr_count:     24
    .sgpr_spill_count: 0
    .symbol:         _Z16wvSplitK_hf_sml_I14__hip_bfloat16Li64ELi2ELi16ELi8ELi2ELi2EEviiiiiiPKT_S3_S3_PS1_ii.kd
    .uniform_work_group_size: 1
    .uses_dynamic_stack: false
    .vgpr_count:     59
    .vgpr_spill_count: 0
    .wavefront_size: 32
    .workgroup_processor_mode: 1
  - .args:
      - .offset:         0
        .size:           4
        .value_kind:     by_value
      - .offset:         4
        .size:           4
        .value_kind:     by_value
      - .offset:         8
        .size:           4
        .value_kind:     by_value
      - .offset:         12
        .size:           4
        .value_kind:     by_value
      - .offset:         16
        .size:           4
        .value_kind:     by_value
      - .offset:         20
        .size:           4
        .value_kind:     by_value
      - .address_space:  global
        .offset:         24
        .size:           8
        .value_kind:     global_buffer
      - .actual_access:  read_only
        .address_space:  global
        .offset:         32
        .size:           8
        .value_kind:     global_buffer
      - .actual_access:  read_only
        .address_space:  global
        .offset:         40
        .size:           8
        .value_kind:     global_buffer
      - .address_space:  global
        .offset:         48
        .size:           8
        .value_kind:     global_buffer
      - .offset:         56
        .size:           4
        .value_kind:     by_value
      - .offset:         60
        .size:           4
        .value_kind:     by_value
    .group_segment_fixed_size: 65536
    .kernarg_segment_align: 8
    .kernarg_segment_size: 64
    .language:       OpenCL C
    .language_version:
      - 2
      - 0
    .max_flat_workgroup_size: 1024
    .name:           _Z12wvSplitK_hf_I14__hip_bfloat16Li64ELi2ELi16ELi8ELi2ELi2EEviiiiiiPKT_S3_S3_PS1_ii
    .private_segment_fixed_size: 0
    .sgpr_count:     31
    .sgpr_spill_count: 0
    .symbol:         _Z12wvSplitK_hf_I14__hip_bfloat16Li64ELi2ELi16ELi8ELi2ELi2EEviiiiiiPKT_S3_S3_PS1_ii.kd
    .uniform_work_group_size: 1
    .uses_dynamic_stack: false
    .vgpr_count:     63
    .vgpr_spill_count: 0
    .wavefront_size: 32
    .workgroup_processor_mode: 1
  - .args:
      - .offset:         0
        .size:           4
        .value_kind:     by_value
      - .offset:         4
        .size:           4
        .value_kind:     by_value
      - .offset:         8
        .size:           4
        .value_kind:     by_value
      - .offset:         12
        .size:           4
        .value_kind:     by_value
      - .offset:         16
        .size:           4
        .value_kind:     by_value
      - .offset:         20
        .size:           4
        .value_kind:     by_value
      - .address_space:  global
        .offset:         24
        .size:           8
        .value_kind:     global_buffer
      - .actual_access:  read_only
        .address_space:  global
        .offset:         32
        .size:           8
        .value_kind:     global_buffer
      - .actual_access:  read_only
        .address_space:  global
        .offset:         40
        .size:           8
        .value_kind:     global_buffer
      - .address_space:  global
        .offset:         48
        .size:           8
        .value_kind:     global_buffer
      - .offset:         56
        .size:           4
        .value_kind:     by_value
      - .offset:         60
        .size:           4
        .value_kind:     by_value
    .group_segment_fixed_size: 65536
    .kernarg_segment_align: 8
    .kernarg_segment_size: 64
    .language:       OpenCL C
    .language_version:
      - 2
      - 0
    .max_flat_workgroup_size: 1024
    .name:           _Z16wvSplitK_hf_big_I14__hip_bfloat16Li64ELi2ELi16ELi8ELi2ELi2EEviiiiiiPKT_S3_S3_PS1_ii
    .private_segment_fixed_size: 0
    .sgpr_count:     41
    .sgpr_spill_count: 0
    .symbol:         _Z16wvSplitK_hf_big_I14__hip_bfloat16Li64ELi2ELi16ELi8ELi2ELi2EEviiiiiiPKT_S3_S3_PS1_ii.kd
    .uniform_work_group_size: 1
    .uses_dynamic_stack: false
    .vgpr_count:     62
    .vgpr_spill_count: 0
    .wavefront_size: 32
    .workgroup_processor_mode: 1
  - .args:
      - .offset:         0
        .size:           4
        .value_kind:     by_value
      - .offset:         4
        .size:           4
        .value_kind:     by_value
      - .offset:         8
        .size:           4
        .value_kind:     by_value
      - .offset:         12
        .size:           4
        .value_kind:     by_value
      - .offset:         16
        .size:           4
        .value_kind:     by_value
      - .offset:         20
        .size:           4
        .value_kind:     by_value
      - .address_space:  global
        .offset:         24
        .size:           8
        .value_kind:     global_buffer
      - .actual_access:  read_only
        .address_space:  global
        .offset:         32
        .size:           8
        .value_kind:     global_buffer
      - .actual_access:  read_only
        .address_space:  global
        .offset:         40
        .size:           8
        .value_kind:     global_buffer
      - .address_space:  global
        .offset:         48
        .size:           8
        .value_kind:     global_buffer
      - .offset:         56
        .size:           4
        .value_kind:     by_value
      - .offset:         60
        .size:           4
        .value_kind:     by_value
    .group_segment_fixed_size: 65536
    .kernarg_segment_align: 8
    .kernarg_segment_size: 64
    .language:       OpenCL C
    .language_version:
      - 2
      - 0
    .max_flat_workgroup_size: 1024
    .name:           _Z16wvSplitK_hf_sml_I14__hip_bfloat16Li64ELi3ELi16ELi8ELi2ELi2EEviiiiiiPKT_S3_S3_PS1_ii
    .private_segment_fixed_size: 0
    .sgpr_count:     24
    .sgpr_spill_count: 0
    .symbol:         _Z16wvSplitK_hf_sml_I14__hip_bfloat16Li64ELi3ELi16ELi8ELi2ELi2EEviiiiiiPKT_S3_S3_PS1_ii.kd
    .uniform_work_group_size: 1
    .uses_dynamic_stack: false
    .vgpr_count:     75
    .vgpr_spill_count: 0
    .wavefront_size: 32
    .workgroup_processor_mode: 1
  - .args:
      - .offset:         0
        .size:           4
        .value_kind:     by_value
      - .offset:         4
        .size:           4
        .value_kind:     by_value
      - .offset:         8
        .size:           4
        .value_kind:     by_value
      - .offset:         12
        .size:           4
        .value_kind:     by_value
      - .offset:         16
        .size:           4
        .value_kind:     by_value
      - .offset:         20
        .size:           4
        .value_kind:     by_value
      - .address_space:  global
        .offset:         24
        .size:           8
        .value_kind:     global_buffer
      - .actual_access:  read_only
        .address_space:  global
        .offset:         32
        .size:           8
        .value_kind:     global_buffer
      - .actual_access:  read_only
        .address_space:  global
        .offset:         40
        .size:           8
        .value_kind:     global_buffer
      - .address_space:  global
        .offset:         48
        .size:           8
        .value_kind:     global_buffer
      - .offset:         56
        .size:           4
        .value_kind:     by_value
      - .offset:         60
        .size:           4
        .value_kind:     by_value
    .group_segment_fixed_size: 65536
    .kernarg_segment_align: 8
    .kernarg_segment_size: 64
    .language:       OpenCL C
    .language_version:
      - 2
      - 0
    .max_flat_workgroup_size: 1024
    .name:           _Z12wvSplitK_hf_I14__hip_bfloat16Li64ELi3ELi16ELi8ELi2ELi2EEviiiiiiPKT_S3_S3_PS1_ii
    .private_segment_fixed_size: 0
    .sgpr_count:     32
    .sgpr_spill_count: 0
    .symbol:         _Z12wvSplitK_hf_I14__hip_bfloat16Li64ELi3ELi16ELi8ELi2ELi2EEviiiiiiPKT_S3_S3_PS1_ii.kd
    .uniform_work_group_size: 1
    .uses_dynamic_stack: false
    .vgpr_count:     85
    .vgpr_spill_count: 0
    .wavefront_size: 32
    .workgroup_processor_mode: 1
  - .args:
      - .offset:         0
        .size:           4
        .value_kind:     by_value
      - .offset:         4
        .size:           4
        .value_kind:     by_value
      - .offset:         8
        .size:           4
        .value_kind:     by_value
      - .offset:         12
        .size:           4
        .value_kind:     by_value
      - .offset:         16
        .size:           4
        .value_kind:     by_value
      - .offset:         20
        .size:           4
        .value_kind:     by_value
      - .address_space:  global
        .offset:         24
        .size:           8
        .value_kind:     global_buffer
      - .actual_access:  read_only
        .address_space:  global
        .offset:         32
        .size:           8
        .value_kind:     global_buffer
      - .actual_access:  read_only
        .address_space:  global
        .offset:         40
        .size:           8
        .value_kind:     global_buffer
      - .address_space:  global
        .offset:         48
        .size:           8
        .value_kind:     global_buffer
      - .offset:         56
        .size:           4
        .value_kind:     by_value
      - .offset:         60
        .size:           4
        .value_kind:     by_value
    .group_segment_fixed_size: 65536
    .kernarg_segment_align: 8
    .kernarg_segment_size: 64
    .language:       OpenCL C
    .language_version:
      - 2
      - 0
    .max_flat_workgroup_size: 1024
    .name:           _Z16wvSplitK_hf_big_I14__hip_bfloat16Li64ELi3ELi16ELi8ELi2ELi2EEviiiiiiPKT_S3_S3_PS1_ii
    .private_segment_fixed_size: 0
    .sgpr_count:     42
    .sgpr_spill_count: 0
    .symbol:         _Z16wvSplitK_hf_big_I14__hip_bfloat16Li64ELi3ELi16ELi8ELi2ELi2EEviiiiiiPKT_S3_S3_PS1_ii.kd
    .uniform_work_group_size: 1
    .uses_dynamic_stack: false
    .vgpr_count:     78
    .vgpr_spill_count: 0
    .wavefront_size: 32
    .workgroup_processor_mode: 1
  - .args:
      - .offset:         0
        .size:           4
        .value_kind:     by_value
      - .offset:         4
        .size:           4
        .value_kind:     by_value
      - .offset:         8
        .size:           4
        .value_kind:     by_value
      - .offset:         12
        .size:           4
        .value_kind:     by_value
      - .offset:         16
        .size:           4
        .value_kind:     by_value
      - .offset:         20
        .size:           4
        .value_kind:     by_value
      - .address_space:  global
        .offset:         24
        .size:           8
        .value_kind:     global_buffer
      - .actual_access:  read_only
        .address_space:  global
        .offset:         32
        .size:           8
        .value_kind:     global_buffer
      - .actual_access:  read_only
        .address_space:  global
        .offset:         40
        .size:           8
        .value_kind:     global_buffer
      - .address_space:  global
        .offset:         48
        .size:           8
        .value_kind:     global_buffer
      - .offset:         56
        .size:           4
        .value_kind:     by_value
      - .offset:         60
        .size:           4
        .value_kind:     by_value
    .group_segment_fixed_size: 65536
    .kernarg_segment_align: 8
    .kernarg_segment_size: 64
    .language:       OpenCL C
    .language_version:
      - 2
      - 0
    .max_flat_workgroup_size: 1024
    .name:           _Z16wvSplitK_hf_sml_I14__hip_bfloat16Li64ELi4ELi16ELi8ELi1ELi2EEviiiiiiPKT_S3_S3_PS1_ii
    .private_segment_fixed_size: 0
    .sgpr_count:     23
    .sgpr_spill_count: 0
    .symbol:         _Z16wvSplitK_hf_sml_I14__hip_bfloat16Li64ELi4ELi16ELi8ELi1ELi2EEviiiiiiPKT_S3_S3_PS1_ii.kd
    .uniform_work_group_size: 1
    .uses_dynamic_stack: false
    .vgpr_count:     69
    .vgpr_spill_count: 0
    .wavefront_size: 32
    .workgroup_processor_mode: 1
  - .args:
      - .offset:         0
        .size:           4
        .value_kind:     by_value
      - .offset:         4
        .size:           4
        .value_kind:     by_value
      - .offset:         8
        .size:           4
        .value_kind:     by_value
      - .offset:         12
        .size:           4
        .value_kind:     by_value
      - .offset:         16
        .size:           4
        .value_kind:     by_value
      - .offset:         20
        .size:           4
        .value_kind:     by_value
      - .address_space:  global
        .offset:         24
        .size:           8
        .value_kind:     global_buffer
      - .actual_access:  read_only
        .address_space:  global
        .offset:         32
        .size:           8
        .value_kind:     global_buffer
      - .actual_access:  read_only
        .address_space:  global
        .offset:         40
        .size:           8
        .value_kind:     global_buffer
      - .address_space:  global
        .offset:         48
        .size:           8
        .value_kind:     global_buffer
      - .offset:         56
        .size:           4
        .value_kind:     by_value
      - .offset:         60
        .size:           4
        .value_kind:     by_value
    .group_segment_fixed_size: 65536
    .kernarg_segment_align: 8
    .kernarg_segment_size: 64
    .language:       OpenCL C
    .language_version:
      - 2
      - 0
    .max_flat_workgroup_size: 1024
    .name:           _Z12wvSplitK_hf_I14__hip_bfloat16Li64ELi4ELi16ELi8ELi1ELi2EEviiiiiiPKT_S3_S3_PS1_ii
    .private_segment_fixed_size: 0
    .sgpr_count:     32
    .sgpr_spill_count: 0
    .symbol:         _Z12wvSplitK_hf_I14__hip_bfloat16Li64ELi4ELi16ELi8ELi1ELi2EEviiiiiiPKT_S3_S3_PS1_ii.kd
    .uniform_work_group_size: 1
    .uses_dynamic_stack: false
    .vgpr_count:     77
    .vgpr_spill_count: 0
    .wavefront_size: 32
    .workgroup_processor_mode: 1
  - .args:
      - .offset:         0
        .size:           4
        .value_kind:     by_value
      - .offset:         4
        .size:           4
        .value_kind:     by_value
      - .offset:         8
        .size:           4
        .value_kind:     by_value
      - .offset:         12
        .size:           4
        .value_kind:     by_value
      - .offset:         16
        .size:           4
        .value_kind:     by_value
      - .offset:         20
        .size:           4
        .value_kind:     by_value
      - .address_space:  global
        .offset:         24
        .size:           8
        .value_kind:     global_buffer
      - .actual_access:  read_only
        .address_space:  global
        .offset:         32
        .size:           8
        .value_kind:     global_buffer
      - .actual_access:  read_only
        .address_space:  global
        .offset:         40
        .size:           8
        .value_kind:     global_buffer
      - .address_space:  global
        .offset:         48
        .size:           8
        .value_kind:     global_buffer
      - .offset:         56
        .size:           4
        .value_kind:     by_value
      - .offset:         60
        .size:           4
        .value_kind:     by_value
    .group_segment_fixed_size: 65536
    .kernarg_segment_align: 8
    .kernarg_segment_size: 64
    .language:       OpenCL C
    .language_version:
      - 2
      - 0
    .max_flat_workgroup_size: 1024
    .name:           _Z16wvSplitK_hf_big_I14__hip_bfloat16Li64ELi4ELi16ELi8ELi1ELi2EEviiiiiiPKT_S3_S3_PS1_ii
    .private_segment_fixed_size: 0
    .sgpr_count:     42
    .sgpr_spill_count: 0
    .symbol:         _Z16wvSplitK_hf_big_I14__hip_bfloat16Li64ELi4ELi16ELi8ELi1ELi2EEviiiiiiPKT_S3_S3_PS1_ii.kd
    .uniform_work_group_size: 1
    .uses_dynamic_stack: false
    .vgpr_count:     74
    .vgpr_spill_count: 0
    .wavefront_size: 32
    .workgroup_processor_mode: 1
  - .args:
      - .offset:         0
        .size:           4
        .value_kind:     by_value
      - .offset:         4
        .size:           4
        .value_kind:     by_value
      - .offset:         8
        .size:           4
        .value_kind:     by_value
      - .offset:         12
        .size:           4
        .value_kind:     by_value
      - .offset:         16
        .size:           4
        .value_kind:     by_value
      - .offset:         20
        .size:           4
        .value_kind:     by_value
      - .address_space:  global
        .offset:         24
        .size:           8
        .value_kind:     global_buffer
      - .actual_access:  read_only
        .address_space:  global
        .offset:         32
        .size:           8
        .value_kind:     global_buffer
      - .actual_access:  read_only
        .address_space:  global
        .offset:         40
        .size:           8
        .value_kind:     global_buffer
      - .address_space:  global
        .offset:         48
        .size:           8
        .value_kind:     global_buffer
      - .offset:         56
        .size:           4
        .value_kind:     by_value
      - .offset:         60
        .size:           4
        .value_kind:     by_value
    .group_segment_fixed_size: 65536
    .kernarg_segment_align: 8
    .kernarg_segment_size: 64
    .language:       OpenCL C
    .language_version:
      - 2
      - 0
    .max_flat_workgroup_size: 1024
    .name:           _Z16wvSplitK_hf_sml_I14__hip_bfloat16Li64ELi4ELi16ELi8ELi2ELi2EEviiiiiiPKT_S3_S3_PS1_ii
    .private_segment_fixed_size: 0
    .sgpr_count:     24
    .sgpr_spill_count: 0
    .symbol:         _Z16wvSplitK_hf_sml_I14__hip_bfloat16Li64ELi4ELi16ELi8ELi2ELi2EEviiiiiiPKT_S3_S3_PS1_ii.kd
    .uniform_work_group_size: 1
    .uses_dynamic_stack: false
    .vgpr_count:     91
    .vgpr_spill_count: 0
    .wavefront_size: 32
    .workgroup_processor_mode: 1
  - .args:
      - .offset:         0
        .size:           4
        .value_kind:     by_value
      - .offset:         4
        .size:           4
        .value_kind:     by_value
      - .offset:         8
        .size:           4
        .value_kind:     by_value
      - .offset:         12
        .size:           4
        .value_kind:     by_value
      - .offset:         16
        .size:           4
        .value_kind:     by_value
      - .offset:         20
        .size:           4
        .value_kind:     by_value
      - .address_space:  global
        .offset:         24
        .size:           8
        .value_kind:     global_buffer
      - .actual_access:  read_only
        .address_space:  global
        .offset:         32
        .size:           8
        .value_kind:     global_buffer
      - .actual_access:  read_only
        .address_space:  global
        .offset:         40
        .size:           8
        .value_kind:     global_buffer
      - .address_space:  global
        .offset:         48
        .size:           8
        .value_kind:     global_buffer
      - .offset:         56
        .size:           4
        .value_kind:     by_value
      - .offset:         60
        .size:           4
        .value_kind:     by_value
    .group_segment_fixed_size: 65536
    .kernarg_segment_align: 8
    .kernarg_segment_size: 64
    .language:       OpenCL C
    .language_version:
      - 2
      - 0
    .max_flat_workgroup_size: 1024
    .name:           _Z12wvSplitK_hf_I14__hip_bfloat16Li64ELi4ELi16ELi8ELi2ELi2EEviiiiiiPKT_S3_S3_PS1_ii
    .private_segment_fixed_size: 0
    .sgpr_count:     32
    .sgpr_spill_count: 0
    .symbol:         _Z12wvSplitK_hf_I14__hip_bfloat16Li64ELi4ELi16ELi8ELi2ELi2EEviiiiiiPKT_S3_S3_PS1_ii.kd
    .uniform_work_group_size: 1
    .uses_dynamic_stack: false
    .vgpr_count:     109
    .vgpr_spill_count: 0
    .wavefront_size: 32
    .workgroup_processor_mode: 1
  - .args:
      - .offset:         0
        .size:           4
        .value_kind:     by_value
      - .offset:         4
        .size:           4
        .value_kind:     by_value
      - .offset:         8
        .size:           4
        .value_kind:     by_value
      - .offset:         12
        .size:           4
        .value_kind:     by_value
      - .offset:         16
        .size:           4
        .value_kind:     by_value
      - .offset:         20
        .size:           4
        .value_kind:     by_value
      - .address_space:  global
        .offset:         24
        .size:           8
        .value_kind:     global_buffer
      - .actual_access:  read_only
        .address_space:  global
        .offset:         32
        .size:           8
        .value_kind:     global_buffer
      - .actual_access:  read_only
        .address_space:  global
        .offset:         40
        .size:           8
        .value_kind:     global_buffer
      - .address_space:  global
        .offset:         48
        .size:           8
        .value_kind:     global_buffer
      - .offset:         56
        .size:           4
        .value_kind:     by_value
      - .offset:         60
        .size:           4
        .value_kind:     by_value
    .group_segment_fixed_size: 65536
    .kernarg_segment_align: 8
    .kernarg_segment_size: 64
    .language:       OpenCL C
    .language_version:
      - 2
      - 0
    .max_flat_workgroup_size: 1024
    .name:           _Z16wvSplitK_hf_big_I14__hip_bfloat16Li64ELi4ELi16ELi8ELi2ELi2EEviiiiiiPKT_S3_S3_PS1_ii
    .private_segment_fixed_size: 0
    .sgpr_count:     42
    .sgpr_spill_count: 0
    .symbol:         _Z16wvSplitK_hf_big_I14__hip_bfloat16Li64ELi4ELi16ELi8ELi2ELi2EEviiiiiiPKT_S3_S3_PS1_ii.kd
    .uniform_work_group_size: 1
    .uses_dynamic_stack: false
    .vgpr_count:     93
    .vgpr_spill_count: 0
    .wavefront_size: 32
    .workgroup_processor_mode: 1
  - .args:
      - .offset:         0
        .size:           4
        .value_kind:     by_value
      - .offset:         4
        .size:           4
        .value_kind:     by_value
      - .offset:         8
        .size:           4
        .value_kind:     by_value
      - .offset:         12
        .size:           4
        .value_kind:     by_value
      - .offset:         16
        .size:           4
        .value_kind:     by_value
      - .offset:         20
        .size:           4
        .value_kind:     by_value
      - .address_space:  global
        .offset:         24
        .size:           8
        .value_kind:     global_buffer
      - .actual_access:  read_only
        .address_space:  global
        .offset:         32
        .size:           8
        .value_kind:     global_buffer
      - .actual_access:  read_only
        .address_space:  global
        .offset:         40
        .size:           8
        .value_kind:     global_buffer
      - .address_space:  global
        .offset:         48
        .size:           8
        .value_kind:     global_buffer
      - .offset:         56
        .size:           4
        .value_kind:     by_value
      - .offset:         60
        .size:           4
        .value_kind:     by_value
    .group_segment_fixed_size: 65536
    .kernarg_segment_align: 8
    .kernarg_segment_size: 64
    .language:       OpenCL C
    .language_version:
      - 2
      - 0
    .max_flat_workgroup_size: 512
    .name:           _Z16wvSplitK_hf_sml_I14__hip_bfloat16Li32ELi1ELi16ELi8ELi4ELi3EEviiiiiiPKT_S3_S3_PS1_ii
    .private_segment_fixed_size: 0
    .sgpr_count:     28
    .sgpr_spill_count: 0
    .symbol:         _Z16wvSplitK_hf_sml_I14__hip_bfloat16Li32ELi1ELi16ELi8ELi4ELi3EEviiiiiiPKT_S3_S3_PS1_ii.kd
    .uniform_work_group_size: 1
    .uses_dynamic_stack: false
    .vgpr_count:     81
    .vgpr_spill_count: 0
    .wavefront_size: 32
    .workgroup_processor_mode: 1
  - .args:
      - .offset:         0
        .size:           4
        .value_kind:     by_value
      - .offset:         4
        .size:           4
        .value_kind:     by_value
      - .offset:         8
        .size:           4
        .value_kind:     by_value
      - .offset:         12
        .size:           4
        .value_kind:     by_value
      - .offset:         16
        .size:           4
        .value_kind:     by_value
      - .offset:         20
        .size:           4
        .value_kind:     by_value
      - .address_space:  global
        .offset:         24
        .size:           8
        .value_kind:     global_buffer
      - .actual_access:  read_only
        .address_space:  global
        .offset:         32
        .size:           8
        .value_kind:     global_buffer
      - .actual_access:  read_only
        .address_space:  global
        .offset:         40
        .size:           8
        .value_kind:     global_buffer
      - .address_space:  global
        .offset:         48
        .size:           8
        .value_kind:     global_buffer
      - .offset:         56
        .size:           4
        .value_kind:     by_value
      - .offset:         60
        .size:           4
        .value_kind:     by_value
    .group_segment_fixed_size: 65536
    .kernarg_segment_align: 8
    .kernarg_segment_size: 64
    .language:       OpenCL C
    .language_version:
      - 2
      - 0
    .max_flat_workgroup_size: 512
    .name:           _Z12wvSplitK_hf_I14__hip_bfloat16Li32ELi1ELi16ELi8ELi4ELi3EEviiiiiiPKT_S3_S3_PS1_ii
    .private_segment_fixed_size: 0
    .sgpr_count:     32
    .sgpr_spill_count: 0
    .symbol:         _Z12wvSplitK_hf_I14__hip_bfloat16Li32ELi1ELi16ELi8ELi4ELi3EEviiiiiiPKT_S3_S3_PS1_ii.kd
    .uniform_work_group_size: 1
    .uses_dynamic_stack: false
    .vgpr_count:     87
    .vgpr_spill_count: 0
    .wavefront_size: 32
    .workgroup_processor_mode: 1
  - .args:
      - .offset:         0
        .size:           4
        .value_kind:     by_value
      - .offset:         4
        .size:           4
        .value_kind:     by_value
      - .offset:         8
        .size:           4
        .value_kind:     by_value
      - .offset:         12
        .size:           4
        .value_kind:     by_value
      - .offset:         16
        .size:           4
        .value_kind:     by_value
      - .offset:         20
        .size:           4
        .value_kind:     by_value
      - .address_space:  global
        .offset:         24
        .size:           8
        .value_kind:     global_buffer
      - .actual_access:  read_only
        .address_space:  global
        .offset:         32
        .size:           8
        .value_kind:     global_buffer
      - .actual_access:  read_only
        .address_space:  global
        .offset:         40
        .size:           8
        .value_kind:     global_buffer
      - .address_space:  global
        .offset:         48
        .size:           8
        .value_kind:     global_buffer
      - .offset:         56
        .size:           4
        .value_kind:     by_value
      - .offset:         60
        .size:           4
        .value_kind:     by_value
    .group_segment_fixed_size: 65536
    .kernarg_segment_align: 8
    .kernarg_segment_size: 64
    .language:       OpenCL C
    .language_version:
      - 2
      - 0
    .max_flat_workgroup_size: 512
    .name:           _Z16wvSplitK_hf_big_I14__hip_bfloat16Li32ELi1ELi16ELi8ELi4ELi3EEviiiiiiPKT_S3_S3_PS1_ii
    .private_segment_fixed_size: 0
    .sgpr_count:     41
    .sgpr_spill_count: 0
    .symbol:         _Z16wvSplitK_hf_big_I14__hip_bfloat16Li32ELi1ELi16ELi8ELi4ELi3EEviiiiiiPKT_S3_S3_PS1_ii.kd
    .uniform_work_group_size: 1
    .uses_dynamic_stack: false
    .vgpr_count:     84
    .vgpr_spill_count: 0
    .wavefront_size: 32
    .workgroup_processor_mode: 1
  - .args:
      - .offset:         0
        .size:           4
        .value_kind:     by_value
      - .offset:         4
        .size:           4
        .value_kind:     by_value
      - .offset:         8
        .size:           4
        .value_kind:     by_value
      - .offset:         12
        .size:           4
        .value_kind:     by_value
      - .offset:         16
        .size:           4
        .value_kind:     by_value
      - .offset:         20
        .size:           4
        .value_kind:     by_value
      - .address_space:  global
        .offset:         24
        .size:           8
        .value_kind:     global_buffer
      - .actual_access:  read_only
        .address_space:  global
        .offset:         32
        .size:           8
        .value_kind:     global_buffer
      - .actual_access:  read_only
        .address_space:  global
        .offset:         40
        .size:           8
        .value_kind:     global_buffer
      - .address_space:  global
        .offset:         48
        .size:           8
        .value_kind:     global_buffer
      - .offset:         56
        .size:           4
        .value_kind:     by_value
      - .offset:         60
        .size:           4
        .value_kind:     by_value
    .group_segment_fixed_size: 65536
    .kernarg_segment_align: 8
    .kernarg_segment_size: 64
    .language:       OpenCL C
    .language_version:
      - 2
      - 0
    .max_flat_workgroup_size: 512
    .name:           _Z16wvSplitK_hf_sml_I14__hip_bfloat16Li32ELi2ELi16ELi8ELi2ELi3EEviiiiiiPKT_S3_S3_PS1_ii
    .private_segment_fixed_size: 0
    .sgpr_count:     26
    .sgpr_spill_count: 0
    .symbol:         _Z16wvSplitK_hf_sml_I14__hip_bfloat16Li32ELi2ELi16ELi8ELi2ELi3EEviiiiiiPKT_S3_S3_PS1_ii.kd
    .uniform_work_group_size: 1
    .uses_dynamic_stack: false
    .vgpr_count:     69
    .vgpr_spill_count: 0
    .wavefront_size: 32
    .workgroup_processor_mode: 1
  - .args:
      - .offset:         0
        .size:           4
        .value_kind:     by_value
      - .offset:         4
        .size:           4
        .value_kind:     by_value
      - .offset:         8
        .size:           4
        .value_kind:     by_value
      - .offset:         12
        .size:           4
        .value_kind:     by_value
      - .offset:         16
        .size:           4
        .value_kind:     by_value
      - .offset:         20
        .size:           4
        .value_kind:     by_value
      - .address_space:  global
        .offset:         24
        .size:           8
        .value_kind:     global_buffer
      - .actual_access:  read_only
        .address_space:  global
        .offset:         32
        .size:           8
        .value_kind:     global_buffer
      - .actual_access:  read_only
        .address_space:  global
        .offset:         40
        .size:           8
        .value_kind:     global_buffer
      - .address_space:  global
        .offset:         48
        .size:           8
        .value_kind:     global_buffer
      - .offset:         56
        .size:           4
        .value_kind:     by_value
      - .offset:         60
        .size:           4
        .value_kind:     by_value
    .group_segment_fixed_size: 65536
    .kernarg_segment_align: 8
    .kernarg_segment_size: 64
    .language:       OpenCL C
    .language_version:
      - 2
      - 0
    .max_flat_workgroup_size: 512
    .name:           _Z12wvSplitK_hf_I14__hip_bfloat16Li32ELi2ELi16ELi8ELi2ELi3EEviiiiiiPKT_S3_S3_PS1_ii
    .private_segment_fixed_size: 0
    .sgpr_count:     33
    .sgpr_spill_count: 0
    .symbol:         _Z12wvSplitK_hf_I14__hip_bfloat16Li32ELi2ELi16ELi8ELi2ELi3EEviiiiiiPKT_S3_S3_PS1_ii.kd
    .uniform_work_group_size: 1
    .uses_dynamic_stack: false
    .vgpr_count:     78
    .vgpr_spill_count: 0
    .wavefront_size: 32
    .workgroup_processor_mode: 1
  - .args:
      - .offset:         0
        .size:           4
        .value_kind:     by_value
      - .offset:         4
        .size:           4
        .value_kind:     by_value
      - .offset:         8
        .size:           4
        .value_kind:     by_value
      - .offset:         12
        .size:           4
        .value_kind:     by_value
      - .offset:         16
        .size:           4
        .value_kind:     by_value
      - .offset:         20
        .size:           4
        .value_kind:     by_value
      - .address_space:  global
        .offset:         24
        .size:           8
        .value_kind:     global_buffer
      - .actual_access:  read_only
        .address_space:  global
        .offset:         32
        .size:           8
        .value_kind:     global_buffer
      - .actual_access:  read_only
        .address_space:  global
        .offset:         40
        .size:           8
        .value_kind:     global_buffer
      - .address_space:  global
        .offset:         48
        .size:           8
        .value_kind:     global_buffer
      - .offset:         56
        .size:           4
        .value_kind:     by_value
      - .offset:         60
        .size:           4
        .value_kind:     by_value
    .group_segment_fixed_size: 65536
    .kernarg_segment_align: 8
    .kernarg_segment_size: 64
    .language:       OpenCL C
    .language_version:
      - 2
      - 0
    .max_flat_workgroup_size: 512
    .name:           _Z16wvSplitK_hf_big_I14__hip_bfloat16Li32ELi2ELi16ELi8ELi2ELi3EEviiiiiiPKT_S3_S3_PS1_ii
    .private_segment_fixed_size: 0
    .sgpr_count:     43
    .sgpr_spill_count: 0
    .symbol:         _Z16wvSplitK_hf_big_I14__hip_bfloat16Li32ELi2ELi16ELi8ELi2ELi3EEviiiiiiPKT_S3_S3_PS1_ii.kd
    .uniform_work_group_size: 1
    .uses_dynamic_stack: false
    .vgpr_count:     73
    .vgpr_spill_count: 0
    .wavefront_size: 32
    .workgroup_processor_mode: 1
  - .args:
      - .offset:         0
        .size:           4
        .value_kind:     by_value
      - .offset:         4
        .size:           4
        .value_kind:     by_value
      - .offset:         8
        .size:           4
        .value_kind:     by_value
      - .offset:         12
        .size:           4
        .value_kind:     by_value
      - .offset:         16
        .size:           4
        .value_kind:     by_value
      - .offset:         20
        .size:           4
        .value_kind:     by_value
      - .address_space:  global
        .offset:         24
        .size:           8
        .value_kind:     global_buffer
      - .actual_access:  read_only
        .address_space:  global
        .offset:         32
        .size:           8
        .value_kind:     global_buffer
      - .actual_access:  read_only
        .address_space:  global
        .offset:         40
        .size:           8
        .value_kind:     global_buffer
      - .address_space:  global
        .offset:         48
        .size:           8
        .value_kind:     global_buffer
      - .offset:         56
        .size:           4
        .value_kind:     by_value
      - .offset:         60
        .size:           4
        .value_kind:     by_value
    .group_segment_fixed_size: 65536
    .kernarg_segment_align: 8
    .kernarg_segment_size: 64
    .language:       OpenCL C
    .language_version:
      - 2
      - 0
    .max_flat_workgroup_size: 512
    .name:           _Z16wvSplitK_hf_sml_I14__hip_bfloat16Li32ELi3ELi16ELi8ELi2ELi3EEviiiiiiPKT_S3_S3_PS1_ii
    .private_segment_fixed_size: 0
    .sgpr_count:     26
    .sgpr_spill_count: 0
    .symbol:         _Z16wvSplitK_hf_sml_I14__hip_bfloat16Li32ELi3ELi16ELi8ELi2ELi3EEviiiiiiPKT_S3_S3_PS1_ii.kd
    .uniform_work_group_size: 1
    .uses_dynamic_stack: false
    .vgpr_count:     87
    .vgpr_spill_count: 0
    .wavefront_size: 32
    .workgroup_processor_mode: 1
  - .args:
      - .offset:         0
        .size:           4
        .value_kind:     by_value
      - .offset:         4
        .size:           4
        .value_kind:     by_value
      - .offset:         8
        .size:           4
        .value_kind:     by_value
      - .offset:         12
        .size:           4
        .value_kind:     by_value
      - .offset:         16
        .size:           4
        .value_kind:     by_value
      - .offset:         20
        .size:           4
        .value_kind:     by_value
      - .address_space:  global
        .offset:         24
        .size:           8
        .value_kind:     global_buffer
      - .actual_access:  read_only
        .address_space:  global
        .offset:         32
        .size:           8
        .value_kind:     global_buffer
      - .actual_access:  read_only
        .address_space:  global
        .offset:         40
        .size:           8
        .value_kind:     global_buffer
      - .address_space:  global
        .offset:         48
        .size:           8
        .value_kind:     global_buffer
      - .offset:         56
        .size:           4
        .value_kind:     by_value
      - .offset:         60
        .size:           4
        .value_kind:     by_value
    .group_segment_fixed_size: 65536
    .kernarg_segment_align: 8
    .kernarg_segment_size: 64
    .language:       OpenCL C
    .language_version:
      - 2
      - 0
    .max_flat_workgroup_size: 512
    .name:           _Z12wvSplitK_hf_I14__hip_bfloat16Li32ELi3ELi16ELi8ELi2ELi3EEviiiiiiPKT_S3_S3_PS1_ii
    .private_segment_fixed_size: 0
    .sgpr_count:     34
    .sgpr_spill_count: 0
    .symbol:         _Z12wvSplitK_hf_I14__hip_bfloat16Li32ELi3ELi16ELi8ELi2ELi3EEviiiiiiPKT_S3_S3_PS1_ii.kd
    .uniform_work_group_size: 1
    .uses_dynamic_stack: false
    .vgpr_count:     101
    .vgpr_spill_count: 0
    .wavefront_size: 32
    .workgroup_processor_mode: 1
  - .args:
      - .offset:         0
        .size:           4
        .value_kind:     by_value
      - .offset:         4
        .size:           4
        .value_kind:     by_value
      - .offset:         8
        .size:           4
        .value_kind:     by_value
      - .offset:         12
        .size:           4
        .value_kind:     by_value
      - .offset:         16
        .size:           4
        .value_kind:     by_value
      - .offset:         20
        .size:           4
        .value_kind:     by_value
      - .address_space:  global
        .offset:         24
        .size:           8
        .value_kind:     global_buffer
      - .actual_access:  read_only
        .address_space:  global
        .offset:         32
        .size:           8
        .value_kind:     global_buffer
      - .actual_access:  read_only
        .address_space:  global
        .offset:         40
        .size:           8
        .value_kind:     global_buffer
      - .address_space:  global
        .offset:         48
        .size:           8
        .value_kind:     global_buffer
      - .offset:         56
        .size:           4
        .value_kind:     by_value
      - .offset:         60
        .size:           4
        .value_kind:     by_value
    .group_segment_fixed_size: 65536
    .kernarg_segment_align: 8
    .kernarg_segment_size: 64
    .language:       OpenCL C
    .language_version:
      - 2
      - 0
    .max_flat_workgroup_size: 512
    .name:           _Z16wvSplitK_hf_big_I14__hip_bfloat16Li32ELi3ELi16ELi8ELi2ELi3EEviiiiiiPKT_S3_S3_PS1_ii
    .private_segment_fixed_size: 0
    .sgpr_count:     44
    .sgpr_spill_count: 0
    .symbol:         _Z16wvSplitK_hf_big_I14__hip_bfloat16Li32ELi3ELi16ELi8ELi2ELi3EEviiiiiiPKT_S3_S3_PS1_ii.kd
    .uniform_work_group_size: 1
    .uses_dynamic_stack: false
    .vgpr_count:     91
    .vgpr_spill_count: 0
    .wavefront_size: 32
    .workgroup_processor_mode: 1
  - .args:
      - .offset:         0
        .size:           4
        .value_kind:     by_value
      - .offset:         4
        .size:           4
        .value_kind:     by_value
      - .offset:         8
        .size:           4
        .value_kind:     by_value
      - .offset:         12
        .size:           4
        .value_kind:     by_value
      - .offset:         16
        .size:           4
        .value_kind:     by_value
      - .offset:         20
        .size:           4
        .value_kind:     by_value
      - .address_space:  global
        .offset:         24
        .size:           8
        .value_kind:     global_buffer
      - .actual_access:  read_only
        .address_space:  global
        .offset:         32
        .size:           8
        .value_kind:     global_buffer
      - .actual_access:  read_only
        .address_space:  global
        .offset:         40
        .size:           8
        .value_kind:     global_buffer
      - .address_space:  global
        .offset:         48
        .size:           8
        .value_kind:     global_buffer
      - .offset:         56
        .size:           4
        .value_kind:     by_value
      - .offset:         60
        .size:           4
        .value_kind:     by_value
    .group_segment_fixed_size: 65536
    .kernarg_segment_align: 8
    .kernarg_segment_size: 64
    .language:       OpenCL C
    .language_version:
      - 2
      - 0
    .max_flat_workgroup_size: 512
    .name:           _Z16wvSplitK_hf_sml_I14__hip_bfloat16Li32ELi4ELi16ELi8ELi1ELi3EEviiiiiiPKT_S3_S3_PS1_ii
    .private_segment_fixed_size: 0
    .sgpr_count:     25
    .sgpr_spill_count: 0
    .symbol:         _Z16wvSplitK_hf_sml_I14__hip_bfloat16Li32ELi4ELi16ELi8ELi1ELi3EEviiiiiiPKT_S3_S3_PS1_ii.kd
    .uniform_work_group_size: 1
    .uses_dynamic_stack: false
    .vgpr_count:     77
    .vgpr_spill_count: 0
    .wavefront_size: 32
    .workgroup_processor_mode: 1
  - .args:
      - .offset:         0
        .size:           4
        .value_kind:     by_value
      - .offset:         4
        .size:           4
        .value_kind:     by_value
      - .offset:         8
        .size:           4
        .value_kind:     by_value
      - .offset:         12
        .size:           4
        .value_kind:     by_value
      - .offset:         16
        .size:           4
        .value_kind:     by_value
      - .offset:         20
        .size:           4
        .value_kind:     by_value
      - .address_space:  global
        .offset:         24
        .size:           8
        .value_kind:     global_buffer
      - .actual_access:  read_only
        .address_space:  global
        .offset:         32
        .size:           8
        .value_kind:     global_buffer
      - .actual_access:  read_only
        .address_space:  global
        .offset:         40
        .size:           8
        .value_kind:     global_buffer
      - .address_space:  global
        .offset:         48
        .size:           8
        .value_kind:     global_buffer
      - .offset:         56
        .size:           4
        .value_kind:     by_value
      - .offset:         60
        .size:           4
        .value_kind:     by_value
    .group_segment_fixed_size: 65536
    .kernarg_segment_align: 8
    .kernarg_segment_size: 64
    .language:       OpenCL C
    .language_version:
      - 2
      - 0
    .max_flat_workgroup_size: 512
    .name:           _Z12wvSplitK_hf_I14__hip_bfloat16Li32ELi4ELi16ELi8ELi1ELi3EEviiiiiiPKT_S3_S3_PS1_ii
    .private_segment_fixed_size: 0
    .sgpr_count:     34
    .sgpr_spill_count: 0
    .symbol:         _Z12wvSplitK_hf_I14__hip_bfloat16Li32ELi4ELi16ELi8ELi1ELi3EEviiiiiiPKT_S3_S3_PS1_ii.kd
    .uniform_work_group_size: 1
    .uses_dynamic_stack: false
    .vgpr_count:     86
    .vgpr_spill_count: 0
    .wavefront_size: 32
    .workgroup_processor_mode: 1
  - .args:
      - .offset:         0
        .size:           4
        .value_kind:     by_value
      - .offset:         4
        .size:           4
        .value_kind:     by_value
      - .offset:         8
        .size:           4
        .value_kind:     by_value
      - .offset:         12
        .size:           4
        .value_kind:     by_value
      - .offset:         16
        .size:           4
        .value_kind:     by_value
      - .offset:         20
        .size:           4
        .value_kind:     by_value
      - .address_space:  global
        .offset:         24
        .size:           8
        .value_kind:     global_buffer
      - .actual_access:  read_only
        .address_space:  global
        .offset:         32
        .size:           8
        .value_kind:     global_buffer
      - .actual_access:  read_only
        .address_space:  global
        .offset:         40
        .size:           8
        .value_kind:     global_buffer
      - .address_space:  global
        .offset:         48
        .size:           8
        .value_kind:     global_buffer
      - .offset:         56
        .size:           4
        .value_kind:     by_value
      - .offset:         60
        .size:           4
        .value_kind:     by_value
    .group_segment_fixed_size: 65536
    .kernarg_segment_align: 8
    .kernarg_segment_size: 64
    .language:       OpenCL C
    .language_version:
      - 2
      - 0
    .max_flat_workgroup_size: 512
    .name:           _Z16wvSplitK_hf_big_I14__hip_bfloat16Li32ELi4ELi16ELi8ELi1ELi3EEviiiiiiPKT_S3_S3_PS1_ii
    .private_segment_fixed_size: 0
    .sgpr_count:     44
    .sgpr_spill_count: 0
    .symbol:         _Z16wvSplitK_hf_big_I14__hip_bfloat16Li32ELi4ELi16ELi8ELi1ELi3EEviiiiiiPKT_S3_S3_PS1_ii.kd
    .uniform_work_group_size: 1
    .uses_dynamic_stack: false
    .vgpr_count:     83
    .vgpr_spill_count: 0
    .wavefront_size: 32
    .workgroup_processor_mode: 1
  - .args:
      - .offset:         0
        .size:           4
        .value_kind:     by_value
      - .offset:         4
        .size:           4
        .value_kind:     by_value
      - .offset:         8
        .size:           4
        .value_kind:     by_value
      - .offset:         12
        .size:           4
        .value_kind:     by_value
      - .offset:         16
        .size:           4
        .value_kind:     by_value
      - .offset:         20
        .size:           4
        .value_kind:     by_value
      - .address_space:  global
        .offset:         24
        .size:           8
        .value_kind:     global_buffer
      - .actual_access:  read_only
        .address_space:  global
        .offset:         32
        .size:           8
        .value_kind:     global_buffer
      - .actual_access:  read_only
        .address_space:  global
        .offset:         40
        .size:           8
        .value_kind:     global_buffer
      - .address_space:  global
        .offset:         48
        .size:           8
        .value_kind:     global_buffer
      - .offset:         56
        .size:           4
        .value_kind:     by_value
      - .offset:         60
        .size:           4
        .value_kind:     by_value
    .group_segment_fixed_size: 65536
    .kernarg_segment_align: 8
    .kernarg_segment_size: 64
    .language:       OpenCL C
    .language_version:
      - 2
      - 0
    .max_flat_workgroup_size: 512
    .name:           _Z16wvSplitK_hf_sml_I14__hip_bfloat16Li32ELi4ELi16ELi8ELi2ELi3EEviiiiiiPKT_S3_S3_PS1_ii
    .private_segment_fixed_size: 0
    .sgpr_count:     26
    .sgpr_spill_count: 0
    .symbol:         _Z16wvSplitK_hf_sml_I14__hip_bfloat16Li32ELi4ELi16ELi8ELi2ELi3EEviiiiiiPKT_S3_S3_PS1_ii.kd
    .uniform_work_group_size: 1
    .uses_dynamic_stack: false
    .vgpr_count:     104
    .vgpr_spill_count: 0
    .wavefront_size: 32
    .workgroup_processor_mode: 1
  - .args:
      - .offset:         0
        .size:           4
        .value_kind:     by_value
      - .offset:         4
        .size:           4
        .value_kind:     by_value
      - .offset:         8
        .size:           4
        .value_kind:     by_value
      - .offset:         12
        .size:           4
        .value_kind:     by_value
      - .offset:         16
        .size:           4
        .value_kind:     by_value
      - .offset:         20
        .size:           4
        .value_kind:     by_value
      - .address_space:  global
        .offset:         24
        .size:           8
        .value_kind:     global_buffer
      - .actual_access:  read_only
        .address_space:  global
        .offset:         32
        .size:           8
        .value_kind:     global_buffer
      - .actual_access:  read_only
        .address_space:  global
        .offset:         40
        .size:           8
        .value_kind:     global_buffer
      - .address_space:  global
        .offset:         48
        .size:           8
        .value_kind:     global_buffer
      - .offset:         56
        .size:           4
        .value_kind:     by_value
      - .offset:         60
        .size:           4
        .value_kind:     by_value
    .group_segment_fixed_size: 65536
    .kernarg_segment_align: 8
    .kernarg_segment_size: 64
    .language:       OpenCL C
    .language_version:
      - 2
      - 0
    .max_flat_workgroup_size: 512
    .name:           _Z12wvSplitK_hf_I14__hip_bfloat16Li32ELi4ELi16ELi8ELi2ELi3EEviiiiiiPKT_S3_S3_PS1_ii
    .private_segment_fixed_size: 0
    .sgpr_count:     34
    .sgpr_spill_count: 0
    .symbol:         _Z12wvSplitK_hf_I14__hip_bfloat16Li32ELi4ELi16ELi8ELi2ELi3EEviiiiiiPKT_S3_S3_PS1_ii.kd
    .uniform_work_group_size: 1
    .uses_dynamic_stack: false
    .vgpr_count:     126
    .vgpr_spill_count: 0
    .wavefront_size: 32
    .workgroup_processor_mode: 1
  - .args:
      - .offset:         0
        .size:           4
        .value_kind:     by_value
      - .offset:         4
        .size:           4
        .value_kind:     by_value
      - .offset:         8
        .size:           4
        .value_kind:     by_value
      - .offset:         12
        .size:           4
        .value_kind:     by_value
      - .offset:         16
        .size:           4
        .value_kind:     by_value
      - .offset:         20
        .size:           4
        .value_kind:     by_value
      - .address_space:  global
        .offset:         24
        .size:           8
        .value_kind:     global_buffer
      - .actual_access:  read_only
        .address_space:  global
        .offset:         32
        .size:           8
        .value_kind:     global_buffer
      - .actual_access:  read_only
        .address_space:  global
        .offset:         40
        .size:           8
        .value_kind:     global_buffer
      - .address_space:  global
        .offset:         48
        .size:           8
        .value_kind:     global_buffer
      - .offset:         56
        .size:           4
        .value_kind:     by_value
      - .offset:         60
        .size:           4
        .value_kind:     by_value
    .group_segment_fixed_size: 65536
    .kernarg_segment_align: 8
    .kernarg_segment_size: 64
    .language:       OpenCL C
    .language_version:
      - 2
      - 0
    .max_flat_workgroup_size: 512
    .name:           _Z16wvSplitK_hf_big_I14__hip_bfloat16Li32ELi4ELi16ELi8ELi2ELi3EEviiiiiiPKT_S3_S3_PS1_ii
    .private_segment_fixed_size: 0
    .sgpr_count:     44
    .sgpr_spill_count: 0
    .symbol:         _Z16wvSplitK_hf_big_I14__hip_bfloat16Li32ELi4ELi16ELi8ELi2ELi3EEviiiiiiPKT_S3_S3_PS1_ii.kd
    .uniform_work_group_size: 1
    .uses_dynamic_stack: false
    .vgpr_count:     110
    .vgpr_spill_count: 0
    .wavefront_size: 32
    .workgroup_processor_mode: 1
  - .args:
      - .offset:         0
        .size:           4
        .value_kind:     by_value
      - .offset:         4
        .size:           4
        .value_kind:     by_value
      - .offset:         8
        .size:           4
        .value_kind:     by_value
      - .offset:         12
        .size:           4
        .value_kind:     by_value
      - .offset:         16
        .size:           4
        .value_kind:     by_value
      - .offset:         20
        .size:           4
        .value_kind:     by_value
      - .address_space:  global
        .offset:         24
        .size:           8
        .value_kind:     global_buffer
      - .actual_access:  read_only
        .address_space:  global
        .offset:         32
        .size:           8
        .value_kind:     global_buffer
      - .actual_access:  read_only
        .address_space:  global
        .offset:         40
        .size:           8
        .value_kind:     global_buffer
      - .address_space:  global
        .offset:         48
        .size:           8
        .value_kind:     global_buffer
      - .offset:         56
        .size:           4
        .value_kind:     by_value
      - .offset:         60
        .size:           4
        .value_kind:     by_value
    .group_segment_fixed_size: 65536
    .kernarg_segment_align: 8
    .kernarg_segment_size: 64
    .language:       OpenCL C
    .language_version:
      - 2
      - 0
    .max_flat_workgroup_size: 1024
    .name:           _Z16wvSplitK_hf_sml_I14__hip_bfloat16Li64ELi1ELi16ELi8ELi4ELi3EEviiiiiiPKT_S3_S3_PS1_ii
    .private_segment_fixed_size: 0
    .sgpr_count:     28
    .sgpr_spill_count: 0
    .symbol:         _Z16wvSplitK_hf_sml_I14__hip_bfloat16Li64ELi1ELi16ELi8ELi4ELi3EEviiiiiiPKT_S3_S3_PS1_ii.kd
    .uniform_work_group_size: 1
    .uses_dynamic_stack: false
    .vgpr_count:     81
    .vgpr_spill_count: 0
    .wavefront_size: 32
    .workgroup_processor_mode: 1
  - .args:
      - .offset:         0
        .size:           4
        .value_kind:     by_value
      - .offset:         4
        .size:           4
        .value_kind:     by_value
      - .offset:         8
        .size:           4
        .value_kind:     by_value
      - .offset:         12
        .size:           4
        .value_kind:     by_value
      - .offset:         16
        .size:           4
        .value_kind:     by_value
      - .offset:         20
        .size:           4
        .value_kind:     by_value
      - .address_space:  global
        .offset:         24
        .size:           8
        .value_kind:     global_buffer
      - .actual_access:  read_only
        .address_space:  global
        .offset:         32
        .size:           8
        .value_kind:     global_buffer
      - .actual_access:  read_only
        .address_space:  global
        .offset:         40
        .size:           8
        .value_kind:     global_buffer
      - .address_space:  global
        .offset:         48
        .size:           8
        .value_kind:     global_buffer
      - .offset:         56
        .size:           4
        .value_kind:     by_value
      - .offset:         60
        .size:           4
        .value_kind:     by_value
    .group_segment_fixed_size: 65536
    .kernarg_segment_align: 8
    .kernarg_segment_size: 64
    .language:       OpenCL C
    .language_version:
      - 2
      - 0
    .max_flat_workgroup_size: 1024
    .name:           _Z12wvSplitK_hf_I14__hip_bfloat16Li64ELi1ELi16ELi8ELi4ELi3EEviiiiiiPKT_S3_S3_PS1_ii
    .private_segment_fixed_size: 0
    .sgpr_count:     32
    .sgpr_spill_count: 0
    .symbol:         _Z12wvSplitK_hf_I14__hip_bfloat16Li64ELi1ELi16ELi8ELi4ELi3EEviiiiiiPKT_S3_S3_PS1_ii.kd
    .uniform_work_group_size: 1
    .uses_dynamic_stack: false
    .vgpr_count:     87
    .vgpr_spill_count: 0
    .wavefront_size: 32
    .workgroup_processor_mode: 1
  - .args:
      - .offset:         0
        .size:           4
        .value_kind:     by_value
      - .offset:         4
        .size:           4
        .value_kind:     by_value
      - .offset:         8
        .size:           4
        .value_kind:     by_value
      - .offset:         12
        .size:           4
        .value_kind:     by_value
      - .offset:         16
        .size:           4
        .value_kind:     by_value
      - .offset:         20
        .size:           4
        .value_kind:     by_value
      - .address_space:  global
        .offset:         24
        .size:           8
        .value_kind:     global_buffer
      - .actual_access:  read_only
        .address_space:  global
        .offset:         32
        .size:           8
        .value_kind:     global_buffer
      - .actual_access:  read_only
        .address_space:  global
        .offset:         40
        .size:           8
        .value_kind:     global_buffer
      - .address_space:  global
        .offset:         48
        .size:           8
        .value_kind:     global_buffer
      - .offset:         56
        .size:           4
        .value_kind:     by_value
      - .offset:         60
        .size:           4
        .value_kind:     by_value
    .group_segment_fixed_size: 65536
    .kernarg_segment_align: 8
    .kernarg_segment_size: 64
    .language:       OpenCL C
    .language_version:
      - 2
      - 0
    .max_flat_workgroup_size: 1024
    .name:           _Z16wvSplitK_hf_big_I14__hip_bfloat16Li64ELi1ELi16ELi8ELi4ELi3EEviiiiiiPKT_S3_S3_PS1_ii
    .private_segment_fixed_size: 0
    .sgpr_count:     41
    .sgpr_spill_count: 0
    .symbol:         _Z16wvSplitK_hf_big_I14__hip_bfloat16Li64ELi1ELi16ELi8ELi4ELi3EEviiiiiiPKT_S3_S3_PS1_ii.kd
    .uniform_work_group_size: 1
    .uses_dynamic_stack: false
    .vgpr_count:     84
    .vgpr_spill_count: 0
    .wavefront_size: 32
    .workgroup_processor_mode: 1
  - .args:
      - .offset:         0
        .size:           4
        .value_kind:     by_value
      - .offset:         4
        .size:           4
        .value_kind:     by_value
      - .offset:         8
        .size:           4
        .value_kind:     by_value
      - .offset:         12
        .size:           4
        .value_kind:     by_value
      - .offset:         16
        .size:           4
        .value_kind:     by_value
      - .offset:         20
        .size:           4
        .value_kind:     by_value
      - .address_space:  global
        .offset:         24
        .size:           8
        .value_kind:     global_buffer
      - .actual_access:  read_only
        .address_space:  global
        .offset:         32
        .size:           8
        .value_kind:     global_buffer
      - .actual_access:  read_only
        .address_space:  global
        .offset:         40
        .size:           8
        .value_kind:     global_buffer
      - .address_space:  global
        .offset:         48
        .size:           8
        .value_kind:     global_buffer
      - .offset:         56
        .size:           4
        .value_kind:     by_value
      - .offset:         60
        .size:           4
        .value_kind:     by_value
    .group_segment_fixed_size: 65536
    .kernarg_segment_align: 8
    .kernarg_segment_size: 64
    .language:       OpenCL C
    .language_version:
      - 2
      - 0
    .max_flat_workgroup_size: 1024
    .name:           _Z16wvSplitK_hf_sml_I14__hip_bfloat16Li64ELi2ELi16ELi8ELi2ELi3EEviiiiiiPKT_S3_S3_PS1_ii
    .private_segment_fixed_size: 0
    .sgpr_count:     26
    .sgpr_spill_count: 0
    .symbol:         _Z16wvSplitK_hf_sml_I14__hip_bfloat16Li64ELi2ELi16ELi8ELi2ELi3EEviiiiiiPKT_S3_S3_PS1_ii.kd
    .uniform_work_group_size: 1
    .uses_dynamic_stack: false
    .vgpr_count:     69
    .vgpr_spill_count: 0
    .wavefront_size: 32
    .workgroup_processor_mode: 1
  - .args:
      - .offset:         0
        .size:           4
        .value_kind:     by_value
      - .offset:         4
        .size:           4
        .value_kind:     by_value
      - .offset:         8
        .size:           4
        .value_kind:     by_value
      - .offset:         12
        .size:           4
        .value_kind:     by_value
      - .offset:         16
        .size:           4
        .value_kind:     by_value
      - .offset:         20
        .size:           4
        .value_kind:     by_value
      - .address_space:  global
        .offset:         24
        .size:           8
        .value_kind:     global_buffer
      - .actual_access:  read_only
        .address_space:  global
        .offset:         32
        .size:           8
        .value_kind:     global_buffer
      - .actual_access:  read_only
        .address_space:  global
        .offset:         40
        .size:           8
        .value_kind:     global_buffer
      - .address_space:  global
        .offset:         48
        .size:           8
        .value_kind:     global_buffer
      - .offset:         56
        .size:           4
        .value_kind:     by_value
      - .offset:         60
        .size:           4
        .value_kind:     by_value
    .group_segment_fixed_size: 65536
    .kernarg_segment_align: 8
    .kernarg_segment_size: 64
    .language:       OpenCL C
    .language_version:
      - 2
      - 0
    .max_flat_workgroup_size: 1024
    .name:           _Z12wvSplitK_hf_I14__hip_bfloat16Li64ELi2ELi16ELi8ELi2ELi3EEviiiiiiPKT_S3_S3_PS1_ii
    .private_segment_fixed_size: 0
    .sgpr_count:     33
    .sgpr_spill_count: 0
    .symbol:         _Z12wvSplitK_hf_I14__hip_bfloat16Li64ELi2ELi16ELi8ELi2ELi3EEviiiiiiPKT_S3_S3_PS1_ii.kd
    .uniform_work_group_size: 1
    .uses_dynamic_stack: false
    .vgpr_count:     78
    .vgpr_spill_count: 0
    .wavefront_size: 32
    .workgroup_processor_mode: 1
  - .args:
      - .offset:         0
        .size:           4
        .value_kind:     by_value
      - .offset:         4
        .size:           4
        .value_kind:     by_value
      - .offset:         8
        .size:           4
        .value_kind:     by_value
      - .offset:         12
        .size:           4
        .value_kind:     by_value
      - .offset:         16
        .size:           4
        .value_kind:     by_value
      - .offset:         20
        .size:           4
        .value_kind:     by_value
      - .address_space:  global
        .offset:         24
        .size:           8
        .value_kind:     global_buffer
      - .actual_access:  read_only
        .address_space:  global
        .offset:         32
        .size:           8
        .value_kind:     global_buffer
      - .actual_access:  read_only
        .address_space:  global
        .offset:         40
        .size:           8
        .value_kind:     global_buffer
      - .address_space:  global
        .offset:         48
        .size:           8
        .value_kind:     global_buffer
      - .offset:         56
        .size:           4
        .value_kind:     by_value
      - .offset:         60
        .size:           4
        .value_kind:     by_value
    .group_segment_fixed_size: 65536
    .kernarg_segment_align: 8
    .kernarg_segment_size: 64
    .language:       OpenCL C
    .language_version:
      - 2
      - 0
    .max_flat_workgroup_size: 1024
    .name:           _Z16wvSplitK_hf_big_I14__hip_bfloat16Li64ELi2ELi16ELi8ELi2ELi3EEviiiiiiPKT_S3_S3_PS1_ii
    .private_segment_fixed_size: 0
    .sgpr_count:     43
    .sgpr_spill_count: 0
    .symbol:         _Z16wvSplitK_hf_big_I14__hip_bfloat16Li64ELi2ELi16ELi8ELi2ELi3EEviiiiiiPKT_S3_S3_PS1_ii.kd
    .uniform_work_group_size: 1
    .uses_dynamic_stack: false
    .vgpr_count:     73
    .vgpr_spill_count: 0
    .wavefront_size: 32
    .workgroup_processor_mode: 1
  - .args:
      - .offset:         0
        .size:           4
        .value_kind:     by_value
      - .offset:         4
        .size:           4
        .value_kind:     by_value
      - .offset:         8
        .size:           4
        .value_kind:     by_value
      - .offset:         12
        .size:           4
        .value_kind:     by_value
      - .offset:         16
        .size:           4
        .value_kind:     by_value
      - .offset:         20
        .size:           4
        .value_kind:     by_value
      - .address_space:  global
        .offset:         24
        .size:           8
        .value_kind:     global_buffer
      - .actual_access:  read_only
        .address_space:  global
        .offset:         32
        .size:           8
        .value_kind:     global_buffer
      - .actual_access:  read_only
        .address_space:  global
        .offset:         40
        .size:           8
        .value_kind:     global_buffer
      - .address_space:  global
        .offset:         48
        .size:           8
        .value_kind:     global_buffer
      - .offset:         56
        .size:           4
        .value_kind:     by_value
      - .offset:         60
        .size:           4
        .value_kind:     by_value
    .group_segment_fixed_size: 65536
    .kernarg_segment_align: 8
    .kernarg_segment_size: 64
    .language:       OpenCL C
    .language_version:
      - 2
      - 0
    .max_flat_workgroup_size: 1024
    .name:           _Z16wvSplitK_hf_sml_I14__hip_bfloat16Li64ELi3ELi16ELi8ELi2ELi3EEviiiiiiPKT_S3_S3_PS1_ii
    .private_segment_fixed_size: 0
    .sgpr_count:     26
    .sgpr_spill_count: 0
    .symbol:         _Z16wvSplitK_hf_sml_I14__hip_bfloat16Li64ELi3ELi16ELi8ELi2ELi3EEviiiiiiPKT_S3_S3_PS1_ii.kd
    .uniform_work_group_size: 1
    .uses_dynamic_stack: false
    .vgpr_count:     87
    .vgpr_spill_count: 0
    .wavefront_size: 32
    .workgroup_processor_mode: 1
  - .args:
      - .offset:         0
        .size:           4
        .value_kind:     by_value
      - .offset:         4
        .size:           4
        .value_kind:     by_value
      - .offset:         8
        .size:           4
        .value_kind:     by_value
      - .offset:         12
        .size:           4
        .value_kind:     by_value
      - .offset:         16
        .size:           4
        .value_kind:     by_value
      - .offset:         20
        .size:           4
        .value_kind:     by_value
      - .address_space:  global
        .offset:         24
        .size:           8
        .value_kind:     global_buffer
      - .actual_access:  read_only
        .address_space:  global
        .offset:         32
        .size:           8
        .value_kind:     global_buffer
      - .actual_access:  read_only
        .address_space:  global
        .offset:         40
        .size:           8
        .value_kind:     global_buffer
      - .address_space:  global
        .offset:         48
        .size:           8
        .value_kind:     global_buffer
      - .offset:         56
        .size:           4
        .value_kind:     by_value
      - .offset:         60
        .size:           4
        .value_kind:     by_value
    .group_segment_fixed_size: 65536
    .kernarg_segment_align: 8
    .kernarg_segment_size: 64
    .language:       OpenCL C
    .language_version:
      - 2
      - 0
    .max_flat_workgroup_size: 1024
    .name:           _Z12wvSplitK_hf_I14__hip_bfloat16Li64ELi3ELi16ELi8ELi2ELi3EEviiiiiiPKT_S3_S3_PS1_ii
    .private_segment_fixed_size: 0
    .sgpr_count:     34
    .sgpr_spill_count: 0
    .symbol:         _Z12wvSplitK_hf_I14__hip_bfloat16Li64ELi3ELi16ELi8ELi2ELi3EEviiiiiiPKT_S3_S3_PS1_ii.kd
    .uniform_work_group_size: 1
    .uses_dynamic_stack: false
    .vgpr_count:     101
    .vgpr_spill_count: 0
    .wavefront_size: 32
    .workgroup_processor_mode: 1
  - .args:
      - .offset:         0
        .size:           4
        .value_kind:     by_value
      - .offset:         4
        .size:           4
        .value_kind:     by_value
      - .offset:         8
        .size:           4
        .value_kind:     by_value
      - .offset:         12
        .size:           4
        .value_kind:     by_value
      - .offset:         16
        .size:           4
        .value_kind:     by_value
      - .offset:         20
        .size:           4
        .value_kind:     by_value
      - .address_space:  global
        .offset:         24
        .size:           8
        .value_kind:     global_buffer
      - .actual_access:  read_only
        .address_space:  global
        .offset:         32
        .size:           8
        .value_kind:     global_buffer
      - .actual_access:  read_only
        .address_space:  global
        .offset:         40
        .size:           8
        .value_kind:     global_buffer
      - .address_space:  global
        .offset:         48
        .size:           8
        .value_kind:     global_buffer
      - .offset:         56
        .size:           4
        .value_kind:     by_value
      - .offset:         60
        .size:           4
        .value_kind:     by_value
    .group_segment_fixed_size: 65536
    .kernarg_segment_align: 8
    .kernarg_segment_size: 64
    .language:       OpenCL C
    .language_version:
      - 2
      - 0
    .max_flat_workgroup_size: 1024
    .name:           _Z16wvSplitK_hf_big_I14__hip_bfloat16Li64ELi3ELi16ELi8ELi2ELi3EEviiiiiiPKT_S3_S3_PS1_ii
    .private_segment_fixed_size: 0
    .sgpr_count:     44
    .sgpr_spill_count: 0
    .symbol:         _Z16wvSplitK_hf_big_I14__hip_bfloat16Li64ELi3ELi16ELi8ELi2ELi3EEviiiiiiPKT_S3_S3_PS1_ii.kd
    .uniform_work_group_size: 1
    .uses_dynamic_stack: false
    .vgpr_count:     91
    .vgpr_spill_count: 0
    .wavefront_size: 32
    .workgroup_processor_mode: 1
  - .args:
      - .offset:         0
        .size:           4
        .value_kind:     by_value
      - .offset:         4
        .size:           4
        .value_kind:     by_value
      - .offset:         8
        .size:           4
        .value_kind:     by_value
      - .offset:         12
        .size:           4
        .value_kind:     by_value
      - .offset:         16
        .size:           4
        .value_kind:     by_value
      - .offset:         20
        .size:           4
        .value_kind:     by_value
      - .address_space:  global
        .offset:         24
        .size:           8
        .value_kind:     global_buffer
      - .actual_access:  read_only
        .address_space:  global
        .offset:         32
        .size:           8
        .value_kind:     global_buffer
      - .actual_access:  read_only
        .address_space:  global
        .offset:         40
        .size:           8
        .value_kind:     global_buffer
      - .address_space:  global
        .offset:         48
        .size:           8
        .value_kind:     global_buffer
      - .offset:         56
        .size:           4
        .value_kind:     by_value
      - .offset:         60
        .size:           4
        .value_kind:     by_value
    .group_segment_fixed_size: 65536
    .kernarg_segment_align: 8
    .kernarg_segment_size: 64
    .language:       OpenCL C
    .language_version:
      - 2
      - 0
    .max_flat_workgroup_size: 1024
    .name:           _Z16wvSplitK_hf_sml_I14__hip_bfloat16Li64ELi4ELi16ELi8ELi1ELi3EEviiiiiiPKT_S3_S3_PS1_ii
    .private_segment_fixed_size: 0
    .sgpr_count:     25
    .sgpr_spill_count: 0
    .symbol:         _Z16wvSplitK_hf_sml_I14__hip_bfloat16Li64ELi4ELi16ELi8ELi1ELi3EEviiiiiiPKT_S3_S3_PS1_ii.kd
    .uniform_work_group_size: 1
    .uses_dynamic_stack: false
    .vgpr_count:     77
    .vgpr_spill_count: 0
    .wavefront_size: 32
    .workgroup_processor_mode: 1
  - .args:
      - .offset:         0
        .size:           4
        .value_kind:     by_value
      - .offset:         4
        .size:           4
        .value_kind:     by_value
      - .offset:         8
        .size:           4
        .value_kind:     by_value
      - .offset:         12
        .size:           4
        .value_kind:     by_value
      - .offset:         16
        .size:           4
        .value_kind:     by_value
      - .offset:         20
        .size:           4
        .value_kind:     by_value
      - .address_space:  global
        .offset:         24
        .size:           8
        .value_kind:     global_buffer
      - .actual_access:  read_only
        .address_space:  global
        .offset:         32
        .size:           8
        .value_kind:     global_buffer
      - .actual_access:  read_only
        .address_space:  global
        .offset:         40
        .size:           8
        .value_kind:     global_buffer
      - .address_space:  global
        .offset:         48
        .size:           8
        .value_kind:     global_buffer
      - .offset:         56
        .size:           4
        .value_kind:     by_value
      - .offset:         60
        .size:           4
        .value_kind:     by_value
    .group_segment_fixed_size: 65536
    .kernarg_segment_align: 8
    .kernarg_segment_size: 64
    .language:       OpenCL C
    .language_version:
      - 2
      - 0
    .max_flat_workgroup_size: 1024
    .name:           _Z12wvSplitK_hf_I14__hip_bfloat16Li64ELi4ELi16ELi8ELi1ELi3EEviiiiiiPKT_S3_S3_PS1_ii
    .private_segment_fixed_size: 0
    .sgpr_count:     34
    .sgpr_spill_count: 0
    .symbol:         _Z12wvSplitK_hf_I14__hip_bfloat16Li64ELi4ELi16ELi8ELi1ELi3EEviiiiiiPKT_S3_S3_PS1_ii.kd
    .uniform_work_group_size: 1
    .uses_dynamic_stack: false
    .vgpr_count:     86
    .vgpr_spill_count: 0
    .wavefront_size: 32
    .workgroup_processor_mode: 1
  - .args:
      - .offset:         0
        .size:           4
        .value_kind:     by_value
      - .offset:         4
        .size:           4
        .value_kind:     by_value
      - .offset:         8
        .size:           4
        .value_kind:     by_value
      - .offset:         12
        .size:           4
        .value_kind:     by_value
      - .offset:         16
        .size:           4
        .value_kind:     by_value
      - .offset:         20
        .size:           4
        .value_kind:     by_value
      - .address_space:  global
        .offset:         24
        .size:           8
        .value_kind:     global_buffer
      - .actual_access:  read_only
        .address_space:  global
        .offset:         32
        .size:           8
        .value_kind:     global_buffer
      - .actual_access:  read_only
        .address_space:  global
        .offset:         40
        .size:           8
        .value_kind:     global_buffer
      - .address_space:  global
        .offset:         48
        .size:           8
        .value_kind:     global_buffer
      - .offset:         56
        .size:           4
        .value_kind:     by_value
      - .offset:         60
        .size:           4
        .value_kind:     by_value
    .group_segment_fixed_size: 65536
    .kernarg_segment_align: 8
    .kernarg_segment_size: 64
    .language:       OpenCL C
    .language_version:
      - 2
      - 0
    .max_flat_workgroup_size: 1024
    .name:           _Z16wvSplitK_hf_big_I14__hip_bfloat16Li64ELi4ELi16ELi8ELi1ELi3EEviiiiiiPKT_S3_S3_PS1_ii
    .private_segment_fixed_size: 0
    .sgpr_count:     44
    .sgpr_spill_count: 0
    .symbol:         _Z16wvSplitK_hf_big_I14__hip_bfloat16Li64ELi4ELi16ELi8ELi1ELi3EEviiiiiiPKT_S3_S3_PS1_ii.kd
    .uniform_work_group_size: 1
    .uses_dynamic_stack: false
    .vgpr_count:     83
    .vgpr_spill_count: 0
    .wavefront_size: 32
    .workgroup_processor_mode: 1
  - .args:
      - .offset:         0
        .size:           4
        .value_kind:     by_value
      - .offset:         4
        .size:           4
        .value_kind:     by_value
      - .offset:         8
        .size:           4
        .value_kind:     by_value
      - .offset:         12
        .size:           4
        .value_kind:     by_value
      - .offset:         16
        .size:           4
        .value_kind:     by_value
      - .offset:         20
        .size:           4
        .value_kind:     by_value
      - .address_space:  global
        .offset:         24
        .size:           8
        .value_kind:     global_buffer
      - .actual_access:  read_only
        .address_space:  global
        .offset:         32
        .size:           8
        .value_kind:     global_buffer
      - .actual_access:  read_only
        .address_space:  global
        .offset:         40
        .size:           8
        .value_kind:     global_buffer
      - .address_space:  global
        .offset:         48
        .size:           8
        .value_kind:     global_buffer
      - .offset:         56
        .size:           4
        .value_kind:     by_value
      - .offset:         60
        .size:           4
        .value_kind:     by_value
    .group_segment_fixed_size: 65536
    .kernarg_segment_align: 8
    .kernarg_segment_size: 64
    .language:       OpenCL C
    .language_version:
      - 2
      - 0
    .max_flat_workgroup_size: 1024
    .name:           _Z16wvSplitK_hf_sml_I14__hip_bfloat16Li64ELi4ELi16ELi8ELi2ELi3EEviiiiiiPKT_S3_S3_PS1_ii
    .private_segment_fixed_size: 0
    .sgpr_count:     26
    .sgpr_spill_count: 0
    .symbol:         _Z16wvSplitK_hf_sml_I14__hip_bfloat16Li64ELi4ELi16ELi8ELi2ELi3EEviiiiiiPKT_S3_S3_PS1_ii.kd
    .uniform_work_group_size: 1
    .uses_dynamic_stack: false
    .vgpr_count:     104
    .vgpr_spill_count: 0
    .wavefront_size: 32
    .workgroup_processor_mode: 1
  - .args:
      - .offset:         0
        .size:           4
        .value_kind:     by_value
      - .offset:         4
        .size:           4
        .value_kind:     by_value
      - .offset:         8
        .size:           4
        .value_kind:     by_value
      - .offset:         12
        .size:           4
        .value_kind:     by_value
      - .offset:         16
        .size:           4
        .value_kind:     by_value
      - .offset:         20
        .size:           4
        .value_kind:     by_value
      - .address_space:  global
        .offset:         24
        .size:           8
        .value_kind:     global_buffer
      - .actual_access:  read_only
        .address_space:  global
        .offset:         32
        .size:           8
        .value_kind:     global_buffer
      - .actual_access:  read_only
        .address_space:  global
        .offset:         40
        .size:           8
        .value_kind:     global_buffer
      - .address_space:  global
        .offset:         48
        .size:           8
        .value_kind:     global_buffer
      - .offset:         56
        .size:           4
        .value_kind:     by_value
      - .offset:         60
        .size:           4
        .value_kind:     by_value
    .group_segment_fixed_size: 65536
    .kernarg_segment_align: 8
    .kernarg_segment_size: 64
    .language:       OpenCL C
    .language_version:
      - 2
      - 0
    .max_flat_workgroup_size: 1024
    .name:           _Z12wvSplitK_hf_I14__hip_bfloat16Li64ELi4ELi16ELi8ELi2ELi3EEviiiiiiPKT_S3_S3_PS1_ii
    .private_segment_fixed_size: 0
    .sgpr_count:     34
    .sgpr_spill_count: 0
    .symbol:         _Z12wvSplitK_hf_I14__hip_bfloat16Li64ELi4ELi16ELi8ELi2ELi3EEviiiiiiPKT_S3_S3_PS1_ii.kd
    .uniform_work_group_size: 1
    .uses_dynamic_stack: false
    .vgpr_count:     125
    .vgpr_spill_count: 0
    .wavefront_size: 32
    .workgroup_processor_mode: 1
  - .args:
      - .offset:         0
        .size:           4
        .value_kind:     by_value
      - .offset:         4
        .size:           4
        .value_kind:     by_value
      - .offset:         8
        .size:           4
        .value_kind:     by_value
      - .offset:         12
        .size:           4
        .value_kind:     by_value
      - .offset:         16
        .size:           4
        .value_kind:     by_value
      - .offset:         20
        .size:           4
        .value_kind:     by_value
      - .address_space:  global
        .offset:         24
        .size:           8
        .value_kind:     global_buffer
      - .actual_access:  read_only
        .address_space:  global
        .offset:         32
        .size:           8
        .value_kind:     global_buffer
      - .actual_access:  read_only
        .address_space:  global
        .offset:         40
        .size:           8
        .value_kind:     global_buffer
      - .address_space:  global
        .offset:         48
        .size:           8
        .value_kind:     global_buffer
      - .offset:         56
        .size:           4
        .value_kind:     by_value
      - .offset:         60
        .size:           4
        .value_kind:     by_value
    .group_segment_fixed_size: 65536
    .kernarg_segment_align: 8
    .kernarg_segment_size: 64
    .language:       OpenCL C
    .language_version:
      - 2
      - 0
    .max_flat_workgroup_size: 1024
    .name:           _Z16wvSplitK_hf_big_I14__hip_bfloat16Li64ELi4ELi16ELi8ELi2ELi3EEviiiiiiPKT_S3_S3_PS1_ii
    .private_segment_fixed_size: 0
    .sgpr_count:     44
    .sgpr_spill_count: 0
    .symbol:         _Z16wvSplitK_hf_big_I14__hip_bfloat16Li64ELi4ELi16ELi8ELi2ELi3EEviiiiiiPKT_S3_S3_PS1_ii.kd
    .uniform_work_group_size: 1
    .uses_dynamic_stack: false
    .vgpr_count:     110
    .vgpr_spill_count: 0
    .wavefront_size: 32
    .workgroup_processor_mode: 1
  - .args:
      - .offset:         0
        .size:           4
        .value_kind:     by_value
      - .offset:         4
        .size:           4
        .value_kind:     by_value
      - .offset:         8
        .size:           4
        .value_kind:     by_value
      - .offset:         12
        .size:           4
        .value_kind:     by_value
      - .offset:         16
        .size:           4
        .value_kind:     by_value
      - .offset:         20
        .size:           4
        .value_kind:     by_value
      - .address_space:  global
        .offset:         24
        .size:           8
        .value_kind:     global_buffer
      - .actual_access:  read_only
        .address_space:  global
        .offset:         32
        .size:           8
        .value_kind:     global_buffer
      - .actual_access:  read_only
        .address_space:  global
        .offset:         40
        .size:           8
        .value_kind:     global_buffer
      - .address_space:  global
        .offset:         48
        .size:           8
        .value_kind:     global_buffer
      - .offset:         56
        .size:           4
        .value_kind:     by_value
      - .offset:         60
        .size:           4
        .value_kind:     by_value
    .group_segment_fixed_size: 65536
    .kernarg_segment_align: 8
    .kernarg_segment_size: 64
    .language:       OpenCL C
    .language_version:
      - 2
      - 0
    .max_flat_workgroup_size: 512
    .name:           _Z16wvSplitK_hf_sml_I14__hip_bfloat16Li32ELi1ELi16ELi8ELi4ELi4EEviiiiiiPKT_S3_S3_PS1_ii
    .private_segment_fixed_size: 0
    .sgpr_count:     30
    .sgpr_spill_count: 0
    .symbol:         _Z16wvSplitK_hf_sml_I14__hip_bfloat16Li32ELi1ELi16ELi8ELi4ELi4EEviiiiiiPKT_S3_S3_PS1_ii.kd
    .uniform_work_group_size: 1
    .uses_dynamic_stack: false
    .vgpr_count:     99
    .vgpr_spill_count: 0
    .wavefront_size: 32
    .workgroup_processor_mode: 1
  - .args:
      - .offset:         0
        .size:           4
        .value_kind:     by_value
      - .offset:         4
        .size:           4
        .value_kind:     by_value
      - .offset:         8
        .size:           4
        .value_kind:     by_value
      - .offset:         12
        .size:           4
        .value_kind:     by_value
      - .offset:         16
        .size:           4
        .value_kind:     by_value
      - .offset:         20
        .size:           4
        .value_kind:     by_value
      - .address_space:  global
        .offset:         24
        .size:           8
        .value_kind:     global_buffer
      - .actual_access:  read_only
        .address_space:  global
        .offset:         32
        .size:           8
        .value_kind:     global_buffer
      - .actual_access:  read_only
        .address_space:  global
        .offset:         40
        .size:           8
        .value_kind:     global_buffer
      - .address_space:  global
        .offset:         48
        .size:           8
        .value_kind:     global_buffer
      - .offset:         56
        .size:           4
        .value_kind:     by_value
      - .offset:         60
        .size:           4
        .value_kind:     by_value
    .group_segment_fixed_size: 65536
    .kernarg_segment_align: 8
    .kernarg_segment_size: 64
    .language:       OpenCL C
    .language_version:
      - 2
      - 0
    .max_flat_workgroup_size: 512
    .name:           _Z12wvSplitK_hf_I14__hip_bfloat16Li32ELi1ELi16ELi8ELi4ELi4EEviiiiiiPKT_S3_S3_PS1_ii
    .private_segment_fixed_size: 0
    .sgpr_count:     34
    .sgpr_spill_count: 0
    .symbol:         _Z12wvSplitK_hf_I14__hip_bfloat16Li32ELi1ELi16ELi8ELi4ELi4EEviiiiiiPKT_S3_S3_PS1_ii.kd
    .uniform_work_group_size: 1
    .uses_dynamic_stack: false
    .vgpr_count:     107
    .vgpr_spill_count: 0
    .wavefront_size: 32
    .workgroup_processor_mode: 1
  - .args:
      - .offset:         0
        .size:           4
        .value_kind:     by_value
      - .offset:         4
        .size:           4
        .value_kind:     by_value
      - .offset:         8
        .size:           4
        .value_kind:     by_value
      - .offset:         12
        .size:           4
        .value_kind:     by_value
      - .offset:         16
        .size:           4
        .value_kind:     by_value
      - .offset:         20
        .size:           4
        .value_kind:     by_value
      - .address_space:  global
        .offset:         24
        .size:           8
        .value_kind:     global_buffer
      - .actual_access:  read_only
        .address_space:  global
        .offset:         32
        .size:           8
        .value_kind:     global_buffer
      - .actual_access:  read_only
        .address_space:  global
        .offset:         40
        .size:           8
        .value_kind:     global_buffer
      - .address_space:  global
        .offset:         48
        .size:           8
        .value_kind:     global_buffer
      - .offset:         56
        .size:           4
        .value_kind:     by_value
      - .offset:         60
        .size:           4
        .value_kind:     by_value
    .group_segment_fixed_size: 65536
    .kernarg_segment_align: 8
    .kernarg_segment_size: 64
    .language:       OpenCL C
    .language_version:
      - 2
      - 0
    .max_flat_workgroup_size: 512
    .name:           _Z16wvSplitK_hf_big_I14__hip_bfloat16Li32ELi1ELi16ELi8ELi4ELi4EEviiiiiiPKT_S3_S3_PS1_ii
    .private_segment_fixed_size: 0
    .sgpr_count:     43
    .sgpr_spill_count: 0
    .symbol:         _Z16wvSplitK_hf_big_I14__hip_bfloat16Li32ELi1ELi16ELi8ELi4ELi4EEviiiiiiPKT_S3_S3_PS1_ii.kd
    .uniform_work_group_size: 1
    .uses_dynamic_stack: false
    .vgpr_count:     103
    .vgpr_spill_count: 0
    .wavefront_size: 32
    .workgroup_processor_mode: 1
  - .args:
      - .offset:         0
        .size:           4
        .value_kind:     by_value
      - .offset:         4
        .size:           4
        .value_kind:     by_value
      - .offset:         8
        .size:           4
        .value_kind:     by_value
      - .offset:         12
        .size:           4
        .value_kind:     by_value
      - .offset:         16
        .size:           4
        .value_kind:     by_value
      - .offset:         20
        .size:           4
        .value_kind:     by_value
      - .address_space:  global
        .offset:         24
        .size:           8
        .value_kind:     global_buffer
      - .actual_access:  read_only
        .address_space:  global
        .offset:         32
        .size:           8
        .value_kind:     global_buffer
      - .actual_access:  read_only
        .address_space:  global
        .offset:         40
        .size:           8
        .value_kind:     global_buffer
      - .address_space:  global
        .offset:         48
        .size:           8
        .value_kind:     global_buffer
      - .offset:         56
        .size:           4
        .value_kind:     by_value
      - .offset:         60
        .size:           4
        .value_kind:     by_value
    .group_segment_fixed_size: 65536
    .kernarg_segment_align: 8
    .kernarg_segment_size: 64
    .language:       OpenCL C
    .language_version:
      - 2
      - 0
    .max_flat_workgroup_size: 512
    .name:           _Z16wvSplitK_hf_sml_I14__hip_bfloat16Li32ELi2ELi16ELi8ELi2ELi4EEviiiiiiPKT_S3_S3_PS1_ii
    .private_segment_fixed_size: 0
    .sgpr_count:     28
    .sgpr_spill_count: 0
    .symbol:         _Z16wvSplitK_hf_sml_I14__hip_bfloat16Li32ELi2ELi16ELi8ELi2ELi4EEviiiiiiPKT_S3_S3_PS1_ii.kd
    .uniform_work_group_size: 1
    .uses_dynamic_stack: false
    .vgpr_count:     79
    .vgpr_spill_count: 0
    .wavefront_size: 32
    .workgroup_processor_mode: 1
  - .args:
      - .offset:         0
        .size:           4
        .value_kind:     by_value
      - .offset:         4
        .size:           4
        .value_kind:     by_value
      - .offset:         8
        .size:           4
        .value_kind:     by_value
      - .offset:         12
        .size:           4
        .value_kind:     by_value
      - .offset:         16
        .size:           4
        .value_kind:     by_value
      - .offset:         20
        .size:           4
        .value_kind:     by_value
      - .address_space:  global
        .offset:         24
        .size:           8
        .value_kind:     global_buffer
      - .actual_access:  read_only
        .address_space:  global
        .offset:         32
        .size:           8
        .value_kind:     global_buffer
      - .actual_access:  read_only
        .address_space:  global
        .offset:         40
        .size:           8
        .value_kind:     global_buffer
      - .address_space:  global
        .offset:         48
        .size:           8
        .value_kind:     global_buffer
      - .offset:         56
        .size:           4
        .value_kind:     by_value
      - .offset:         60
        .size:           4
        .value_kind:     by_value
    .group_segment_fixed_size: 65536
    .kernarg_segment_align: 8
    .kernarg_segment_size: 64
    .language:       OpenCL C
    .language_version:
      - 2
      - 0
    .max_flat_workgroup_size: 512
    .name:           _Z12wvSplitK_hf_I14__hip_bfloat16Li32ELi2ELi16ELi8ELi2ELi4EEviiiiiiPKT_S3_S3_PS1_ii
    .private_segment_fixed_size: 0
    .sgpr_count:     36
    .sgpr_spill_count: 0
    .symbol:         _Z12wvSplitK_hf_I14__hip_bfloat16Li32ELi2ELi16ELi8ELi2ELi4EEviiiiiiPKT_S3_S3_PS1_ii.kd
    .uniform_work_group_size: 1
    .uses_dynamic_stack: false
    .vgpr_count:     89
    .vgpr_spill_count: 0
    .wavefront_size: 32
    .workgroup_processor_mode: 1
  - .args:
      - .offset:         0
        .size:           4
        .value_kind:     by_value
      - .offset:         4
        .size:           4
        .value_kind:     by_value
      - .offset:         8
        .size:           4
        .value_kind:     by_value
      - .offset:         12
        .size:           4
        .value_kind:     by_value
      - .offset:         16
        .size:           4
        .value_kind:     by_value
      - .offset:         20
        .size:           4
        .value_kind:     by_value
      - .address_space:  global
        .offset:         24
        .size:           8
        .value_kind:     global_buffer
      - .actual_access:  read_only
        .address_space:  global
        .offset:         32
        .size:           8
        .value_kind:     global_buffer
      - .actual_access:  read_only
        .address_space:  global
        .offset:         40
        .size:           8
        .value_kind:     global_buffer
      - .address_space:  global
        .offset:         48
        .size:           8
        .value_kind:     global_buffer
      - .offset:         56
        .size:           4
        .value_kind:     by_value
      - .offset:         60
        .size:           4
        .value_kind:     by_value
    .group_segment_fixed_size: 65536
    .kernarg_segment_align: 8
    .kernarg_segment_size: 64
    .language:       OpenCL C
    .language_version:
      - 2
      - 0
    .max_flat_workgroup_size: 512
    .name:           _Z16wvSplitK_hf_big_I14__hip_bfloat16Li32ELi2ELi16ELi8ELi2ELi4EEviiiiiiPKT_S3_S3_PS1_ii
    .private_segment_fixed_size: 0
    .sgpr_count:     45
    .sgpr_spill_count: 0
    .symbol:         _Z16wvSplitK_hf_big_I14__hip_bfloat16Li32ELi2ELi16ELi8ELi2ELi4EEviiiiiiPKT_S3_S3_PS1_ii.kd
    .uniform_work_group_size: 1
    .uses_dynamic_stack: false
    .vgpr_count:     84
    .vgpr_spill_count: 0
    .wavefront_size: 32
    .workgroup_processor_mode: 1
  - .args:
      - .offset:         0
        .size:           4
        .value_kind:     by_value
      - .offset:         4
        .size:           4
        .value_kind:     by_value
      - .offset:         8
        .size:           4
        .value_kind:     by_value
      - .offset:         12
        .size:           4
        .value_kind:     by_value
      - .offset:         16
        .size:           4
        .value_kind:     by_value
      - .offset:         20
        .size:           4
        .value_kind:     by_value
      - .address_space:  global
        .offset:         24
        .size:           8
        .value_kind:     global_buffer
      - .actual_access:  read_only
        .address_space:  global
        .offset:         32
        .size:           8
        .value_kind:     global_buffer
      - .actual_access:  read_only
        .address_space:  global
        .offset:         40
        .size:           8
        .value_kind:     global_buffer
      - .address_space:  global
        .offset:         48
        .size:           8
        .value_kind:     global_buffer
      - .offset:         56
        .size:           4
        .value_kind:     by_value
      - .offset:         60
        .size:           4
        .value_kind:     by_value
    .group_segment_fixed_size: 65536
    .kernarg_segment_align: 8
    .kernarg_segment_size: 64
    .language:       OpenCL C
    .language_version:
      - 2
      - 0
    .max_flat_workgroup_size: 512
    .name:           _Z16wvSplitK_hf_sml_I14__hip_bfloat16Li32ELi3ELi16ELi8ELi2ELi4EEviiiiiiPKT_S3_S3_PS1_ii
    .private_segment_fixed_size: 0
    .sgpr_count:     28
    .sgpr_spill_count: 0
    .symbol:         _Z16wvSplitK_hf_sml_I14__hip_bfloat16Li32ELi3ELi16ELi8ELi2ELi4EEviiiiiiPKT_S3_S3_PS1_ii.kd
    .uniform_work_group_size: 1
    .uses_dynamic_stack: false
    .vgpr_count:     99
    .vgpr_spill_count: 0
    .wavefront_size: 32
    .workgroup_processor_mode: 1
  - .args:
      - .offset:         0
        .size:           4
        .value_kind:     by_value
      - .offset:         4
        .size:           4
        .value_kind:     by_value
      - .offset:         8
        .size:           4
        .value_kind:     by_value
      - .offset:         12
        .size:           4
        .value_kind:     by_value
      - .offset:         16
        .size:           4
        .value_kind:     by_value
      - .offset:         20
        .size:           4
        .value_kind:     by_value
      - .address_space:  global
        .offset:         24
        .size:           8
        .value_kind:     global_buffer
      - .actual_access:  read_only
        .address_space:  global
        .offset:         32
        .size:           8
        .value_kind:     global_buffer
      - .actual_access:  read_only
        .address_space:  global
        .offset:         40
        .size:           8
        .value_kind:     global_buffer
      - .address_space:  global
        .offset:         48
        .size:           8
        .value_kind:     global_buffer
      - .offset:         56
        .size:           4
        .value_kind:     by_value
      - .offset:         60
        .size:           4
        .value_kind:     by_value
    .group_segment_fixed_size: 65536
    .kernarg_segment_align: 8
    .kernarg_segment_size: 64
    .language:       OpenCL C
    .language_version:
      - 2
      - 0
    .max_flat_workgroup_size: 512
    .name:           _Z12wvSplitK_hf_I14__hip_bfloat16Li32ELi3ELi16ELi8ELi2ELi4EEviiiiiiPKT_S3_S3_PS1_ii
    .private_segment_fixed_size: 0
    .sgpr_count:     37
    .sgpr_spill_count: 0
    .symbol:         _Z12wvSplitK_hf_I14__hip_bfloat16Li32ELi3ELi16ELi8ELi2ELi4EEviiiiiiPKT_S3_S3_PS1_ii.kd
    .uniform_work_group_size: 1
    .uses_dynamic_stack: false
    .vgpr_count:     113
    .vgpr_spill_count: 0
    .wavefront_size: 32
    .workgroup_processor_mode: 1
  - .args:
      - .offset:         0
        .size:           4
        .value_kind:     by_value
      - .offset:         4
        .size:           4
        .value_kind:     by_value
      - .offset:         8
        .size:           4
        .value_kind:     by_value
      - .offset:         12
        .size:           4
        .value_kind:     by_value
      - .offset:         16
        .size:           4
        .value_kind:     by_value
      - .offset:         20
        .size:           4
        .value_kind:     by_value
      - .address_space:  global
        .offset:         24
        .size:           8
        .value_kind:     global_buffer
      - .actual_access:  read_only
        .address_space:  global
        .offset:         32
        .size:           8
        .value_kind:     global_buffer
      - .actual_access:  read_only
        .address_space:  global
        .offset:         40
        .size:           8
        .value_kind:     global_buffer
      - .address_space:  global
        .offset:         48
        .size:           8
        .value_kind:     global_buffer
      - .offset:         56
        .size:           4
        .value_kind:     by_value
      - .offset:         60
        .size:           4
        .value_kind:     by_value
    .group_segment_fixed_size: 65536
    .kernarg_segment_align: 8
    .kernarg_segment_size: 64
    .language:       OpenCL C
    .language_version:
      - 2
      - 0
    .max_flat_workgroup_size: 512
    .name:           _Z16wvSplitK_hf_big_I14__hip_bfloat16Li32ELi3ELi16ELi8ELi2ELi4EEviiiiiiPKT_S3_S3_PS1_ii
    .private_segment_fixed_size: 0
    .sgpr_count:     46
    .sgpr_spill_count: 0
    .symbol:         _Z16wvSplitK_hf_big_I14__hip_bfloat16Li32ELi3ELi16ELi8ELi2ELi4EEviiiiiiPKT_S3_S3_PS1_ii.kd
    .uniform_work_group_size: 1
    .uses_dynamic_stack: false
    .vgpr_count:     104
    .vgpr_spill_count: 0
    .wavefront_size: 32
    .workgroup_processor_mode: 1
  - .args:
      - .offset:         0
        .size:           4
        .value_kind:     by_value
      - .offset:         4
        .size:           4
        .value_kind:     by_value
      - .offset:         8
        .size:           4
        .value_kind:     by_value
      - .offset:         12
        .size:           4
        .value_kind:     by_value
      - .offset:         16
        .size:           4
        .value_kind:     by_value
      - .offset:         20
        .size:           4
        .value_kind:     by_value
      - .address_space:  global
        .offset:         24
        .size:           8
        .value_kind:     global_buffer
      - .actual_access:  read_only
        .address_space:  global
        .offset:         32
        .size:           8
        .value_kind:     global_buffer
      - .actual_access:  read_only
        .address_space:  global
        .offset:         40
        .size:           8
        .value_kind:     global_buffer
      - .address_space:  global
        .offset:         48
        .size:           8
        .value_kind:     global_buffer
      - .offset:         56
        .size:           4
        .value_kind:     by_value
      - .offset:         60
        .size:           4
        .value_kind:     by_value
    .group_segment_fixed_size: 65536
    .kernarg_segment_align: 8
    .kernarg_segment_size: 64
    .language:       OpenCL C
    .language_version:
      - 2
      - 0
    .max_flat_workgroup_size: 512
    .name:           _Z16wvSplitK_hf_sml_I14__hip_bfloat16Li32ELi4ELi16ELi8ELi1ELi4EEviiiiiiPKT_S3_S3_PS1_ii
    .private_segment_fixed_size: 0
    .sgpr_count:     27
    .sgpr_spill_count: 0
    .symbol:         _Z16wvSplitK_hf_sml_I14__hip_bfloat16Li32ELi4ELi16ELi8ELi1ELi4EEviiiiiiPKT_S3_S3_PS1_ii.kd
    .uniform_work_group_size: 1
    .uses_dynamic_stack: false
    .vgpr_count:     85
    .vgpr_spill_count: 0
    .wavefront_size: 32
    .workgroup_processor_mode: 1
  - .args:
      - .offset:         0
        .size:           4
        .value_kind:     by_value
      - .offset:         4
        .size:           4
        .value_kind:     by_value
      - .offset:         8
        .size:           4
        .value_kind:     by_value
      - .offset:         12
        .size:           4
        .value_kind:     by_value
      - .offset:         16
        .size:           4
        .value_kind:     by_value
      - .offset:         20
        .size:           4
        .value_kind:     by_value
      - .address_space:  global
        .offset:         24
        .size:           8
        .value_kind:     global_buffer
      - .actual_access:  read_only
        .address_space:  global
        .offset:         32
        .size:           8
        .value_kind:     global_buffer
      - .actual_access:  read_only
        .address_space:  global
        .offset:         40
        .size:           8
        .value_kind:     global_buffer
      - .address_space:  global
        .offset:         48
        .size:           8
        .value_kind:     global_buffer
      - .offset:         56
        .size:           4
        .value_kind:     by_value
      - .offset:         60
        .size:           4
        .value_kind:     by_value
    .group_segment_fixed_size: 65536
    .kernarg_segment_align: 8
    .kernarg_segment_size: 64
    .language:       OpenCL C
    .language_version:
      - 2
      - 0
    .max_flat_workgroup_size: 512
    .name:           _Z12wvSplitK_hf_I14__hip_bfloat16Li32ELi4ELi16ELi8ELi1ELi4EEviiiiiiPKT_S3_S3_PS1_ii
    .private_segment_fixed_size: 0
    .sgpr_count:     37
    .sgpr_spill_count: 0
    .symbol:         _Z12wvSplitK_hf_I14__hip_bfloat16Li32ELi4ELi16ELi8ELi1ELi4EEviiiiiiPKT_S3_S3_PS1_ii.kd
    .uniform_work_group_size: 1
    .uses_dynamic_stack: false
    .vgpr_count:     95
    .vgpr_spill_count: 0
    .wavefront_size: 32
    .workgroup_processor_mode: 1
  - .args:
      - .offset:         0
        .size:           4
        .value_kind:     by_value
      - .offset:         4
        .size:           4
        .value_kind:     by_value
      - .offset:         8
        .size:           4
        .value_kind:     by_value
      - .offset:         12
        .size:           4
        .value_kind:     by_value
      - .offset:         16
        .size:           4
        .value_kind:     by_value
      - .offset:         20
        .size:           4
        .value_kind:     by_value
      - .address_space:  global
        .offset:         24
        .size:           8
        .value_kind:     global_buffer
      - .actual_access:  read_only
        .address_space:  global
        .offset:         32
        .size:           8
        .value_kind:     global_buffer
      - .actual_access:  read_only
        .address_space:  global
        .offset:         40
        .size:           8
        .value_kind:     global_buffer
      - .address_space:  global
        .offset:         48
        .size:           8
        .value_kind:     global_buffer
      - .offset:         56
        .size:           4
        .value_kind:     by_value
      - .offset:         60
        .size:           4
        .value_kind:     by_value
    .group_segment_fixed_size: 65536
    .kernarg_segment_align: 8
    .kernarg_segment_size: 64
    .language:       OpenCL C
    .language_version:
      - 2
      - 0
    .max_flat_workgroup_size: 512
    .name:           _Z16wvSplitK_hf_big_I14__hip_bfloat16Li32ELi4ELi16ELi8ELi1ELi4EEviiiiiiPKT_S3_S3_PS1_ii
    .private_segment_fixed_size: 0
    .sgpr_count:     46
    .sgpr_spill_count: 0
    .symbol:         _Z16wvSplitK_hf_big_I14__hip_bfloat16Li32ELi4ELi16ELi8ELi1ELi4EEviiiiiiPKT_S3_S3_PS1_ii.kd
    .uniform_work_group_size: 1
    .uses_dynamic_stack: false
    .vgpr_count:     92
    .vgpr_spill_count: 0
    .wavefront_size: 32
    .workgroup_processor_mode: 1
  - .args:
      - .offset:         0
        .size:           4
        .value_kind:     by_value
      - .offset:         4
        .size:           4
        .value_kind:     by_value
      - .offset:         8
        .size:           4
        .value_kind:     by_value
      - .offset:         12
        .size:           4
        .value_kind:     by_value
      - .offset:         16
        .size:           4
        .value_kind:     by_value
      - .offset:         20
        .size:           4
        .value_kind:     by_value
      - .address_space:  global
        .offset:         24
        .size:           8
        .value_kind:     global_buffer
      - .actual_access:  read_only
        .address_space:  global
        .offset:         32
        .size:           8
        .value_kind:     global_buffer
      - .actual_access:  read_only
        .address_space:  global
        .offset:         40
        .size:           8
        .value_kind:     global_buffer
      - .address_space:  global
        .offset:         48
        .size:           8
        .value_kind:     global_buffer
      - .offset:         56
        .size:           4
        .value_kind:     by_value
      - .offset:         60
        .size:           4
        .value_kind:     by_value
    .group_segment_fixed_size: 65536
    .kernarg_segment_align: 8
    .kernarg_segment_size: 64
    .language:       OpenCL C
    .language_version:
      - 2
      - 0
    .max_flat_workgroup_size: 512
    .name:           _Z16wvSplitK_hf_sml_I14__hip_bfloat16Li32ELi4ELi16ELi8ELi2ELi4EEviiiiiiPKT_S3_S3_PS1_ii
    .private_segment_fixed_size: 0
    .sgpr_count:     28
    .sgpr_spill_count: 0
    .symbol:         _Z16wvSplitK_hf_sml_I14__hip_bfloat16Li32ELi4ELi16ELi8ELi2ELi4EEviiiiiiPKT_S3_S3_PS1_ii.kd
    .uniform_work_group_size: 1
    .uses_dynamic_stack: false
    .vgpr_count:     115
    .vgpr_spill_count: 0
    .wavefront_size: 32
    .workgroup_processor_mode: 1
  - .args:
      - .offset:         0
        .size:           4
        .value_kind:     by_value
      - .offset:         4
        .size:           4
        .value_kind:     by_value
      - .offset:         8
        .size:           4
        .value_kind:     by_value
      - .offset:         12
        .size:           4
        .value_kind:     by_value
      - .offset:         16
        .size:           4
        .value_kind:     by_value
      - .offset:         20
        .size:           4
        .value_kind:     by_value
      - .address_space:  global
        .offset:         24
        .size:           8
        .value_kind:     global_buffer
      - .actual_access:  read_only
        .address_space:  global
        .offset:         32
        .size:           8
        .value_kind:     global_buffer
      - .actual_access:  read_only
        .address_space:  global
        .offset:         40
        .size:           8
        .value_kind:     global_buffer
      - .address_space:  global
        .offset:         48
        .size:           8
        .value_kind:     global_buffer
      - .offset:         56
        .size:           4
        .value_kind:     by_value
      - .offset:         60
        .size:           4
        .value_kind:     by_value
    .group_segment_fixed_size: 65536
    .kernarg_segment_align: 8
    .kernarg_segment_size: 64
    .language:       OpenCL C
    .language_version:
      - 2
      - 0
    .max_flat_workgroup_size: 512
    .name:           _Z12wvSplitK_hf_I14__hip_bfloat16Li32ELi4ELi16ELi8ELi2ELi4EEviiiiiiPKT_S3_S3_PS1_ii
    .private_segment_fixed_size: 0
    .sgpr_count:     37
    .sgpr_spill_count: 0
    .symbol:         _Z12wvSplitK_hf_I14__hip_bfloat16Li32ELi4ELi16ELi8ELi2ELi4EEviiiiiiPKT_S3_S3_PS1_ii.kd
    .uniform_work_group_size: 1
    .uses_dynamic_stack: false
    .vgpr_count:     138
    .vgpr_spill_count: 0
    .wavefront_size: 32
    .workgroup_processor_mode: 1
  - .args:
      - .offset:         0
        .size:           4
        .value_kind:     by_value
      - .offset:         4
        .size:           4
        .value_kind:     by_value
      - .offset:         8
        .size:           4
        .value_kind:     by_value
      - .offset:         12
        .size:           4
        .value_kind:     by_value
      - .offset:         16
        .size:           4
        .value_kind:     by_value
      - .offset:         20
        .size:           4
        .value_kind:     by_value
      - .address_space:  global
        .offset:         24
        .size:           8
        .value_kind:     global_buffer
      - .actual_access:  read_only
        .address_space:  global
        .offset:         32
        .size:           8
        .value_kind:     global_buffer
      - .actual_access:  read_only
        .address_space:  global
        .offset:         40
        .size:           8
        .value_kind:     global_buffer
      - .address_space:  global
        .offset:         48
        .size:           8
        .value_kind:     global_buffer
      - .offset:         56
        .size:           4
        .value_kind:     by_value
      - .offset:         60
        .size:           4
        .value_kind:     by_value
    .group_segment_fixed_size: 65536
    .kernarg_segment_align: 8
    .kernarg_segment_size: 64
    .language:       OpenCL C
    .language_version:
      - 2
      - 0
    .max_flat_workgroup_size: 512
    .name:           _Z16wvSplitK_hf_big_I14__hip_bfloat16Li32ELi4ELi16ELi8ELi2ELi4EEviiiiiiPKT_S3_S3_PS1_ii
    .private_segment_fixed_size: 0
    .sgpr_count:     46
    .sgpr_spill_count: 0
    .symbol:         _Z16wvSplitK_hf_big_I14__hip_bfloat16Li32ELi4ELi16ELi8ELi2ELi4EEviiiiiiPKT_S3_S3_PS1_ii.kd
    .uniform_work_group_size: 1
    .uses_dynamic_stack: false
    .vgpr_count:     122
    .vgpr_spill_count: 0
    .wavefront_size: 32
    .workgroup_processor_mode: 1
  - .args:
      - .offset:         0
        .size:           4
        .value_kind:     by_value
      - .offset:         4
        .size:           4
        .value_kind:     by_value
      - .offset:         8
        .size:           4
        .value_kind:     by_value
      - .offset:         12
        .size:           4
        .value_kind:     by_value
      - .offset:         16
        .size:           4
        .value_kind:     by_value
      - .offset:         20
        .size:           4
        .value_kind:     by_value
      - .address_space:  global
        .offset:         24
        .size:           8
        .value_kind:     global_buffer
      - .actual_access:  read_only
        .address_space:  global
        .offset:         32
        .size:           8
        .value_kind:     global_buffer
      - .actual_access:  read_only
        .address_space:  global
        .offset:         40
        .size:           8
        .value_kind:     global_buffer
      - .address_space:  global
        .offset:         48
        .size:           8
        .value_kind:     global_buffer
      - .offset:         56
        .size:           4
        .value_kind:     by_value
      - .offset:         60
        .size:           4
        .value_kind:     by_value
    .group_segment_fixed_size: 65536
    .kernarg_segment_align: 8
    .kernarg_segment_size: 64
    .language:       OpenCL C
    .language_version:
      - 2
      - 0
    .max_flat_workgroup_size: 1024
    .name:           _Z16wvSplitK_hf_sml_I14__hip_bfloat16Li64ELi1ELi16ELi8ELi4ELi4EEviiiiiiPKT_S3_S3_PS1_ii
    .private_segment_fixed_size: 0
    .sgpr_count:     30
    .sgpr_spill_count: 0
    .symbol:         _Z16wvSplitK_hf_sml_I14__hip_bfloat16Li64ELi1ELi16ELi8ELi4ELi4EEviiiiiiPKT_S3_S3_PS1_ii.kd
    .uniform_work_group_size: 1
    .uses_dynamic_stack: false
    .vgpr_count:     99
    .vgpr_spill_count: 0
    .wavefront_size: 32
    .workgroup_processor_mode: 1
  - .args:
      - .offset:         0
        .size:           4
        .value_kind:     by_value
      - .offset:         4
        .size:           4
        .value_kind:     by_value
      - .offset:         8
        .size:           4
        .value_kind:     by_value
      - .offset:         12
        .size:           4
        .value_kind:     by_value
      - .offset:         16
        .size:           4
        .value_kind:     by_value
      - .offset:         20
        .size:           4
        .value_kind:     by_value
      - .address_space:  global
        .offset:         24
        .size:           8
        .value_kind:     global_buffer
      - .actual_access:  read_only
        .address_space:  global
        .offset:         32
        .size:           8
        .value_kind:     global_buffer
      - .actual_access:  read_only
        .address_space:  global
        .offset:         40
        .size:           8
        .value_kind:     global_buffer
      - .address_space:  global
        .offset:         48
        .size:           8
        .value_kind:     global_buffer
      - .offset:         56
        .size:           4
        .value_kind:     by_value
      - .offset:         60
        .size:           4
        .value_kind:     by_value
    .group_segment_fixed_size: 65536
    .kernarg_segment_align: 8
    .kernarg_segment_size: 64
    .language:       OpenCL C
    .language_version:
      - 2
      - 0
    .max_flat_workgroup_size: 1024
    .name:           _Z12wvSplitK_hf_I14__hip_bfloat16Li64ELi1ELi16ELi8ELi4ELi4EEviiiiiiPKT_S3_S3_PS1_ii
    .private_segment_fixed_size: 0
    .sgpr_count:     34
    .sgpr_spill_count: 0
    .symbol:         _Z12wvSplitK_hf_I14__hip_bfloat16Li64ELi1ELi16ELi8ELi4ELi4EEviiiiiiPKT_S3_S3_PS1_ii.kd
    .uniform_work_group_size: 1
    .uses_dynamic_stack: false
    .vgpr_count:     107
    .vgpr_spill_count: 0
    .wavefront_size: 32
    .workgroup_processor_mode: 1
  - .args:
      - .offset:         0
        .size:           4
        .value_kind:     by_value
      - .offset:         4
        .size:           4
        .value_kind:     by_value
      - .offset:         8
        .size:           4
        .value_kind:     by_value
      - .offset:         12
        .size:           4
        .value_kind:     by_value
      - .offset:         16
        .size:           4
        .value_kind:     by_value
      - .offset:         20
        .size:           4
        .value_kind:     by_value
      - .address_space:  global
        .offset:         24
        .size:           8
        .value_kind:     global_buffer
      - .actual_access:  read_only
        .address_space:  global
        .offset:         32
        .size:           8
        .value_kind:     global_buffer
      - .actual_access:  read_only
        .address_space:  global
        .offset:         40
        .size:           8
        .value_kind:     global_buffer
      - .address_space:  global
        .offset:         48
        .size:           8
        .value_kind:     global_buffer
      - .offset:         56
        .size:           4
        .value_kind:     by_value
      - .offset:         60
        .size:           4
        .value_kind:     by_value
    .group_segment_fixed_size: 65536
    .kernarg_segment_align: 8
    .kernarg_segment_size: 64
    .language:       OpenCL C
    .language_version:
      - 2
      - 0
    .max_flat_workgroup_size: 1024
    .name:           _Z16wvSplitK_hf_big_I14__hip_bfloat16Li64ELi1ELi16ELi8ELi4ELi4EEviiiiiiPKT_S3_S3_PS1_ii
    .private_segment_fixed_size: 0
    .sgpr_count:     43
    .sgpr_spill_count: 0
    .symbol:         _Z16wvSplitK_hf_big_I14__hip_bfloat16Li64ELi1ELi16ELi8ELi4ELi4EEviiiiiiPKT_S3_S3_PS1_ii.kd
    .uniform_work_group_size: 1
    .uses_dynamic_stack: false
    .vgpr_count:     103
    .vgpr_spill_count: 0
    .wavefront_size: 32
    .workgroup_processor_mode: 1
  - .args:
      - .offset:         0
        .size:           4
        .value_kind:     by_value
      - .offset:         4
        .size:           4
        .value_kind:     by_value
      - .offset:         8
        .size:           4
        .value_kind:     by_value
      - .offset:         12
        .size:           4
        .value_kind:     by_value
      - .offset:         16
        .size:           4
        .value_kind:     by_value
      - .offset:         20
        .size:           4
        .value_kind:     by_value
      - .address_space:  global
        .offset:         24
        .size:           8
        .value_kind:     global_buffer
      - .actual_access:  read_only
        .address_space:  global
        .offset:         32
        .size:           8
        .value_kind:     global_buffer
      - .actual_access:  read_only
        .address_space:  global
        .offset:         40
        .size:           8
        .value_kind:     global_buffer
      - .address_space:  global
        .offset:         48
        .size:           8
        .value_kind:     global_buffer
      - .offset:         56
        .size:           4
        .value_kind:     by_value
      - .offset:         60
        .size:           4
        .value_kind:     by_value
    .group_segment_fixed_size: 65536
    .kernarg_segment_align: 8
    .kernarg_segment_size: 64
    .language:       OpenCL C
    .language_version:
      - 2
      - 0
    .max_flat_workgroup_size: 1024
    .name:           _Z16wvSplitK_hf_sml_I14__hip_bfloat16Li64ELi2ELi16ELi8ELi2ELi4EEviiiiiiPKT_S3_S3_PS1_ii
    .private_segment_fixed_size: 0
    .sgpr_count:     28
    .sgpr_spill_count: 0
    .symbol:         _Z16wvSplitK_hf_sml_I14__hip_bfloat16Li64ELi2ELi16ELi8ELi2ELi4EEviiiiiiPKT_S3_S3_PS1_ii.kd
    .uniform_work_group_size: 1
    .uses_dynamic_stack: false
    .vgpr_count:     79
    .vgpr_spill_count: 0
    .wavefront_size: 32
    .workgroup_processor_mode: 1
  - .args:
      - .offset:         0
        .size:           4
        .value_kind:     by_value
      - .offset:         4
        .size:           4
        .value_kind:     by_value
      - .offset:         8
        .size:           4
        .value_kind:     by_value
      - .offset:         12
        .size:           4
        .value_kind:     by_value
      - .offset:         16
        .size:           4
        .value_kind:     by_value
      - .offset:         20
        .size:           4
        .value_kind:     by_value
      - .address_space:  global
        .offset:         24
        .size:           8
        .value_kind:     global_buffer
      - .actual_access:  read_only
        .address_space:  global
        .offset:         32
        .size:           8
        .value_kind:     global_buffer
      - .actual_access:  read_only
        .address_space:  global
        .offset:         40
        .size:           8
        .value_kind:     global_buffer
      - .address_space:  global
        .offset:         48
        .size:           8
        .value_kind:     global_buffer
      - .offset:         56
        .size:           4
        .value_kind:     by_value
      - .offset:         60
        .size:           4
        .value_kind:     by_value
    .group_segment_fixed_size: 65536
    .kernarg_segment_align: 8
    .kernarg_segment_size: 64
    .language:       OpenCL C
    .language_version:
      - 2
      - 0
    .max_flat_workgroup_size: 1024
    .name:           _Z12wvSplitK_hf_I14__hip_bfloat16Li64ELi2ELi16ELi8ELi2ELi4EEviiiiiiPKT_S3_S3_PS1_ii
    .private_segment_fixed_size: 0
    .sgpr_count:     36
    .sgpr_spill_count: 0
    .symbol:         _Z12wvSplitK_hf_I14__hip_bfloat16Li64ELi2ELi16ELi8ELi2ELi4EEviiiiiiPKT_S3_S3_PS1_ii.kd
    .uniform_work_group_size: 1
    .uses_dynamic_stack: false
    .vgpr_count:     89
    .vgpr_spill_count: 0
    .wavefront_size: 32
    .workgroup_processor_mode: 1
  - .args:
      - .offset:         0
        .size:           4
        .value_kind:     by_value
      - .offset:         4
        .size:           4
        .value_kind:     by_value
      - .offset:         8
        .size:           4
        .value_kind:     by_value
      - .offset:         12
        .size:           4
        .value_kind:     by_value
      - .offset:         16
        .size:           4
        .value_kind:     by_value
      - .offset:         20
        .size:           4
        .value_kind:     by_value
      - .address_space:  global
        .offset:         24
        .size:           8
        .value_kind:     global_buffer
      - .actual_access:  read_only
        .address_space:  global
        .offset:         32
        .size:           8
        .value_kind:     global_buffer
      - .actual_access:  read_only
        .address_space:  global
        .offset:         40
        .size:           8
        .value_kind:     global_buffer
      - .address_space:  global
        .offset:         48
        .size:           8
        .value_kind:     global_buffer
      - .offset:         56
        .size:           4
        .value_kind:     by_value
      - .offset:         60
        .size:           4
        .value_kind:     by_value
    .group_segment_fixed_size: 65536
    .kernarg_segment_align: 8
    .kernarg_segment_size: 64
    .language:       OpenCL C
    .language_version:
      - 2
      - 0
    .max_flat_workgroup_size: 1024
    .name:           _Z16wvSplitK_hf_big_I14__hip_bfloat16Li64ELi2ELi16ELi8ELi2ELi4EEviiiiiiPKT_S3_S3_PS1_ii
    .private_segment_fixed_size: 0
    .sgpr_count:     45
    .sgpr_spill_count: 0
    .symbol:         _Z16wvSplitK_hf_big_I14__hip_bfloat16Li64ELi2ELi16ELi8ELi2ELi4EEviiiiiiPKT_S3_S3_PS1_ii.kd
    .uniform_work_group_size: 1
    .uses_dynamic_stack: false
    .vgpr_count:     84
    .vgpr_spill_count: 0
    .wavefront_size: 32
    .workgroup_processor_mode: 1
  - .args:
      - .offset:         0
        .size:           4
        .value_kind:     by_value
      - .offset:         4
        .size:           4
        .value_kind:     by_value
      - .offset:         8
        .size:           4
        .value_kind:     by_value
      - .offset:         12
        .size:           4
        .value_kind:     by_value
      - .offset:         16
        .size:           4
        .value_kind:     by_value
      - .offset:         20
        .size:           4
        .value_kind:     by_value
      - .address_space:  global
        .offset:         24
        .size:           8
        .value_kind:     global_buffer
      - .actual_access:  read_only
        .address_space:  global
        .offset:         32
        .size:           8
        .value_kind:     global_buffer
      - .actual_access:  read_only
        .address_space:  global
        .offset:         40
        .size:           8
        .value_kind:     global_buffer
      - .address_space:  global
        .offset:         48
        .size:           8
        .value_kind:     global_buffer
      - .offset:         56
        .size:           4
        .value_kind:     by_value
      - .offset:         60
        .size:           4
        .value_kind:     by_value
    .group_segment_fixed_size: 65536
    .kernarg_segment_align: 8
    .kernarg_segment_size: 64
    .language:       OpenCL C
    .language_version:
      - 2
      - 0
    .max_flat_workgroup_size: 1024
    .name:           _Z16wvSplitK_hf_sml_I14__hip_bfloat16Li64ELi3ELi16ELi8ELi2ELi4EEviiiiiiPKT_S3_S3_PS1_ii
    .private_segment_fixed_size: 0
    .sgpr_count:     28
    .sgpr_spill_count: 0
    .symbol:         _Z16wvSplitK_hf_sml_I14__hip_bfloat16Li64ELi3ELi16ELi8ELi2ELi4EEviiiiiiPKT_S3_S3_PS1_ii.kd
    .uniform_work_group_size: 1
    .uses_dynamic_stack: false
    .vgpr_count:     99
    .vgpr_spill_count: 0
    .wavefront_size: 32
    .workgroup_processor_mode: 1
  - .args:
      - .offset:         0
        .size:           4
        .value_kind:     by_value
      - .offset:         4
        .size:           4
        .value_kind:     by_value
      - .offset:         8
        .size:           4
        .value_kind:     by_value
      - .offset:         12
        .size:           4
        .value_kind:     by_value
      - .offset:         16
        .size:           4
        .value_kind:     by_value
      - .offset:         20
        .size:           4
        .value_kind:     by_value
      - .address_space:  global
        .offset:         24
        .size:           8
        .value_kind:     global_buffer
      - .actual_access:  read_only
        .address_space:  global
        .offset:         32
        .size:           8
        .value_kind:     global_buffer
      - .actual_access:  read_only
        .address_space:  global
        .offset:         40
        .size:           8
        .value_kind:     global_buffer
      - .address_space:  global
        .offset:         48
        .size:           8
        .value_kind:     global_buffer
      - .offset:         56
        .size:           4
        .value_kind:     by_value
      - .offset:         60
        .size:           4
        .value_kind:     by_value
    .group_segment_fixed_size: 65536
    .kernarg_segment_align: 8
    .kernarg_segment_size: 64
    .language:       OpenCL C
    .language_version:
      - 2
      - 0
    .max_flat_workgroup_size: 1024
    .name:           _Z12wvSplitK_hf_I14__hip_bfloat16Li64ELi3ELi16ELi8ELi2ELi4EEviiiiiiPKT_S3_S3_PS1_ii
    .private_segment_fixed_size: 0
    .sgpr_count:     37
    .sgpr_spill_count: 0
    .symbol:         _Z12wvSplitK_hf_I14__hip_bfloat16Li64ELi3ELi16ELi8ELi2ELi4EEviiiiiiPKT_S3_S3_PS1_ii.kd
    .uniform_work_group_size: 1
    .uses_dynamic_stack: false
    .vgpr_count:     114
    .vgpr_spill_count: 0
    .wavefront_size: 32
    .workgroup_processor_mode: 1
  - .args:
      - .offset:         0
        .size:           4
        .value_kind:     by_value
      - .offset:         4
        .size:           4
        .value_kind:     by_value
      - .offset:         8
        .size:           4
        .value_kind:     by_value
      - .offset:         12
        .size:           4
        .value_kind:     by_value
      - .offset:         16
        .size:           4
        .value_kind:     by_value
      - .offset:         20
        .size:           4
        .value_kind:     by_value
      - .address_space:  global
        .offset:         24
        .size:           8
        .value_kind:     global_buffer
      - .actual_access:  read_only
        .address_space:  global
        .offset:         32
        .size:           8
        .value_kind:     global_buffer
      - .actual_access:  read_only
        .address_space:  global
        .offset:         40
        .size:           8
        .value_kind:     global_buffer
      - .address_space:  global
        .offset:         48
        .size:           8
        .value_kind:     global_buffer
      - .offset:         56
        .size:           4
        .value_kind:     by_value
      - .offset:         60
        .size:           4
        .value_kind:     by_value
    .group_segment_fixed_size: 65536
    .kernarg_segment_align: 8
    .kernarg_segment_size: 64
    .language:       OpenCL C
    .language_version:
      - 2
      - 0
    .max_flat_workgroup_size: 1024
    .name:           _Z16wvSplitK_hf_big_I14__hip_bfloat16Li64ELi3ELi16ELi8ELi2ELi4EEviiiiiiPKT_S3_S3_PS1_ii
    .private_segment_fixed_size: 0
    .sgpr_count:     46
    .sgpr_spill_count: 0
    .symbol:         _Z16wvSplitK_hf_big_I14__hip_bfloat16Li64ELi3ELi16ELi8ELi2ELi4EEviiiiiiPKT_S3_S3_PS1_ii.kd
    .uniform_work_group_size: 1
    .uses_dynamic_stack: false
    .vgpr_count:     104
    .vgpr_spill_count: 0
    .wavefront_size: 32
    .workgroup_processor_mode: 1
  - .args:
      - .offset:         0
        .size:           4
        .value_kind:     by_value
      - .offset:         4
        .size:           4
        .value_kind:     by_value
      - .offset:         8
        .size:           4
        .value_kind:     by_value
      - .offset:         12
        .size:           4
        .value_kind:     by_value
      - .offset:         16
        .size:           4
        .value_kind:     by_value
      - .offset:         20
        .size:           4
        .value_kind:     by_value
      - .address_space:  global
        .offset:         24
        .size:           8
        .value_kind:     global_buffer
      - .actual_access:  read_only
        .address_space:  global
        .offset:         32
        .size:           8
        .value_kind:     global_buffer
      - .actual_access:  read_only
        .address_space:  global
        .offset:         40
        .size:           8
        .value_kind:     global_buffer
      - .address_space:  global
        .offset:         48
        .size:           8
        .value_kind:     global_buffer
      - .offset:         56
        .size:           4
        .value_kind:     by_value
      - .offset:         60
        .size:           4
        .value_kind:     by_value
    .group_segment_fixed_size: 65536
    .kernarg_segment_align: 8
    .kernarg_segment_size: 64
    .language:       OpenCL C
    .language_version:
      - 2
      - 0
    .max_flat_workgroup_size: 1024
    .name:           _Z16wvSplitK_hf_sml_I14__hip_bfloat16Li64ELi4ELi16ELi8ELi1ELi4EEviiiiiiPKT_S3_S3_PS1_ii
    .private_segment_fixed_size: 0
    .sgpr_count:     28
    .sgpr_spill_count: 0
    .symbol:         _Z16wvSplitK_hf_sml_I14__hip_bfloat16Li64ELi4ELi16ELi8ELi1ELi4EEviiiiiiPKT_S3_S3_PS1_ii.kd
    .uniform_work_group_size: 1
    .uses_dynamic_stack: false
    .vgpr_count:     85
    .vgpr_spill_count: 0
    .wavefront_size: 32
    .workgroup_processor_mode: 1
  - .args:
      - .offset:         0
        .size:           4
        .value_kind:     by_value
      - .offset:         4
        .size:           4
        .value_kind:     by_value
      - .offset:         8
        .size:           4
        .value_kind:     by_value
      - .offset:         12
        .size:           4
        .value_kind:     by_value
      - .offset:         16
        .size:           4
        .value_kind:     by_value
      - .offset:         20
        .size:           4
        .value_kind:     by_value
      - .address_space:  global
        .offset:         24
        .size:           8
        .value_kind:     global_buffer
      - .actual_access:  read_only
        .address_space:  global
        .offset:         32
        .size:           8
        .value_kind:     global_buffer
      - .actual_access:  read_only
        .address_space:  global
        .offset:         40
        .size:           8
        .value_kind:     global_buffer
      - .address_space:  global
        .offset:         48
        .size:           8
        .value_kind:     global_buffer
      - .offset:         56
        .size:           4
        .value_kind:     by_value
      - .offset:         60
        .size:           4
        .value_kind:     by_value
    .group_segment_fixed_size: 65536
    .kernarg_segment_align: 8
    .kernarg_segment_size: 64
    .language:       OpenCL C
    .language_version:
      - 2
      - 0
    .max_flat_workgroup_size: 1024
    .name:           _Z12wvSplitK_hf_I14__hip_bfloat16Li64ELi4ELi16ELi8ELi1ELi4EEviiiiiiPKT_S3_S3_PS1_ii
    .private_segment_fixed_size: 0
    .sgpr_count:     37
    .sgpr_spill_count: 0
    .symbol:         _Z12wvSplitK_hf_I14__hip_bfloat16Li64ELi4ELi16ELi8ELi1ELi4EEviiiiiiPKT_S3_S3_PS1_ii.kd
    .uniform_work_group_size: 1
    .uses_dynamic_stack: false
    .vgpr_count:     95
    .vgpr_spill_count: 0
    .wavefront_size: 32
    .workgroup_processor_mode: 1
  - .args:
      - .offset:         0
        .size:           4
        .value_kind:     by_value
      - .offset:         4
        .size:           4
        .value_kind:     by_value
      - .offset:         8
        .size:           4
        .value_kind:     by_value
      - .offset:         12
        .size:           4
        .value_kind:     by_value
      - .offset:         16
        .size:           4
        .value_kind:     by_value
      - .offset:         20
        .size:           4
        .value_kind:     by_value
      - .address_space:  global
        .offset:         24
        .size:           8
        .value_kind:     global_buffer
      - .actual_access:  read_only
        .address_space:  global
        .offset:         32
        .size:           8
        .value_kind:     global_buffer
      - .actual_access:  read_only
        .address_space:  global
        .offset:         40
        .size:           8
        .value_kind:     global_buffer
      - .address_space:  global
        .offset:         48
        .size:           8
        .value_kind:     global_buffer
      - .offset:         56
        .size:           4
        .value_kind:     by_value
      - .offset:         60
        .size:           4
        .value_kind:     by_value
    .group_segment_fixed_size: 65536
    .kernarg_segment_align: 8
    .kernarg_segment_size: 64
    .language:       OpenCL C
    .language_version:
      - 2
      - 0
    .max_flat_workgroup_size: 1024
    .name:           _Z16wvSplitK_hf_big_I14__hip_bfloat16Li64ELi4ELi16ELi8ELi1ELi4EEviiiiiiPKT_S3_S3_PS1_ii
    .private_segment_fixed_size: 0
    .sgpr_count:     46
    .sgpr_spill_count: 0
    .symbol:         _Z16wvSplitK_hf_big_I14__hip_bfloat16Li64ELi4ELi16ELi8ELi1ELi4EEviiiiiiPKT_S3_S3_PS1_ii.kd
    .uniform_work_group_size: 1
    .uses_dynamic_stack: false
    .vgpr_count:     92
    .vgpr_spill_count: 0
    .wavefront_size: 32
    .workgroup_processor_mode: 1
  - .args:
      - .offset:         0
        .size:           4
        .value_kind:     by_value
      - .offset:         4
        .size:           4
        .value_kind:     by_value
      - .offset:         8
        .size:           4
        .value_kind:     by_value
      - .offset:         12
        .size:           4
        .value_kind:     by_value
      - .offset:         16
        .size:           4
        .value_kind:     by_value
      - .offset:         20
        .size:           4
        .value_kind:     by_value
      - .address_space:  global
        .offset:         24
        .size:           8
        .value_kind:     global_buffer
      - .actual_access:  read_only
        .address_space:  global
        .offset:         32
        .size:           8
        .value_kind:     global_buffer
      - .actual_access:  read_only
        .address_space:  global
        .offset:         40
        .size:           8
        .value_kind:     global_buffer
      - .address_space:  global
        .offset:         48
        .size:           8
        .value_kind:     global_buffer
      - .offset:         56
        .size:           4
        .value_kind:     by_value
      - .offset:         60
        .size:           4
        .value_kind:     by_value
    .group_segment_fixed_size: 65536
    .kernarg_segment_align: 8
    .kernarg_segment_size: 64
    .language:       OpenCL C
    .language_version:
      - 2
      - 0
    .max_flat_workgroup_size: 1024
    .name:           _Z16wvSplitK_hf_sml_I14__hip_bfloat16Li64ELi4ELi16ELi8ELi2ELi4EEviiiiiiPKT_S3_S3_PS1_ii
    .private_segment_fixed_size: 0
    .sgpr_count:     28
    .sgpr_spill_count: 0
    .symbol:         _Z16wvSplitK_hf_sml_I14__hip_bfloat16Li64ELi4ELi16ELi8ELi2ELi4EEviiiiiiPKT_S3_S3_PS1_ii.kd
    .uniform_work_group_size: 1
    .uses_dynamic_stack: false
    .vgpr_count:     116
    .vgpr_spill_count: 0
    .wavefront_size: 32
    .workgroup_processor_mode: 1
  - .args:
      - .offset:         0
        .size:           4
        .value_kind:     by_value
      - .offset:         4
        .size:           4
        .value_kind:     by_value
      - .offset:         8
        .size:           4
        .value_kind:     by_value
      - .offset:         12
        .size:           4
        .value_kind:     by_value
      - .offset:         16
        .size:           4
        .value_kind:     by_value
      - .offset:         20
        .size:           4
        .value_kind:     by_value
      - .address_space:  global
        .offset:         24
        .size:           8
        .value_kind:     global_buffer
      - .actual_access:  read_only
        .address_space:  global
        .offset:         32
        .size:           8
        .value_kind:     global_buffer
      - .actual_access:  read_only
        .address_space:  global
        .offset:         40
        .size:           8
        .value_kind:     global_buffer
      - .address_space:  global
        .offset:         48
        .size:           8
        .value_kind:     global_buffer
      - .offset:         56
        .size:           4
        .value_kind:     by_value
      - .offset:         60
        .size:           4
        .value_kind:     by_value
    .group_segment_fixed_size: 65536
    .kernarg_segment_align: 8
    .kernarg_segment_size: 64
    .language:       OpenCL C
    .language_version:
      - 2
      - 0
    .max_flat_workgroup_size: 1024
    .name:           _Z12wvSplitK_hf_I14__hip_bfloat16Li64ELi4ELi16ELi8ELi2ELi4EEviiiiiiPKT_S3_S3_PS1_ii
    .private_segment_fixed_size: 0
    .sgpr_count:     37
    .sgpr_spill_count: 0
    .symbol:         _Z12wvSplitK_hf_I14__hip_bfloat16Li64ELi4ELi16ELi8ELi2ELi4EEviiiiiiPKT_S3_S3_PS1_ii.kd
    .uniform_work_group_size: 1
    .uses_dynamic_stack: false
    .vgpr_count:     138
    .vgpr_spill_count: 0
    .wavefront_size: 32
    .workgroup_processor_mode: 1
  - .args:
      - .offset:         0
        .size:           4
        .value_kind:     by_value
      - .offset:         4
        .size:           4
        .value_kind:     by_value
      - .offset:         8
        .size:           4
        .value_kind:     by_value
      - .offset:         12
        .size:           4
        .value_kind:     by_value
      - .offset:         16
        .size:           4
        .value_kind:     by_value
      - .offset:         20
        .size:           4
        .value_kind:     by_value
      - .address_space:  global
        .offset:         24
        .size:           8
        .value_kind:     global_buffer
      - .actual_access:  read_only
        .address_space:  global
        .offset:         32
        .size:           8
        .value_kind:     global_buffer
      - .actual_access:  read_only
        .address_space:  global
        .offset:         40
        .size:           8
        .value_kind:     global_buffer
      - .address_space:  global
        .offset:         48
        .size:           8
        .value_kind:     global_buffer
      - .offset:         56
        .size:           4
        .value_kind:     by_value
      - .offset:         60
        .size:           4
        .value_kind:     by_value
    .group_segment_fixed_size: 65536
    .kernarg_segment_align: 8
    .kernarg_segment_size: 64
    .language:       OpenCL C
    .language_version:
      - 2
      - 0
    .max_flat_workgroup_size: 1024
    .name:           _Z16wvSplitK_hf_big_I14__hip_bfloat16Li64ELi4ELi16ELi8ELi2ELi4EEviiiiiiPKT_S3_S3_PS1_ii
    .private_segment_fixed_size: 0
    .sgpr_count:     46
    .sgpr_spill_count: 0
    .symbol:         _Z16wvSplitK_hf_big_I14__hip_bfloat16Li64ELi4ELi16ELi8ELi2ELi4EEviiiiiiPKT_S3_S3_PS1_ii.kd
    .uniform_work_group_size: 1
    .uses_dynamic_stack: false
    .vgpr_count:     122
    .vgpr_spill_count: 0
    .wavefront_size: 32
    .workgroup_processor_mode: 1
  - .args:
      - .offset:         0
        .size:           4
        .value_kind:     by_value
      - .offset:         4
        .size:           4
        .value_kind:     by_value
      - .offset:         8
        .size:           4
        .value_kind:     by_value
      - .offset:         12
        .size:           4
        .value_kind:     by_value
      - .offset:         16
        .size:           4
        .value_kind:     by_value
      - .offset:         20
        .size:           4
        .value_kind:     by_value
      - .address_space:  global
        .offset:         24
        .size:           8
        .value_kind:     global_buffer
      - .actual_access:  read_only
        .address_space:  global
        .offset:         32
        .size:           8
        .value_kind:     global_buffer
      - .actual_access:  read_only
        .address_space:  global
        .offset:         40
        .size:           8
        .value_kind:     global_buffer
      - .address_space:  global
        .offset:         48
        .size:           8
        .value_kind:     global_buffer
      - .offset:         56
        .size:           4
        .value_kind:     by_value
      - .offset:         60
        .size:           4
        .value_kind:     by_value
    .group_segment_fixed_size: 65536
    .kernarg_segment_align: 8
    .kernarg_segment_size: 64
    .language:       OpenCL C
    .language_version:
      - 2
      - 0
    .max_flat_workgroup_size: 512
    .name:           _Z16wvSplitK_hf_sml_I14__hip_bfloat16Li32ELi1ELi16ELi8ELi4ELi5EEviiiiiiPKT_S3_S3_PS1_ii
    .private_segment_fixed_size: 0
    .sgpr_count:     32
    .sgpr_spill_count: 0
    .symbol:         _Z16wvSplitK_hf_sml_I14__hip_bfloat16Li32ELi1ELi16ELi8ELi4ELi5EEviiiiiiPKT_S3_S3_PS1_ii.kd
    .uniform_work_group_size: 1
    .uses_dynamic_stack: false
    .vgpr_count:     117
    .vgpr_spill_count: 0
    .wavefront_size: 32
    .workgroup_processor_mode: 1
  - .args:
      - .offset:         0
        .size:           4
        .value_kind:     by_value
      - .offset:         4
        .size:           4
        .value_kind:     by_value
      - .offset:         8
        .size:           4
        .value_kind:     by_value
      - .offset:         12
        .size:           4
        .value_kind:     by_value
      - .offset:         16
        .size:           4
        .value_kind:     by_value
      - .offset:         20
        .size:           4
        .value_kind:     by_value
      - .address_space:  global
        .offset:         24
        .size:           8
        .value_kind:     global_buffer
      - .actual_access:  read_only
        .address_space:  global
        .offset:         32
        .size:           8
        .value_kind:     global_buffer
      - .actual_access:  read_only
        .address_space:  global
        .offset:         40
        .size:           8
        .value_kind:     global_buffer
      - .address_space:  global
        .offset:         48
        .size:           8
        .value_kind:     global_buffer
      - .offset:         56
        .size:           4
        .value_kind:     by_value
      - .offset:         60
        .size:           4
        .value_kind:     by_value
    .group_segment_fixed_size: 65536
    .kernarg_segment_align: 8
    .kernarg_segment_size: 64
    .language:       OpenCL C
    .language_version:
      - 2
      - 0
    .max_flat_workgroup_size: 512
    .name:           _Z12wvSplitK_hf_I14__hip_bfloat16Li32ELi1ELi16ELi8ELi4ELi5EEviiiiiiPKT_S3_S3_PS1_ii
    .private_segment_fixed_size: 0
    .sgpr_count:     37
    .sgpr_spill_count: 0
    .symbol:         _Z12wvSplitK_hf_I14__hip_bfloat16Li32ELi1ELi16ELi8ELi4ELi5EEviiiiiiPKT_S3_S3_PS1_ii.kd
    .uniform_work_group_size: 1
    .uses_dynamic_stack: false
    .vgpr_count:     127
    .vgpr_spill_count: 0
    .wavefront_size: 32
    .workgroup_processor_mode: 1
  - .args:
      - .offset:         0
        .size:           4
        .value_kind:     by_value
      - .offset:         4
        .size:           4
        .value_kind:     by_value
      - .offset:         8
        .size:           4
        .value_kind:     by_value
      - .offset:         12
        .size:           4
        .value_kind:     by_value
      - .offset:         16
        .size:           4
        .value_kind:     by_value
      - .offset:         20
        .size:           4
        .value_kind:     by_value
      - .address_space:  global
        .offset:         24
        .size:           8
        .value_kind:     global_buffer
      - .actual_access:  read_only
        .address_space:  global
        .offset:         32
        .size:           8
        .value_kind:     global_buffer
      - .actual_access:  read_only
        .address_space:  global
        .offset:         40
        .size:           8
        .value_kind:     global_buffer
      - .address_space:  global
        .offset:         48
        .size:           8
        .value_kind:     global_buffer
      - .offset:         56
        .size:           4
        .value_kind:     by_value
      - .offset:         60
        .size:           4
        .value_kind:     by_value
    .group_segment_fixed_size: 65536
    .kernarg_segment_align: 8
    .kernarg_segment_size: 64
    .language:       OpenCL C
    .language_version:
      - 2
      - 0
    .max_flat_workgroup_size: 512
    .name:           _Z16wvSplitK_hf_big_I14__hip_bfloat16Li32ELi1ELi16ELi8ELi4ELi5EEviiiiiiPKT_S3_S3_PS1_ii
    .private_segment_fixed_size: 0
    .sgpr_count:     45
    .sgpr_spill_count: 0
    .symbol:         _Z16wvSplitK_hf_big_I14__hip_bfloat16Li32ELi1ELi16ELi8ELi4ELi5EEviiiiiiPKT_S3_S3_PS1_ii.kd
    .uniform_work_group_size: 1
    .uses_dynamic_stack: false
    .vgpr_count:     122
    .vgpr_spill_count: 0
    .wavefront_size: 32
    .workgroup_processor_mode: 1
  - .args:
      - .offset:         0
        .size:           4
        .value_kind:     by_value
      - .offset:         4
        .size:           4
        .value_kind:     by_value
      - .offset:         8
        .size:           4
        .value_kind:     by_value
      - .offset:         12
        .size:           4
        .value_kind:     by_value
      - .offset:         16
        .size:           4
        .value_kind:     by_value
      - .offset:         20
        .size:           4
        .value_kind:     by_value
      - .address_space:  global
        .offset:         24
        .size:           8
        .value_kind:     global_buffer
      - .actual_access:  read_only
        .address_space:  global
        .offset:         32
        .size:           8
        .value_kind:     global_buffer
      - .actual_access:  read_only
        .address_space:  global
        .offset:         40
        .size:           8
        .value_kind:     global_buffer
      - .address_space:  global
        .offset:         48
        .size:           8
        .value_kind:     global_buffer
      - .offset:         56
        .size:           4
        .value_kind:     by_value
      - .offset:         60
        .size:           4
        .value_kind:     by_value
    .group_segment_fixed_size: 65536
    .kernarg_segment_align: 8
    .kernarg_segment_size: 64
    .language:       OpenCL C
    .language_version:
      - 2
      - 0
    .max_flat_workgroup_size: 512
    .name:           _Z16wvSplitK_hf_sml_I14__hip_bfloat16Li32ELi2ELi16ELi8ELi2ELi5EEviiiiiiPKT_S3_S3_PS1_ii
    .private_segment_fixed_size: 0
    .sgpr_count:     30
    .sgpr_spill_count: 0
    .symbol:         _Z16wvSplitK_hf_sml_I14__hip_bfloat16Li32ELi2ELi16ELi8ELi2ELi5EEviiiiiiPKT_S3_S3_PS1_ii.kd
    .uniform_work_group_size: 1
    .uses_dynamic_stack: false
    .vgpr_count:     90
    .vgpr_spill_count: 0
    .wavefront_size: 32
    .workgroup_processor_mode: 1
  - .args:
      - .offset:         0
        .size:           4
        .value_kind:     by_value
      - .offset:         4
        .size:           4
        .value_kind:     by_value
      - .offset:         8
        .size:           4
        .value_kind:     by_value
      - .offset:         12
        .size:           4
        .value_kind:     by_value
      - .offset:         16
        .size:           4
        .value_kind:     by_value
      - .offset:         20
        .size:           4
        .value_kind:     by_value
      - .address_space:  global
        .offset:         24
        .size:           8
        .value_kind:     global_buffer
      - .actual_access:  read_only
        .address_space:  global
        .offset:         32
        .size:           8
        .value_kind:     global_buffer
      - .actual_access:  read_only
        .address_space:  global
        .offset:         40
        .size:           8
        .value_kind:     global_buffer
      - .address_space:  global
        .offset:         48
        .size:           8
        .value_kind:     global_buffer
      - .offset:         56
        .size:           4
        .value_kind:     by_value
      - .offset:         60
        .size:           4
        .value_kind:     by_value
    .group_segment_fixed_size: 65536
    .kernarg_segment_align: 8
    .kernarg_segment_size: 64
    .language:       OpenCL C
    .language_version:
      - 2
      - 0
    .max_flat_workgroup_size: 512
    .name:           _Z12wvSplitK_hf_I14__hip_bfloat16Li32ELi2ELi16ELi8ELi2ELi5EEviiiiiiPKT_S3_S3_PS1_ii
    .private_segment_fixed_size: 0
    .sgpr_count:     38
    .sgpr_spill_count: 0
    .symbol:         _Z12wvSplitK_hf_I14__hip_bfloat16Li32ELi2ELi16ELi8ELi2ELi5EEviiiiiiPKT_S3_S3_PS1_ii.kd
    .uniform_work_group_size: 1
    .uses_dynamic_stack: false
    .vgpr_count:     100
    .vgpr_spill_count: 0
    .wavefront_size: 32
    .workgroup_processor_mode: 1
  - .args:
      - .offset:         0
        .size:           4
        .value_kind:     by_value
      - .offset:         4
        .size:           4
        .value_kind:     by_value
      - .offset:         8
        .size:           4
        .value_kind:     by_value
      - .offset:         12
        .size:           4
        .value_kind:     by_value
      - .offset:         16
        .size:           4
        .value_kind:     by_value
      - .offset:         20
        .size:           4
        .value_kind:     by_value
      - .address_space:  global
        .offset:         24
        .size:           8
        .value_kind:     global_buffer
      - .actual_access:  read_only
        .address_space:  global
        .offset:         32
        .size:           8
        .value_kind:     global_buffer
      - .actual_access:  read_only
        .address_space:  global
        .offset:         40
        .size:           8
        .value_kind:     global_buffer
      - .address_space:  global
        .offset:         48
        .size:           8
        .value_kind:     global_buffer
      - .offset:         56
        .size:           4
        .value_kind:     by_value
      - .offset:         60
        .size:           4
        .value_kind:     by_value
    .group_segment_fixed_size: 65536
    .kernarg_segment_align: 8
    .kernarg_segment_size: 64
    .language:       OpenCL C
    .language_version:
      - 2
      - 0
    .max_flat_workgroup_size: 512
    .name:           _Z16wvSplitK_hf_big_I14__hip_bfloat16Li32ELi2ELi16ELi8ELi2ELi5EEviiiiiiPKT_S3_S3_PS1_ii
    .private_segment_fixed_size: 0
    .sgpr_count:     47
    .sgpr_spill_count: 0
    .symbol:         _Z16wvSplitK_hf_big_I14__hip_bfloat16Li32ELi2ELi16ELi8ELi2ELi5EEviiiiiiPKT_S3_S3_PS1_ii.kd
    .uniform_work_group_size: 1
    .uses_dynamic_stack: false
    .vgpr_count:     96
    .vgpr_spill_count: 0
    .wavefront_size: 32
    .workgroup_processor_mode: 1
  - .args:
      - .offset:         0
        .size:           4
        .value_kind:     by_value
      - .offset:         4
        .size:           4
        .value_kind:     by_value
      - .offset:         8
        .size:           4
        .value_kind:     by_value
      - .offset:         12
        .size:           4
        .value_kind:     by_value
      - .offset:         16
        .size:           4
        .value_kind:     by_value
      - .offset:         20
        .size:           4
        .value_kind:     by_value
      - .address_space:  global
        .offset:         24
        .size:           8
        .value_kind:     global_buffer
      - .actual_access:  read_only
        .address_space:  global
        .offset:         32
        .size:           8
        .value_kind:     global_buffer
      - .actual_access:  read_only
        .address_space:  global
        .offset:         40
        .size:           8
        .value_kind:     global_buffer
      - .address_space:  global
        .offset:         48
        .size:           8
        .value_kind:     global_buffer
      - .offset:         56
        .size:           4
        .value_kind:     by_value
      - .offset:         60
        .size:           4
        .value_kind:     by_value
    .group_segment_fixed_size: 65536
    .kernarg_segment_align: 8
    .kernarg_segment_size: 64
    .language:       OpenCL C
    .language_version:
      - 2
      - 0
    .max_flat_workgroup_size: 512
    .name:           _Z16wvSplitK_hf_sml_I14__hip_bfloat16Li32ELi3ELi16ELi8ELi2ELi5EEviiiiiiPKT_S3_S3_PS1_ii
    .private_segment_fixed_size: 0
    .sgpr_count:     30
    .sgpr_spill_count: 0
    .symbol:         _Z16wvSplitK_hf_sml_I14__hip_bfloat16Li32ELi3ELi16ELi8ELi2ELi5EEviiiiiiPKT_S3_S3_PS1_ii.kd
    .uniform_work_group_size: 1
    .uses_dynamic_stack: false
    .vgpr_count:     110
    .vgpr_spill_count: 0
    .wavefront_size: 32
    .workgroup_processor_mode: 1
  - .args:
      - .offset:         0
        .size:           4
        .value_kind:     by_value
      - .offset:         4
        .size:           4
        .value_kind:     by_value
      - .offset:         8
        .size:           4
        .value_kind:     by_value
      - .offset:         12
        .size:           4
        .value_kind:     by_value
      - .offset:         16
        .size:           4
        .value_kind:     by_value
      - .offset:         20
        .size:           4
        .value_kind:     by_value
      - .address_space:  global
        .offset:         24
        .size:           8
        .value_kind:     global_buffer
      - .actual_access:  read_only
        .address_space:  global
        .offset:         32
        .size:           8
        .value_kind:     global_buffer
      - .actual_access:  read_only
        .address_space:  global
        .offset:         40
        .size:           8
        .value_kind:     global_buffer
      - .address_space:  global
        .offset:         48
        .size:           8
        .value_kind:     global_buffer
      - .offset:         56
        .size:           4
        .value_kind:     by_value
      - .offset:         60
        .size:           4
        .value_kind:     by_value
    .group_segment_fixed_size: 65536
    .kernarg_segment_align: 8
    .kernarg_segment_size: 64
    .language:       OpenCL C
    .language_version:
      - 2
      - 0
    .max_flat_workgroup_size: 512
    .name:           _Z12wvSplitK_hf_I14__hip_bfloat16Li32ELi3ELi16ELi8ELi2ELi5EEviiiiiiPKT_S3_S3_PS1_ii
    .private_segment_fixed_size: 0
    .sgpr_count:     39
    .sgpr_spill_count: 0
    .symbol:         _Z12wvSplitK_hf_I14__hip_bfloat16Li32ELi3ELi16ELi8ELi2ELi5EEviiiiiiPKT_S3_S3_PS1_ii.kd
    .uniform_work_group_size: 1
    .uses_dynamic_stack: false
    .vgpr_count:     125
    .vgpr_spill_count: 0
    .wavefront_size: 32
    .workgroup_processor_mode: 1
  - .args:
      - .offset:         0
        .size:           4
        .value_kind:     by_value
      - .offset:         4
        .size:           4
        .value_kind:     by_value
      - .offset:         8
        .size:           4
        .value_kind:     by_value
      - .offset:         12
        .size:           4
        .value_kind:     by_value
      - .offset:         16
        .size:           4
        .value_kind:     by_value
      - .offset:         20
        .size:           4
        .value_kind:     by_value
      - .address_space:  global
        .offset:         24
        .size:           8
        .value_kind:     global_buffer
      - .actual_access:  read_only
        .address_space:  global
        .offset:         32
        .size:           8
        .value_kind:     global_buffer
      - .actual_access:  read_only
        .address_space:  global
        .offset:         40
        .size:           8
        .value_kind:     global_buffer
      - .address_space:  global
        .offset:         48
        .size:           8
        .value_kind:     global_buffer
      - .offset:         56
        .size:           4
        .value_kind:     by_value
      - .offset:         60
        .size:           4
        .value_kind:     by_value
    .group_segment_fixed_size: 65536
    .kernarg_segment_align: 8
    .kernarg_segment_size: 64
    .language:       OpenCL C
    .language_version:
      - 2
      - 0
    .max_flat_workgroup_size: 512
    .name:           _Z16wvSplitK_hf_big_I14__hip_bfloat16Li32ELi3ELi16ELi8ELi2ELi5EEviiiiiiPKT_S3_S3_PS1_ii
    .private_segment_fixed_size: 0
    .sgpr_count:     48
    .sgpr_spill_count: 0
    .symbol:         _Z16wvSplitK_hf_big_I14__hip_bfloat16Li32ELi3ELi16ELi8ELi2ELi5EEviiiiiiPKT_S3_S3_PS1_ii.kd
    .uniform_work_group_size: 1
    .uses_dynamic_stack: false
    .vgpr_count:     116
    .vgpr_spill_count: 0
    .wavefront_size: 32
    .workgroup_processor_mode: 1
  - .args:
      - .offset:         0
        .size:           4
        .value_kind:     by_value
      - .offset:         4
        .size:           4
        .value_kind:     by_value
      - .offset:         8
        .size:           4
        .value_kind:     by_value
      - .offset:         12
        .size:           4
        .value_kind:     by_value
      - .offset:         16
        .size:           4
        .value_kind:     by_value
      - .offset:         20
        .size:           4
        .value_kind:     by_value
      - .address_space:  global
        .offset:         24
        .size:           8
        .value_kind:     global_buffer
      - .actual_access:  read_only
        .address_space:  global
        .offset:         32
        .size:           8
        .value_kind:     global_buffer
      - .actual_access:  read_only
        .address_space:  global
        .offset:         40
        .size:           8
        .value_kind:     global_buffer
      - .address_space:  global
        .offset:         48
        .size:           8
        .value_kind:     global_buffer
      - .offset:         56
        .size:           4
        .value_kind:     by_value
      - .offset:         60
        .size:           4
        .value_kind:     by_value
    .group_segment_fixed_size: 65536
    .kernarg_segment_align: 8
    .kernarg_segment_size: 64
    .language:       OpenCL C
    .language_version:
      - 2
      - 0
    .max_flat_workgroup_size: 512
    .name:           _Z16wvSplitK_hf_sml_I14__hip_bfloat16Li32ELi4ELi16ELi8ELi1ELi5EEviiiiiiPKT_S3_S3_PS1_ii
    .private_segment_fixed_size: 0
    .sgpr_count:     29
    .sgpr_spill_count: 0
    .symbol:         _Z16wvSplitK_hf_sml_I14__hip_bfloat16Li32ELi4ELi16ELi8ELi1ELi5EEviiiiiiPKT_S3_S3_PS1_ii.kd
    .uniform_work_group_size: 1
    .uses_dynamic_stack: false
    .vgpr_count:     92
    .vgpr_spill_count: 0
    .wavefront_size: 32
    .workgroup_processor_mode: 1
  - .args:
      - .offset:         0
        .size:           4
        .value_kind:     by_value
      - .offset:         4
        .size:           4
        .value_kind:     by_value
      - .offset:         8
        .size:           4
        .value_kind:     by_value
      - .offset:         12
        .size:           4
        .value_kind:     by_value
      - .offset:         16
        .size:           4
        .value_kind:     by_value
      - .offset:         20
        .size:           4
        .value_kind:     by_value
      - .address_space:  global
        .offset:         24
        .size:           8
        .value_kind:     global_buffer
      - .actual_access:  read_only
        .address_space:  global
        .offset:         32
        .size:           8
        .value_kind:     global_buffer
      - .actual_access:  read_only
        .address_space:  global
        .offset:         40
        .size:           8
        .value_kind:     global_buffer
      - .address_space:  global
        .offset:         48
        .size:           8
        .value_kind:     global_buffer
      - .offset:         56
        .size:           4
        .value_kind:     by_value
      - .offset:         60
        .size:           4
        .value_kind:     by_value
    .group_segment_fixed_size: 65536
    .kernarg_segment_align: 8
    .kernarg_segment_size: 64
    .language:       OpenCL C
    .language_version:
      - 2
      - 0
    .max_flat_workgroup_size: 512
    .name:           _Z12wvSplitK_hf_I14__hip_bfloat16Li32ELi4ELi16ELi8ELi1ELi5EEviiiiiiPKT_S3_S3_PS1_ii
    .private_segment_fixed_size: 0
    .sgpr_count:     39
    .sgpr_spill_count: 0
    .symbol:         _Z12wvSplitK_hf_I14__hip_bfloat16Li32ELi4ELi16ELi8ELi1ELi5EEviiiiiiPKT_S3_S3_PS1_ii.kd
    .uniform_work_group_size: 1
    .uses_dynamic_stack: false
    .vgpr_count:     103
    .vgpr_spill_count: 0
    .wavefront_size: 32
    .workgroup_processor_mode: 1
  - .args:
      - .offset:         0
        .size:           4
        .value_kind:     by_value
      - .offset:         4
        .size:           4
        .value_kind:     by_value
      - .offset:         8
        .size:           4
        .value_kind:     by_value
      - .offset:         12
        .size:           4
        .value_kind:     by_value
      - .offset:         16
        .size:           4
        .value_kind:     by_value
      - .offset:         20
        .size:           4
        .value_kind:     by_value
      - .address_space:  global
        .offset:         24
        .size:           8
        .value_kind:     global_buffer
      - .actual_access:  read_only
        .address_space:  global
        .offset:         32
        .size:           8
        .value_kind:     global_buffer
      - .actual_access:  read_only
        .address_space:  global
        .offset:         40
        .size:           8
        .value_kind:     global_buffer
      - .address_space:  global
        .offset:         48
        .size:           8
        .value_kind:     global_buffer
      - .offset:         56
        .size:           4
        .value_kind:     by_value
      - .offset:         60
        .size:           4
        .value_kind:     by_value
    .group_segment_fixed_size: 65536
    .kernarg_segment_align: 8
    .kernarg_segment_size: 64
    .language:       OpenCL C
    .language_version:
      - 2
      - 0
    .max_flat_workgroup_size: 512
    .name:           _Z16wvSplitK_hf_big_I14__hip_bfloat16Li32ELi4ELi16ELi8ELi1ELi5EEviiiiiiPKT_S3_S3_PS1_ii
    .private_segment_fixed_size: 0
    .sgpr_count:     48
    .sgpr_spill_count: 0
    .symbol:         _Z16wvSplitK_hf_big_I14__hip_bfloat16Li32ELi4ELi16ELi8ELi1ELi5EEviiiiiiPKT_S3_S3_PS1_ii.kd
    .uniform_work_group_size: 1
    .uses_dynamic_stack: false
    .vgpr_count:     101
    .vgpr_spill_count: 0
    .wavefront_size: 32
    .workgroup_processor_mode: 1
  - .args:
      - .offset:         0
        .size:           4
        .value_kind:     by_value
      - .offset:         4
        .size:           4
        .value_kind:     by_value
      - .offset:         8
        .size:           4
        .value_kind:     by_value
      - .offset:         12
        .size:           4
        .value_kind:     by_value
      - .offset:         16
        .size:           4
        .value_kind:     by_value
      - .offset:         20
        .size:           4
        .value_kind:     by_value
      - .address_space:  global
        .offset:         24
        .size:           8
        .value_kind:     global_buffer
      - .actual_access:  read_only
        .address_space:  global
        .offset:         32
        .size:           8
        .value_kind:     global_buffer
      - .actual_access:  read_only
        .address_space:  global
        .offset:         40
        .size:           8
        .value_kind:     global_buffer
      - .address_space:  global
        .offset:         48
        .size:           8
        .value_kind:     global_buffer
      - .offset:         56
        .size:           4
        .value_kind:     by_value
      - .offset:         60
        .size:           4
        .value_kind:     by_value
    .group_segment_fixed_size: 65536
    .kernarg_segment_align: 8
    .kernarg_segment_size: 64
    .language:       OpenCL C
    .language_version:
      - 2
      - 0
    .max_flat_workgroup_size: 512
    .name:           _Z16wvSplitK_hf_sml_I14__hip_bfloat16Li32ELi4ELi16ELi8ELi2ELi5EEviiiiiiPKT_S3_S3_PS1_ii
    .private_segment_fixed_size: 0
    .sgpr_count:     30
    .sgpr_spill_count: 0
    .symbol:         _Z16wvSplitK_hf_sml_I14__hip_bfloat16Li32ELi4ELi16ELi8ELi2ELi5EEviiiiiiPKT_S3_S3_PS1_ii.kd
    .uniform_work_group_size: 1
    .uses_dynamic_stack: false
    .vgpr_count:     128
    .vgpr_spill_count: 0
    .wavefront_size: 32
    .workgroup_processor_mode: 1
  - .args:
      - .offset:         0
        .size:           4
        .value_kind:     by_value
      - .offset:         4
        .size:           4
        .value_kind:     by_value
      - .offset:         8
        .size:           4
        .value_kind:     by_value
      - .offset:         12
        .size:           4
        .value_kind:     by_value
      - .offset:         16
        .size:           4
        .value_kind:     by_value
      - .offset:         20
        .size:           4
        .value_kind:     by_value
      - .address_space:  global
        .offset:         24
        .size:           8
        .value_kind:     global_buffer
      - .actual_access:  read_only
        .address_space:  global
        .offset:         32
        .size:           8
        .value_kind:     global_buffer
      - .actual_access:  read_only
        .address_space:  global
        .offset:         40
        .size:           8
        .value_kind:     global_buffer
      - .address_space:  global
        .offset:         48
        .size:           8
        .value_kind:     global_buffer
      - .offset:         56
        .size:           4
        .value_kind:     by_value
      - .offset:         60
        .size:           4
        .value_kind:     by_value
    .group_segment_fixed_size: 65536
    .kernarg_segment_align: 8
    .kernarg_segment_size: 64
    .language:       OpenCL C
    .language_version:
      - 2
      - 0
    .max_flat_workgroup_size: 512
    .name:           _Z12wvSplitK_hf_I14__hip_bfloat16Li32ELi4ELi16ELi8ELi2ELi5EEviiiiiiPKT_S3_S3_PS1_ii
    .private_segment_fixed_size: 0
    .sgpr_count:     39
    .sgpr_spill_count: 0
    .symbol:         _Z12wvSplitK_hf_I14__hip_bfloat16Li32ELi4ELi16ELi8ELi2ELi5EEviiiiiiPKT_S3_S3_PS1_ii.kd
    .uniform_work_group_size: 1
    .uses_dynamic_stack: false
    .vgpr_count:     151
    .vgpr_spill_count: 0
    .wavefront_size: 32
    .workgroup_processor_mode: 1
  - .args:
      - .offset:         0
        .size:           4
        .value_kind:     by_value
      - .offset:         4
        .size:           4
        .value_kind:     by_value
      - .offset:         8
        .size:           4
        .value_kind:     by_value
      - .offset:         12
        .size:           4
        .value_kind:     by_value
      - .offset:         16
        .size:           4
        .value_kind:     by_value
      - .offset:         20
        .size:           4
        .value_kind:     by_value
      - .address_space:  global
        .offset:         24
        .size:           8
        .value_kind:     global_buffer
      - .actual_access:  read_only
        .address_space:  global
        .offset:         32
        .size:           8
        .value_kind:     global_buffer
      - .actual_access:  read_only
        .address_space:  global
        .offset:         40
        .size:           8
        .value_kind:     global_buffer
      - .address_space:  global
        .offset:         48
        .size:           8
        .value_kind:     global_buffer
      - .offset:         56
        .size:           4
        .value_kind:     by_value
      - .offset:         60
        .size:           4
        .value_kind:     by_value
    .group_segment_fixed_size: 65536
    .kernarg_segment_align: 8
    .kernarg_segment_size: 64
    .language:       OpenCL C
    .language_version:
      - 2
      - 0
    .max_flat_workgroup_size: 512
    .name:           _Z16wvSplitK_hf_big_I14__hip_bfloat16Li32ELi4ELi16ELi8ELi2ELi5EEviiiiiiPKT_S3_S3_PS1_ii
    .private_segment_fixed_size: 0
    .sgpr_count:     48
    .sgpr_spill_count: 0
    .symbol:         _Z16wvSplitK_hf_big_I14__hip_bfloat16Li32ELi4ELi16ELi8ELi2ELi5EEviiiiiiPKT_S3_S3_PS1_ii.kd
    .uniform_work_group_size: 1
    .uses_dynamic_stack: false
    .vgpr_count:     136
    .vgpr_spill_count: 0
    .wavefront_size: 32
    .workgroup_processor_mode: 1
  - .args:
      - .offset:         0
        .size:           4
        .value_kind:     by_value
      - .offset:         4
        .size:           4
        .value_kind:     by_value
      - .offset:         8
        .size:           4
        .value_kind:     by_value
      - .offset:         12
        .size:           4
        .value_kind:     by_value
      - .offset:         16
        .size:           4
        .value_kind:     by_value
      - .offset:         20
        .size:           4
        .value_kind:     by_value
      - .address_space:  global
        .offset:         24
        .size:           8
        .value_kind:     global_buffer
      - .actual_access:  read_only
        .address_space:  global
        .offset:         32
        .size:           8
        .value_kind:     global_buffer
      - .actual_access:  read_only
        .address_space:  global
        .offset:         40
        .size:           8
        .value_kind:     global_buffer
      - .address_space:  global
        .offset:         48
        .size:           8
        .value_kind:     global_buffer
      - .offset:         56
        .size:           4
        .value_kind:     by_value
      - .offset:         60
        .size:           4
        .value_kind:     by_value
    .group_segment_fixed_size: 65536
    .kernarg_segment_align: 8
    .kernarg_segment_size: 64
    .language:       OpenCL C
    .language_version:
      - 2
      - 0
    .max_flat_workgroup_size: 1024
    .name:           _Z16wvSplitK_hf_sml_I14__hip_bfloat16Li64ELi1ELi16ELi8ELi4ELi5EEviiiiiiPKT_S3_S3_PS1_ii
    .private_segment_fixed_size: 0
    .sgpr_count:     32
    .sgpr_spill_count: 0
    .symbol:         _Z16wvSplitK_hf_sml_I14__hip_bfloat16Li64ELi1ELi16ELi8ELi4ELi5EEviiiiiiPKT_S3_S3_PS1_ii.kd
    .uniform_work_group_size: 1
    .uses_dynamic_stack: false
    .vgpr_count:     117
    .vgpr_spill_count: 0
    .wavefront_size: 32
    .workgroup_processor_mode: 1
  - .args:
      - .offset:         0
        .size:           4
        .value_kind:     by_value
      - .offset:         4
        .size:           4
        .value_kind:     by_value
      - .offset:         8
        .size:           4
        .value_kind:     by_value
      - .offset:         12
        .size:           4
        .value_kind:     by_value
      - .offset:         16
        .size:           4
        .value_kind:     by_value
      - .offset:         20
        .size:           4
        .value_kind:     by_value
      - .address_space:  global
        .offset:         24
        .size:           8
        .value_kind:     global_buffer
      - .actual_access:  read_only
        .address_space:  global
        .offset:         32
        .size:           8
        .value_kind:     global_buffer
      - .actual_access:  read_only
        .address_space:  global
        .offset:         40
        .size:           8
        .value_kind:     global_buffer
      - .address_space:  global
        .offset:         48
        .size:           8
        .value_kind:     global_buffer
      - .offset:         56
        .size:           4
        .value_kind:     by_value
      - .offset:         60
        .size:           4
        .value_kind:     by_value
    .group_segment_fixed_size: 65536
    .kernarg_segment_align: 8
    .kernarg_segment_size: 64
    .language:       OpenCL C
    .language_version:
      - 2
      - 0
    .max_flat_workgroup_size: 1024
    .name:           _Z12wvSplitK_hf_I14__hip_bfloat16Li64ELi1ELi16ELi8ELi4ELi5EEviiiiiiPKT_S3_S3_PS1_ii
    .private_segment_fixed_size: 0
    .sgpr_count:     37
    .sgpr_spill_count: 0
    .symbol:         _Z12wvSplitK_hf_I14__hip_bfloat16Li64ELi1ELi16ELi8ELi4ELi5EEviiiiiiPKT_S3_S3_PS1_ii.kd
    .uniform_work_group_size: 1
    .uses_dynamic_stack: false
    .vgpr_count:     127
    .vgpr_spill_count: 0
    .wavefront_size: 32
    .workgroup_processor_mode: 1
  - .args:
      - .offset:         0
        .size:           4
        .value_kind:     by_value
      - .offset:         4
        .size:           4
        .value_kind:     by_value
      - .offset:         8
        .size:           4
        .value_kind:     by_value
      - .offset:         12
        .size:           4
        .value_kind:     by_value
      - .offset:         16
        .size:           4
        .value_kind:     by_value
      - .offset:         20
        .size:           4
        .value_kind:     by_value
      - .address_space:  global
        .offset:         24
        .size:           8
        .value_kind:     global_buffer
      - .actual_access:  read_only
        .address_space:  global
        .offset:         32
        .size:           8
        .value_kind:     global_buffer
      - .actual_access:  read_only
        .address_space:  global
        .offset:         40
        .size:           8
        .value_kind:     global_buffer
      - .address_space:  global
        .offset:         48
        .size:           8
        .value_kind:     global_buffer
      - .offset:         56
        .size:           4
        .value_kind:     by_value
      - .offset:         60
        .size:           4
        .value_kind:     by_value
    .group_segment_fixed_size: 65536
    .kernarg_segment_align: 8
    .kernarg_segment_size: 64
    .language:       OpenCL C
    .language_version:
      - 2
      - 0
    .max_flat_workgroup_size: 1024
    .name:           _Z16wvSplitK_hf_big_I14__hip_bfloat16Li64ELi1ELi16ELi8ELi4ELi5EEviiiiiiPKT_S3_S3_PS1_ii
    .private_segment_fixed_size: 0
    .sgpr_count:     45
    .sgpr_spill_count: 0
    .symbol:         _Z16wvSplitK_hf_big_I14__hip_bfloat16Li64ELi1ELi16ELi8ELi4ELi5EEviiiiiiPKT_S3_S3_PS1_ii.kd
    .uniform_work_group_size: 1
    .uses_dynamic_stack: false
    .vgpr_count:     122
    .vgpr_spill_count: 0
    .wavefront_size: 32
    .workgroup_processor_mode: 1
  - .args:
      - .offset:         0
        .size:           4
        .value_kind:     by_value
      - .offset:         4
        .size:           4
        .value_kind:     by_value
      - .offset:         8
        .size:           4
        .value_kind:     by_value
      - .offset:         12
        .size:           4
        .value_kind:     by_value
      - .offset:         16
        .size:           4
        .value_kind:     by_value
      - .offset:         20
        .size:           4
        .value_kind:     by_value
      - .address_space:  global
        .offset:         24
        .size:           8
        .value_kind:     global_buffer
      - .actual_access:  read_only
        .address_space:  global
        .offset:         32
        .size:           8
        .value_kind:     global_buffer
      - .actual_access:  read_only
        .address_space:  global
        .offset:         40
        .size:           8
        .value_kind:     global_buffer
      - .address_space:  global
        .offset:         48
        .size:           8
        .value_kind:     global_buffer
      - .offset:         56
        .size:           4
        .value_kind:     by_value
      - .offset:         60
        .size:           4
        .value_kind:     by_value
    .group_segment_fixed_size: 65536
    .kernarg_segment_align: 8
    .kernarg_segment_size: 64
    .language:       OpenCL C
    .language_version:
      - 2
      - 0
    .max_flat_workgroup_size: 1024
    .name:           _Z16wvSplitK_hf_sml_I14__hip_bfloat16Li64ELi2ELi16ELi8ELi2ELi5EEviiiiiiPKT_S3_S3_PS1_ii
    .private_segment_fixed_size: 0
    .sgpr_count:     30
    .sgpr_spill_count: 0
    .symbol:         _Z16wvSplitK_hf_sml_I14__hip_bfloat16Li64ELi2ELi16ELi8ELi2ELi5EEviiiiiiPKT_S3_S3_PS1_ii.kd
    .uniform_work_group_size: 1
    .uses_dynamic_stack: false
    .vgpr_count:     90
    .vgpr_spill_count: 0
    .wavefront_size: 32
    .workgroup_processor_mode: 1
  - .args:
      - .offset:         0
        .size:           4
        .value_kind:     by_value
      - .offset:         4
        .size:           4
        .value_kind:     by_value
      - .offset:         8
        .size:           4
        .value_kind:     by_value
      - .offset:         12
        .size:           4
        .value_kind:     by_value
      - .offset:         16
        .size:           4
        .value_kind:     by_value
      - .offset:         20
        .size:           4
        .value_kind:     by_value
      - .address_space:  global
        .offset:         24
        .size:           8
        .value_kind:     global_buffer
      - .actual_access:  read_only
        .address_space:  global
        .offset:         32
        .size:           8
        .value_kind:     global_buffer
      - .actual_access:  read_only
        .address_space:  global
        .offset:         40
        .size:           8
        .value_kind:     global_buffer
      - .address_space:  global
        .offset:         48
        .size:           8
        .value_kind:     global_buffer
      - .offset:         56
        .size:           4
        .value_kind:     by_value
      - .offset:         60
        .size:           4
        .value_kind:     by_value
    .group_segment_fixed_size: 65536
    .kernarg_segment_align: 8
    .kernarg_segment_size: 64
    .language:       OpenCL C
    .language_version:
      - 2
      - 0
    .max_flat_workgroup_size: 1024
    .name:           _Z12wvSplitK_hf_I14__hip_bfloat16Li64ELi2ELi16ELi8ELi2ELi5EEviiiiiiPKT_S3_S3_PS1_ii
    .private_segment_fixed_size: 0
    .sgpr_count:     38
    .sgpr_spill_count: 0
    .symbol:         _Z12wvSplitK_hf_I14__hip_bfloat16Li64ELi2ELi16ELi8ELi2ELi5EEviiiiiiPKT_S3_S3_PS1_ii.kd
    .uniform_work_group_size: 1
    .uses_dynamic_stack: false
    .vgpr_count:     100
    .vgpr_spill_count: 0
    .wavefront_size: 32
    .workgroup_processor_mode: 1
  - .args:
      - .offset:         0
        .size:           4
        .value_kind:     by_value
      - .offset:         4
        .size:           4
        .value_kind:     by_value
      - .offset:         8
        .size:           4
        .value_kind:     by_value
      - .offset:         12
        .size:           4
        .value_kind:     by_value
      - .offset:         16
        .size:           4
        .value_kind:     by_value
      - .offset:         20
        .size:           4
        .value_kind:     by_value
      - .address_space:  global
        .offset:         24
        .size:           8
        .value_kind:     global_buffer
      - .actual_access:  read_only
        .address_space:  global
        .offset:         32
        .size:           8
        .value_kind:     global_buffer
      - .actual_access:  read_only
        .address_space:  global
        .offset:         40
        .size:           8
        .value_kind:     global_buffer
      - .address_space:  global
        .offset:         48
        .size:           8
        .value_kind:     global_buffer
      - .offset:         56
        .size:           4
        .value_kind:     by_value
      - .offset:         60
        .size:           4
        .value_kind:     by_value
    .group_segment_fixed_size: 65536
    .kernarg_segment_align: 8
    .kernarg_segment_size: 64
    .language:       OpenCL C
    .language_version:
      - 2
      - 0
    .max_flat_workgroup_size: 1024
    .name:           _Z16wvSplitK_hf_big_I14__hip_bfloat16Li64ELi2ELi16ELi8ELi2ELi5EEviiiiiiPKT_S3_S3_PS1_ii
    .private_segment_fixed_size: 0
    .sgpr_count:     47
    .sgpr_spill_count: 0
    .symbol:         _Z16wvSplitK_hf_big_I14__hip_bfloat16Li64ELi2ELi16ELi8ELi2ELi5EEviiiiiiPKT_S3_S3_PS1_ii.kd
    .uniform_work_group_size: 1
    .uses_dynamic_stack: false
    .vgpr_count:     93
    .vgpr_spill_count: 0
    .wavefront_size: 32
    .workgroup_processor_mode: 1
  - .args:
      - .offset:         0
        .size:           4
        .value_kind:     by_value
      - .offset:         4
        .size:           4
        .value_kind:     by_value
      - .offset:         8
        .size:           4
        .value_kind:     by_value
      - .offset:         12
        .size:           4
        .value_kind:     by_value
      - .offset:         16
        .size:           4
        .value_kind:     by_value
      - .offset:         20
        .size:           4
        .value_kind:     by_value
      - .address_space:  global
        .offset:         24
        .size:           8
        .value_kind:     global_buffer
      - .actual_access:  read_only
        .address_space:  global
        .offset:         32
        .size:           8
        .value_kind:     global_buffer
      - .actual_access:  read_only
        .address_space:  global
        .offset:         40
        .size:           8
        .value_kind:     global_buffer
      - .address_space:  global
        .offset:         48
        .size:           8
        .value_kind:     global_buffer
      - .offset:         56
        .size:           4
        .value_kind:     by_value
      - .offset:         60
        .size:           4
        .value_kind:     by_value
    .group_segment_fixed_size: 65536
    .kernarg_segment_align: 8
    .kernarg_segment_size: 64
    .language:       OpenCL C
    .language_version:
      - 2
      - 0
    .max_flat_workgroup_size: 1024
    .name:           _Z16wvSplitK_hf_sml_I14__hip_bfloat16Li64ELi3ELi16ELi8ELi2ELi5EEviiiiiiPKT_S3_S3_PS1_ii
    .private_segment_fixed_size: 0
    .sgpr_count:     30
    .sgpr_spill_count: 0
    .symbol:         _Z16wvSplitK_hf_sml_I14__hip_bfloat16Li64ELi3ELi16ELi8ELi2ELi5EEviiiiiiPKT_S3_S3_PS1_ii.kd
    .uniform_work_group_size: 1
    .uses_dynamic_stack: false
    .vgpr_count:     110
    .vgpr_spill_count: 0
    .wavefront_size: 32
    .workgroup_processor_mode: 1
  - .args:
      - .offset:         0
        .size:           4
        .value_kind:     by_value
      - .offset:         4
        .size:           4
        .value_kind:     by_value
      - .offset:         8
        .size:           4
        .value_kind:     by_value
      - .offset:         12
        .size:           4
        .value_kind:     by_value
      - .offset:         16
        .size:           4
        .value_kind:     by_value
      - .offset:         20
        .size:           4
        .value_kind:     by_value
      - .address_space:  global
        .offset:         24
        .size:           8
        .value_kind:     global_buffer
      - .actual_access:  read_only
        .address_space:  global
        .offset:         32
        .size:           8
        .value_kind:     global_buffer
      - .actual_access:  read_only
        .address_space:  global
        .offset:         40
        .size:           8
        .value_kind:     global_buffer
      - .address_space:  global
        .offset:         48
        .size:           8
        .value_kind:     global_buffer
      - .offset:         56
        .size:           4
        .value_kind:     by_value
      - .offset:         60
        .size:           4
        .value_kind:     by_value
    .group_segment_fixed_size: 65536
    .kernarg_segment_align: 8
    .kernarg_segment_size: 64
    .language:       OpenCL C
    .language_version:
      - 2
      - 0
    .max_flat_workgroup_size: 1024
    .name:           _Z12wvSplitK_hf_I14__hip_bfloat16Li64ELi3ELi16ELi8ELi2ELi5EEviiiiiiPKT_S3_S3_PS1_ii
    .private_segment_fixed_size: 0
    .sgpr_count:     39
    .sgpr_spill_count: 0
    .symbol:         _Z12wvSplitK_hf_I14__hip_bfloat16Li64ELi3ELi16ELi8ELi2ELi5EEviiiiiiPKT_S3_S3_PS1_ii.kd
    .uniform_work_group_size: 1
    .uses_dynamic_stack: false
    .vgpr_count:     125
    .vgpr_spill_count: 0
    .wavefront_size: 32
    .workgroup_processor_mode: 1
  - .args:
      - .offset:         0
        .size:           4
        .value_kind:     by_value
      - .offset:         4
        .size:           4
        .value_kind:     by_value
      - .offset:         8
        .size:           4
        .value_kind:     by_value
      - .offset:         12
        .size:           4
        .value_kind:     by_value
      - .offset:         16
        .size:           4
        .value_kind:     by_value
      - .offset:         20
        .size:           4
        .value_kind:     by_value
      - .address_space:  global
        .offset:         24
        .size:           8
        .value_kind:     global_buffer
      - .actual_access:  read_only
        .address_space:  global
        .offset:         32
        .size:           8
        .value_kind:     global_buffer
      - .actual_access:  read_only
        .address_space:  global
        .offset:         40
        .size:           8
        .value_kind:     global_buffer
      - .address_space:  global
        .offset:         48
        .size:           8
        .value_kind:     global_buffer
      - .offset:         56
        .size:           4
        .value_kind:     by_value
      - .offset:         60
        .size:           4
        .value_kind:     by_value
    .group_segment_fixed_size: 65536
    .kernarg_segment_align: 8
    .kernarg_segment_size: 64
    .language:       OpenCL C
    .language_version:
      - 2
      - 0
    .max_flat_workgroup_size: 1024
    .name:           _Z16wvSplitK_hf_big_I14__hip_bfloat16Li64ELi3ELi16ELi8ELi2ELi5EEviiiiiiPKT_S3_S3_PS1_ii
    .private_segment_fixed_size: 0
    .sgpr_count:     48
    .sgpr_spill_count: 0
    .symbol:         _Z16wvSplitK_hf_big_I14__hip_bfloat16Li64ELi3ELi16ELi8ELi2ELi5EEviiiiiiPKT_S3_S3_PS1_ii.kd
    .uniform_work_group_size: 1
    .uses_dynamic_stack: false
    .vgpr_count:     116
    .vgpr_spill_count: 0
    .wavefront_size: 32
    .workgroup_processor_mode: 1
  - .args:
      - .offset:         0
        .size:           4
        .value_kind:     by_value
      - .offset:         4
        .size:           4
        .value_kind:     by_value
      - .offset:         8
        .size:           4
        .value_kind:     by_value
      - .offset:         12
        .size:           4
        .value_kind:     by_value
      - .offset:         16
        .size:           4
        .value_kind:     by_value
      - .offset:         20
        .size:           4
        .value_kind:     by_value
      - .address_space:  global
        .offset:         24
        .size:           8
        .value_kind:     global_buffer
      - .actual_access:  read_only
        .address_space:  global
        .offset:         32
        .size:           8
        .value_kind:     global_buffer
      - .actual_access:  read_only
        .address_space:  global
        .offset:         40
        .size:           8
        .value_kind:     global_buffer
      - .address_space:  global
        .offset:         48
        .size:           8
        .value_kind:     global_buffer
      - .offset:         56
        .size:           4
        .value_kind:     by_value
      - .offset:         60
        .size:           4
        .value_kind:     by_value
    .group_segment_fixed_size: 65536
    .kernarg_segment_align: 8
    .kernarg_segment_size: 64
    .language:       OpenCL C
    .language_version:
      - 2
      - 0
    .max_flat_workgroup_size: 1024
    .name:           _Z16wvSplitK_hf_sml_I14__hip_bfloat16Li64ELi4ELi16ELi8ELi1ELi5EEviiiiiiPKT_S3_S3_PS1_ii
    .private_segment_fixed_size: 0
    .sgpr_count:     29
    .sgpr_spill_count: 0
    .symbol:         _Z16wvSplitK_hf_sml_I14__hip_bfloat16Li64ELi4ELi16ELi8ELi1ELi5EEviiiiiiPKT_S3_S3_PS1_ii.kd
    .uniform_work_group_size: 1
    .uses_dynamic_stack: false
    .vgpr_count:     92
    .vgpr_spill_count: 0
    .wavefront_size: 32
    .workgroup_processor_mode: 1
  - .args:
      - .offset:         0
        .size:           4
        .value_kind:     by_value
      - .offset:         4
        .size:           4
        .value_kind:     by_value
      - .offset:         8
        .size:           4
        .value_kind:     by_value
      - .offset:         12
        .size:           4
        .value_kind:     by_value
      - .offset:         16
        .size:           4
        .value_kind:     by_value
      - .offset:         20
        .size:           4
        .value_kind:     by_value
      - .address_space:  global
        .offset:         24
        .size:           8
        .value_kind:     global_buffer
      - .actual_access:  read_only
        .address_space:  global
        .offset:         32
        .size:           8
        .value_kind:     global_buffer
      - .actual_access:  read_only
        .address_space:  global
        .offset:         40
        .size:           8
        .value_kind:     global_buffer
      - .address_space:  global
        .offset:         48
        .size:           8
        .value_kind:     global_buffer
      - .offset:         56
        .size:           4
        .value_kind:     by_value
      - .offset:         60
        .size:           4
        .value_kind:     by_value
    .group_segment_fixed_size: 65536
    .kernarg_segment_align: 8
    .kernarg_segment_size: 64
    .language:       OpenCL C
    .language_version:
      - 2
      - 0
    .max_flat_workgroup_size: 1024
    .name:           _Z12wvSplitK_hf_I14__hip_bfloat16Li64ELi4ELi16ELi8ELi1ELi5EEviiiiiiPKT_S3_S3_PS1_ii
    .private_segment_fixed_size: 0
    .sgpr_count:     39
    .sgpr_spill_count: 0
    .symbol:         _Z12wvSplitK_hf_I14__hip_bfloat16Li64ELi4ELi16ELi8ELi1ELi5EEviiiiiiPKT_S3_S3_PS1_ii.kd
    .uniform_work_group_size: 1
    .uses_dynamic_stack: false
    .vgpr_count:     103
    .vgpr_spill_count: 0
    .wavefront_size: 32
    .workgroup_processor_mode: 1
  - .args:
      - .offset:         0
        .size:           4
        .value_kind:     by_value
      - .offset:         4
        .size:           4
        .value_kind:     by_value
      - .offset:         8
        .size:           4
        .value_kind:     by_value
      - .offset:         12
        .size:           4
        .value_kind:     by_value
      - .offset:         16
        .size:           4
        .value_kind:     by_value
      - .offset:         20
        .size:           4
        .value_kind:     by_value
      - .address_space:  global
        .offset:         24
        .size:           8
        .value_kind:     global_buffer
      - .actual_access:  read_only
        .address_space:  global
        .offset:         32
        .size:           8
        .value_kind:     global_buffer
      - .actual_access:  read_only
        .address_space:  global
        .offset:         40
        .size:           8
        .value_kind:     global_buffer
      - .address_space:  global
        .offset:         48
        .size:           8
        .value_kind:     global_buffer
      - .offset:         56
        .size:           4
        .value_kind:     by_value
      - .offset:         60
        .size:           4
        .value_kind:     by_value
    .group_segment_fixed_size: 65536
    .kernarg_segment_align: 8
    .kernarg_segment_size: 64
    .language:       OpenCL C
    .language_version:
      - 2
      - 0
    .max_flat_workgroup_size: 1024
    .name:           _Z16wvSplitK_hf_big_I14__hip_bfloat16Li64ELi4ELi16ELi8ELi1ELi5EEviiiiiiPKT_S3_S3_PS1_ii
    .private_segment_fixed_size: 0
    .sgpr_count:     48
    .sgpr_spill_count: 0
    .symbol:         _Z16wvSplitK_hf_big_I14__hip_bfloat16Li64ELi4ELi16ELi8ELi1ELi5EEviiiiiiPKT_S3_S3_PS1_ii.kd
    .uniform_work_group_size: 1
    .uses_dynamic_stack: false
    .vgpr_count:     101
    .vgpr_spill_count: 0
    .wavefront_size: 32
    .workgroup_processor_mode: 1
  - .args:
      - .offset:         0
        .size:           4
        .value_kind:     by_value
      - .offset:         4
        .size:           4
        .value_kind:     by_value
      - .offset:         8
        .size:           4
        .value_kind:     by_value
      - .offset:         12
        .size:           4
        .value_kind:     by_value
      - .offset:         16
        .size:           4
        .value_kind:     by_value
      - .offset:         20
        .size:           4
        .value_kind:     by_value
      - .address_space:  global
        .offset:         24
        .size:           8
        .value_kind:     global_buffer
      - .actual_access:  read_only
        .address_space:  global
        .offset:         32
        .size:           8
        .value_kind:     global_buffer
      - .actual_access:  read_only
        .address_space:  global
        .offset:         40
        .size:           8
        .value_kind:     global_buffer
      - .address_space:  global
        .offset:         48
        .size:           8
        .value_kind:     global_buffer
      - .offset:         56
        .size:           4
        .value_kind:     by_value
      - .offset:         60
        .size:           4
        .value_kind:     by_value
    .group_segment_fixed_size: 65536
    .kernarg_segment_align: 8
    .kernarg_segment_size: 64
    .language:       OpenCL C
    .language_version:
      - 2
      - 0
    .max_flat_workgroup_size: 1024
    .name:           _Z16wvSplitK_hf_sml_I14__hip_bfloat16Li64ELi4ELi16ELi8ELi2ELi5EEviiiiiiPKT_S3_S3_PS1_ii
    .private_segment_fixed_size: 0
    .sgpr_count:     30
    .sgpr_spill_count: 0
    .symbol:         _Z16wvSplitK_hf_sml_I14__hip_bfloat16Li64ELi4ELi16ELi8ELi2ELi5EEviiiiiiPKT_S3_S3_PS1_ii.kd
    .uniform_work_group_size: 1
    .uses_dynamic_stack: false
    .vgpr_count:     128
    .vgpr_spill_count: 0
    .wavefront_size: 32
    .workgroup_processor_mode: 1
  - .args:
      - .offset:         0
        .size:           4
        .value_kind:     by_value
      - .offset:         4
        .size:           4
        .value_kind:     by_value
      - .offset:         8
        .size:           4
        .value_kind:     by_value
      - .offset:         12
        .size:           4
        .value_kind:     by_value
      - .offset:         16
        .size:           4
        .value_kind:     by_value
      - .offset:         20
        .size:           4
        .value_kind:     by_value
      - .address_space:  global
        .offset:         24
        .size:           8
        .value_kind:     global_buffer
      - .actual_access:  read_only
        .address_space:  global
        .offset:         32
        .size:           8
        .value_kind:     global_buffer
      - .actual_access:  read_only
        .address_space:  global
        .offset:         40
        .size:           8
        .value_kind:     global_buffer
      - .address_space:  global
        .offset:         48
        .size:           8
        .value_kind:     global_buffer
      - .offset:         56
        .size:           4
        .value_kind:     by_value
      - .offset:         60
        .size:           4
        .value_kind:     by_value
    .group_segment_fixed_size: 65536
    .kernarg_segment_align: 8
    .kernarg_segment_size: 64
    .language:       OpenCL C
    .language_version:
      - 2
      - 0
    .max_flat_workgroup_size: 1024
    .name:           _Z12wvSplitK_hf_I14__hip_bfloat16Li64ELi4ELi16ELi8ELi2ELi5EEviiiiiiPKT_S3_S3_PS1_ii
    .private_segment_fixed_size: 0
    .sgpr_count:     39
    .sgpr_spill_count: 0
    .symbol:         _Z12wvSplitK_hf_I14__hip_bfloat16Li64ELi4ELi16ELi8ELi2ELi5EEviiiiiiPKT_S3_S3_PS1_ii.kd
    .uniform_work_group_size: 1
    .uses_dynamic_stack: false
    .vgpr_count:     151
    .vgpr_spill_count: 0
    .wavefront_size: 32
    .workgroup_processor_mode: 1
  - .args:
      - .offset:         0
        .size:           4
        .value_kind:     by_value
      - .offset:         4
        .size:           4
        .value_kind:     by_value
      - .offset:         8
        .size:           4
        .value_kind:     by_value
      - .offset:         12
        .size:           4
        .value_kind:     by_value
      - .offset:         16
        .size:           4
        .value_kind:     by_value
      - .offset:         20
        .size:           4
        .value_kind:     by_value
      - .address_space:  global
        .offset:         24
        .size:           8
        .value_kind:     global_buffer
      - .actual_access:  read_only
        .address_space:  global
        .offset:         32
        .size:           8
        .value_kind:     global_buffer
      - .actual_access:  read_only
        .address_space:  global
        .offset:         40
        .size:           8
        .value_kind:     global_buffer
      - .address_space:  global
        .offset:         48
        .size:           8
        .value_kind:     global_buffer
      - .offset:         56
        .size:           4
        .value_kind:     by_value
      - .offset:         60
        .size:           4
        .value_kind:     by_value
    .group_segment_fixed_size: 65536
    .kernarg_segment_align: 8
    .kernarg_segment_size: 64
    .language:       OpenCL C
    .language_version:
      - 2
      - 0
    .max_flat_workgroup_size: 1024
    .name:           _Z16wvSplitK_hf_big_I14__hip_bfloat16Li64ELi4ELi16ELi8ELi2ELi5EEviiiiiiPKT_S3_S3_PS1_ii
    .private_segment_fixed_size: 0
    .sgpr_count:     48
    .sgpr_spill_count: 0
    .symbol:         _Z16wvSplitK_hf_big_I14__hip_bfloat16Li64ELi4ELi16ELi8ELi2ELi5EEviiiiiiPKT_S3_S3_PS1_ii.kd
    .uniform_work_group_size: 1
    .uses_dynamic_stack: false
    .vgpr_count:     136
    .vgpr_spill_count: 0
    .wavefront_size: 32
    .workgroup_processor_mode: 1
  - .args:
      - .offset:         0
        .size:           4
        .value_kind:     by_value
      - .offset:         4
        .size:           4
        .value_kind:     by_value
      - .offset:         8
        .size:           4
        .value_kind:     by_value
      - .offset:         12
        .size:           4
        .value_kind:     by_value
      - .offset:         16
        .size:           4
        .value_kind:     by_value
      - .offset:         20
        .size:           4
        .value_kind:     by_value
      - .address_space:  global
        .offset:         24
        .size:           8
        .value_kind:     global_buffer
      - .actual_access:  read_only
        .address_space:  global
        .offset:         32
        .size:           8
        .value_kind:     global_buffer
      - .actual_access:  read_only
        .address_space:  global
        .offset:         40
        .size:           8
        .value_kind:     global_buffer
      - .address_space:  global
        .offset:         48
        .size:           8
        .value_kind:     global_buffer
      - .address_space:  global
        .offset:         56
        .size:           8
        .value_kind:     global_buffer
      - .address_space:  global
        .offset:         64
        .size:           8
        .value_kind:     global_buffer
      - .offset:         72
        .size:           4
        .value_kind:     by_value
      - .offset:         80
        .size:           4
        .value_kind:     hidden_block_count_x
      - .offset:         84
        .size:           4
        .value_kind:     hidden_block_count_y
      - .offset:         88
        .size:           4
        .value_kind:     hidden_block_count_z
      - .offset:         92
        .size:           2
        .value_kind:     hidden_group_size_x
      - .offset:         94
        .size:           2
        .value_kind:     hidden_group_size_y
      - .offset:         96
        .size:           2
        .value_kind:     hidden_group_size_z
      - .offset:         98
        .size:           2
        .value_kind:     hidden_remainder_x
      - .offset:         100
        .size:           2
        .value_kind:     hidden_remainder_y
      - .offset:         102
        .size:           2
        .value_kind:     hidden_remainder_z
      - .offset:         120
        .size:           8
        .value_kind:     hidden_global_offset_x
      - .offset:         128
        .size:           8
        .value_kind:     hidden_global_offset_y
      - .offset:         136
        .size:           8
        .value_kind:     hidden_global_offset_z
      - .offset:         144
        .size:           2
        .value_kind:     hidden_grid_dims
      - .offset:         160
        .size:           8
        .value_kind:     hidden_hostcall_buffer
    .group_segment_fixed_size: 0
    .kernarg_segment_align: 8
    .kernarg_segment_size: 336
    .language:       OpenCL C
    .language_version:
      - 2
      - 0
    .max_flat_workgroup_size: 1024
    .name:           _Z11wvSplitKrc_I6__halfLi64ELi16ELi4ELi8ELi1ELi16ELi1ELi1ELi1EEviiiiiiPKT_S3_S3_PfPiPS1_i
    .private_segment_fixed_size: 64
    .sgpr_count:     36
    .sgpr_spill_count: 0
    .symbol:         _Z11wvSplitKrc_I6__halfLi64ELi16ELi4ELi8ELi1ELi16ELi1ELi1ELi1EEviiiiiiPKT_S3_S3_PfPiPS1_i.kd
    .uniform_work_group_size: 1
    .uses_dynamic_stack: false
    .vgpr_count:     50
    .vgpr_spill_count: 0
    .wavefront_size: 32
    .workgroup_processor_mode: 1
  - .args:
      - .offset:         0
        .size:           4
        .value_kind:     by_value
      - .offset:         4
        .size:           4
        .value_kind:     by_value
      - .offset:         8
        .size:           4
        .value_kind:     by_value
      - .offset:         12
        .size:           4
        .value_kind:     by_value
      - .offset:         16
        .size:           4
        .value_kind:     by_value
      - .offset:         20
        .size:           4
        .value_kind:     by_value
      - .address_space:  global
        .offset:         24
        .size:           8
        .value_kind:     global_buffer
      - .actual_access:  read_only
        .address_space:  global
        .offset:         32
        .size:           8
        .value_kind:     global_buffer
      - .actual_access:  read_only
        .address_space:  global
        .offset:         40
        .size:           8
        .value_kind:     global_buffer
      - .address_space:  global
        .offset:         48
        .size:           8
        .value_kind:     global_buffer
      - .address_space:  global
        .offset:         56
        .size:           8
        .value_kind:     global_buffer
      - .address_space:  global
        .offset:         64
        .size:           8
        .value_kind:     global_buffer
      - .offset:         72
        .size:           4
        .value_kind:     by_value
      - .offset:         80
        .size:           4
        .value_kind:     hidden_block_count_x
      - .offset:         84
        .size:           4
        .value_kind:     hidden_block_count_y
      - .offset:         88
        .size:           4
        .value_kind:     hidden_block_count_z
      - .offset:         92
        .size:           2
        .value_kind:     hidden_group_size_x
      - .offset:         94
        .size:           2
        .value_kind:     hidden_group_size_y
      - .offset:         96
        .size:           2
        .value_kind:     hidden_group_size_z
      - .offset:         98
        .size:           2
        .value_kind:     hidden_remainder_x
      - .offset:         100
        .size:           2
        .value_kind:     hidden_remainder_y
      - .offset:         102
        .size:           2
        .value_kind:     hidden_remainder_z
      - .offset:         120
        .size:           8
        .value_kind:     hidden_global_offset_x
      - .offset:         128
        .size:           8
        .value_kind:     hidden_global_offset_y
      - .offset:         136
        .size:           8
        .value_kind:     hidden_global_offset_z
      - .offset:         144
        .size:           2
        .value_kind:     hidden_grid_dims
      - .offset:         160
        .size:           8
        .value_kind:     hidden_hostcall_buffer
    .group_segment_fixed_size: 0
    .kernarg_segment_align: 8
    .kernarg_segment_size: 336
    .language:       OpenCL C
    .language_version:
      - 2
      - 0
    .max_flat_workgroup_size: 1024
    .name:           _Z11wvSplitKrc_I6__halfLi64ELi16ELi4ELi8ELi1ELi16ELi1ELi1ELi0EEviiiiiiPKT_S3_S3_PfPiPS1_i
    .private_segment_fixed_size: 64
    .sgpr_count:     36
    .sgpr_spill_count: 0
    .symbol:         _Z11wvSplitKrc_I6__halfLi64ELi16ELi4ELi8ELi1ELi16ELi1ELi1ELi0EEviiiiiiPKT_S3_S3_PfPiPS1_i.kd
    .uniform_work_group_size: 1
    .uses_dynamic_stack: false
    .vgpr_count:     50
    .vgpr_spill_count: 0
    .wavefront_size: 32
    .workgroup_processor_mode: 1
  - .args:
      - .offset:         0
        .size:           4
        .value_kind:     by_value
      - .offset:         4
        .size:           4
        .value_kind:     by_value
      - .offset:         8
        .size:           4
        .value_kind:     by_value
      - .offset:         12
        .size:           4
        .value_kind:     by_value
      - .offset:         16
        .size:           4
        .value_kind:     by_value
      - .offset:         20
        .size:           4
        .value_kind:     by_value
      - .address_space:  global
        .offset:         24
        .size:           8
        .value_kind:     global_buffer
      - .actual_access:  read_only
        .address_space:  global
        .offset:         32
        .size:           8
        .value_kind:     global_buffer
      - .actual_access:  read_only
        .address_space:  global
        .offset:         40
        .size:           8
        .value_kind:     global_buffer
      - .address_space:  global
        .offset:         48
        .size:           8
        .value_kind:     global_buffer
      - .address_space:  global
        .offset:         56
        .size:           8
        .value_kind:     global_buffer
      - .address_space:  global
        .offset:         64
        .size:           8
        .value_kind:     global_buffer
      - .offset:         72
        .size:           4
        .value_kind:     by_value
      - .offset:         80
        .size:           4
        .value_kind:     hidden_block_count_x
      - .offset:         84
        .size:           4
        .value_kind:     hidden_block_count_y
      - .offset:         88
        .size:           4
        .value_kind:     hidden_block_count_z
      - .offset:         92
        .size:           2
        .value_kind:     hidden_group_size_x
      - .offset:         94
        .size:           2
        .value_kind:     hidden_group_size_y
      - .offset:         96
        .size:           2
        .value_kind:     hidden_group_size_z
      - .offset:         98
        .size:           2
        .value_kind:     hidden_remainder_x
      - .offset:         100
        .size:           2
        .value_kind:     hidden_remainder_y
      - .offset:         102
        .size:           2
        .value_kind:     hidden_remainder_z
      - .offset:         120
        .size:           8
        .value_kind:     hidden_global_offset_x
      - .offset:         128
        .size:           8
        .value_kind:     hidden_global_offset_y
      - .offset:         136
        .size:           8
        .value_kind:     hidden_global_offset_z
      - .offset:         144
        .size:           2
        .value_kind:     hidden_grid_dims
      - .offset:         160
        .size:           8
        .value_kind:     hidden_hostcall_buffer
    .group_segment_fixed_size: 0
    .kernarg_segment_align: 8
    .kernarg_segment_size: 336
    .language:       OpenCL C
    .language_version:
      - 2
      - 0
    .max_flat_workgroup_size: 1024
    .name:           _Z11wvSplitKrc_I6__halfLi64ELi16ELi4ELi8ELi1ELi32ELi2ELi2ELi1EEviiiiiiPKT_S3_S3_PfPiPS1_i
    .private_segment_fixed_size: 64
    .sgpr_count:     36
    .sgpr_spill_count: 0
    .symbol:         _Z11wvSplitKrc_I6__halfLi64ELi16ELi4ELi8ELi1ELi32ELi2ELi2ELi1EEviiiiiiPKT_S3_S3_PfPiPS1_i.kd
    .uniform_work_group_size: 1
    .uses_dynamic_stack: false
    .vgpr_count:     50
    .vgpr_spill_count: 0
    .wavefront_size: 32
    .workgroup_processor_mode: 1
  - .args:
      - .offset:         0
        .size:           4
        .value_kind:     by_value
      - .offset:         4
        .size:           4
        .value_kind:     by_value
      - .offset:         8
        .size:           4
        .value_kind:     by_value
      - .offset:         12
        .size:           4
        .value_kind:     by_value
      - .offset:         16
        .size:           4
        .value_kind:     by_value
      - .offset:         20
        .size:           4
        .value_kind:     by_value
      - .address_space:  global
        .offset:         24
        .size:           8
        .value_kind:     global_buffer
      - .actual_access:  read_only
        .address_space:  global
        .offset:         32
        .size:           8
        .value_kind:     global_buffer
      - .actual_access:  read_only
        .address_space:  global
        .offset:         40
        .size:           8
        .value_kind:     global_buffer
      - .address_space:  global
        .offset:         48
        .size:           8
        .value_kind:     global_buffer
      - .address_space:  global
        .offset:         56
        .size:           8
        .value_kind:     global_buffer
      - .address_space:  global
        .offset:         64
        .size:           8
        .value_kind:     global_buffer
      - .offset:         72
        .size:           4
        .value_kind:     by_value
      - .offset:         80
        .size:           4
        .value_kind:     hidden_block_count_x
      - .offset:         84
        .size:           4
        .value_kind:     hidden_block_count_y
      - .offset:         88
        .size:           4
        .value_kind:     hidden_block_count_z
      - .offset:         92
        .size:           2
        .value_kind:     hidden_group_size_x
      - .offset:         94
        .size:           2
        .value_kind:     hidden_group_size_y
      - .offset:         96
        .size:           2
        .value_kind:     hidden_group_size_z
      - .offset:         98
        .size:           2
        .value_kind:     hidden_remainder_x
      - .offset:         100
        .size:           2
        .value_kind:     hidden_remainder_y
      - .offset:         102
        .size:           2
        .value_kind:     hidden_remainder_z
      - .offset:         120
        .size:           8
        .value_kind:     hidden_global_offset_x
      - .offset:         128
        .size:           8
        .value_kind:     hidden_global_offset_y
      - .offset:         136
        .size:           8
        .value_kind:     hidden_global_offset_z
      - .offset:         144
        .size:           2
        .value_kind:     hidden_grid_dims
      - .offset:         160
        .size:           8
        .value_kind:     hidden_hostcall_buffer
    .group_segment_fixed_size: 0
    .kernarg_segment_align: 8
    .kernarg_segment_size: 336
    .language:       OpenCL C
    .language_version:
      - 2
      - 0
    .max_flat_workgroup_size: 1024
    .name:           _Z11wvSplitKrc_I6__halfLi64ELi16ELi4ELi8ELi1ELi32ELi2ELi2ELi0EEviiiiiiPKT_S3_S3_PfPiPS1_i
    .private_segment_fixed_size: 64
    .sgpr_count:     36
    .sgpr_spill_count: 0
    .symbol:         _Z11wvSplitKrc_I6__halfLi64ELi16ELi4ELi8ELi1ELi32ELi2ELi2ELi0EEviiiiiiPKT_S3_S3_PfPiPS1_i.kd
    .uniform_work_group_size: 1
    .uses_dynamic_stack: false
    .vgpr_count:     50
    .vgpr_spill_count: 0
    .wavefront_size: 32
    .workgroup_processor_mode: 1
  - .args:
      - .offset:         0
        .size:           4
        .value_kind:     by_value
      - .offset:         4
        .size:           4
        .value_kind:     by_value
      - .offset:         8
        .size:           4
        .value_kind:     by_value
      - .offset:         12
        .size:           4
        .value_kind:     by_value
      - .offset:         16
        .size:           4
        .value_kind:     by_value
      - .offset:         20
        .size:           4
        .value_kind:     by_value
      - .address_space:  global
        .offset:         24
        .size:           8
        .value_kind:     global_buffer
      - .actual_access:  read_only
        .address_space:  global
        .offset:         32
        .size:           8
        .value_kind:     global_buffer
      - .actual_access:  read_only
        .address_space:  global
        .offset:         40
        .size:           8
        .value_kind:     global_buffer
      - .address_space:  global
        .offset:         48
        .size:           8
        .value_kind:     global_buffer
      - .address_space:  global
        .offset:         56
        .size:           8
        .value_kind:     global_buffer
      - .address_space:  global
        .offset:         64
        .size:           8
        .value_kind:     global_buffer
      - .offset:         72
        .size:           4
        .value_kind:     by_value
      - .offset:         80
        .size:           4
        .value_kind:     hidden_block_count_x
      - .offset:         84
        .size:           4
        .value_kind:     hidden_block_count_y
      - .offset:         88
        .size:           4
        .value_kind:     hidden_block_count_z
      - .offset:         92
        .size:           2
        .value_kind:     hidden_group_size_x
      - .offset:         94
        .size:           2
        .value_kind:     hidden_group_size_y
      - .offset:         96
        .size:           2
        .value_kind:     hidden_group_size_z
      - .offset:         98
        .size:           2
        .value_kind:     hidden_remainder_x
      - .offset:         100
        .size:           2
        .value_kind:     hidden_remainder_y
      - .offset:         102
        .size:           2
        .value_kind:     hidden_remainder_z
      - .offset:         120
        .size:           8
        .value_kind:     hidden_global_offset_x
      - .offset:         128
        .size:           8
        .value_kind:     hidden_global_offset_y
      - .offset:         136
        .size:           8
        .value_kind:     hidden_global_offset_z
      - .offset:         144
        .size:           2
        .value_kind:     hidden_grid_dims
      - .offset:         160
        .size:           8
        .value_kind:     hidden_hostcall_buffer
    .group_segment_fixed_size: 0
    .kernarg_segment_align: 8
    .kernarg_segment_size: 336
    .language:       OpenCL C
    .language_version:
      - 2
      - 0
    .max_flat_workgroup_size: 1024
    .name:           _Z11wvSplitKrc_I6__halfLi64ELi16ELi4ELi8ELi1ELi32ELi2ELi1ELi1EEviiiiiiPKT_S3_S3_PfPiPS1_i
    .private_segment_fixed_size: 64
    .sgpr_count:     36
    .sgpr_spill_count: 0
    .symbol:         _Z11wvSplitKrc_I6__halfLi64ELi16ELi4ELi8ELi1ELi32ELi2ELi1ELi1EEviiiiiiPKT_S3_S3_PfPiPS1_i.kd
    .uniform_work_group_size: 1
    .uses_dynamic_stack: false
    .vgpr_count:     50
    .vgpr_spill_count: 0
    .wavefront_size: 32
    .workgroup_processor_mode: 1
  - .args:
      - .offset:         0
        .size:           4
        .value_kind:     by_value
      - .offset:         4
        .size:           4
        .value_kind:     by_value
      - .offset:         8
        .size:           4
        .value_kind:     by_value
      - .offset:         12
        .size:           4
        .value_kind:     by_value
      - .offset:         16
        .size:           4
        .value_kind:     by_value
      - .offset:         20
        .size:           4
        .value_kind:     by_value
      - .address_space:  global
        .offset:         24
        .size:           8
        .value_kind:     global_buffer
      - .actual_access:  read_only
        .address_space:  global
        .offset:         32
        .size:           8
        .value_kind:     global_buffer
      - .actual_access:  read_only
        .address_space:  global
        .offset:         40
        .size:           8
        .value_kind:     global_buffer
      - .address_space:  global
        .offset:         48
        .size:           8
        .value_kind:     global_buffer
      - .address_space:  global
        .offset:         56
        .size:           8
        .value_kind:     global_buffer
      - .address_space:  global
        .offset:         64
        .size:           8
        .value_kind:     global_buffer
      - .offset:         72
        .size:           4
        .value_kind:     by_value
      - .offset:         80
        .size:           4
        .value_kind:     hidden_block_count_x
      - .offset:         84
        .size:           4
        .value_kind:     hidden_block_count_y
      - .offset:         88
        .size:           4
        .value_kind:     hidden_block_count_z
      - .offset:         92
        .size:           2
        .value_kind:     hidden_group_size_x
      - .offset:         94
        .size:           2
        .value_kind:     hidden_group_size_y
      - .offset:         96
        .size:           2
        .value_kind:     hidden_group_size_z
      - .offset:         98
        .size:           2
        .value_kind:     hidden_remainder_x
      - .offset:         100
        .size:           2
        .value_kind:     hidden_remainder_y
      - .offset:         102
        .size:           2
        .value_kind:     hidden_remainder_z
      - .offset:         120
        .size:           8
        .value_kind:     hidden_global_offset_x
      - .offset:         128
        .size:           8
        .value_kind:     hidden_global_offset_y
      - .offset:         136
        .size:           8
        .value_kind:     hidden_global_offset_z
      - .offset:         144
        .size:           2
        .value_kind:     hidden_grid_dims
      - .offset:         160
        .size:           8
        .value_kind:     hidden_hostcall_buffer
    .group_segment_fixed_size: 0
    .kernarg_segment_align: 8
    .kernarg_segment_size: 336
    .language:       OpenCL C
    .language_version:
      - 2
      - 0
    .max_flat_workgroup_size: 1024
    .name:           _Z11wvSplitKrc_I6__halfLi64ELi16ELi4ELi8ELi1ELi32ELi2ELi1ELi0EEviiiiiiPKT_S3_S3_PfPiPS1_i
    .private_segment_fixed_size: 64
    .sgpr_count:     36
    .sgpr_spill_count: 0
    .symbol:         _Z11wvSplitKrc_I6__halfLi64ELi16ELi4ELi8ELi1ELi32ELi2ELi1ELi0EEviiiiiiPKT_S3_S3_PfPiPS1_i.kd
    .uniform_work_group_size: 1
    .uses_dynamic_stack: false
    .vgpr_count:     50
    .vgpr_spill_count: 0
    .wavefront_size: 32
    .workgroup_processor_mode: 1
  - .args:
      - .offset:         0
        .size:           4
        .value_kind:     by_value
      - .offset:         4
        .size:           4
        .value_kind:     by_value
      - .offset:         8
        .size:           4
        .value_kind:     by_value
      - .offset:         12
        .size:           4
        .value_kind:     by_value
      - .offset:         16
        .size:           4
        .value_kind:     by_value
      - .offset:         20
        .size:           4
        .value_kind:     by_value
      - .address_space:  global
        .offset:         24
        .size:           8
        .value_kind:     global_buffer
      - .actual_access:  read_only
        .address_space:  global
        .offset:         32
        .size:           8
        .value_kind:     global_buffer
      - .actual_access:  read_only
        .address_space:  global
        .offset:         40
        .size:           8
        .value_kind:     global_buffer
      - .address_space:  global
        .offset:         48
        .size:           8
        .value_kind:     global_buffer
      - .address_space:  global
        .offset:         56
        .size:           8
        .value_kind:     global_buffer
      - .address_space:  global
        .offset:         64
        .size:           8
        .value_kind:     global_buffer
      - .offset:         72
        .size:           4
        .value_kind:     by_value
      - .offset:         80
        .size:           4
        .value_kind:     hidden_block_count_x
      - .offset:         84
        .size:           4
        .value_kind:     hidden_block_count_y
      - .offset:         88
        .size:           4
        .value_kind:     hidden_block_count_z
      - .offset:         92
        .size:           2
        .value_kind:     hidden_group_size_x
      - .offset:         94
        .size:           2
        .value_kind:     hidden_group_size_y
      - .offset:         96
        .size:           2
        .value_kind:     hidden_group_size_z
      - .offset:         98
        .size:           2
        .value_kind:     hidden_remainder_x
      - .offset:         100
        .size:           2
        .value_kind:     hidden_remainder_y
      - .offset:         102
        .size:           2
        .value_kind:     hidden_remainder_z
      - .offset:         120
        .size:           8
        .value_kind:     hidden_global_offset_x
      - .offset:         128
        .size:           8
        .value_kind:     hidden_global_offset_y
      - .offset:         136
        .size:           8
        .value_kind:     hidden_global_offset_z
      - .offset:         144
        .size:           2
        .value_kind:     hidden_grid_dims
      - .offset:         160
        .size:           8
        .value_kind:     hidden_hostcall_buffer
    .group_segment_fixed_size: 0
    .kernarg_segment_align: 8
    .kernarg_segment_size: 336
    .language:       OpenCL C
    .language_version:
      - 2
      - 0
    .max_flat_workgroup_size: 1024
    .name:           _Z11wvSplitKrc_I6__halfLi64ELi16ELi4ELi8ELi1ELi64ELi4ELi2ELi1EEviiiiiiPKT_S3_S3_PfPiPS1_i
    .private_segment_fixed_size: 64
    .sgpr_count:     36
    .sgpr_spill_count: 0
    .symbol:         _Z11wvSplitKrc_I6__halfLi64ELi16ELi4ELi8ELi1ELi64ELi4ELi2ELi1EEviiiiiiPKT_S3_S3_PfPiPS1_i.kd
    .uniform_work_group_size: 1
    .uses_dynamic_stack: false
    .vgpr_count:     50
    .vgpr_spill_count: 0
    .wavefront_size: 32
    .workgroup_processor_mode: 1
  - .args:
      - .offset:         0
        .size:           4
        .value_kind:     by_value
      - .offset:         4
        .size:           4
        .value_kind:     by_value
      - .offset:         8
        .size:           4
        .value_kind:     by_value
      - .offset:         12
        .size:           4
        .value_kind:     by_value
      - .offset:         16
        .size:           4
        .value_kind:     by_value
      - .offset:         20
        .size:           4
        .value_kind:     by_value
      - .address_space:  global
        .offset:         24
        .size:           8
        .value_kind:     global_buffer
      - .actual_access:  read_only
        .address_space:  global
        .offset:         32
        .size:           8
        .value_kind:     global_buffer
      - .actual_access:  read_only
        .address_space:  global
        .offset:         40
        .size:           8
        .value_kind:     global_buffer
      - .address_space:  global
        .offset:         48
        .size:           8
        .value_kind:     global_buffer
      - .address_space:  global
        .offset:         56
        .size:           8
        .value_kind:     global_buffer
      - .address_space:  global
        .offset:         64
        .size:           8
        .value_kind:     global_buffer
      - .offset:         72
        .size:           4
        .value_kind:     by_value
      - .offset:         80
        .size:           4
        .value_kind:     hidden_block_count_x
      - .offset:         84
        .size:           4
        .value_kind:     hidden_block_count_y
      - .offset:         88
        .size:           4
        .value_kind:     hidden_block_count_z
      - .offset:         92
        .size:           2
        .value_kind:     hidden_group_size_x
      - .offset:         94
        .size:           2
        .value_kind:     hidden_group_size_y
      - .offset:         96
        .size:           2
        .value_kind:     hidden_group_size_z
      - .offset:         98
        .size:           2
        .value_kind:     hidden_remainder_x
      - .offset:         100
        .size:           2
        .value_kind:     hidden_remainder_y
      - .offset:         102
        .size:           2
        .value_kind:     hidden_remainder_z
      - .offset:         120
        .size:           8
        .value_kind:     hidden_global_offset_x
      - .offset:         128
        .size:           8
        .value_kind:     hidden_global_offset_y
      - .offset:         136
        .size:           8
        .value_kind:     hidden_global_offset_z
      - .offset:         144
        .size:           2
        .value_kind:     hidden_grid_dims
      - .offset:         160
        .size:           8
        .value_kind:     hidden_hostcall_buffer
    .group_segment_fixed_size: 0
    .kernarg_segment_align: 8
    .kernarg_segment_size: 336
    .language:       OpenCL C
    .language_version:
      - 2
      - 0
    .max_flat_workgroup_size: 1024
    .name:           _Z11wvSplitKrc_I6__halfLi64ELi16ELi4ELi8ELi1ELi64ELi4ELi2ELi0EEviiiiiiPKT_S3_S3_PfPiPS1_i
    .private_segment_fixed_size: 64
    .sgpr_count:     36
    .sgpr_spill_count: 0
    .symbol:         _Z11wvSplitKrc_I6__halfLi64ELi16ELi4ELi8ELi1ELi64ELi4ELi2ELi0EEviiiiiiPKT_S3_S3_PfPiPS1_i.kd
    .uniform_work_group_size: 1
    .uses_dynamic_stack: false
    .vgpr_count:     50
    .vgpr_spill_count: 0
    .wavefront_size: 32
    .workgroup_processor_mode: 1
  - .args:
      - .offset:         0
        .size:           4
        .value_kind:     by_value
      - .offset:         4
        .size:           4
        .value_kind:     by_value
      - .offset:         8
        .size:           4
        .value_kind:     by_value
      - .offset:         12
        .size:           4
        .value_kind:     by_value
      - .offset:         16
        .size:           4
        .value_kind:     by_value
      - .offset:         20
        .size:           4
        .value_kind:     by_value
      - .address_space:  global
        .offset:         24
        .size:           8
        .value_kind:     global_buffer
      - .actual_access:  read_only
        .address_space:  global
        .offset:         32
        .size:           8
        .value_kind:     global_buffer
      - .actual_access:  read_only
        .address_space:  global
        .offset:         40
        .size:           8
        .value_kind:     global_buffer
      - .address_space:  global
        .offset:         48
        .size:           8
        .value_kind:     global_buffer
      - .address_space:  global
        .offset:         56
        .size:           8
        .value_kind:     global_buffer
      - .address_space:  global
        .offset:         64
        .size:           8
        .value_kind:     global_buffer
      - .offset:         72
        .size:           4
        .value_kind:     by_value
      - .offset:         80
        .size:           4
        .value_kind:     hidden_block_count_x
      - .offset:         84
        .size:           4
        .value_kind:     hidden_block_count_y
      - .offset:         88
        .size:           4
        .value_kind:     hidden_block_count_z
      - .offset:         92
        .size:           2
        .value_kind:     hidden_group_size_x
      - .offset:         94
        .size:           2
        .value_kind:     hidden_group_size_y
      - .offset:         96
        .size:           2
        .value_kind:     hidden_group_size_z
      - .offset:         98
        .size:           2
        .value_kind:     hidden_remainder_x
      - .offset:         100
        .size:           2
        .value_kind:     hidden_remainder_y
      - .offset:         102
        .size:           2
        .value_kind:     hidden_remainder_z
      - .offset:         120
        .size:           8
        .value_kind:     hidden_global_offset_x
      - .offset:         128
        .size:           8
        .value_kind:     hidden_global_offset_y
      - .offset:         136
        .size:           8
        .value_kind:     hidden_global_offset_z
      - .offset:         144
        .size:           2
        .value_kind:     hidden_grid_dims
      - .offset:         160
        .size:           8
        .value_kind:     hidden_hostcall_buffer
    .group_segment_fixed_size: 0
    .kernarg_segment_align: 8
    .kernarg_segment_size: 336
    .language:       OpenCL C
    .language_version:
      - 2
      - 0
    .max_flat_workgroup_size: 1024
    .name:           _Z11wvSplitKrc_I6__halfLi64ELi16ELi4ELi8ELi1ELi64ELi4ELi1ELi1EEviiiiiiPKT_S3_S3_PfPiPS1_i
    .private_segment_fixed_size: 64
    .sgpr_count:     36
    .sgpr_spill_count: 0
    .symbol:         _Z11wvSplitKrc_I6__halfLi64ELi16ELi4ELi8ELi1ELi64ELi4ELi1ELi1EEviiiiiiPKT_S3_S3_PfPiPS1_i.kd
    .uniform_work_group_size: 1
    .uses_dynamic_stack: false
    .vgpr_count:     50
    .vgpr_spill_count: 0
    .wavefront_size: 32
    .workgroup_processor_mode: 1
  - .args:
      - .offset:         0
        .size:           4
        .value_kind:     by_value
      - .offset:         4
        .size:           4
        .value_kind:     by_value
      - .offset:         8
        .size:           4
        .value_kind:     by_value
      - .offset:         12
        .size:           4
        .value_kind:     by_value
      - .offset:         16
        .size:           4
        .value_kind:     by_value
      - .offset:         20
        .size:           4
        .value_kind:     by_value
      - .address_space:  global
        .offset:         24
        .size:           8
        .value_kind:     global_buffer
      - .actual_access:  read_only
        .address_space:  global
        .offset:         32
        .size:           8
        .value_kind:     global_buffer
      - .actual_access:  read_only
        .address_space:  global
        .offset:         40
        .size:           8
        .value_kind:     global_buffer
      - .address_space:  global
        .offset:         48
        .size:           8
        .value_kind:     global_buffer
      - .address_space:  global
        .offset:         56
        .size:           8
        .value_kind:     global_buffer
      - .address_space:  global
        .offset:         64
        .size:           8
        .value_kind:     global_buffer
      - .offset:         72
        .size:           4
        .value_kind:     by_value
      - .offset:         80
        .size:           4
        .value_kind:     hidden_block_count_x
      - .offset:         84
        .size:           4
        .value_kind:     hidden_block_count_y
      - .offset:         88
        .size:           4
        .value_kind:     hidden_block_count_z
      - .offset:         92
        .size:           2
        .value_kind:     hidden_group_size_x
      - .offset:         94
        .size:           2
        .value_kind:     hidden_group_size_y
      - .offset:         96
        .size:           2
        .value_kind:     hidden_group_size_z
      - .offset:         98
        .size:           2
        .value_kind:     hidden_remainder_x
      - .offset:         100
        .size:           2
        .value_kind:     hidden_remainder_y
      - .offset:         102
        .size:           2
        .value_kind:     hidden_remainder_z
      - .offset:         120
        .size:           8
        .value_kind:     hidden_global_offset_x
      - .offset:         128
        .size:           8
        .value_kind:     hidden_global_offset_y
      - .offset:         136
        .size:           8
        .value_kind:     hidden_global_offset_z
      - .offset:         144
        .size:           2
        .value_kind:     hidden_grid_dims
      - .offset:         160
        .size:           8
        .value_kind:     hidden_hostcall_buffer
    .group_segment_fixed_size: 0
    .kernarg_segment_align: 8
    .kernarg_segment_size: 336
    .language:       OpenCL C
    .language_version:
      - 2
      - 0
    .max_flat_workgroup_size: 1024
    .name:           _Z11wvSplitKrc_I6__halfLi64ELi16ELi4ELi8ELi1ELi64ELi4ELi1ELi0EEviiiiiiPKT_S3_S3_PfPiPS1_i
    .private_segment_fixed_size: 64
    .sgpr_count:     36
    .sgpr_spill_count: 0
    .symbol:         _Z11wvSplitKrc_I6__halfLi64ELi16ELi4ELi8ELi1ELi64ELi4ELi1ELi0EEviiiiiiPKT_S3_S3_PfPiPS1_i.kd
    .uniform_work_group_size: 1
    .uses_dynamic_stack: false
    .vgpr_count:     50
    .vgpr_spill_count: 0
    .wavefront_size: 32
    .workgroup_processor_mode: 1
  - .args:
      - .offset:         0
        .size:           4
        .value_kind:     by_value
      - .offset:         4
        .size:           4
        .value_kind:     by_value
      - .offset:         8
        .size:           4
        .value_kind:     by_value
      - .offset:         12
        .size:           4
        .value_kind:     by_value
      - .offset:         16
        .size:           4
        .value_kind:     by_value
      - .offset:         20
        .size:           4
        .value_kind:     by_value
      - .address_space:  global
        .offset:         24
        .size:           8
        .value_kind:     global_buffer
      - .actual_access:  read_only
        .address_space:  global
        .offset:         32
        .size:           8
        .value_kind:     global_buffer
      - .actual_access:  read_only
        .address_space:  global
        .offset:         40
        .size:           8
        .value_kind:     global_buffer
      - .address_space:  global
        .offset:         48
        .size:           8
        .value_kind:     global_buffer
      - .address_space:  global
        .offset:         56
        .size:           8
        .value_kind:     global_buffer
      - .address_space:  global
        .offset:         64
        .size:           8
        .value_kind:     global_buffer
      - .offset:         72
        .size:           4
        .value_kind:     by_value
      - .offset:         80
        .size:           4
        .value_kind:     hidden_block_count_x
      - .offset:         84
        .size:           4
        .value_kind:     hidden_block_count_y
      - .offset:         88
        .size:           4
        .value_kind:     hidden_block_count_z
      - .offset:         92
        .size:           2
        .value_kind:     hidden_group_size_x
      - .offset:         94
        .size:           2
        .value_kind:     hidden_group_size_y
      - .offset:         96
        .size:           2
        .value_kind:     hidden_group_size_z
      - .offset:         98
        .size:           2
        .value_kind:     hidden_remainder_x
      - .offset:         100
        .size:           2
        .value_kind:     hidden_remainder_y
      - .offset:         102
        .size:           2
        .value_kind:     hidden_remainder_z
      - .offset:         120
        .size:           8
        .value_kind:     hidden_global_offset_x
      - .offset:         128
        .size:           8
        .value_kind:     hidden_global_offset_y
      - .offset:         136
        .size:           8
        .value_kind:     hidden_global_offset_z
      - .offset:         144
        .size:           2
        .value_kind:     hidden_grid_dims
      - .offset:         160
        .size:           8
        .value_kind:     hidden_hostcall_buffer
    .group_segment_fixed_size: 0
    .kernarg_segment_align: 8
    .kernarg_segment_size: 336
    .language:       OpenCL C
    .language_version:
      - 2
      - 0
    .max_flat_workgroup_size: 1024
    .name:           _Z11wvSplitKrc_I6__halfLi64ELi16ELi4ELi8ELi1ELi128ELi4ELi2ELi1EEviiiiiiPKT_S3_S3_PfPiPS1_i
    .private_segment_fixed_size: 64
    .sgpr_count:     36
    .sgpr_spill_count: 0
    .symbol:         _Z11wvSplitKrc_I6__halfLi64ELi16ELi4ELi8ELi1ELi128ELi4ELi2ELi1EEviiiiiiPKT_S3_S3_PfPiPS1_i.kd
    .uniform_work_group_size: 1
    .uses_dynamic_stack: false
    .vgpr_count:     50
    .vgpr_spill_count: 0
    .wavefront_size: 32
    .workgroup_processor_mode: 1
  - .args:
      - .offset:         0
        .size:           4
        .value_kind:     by_value
      - .offset:         4
        .size:           4
        .value_kind:     by_value
      - .offset:         8
        .size:           4
        .value_kind:     by_value
      - .offset:         12
        .size:           4
        .value_kind:     by_value
      - .offset:         16
        .size:           4
        .value_kind:     by_value
      - .offset:         20
        .size:           4
        .value_kind:     by_value
      - .address_space:  global
        .offset:         24
        .size:           8
        .value_kind:     global_buffer
      - .actual_access:  read_only
        .address_space:  global
        .offset:         32
        .size:           8
        .value_kind:     global_buffer
      - .actual_access:  read_only
        .address_space:  global
        .offset:         40
        .size:           8
        .value_kind:     global_buffer
      - .address_space:  global
        .offset:         48
        .size:           8
        .value_kind:     global_buffer
      - .address_space:  global
        .offset:         56
        .size:           8
        .value_kind:     global_buffer
      - .address_space:  global
        .offset:         64
        .size:           8
        .value_kind:     global_buffer
      - .offset:         72
        .size:           4
        .value_kind:     by_value
      - .offset:         80
        .size:           4
        .value_kind:     hidden_block_count_x
      - .offset:         84
        .size:           4
        .value_kind:     hidden_block_count_y
      - .offset:         88
        .size:           4
        .value_kind:     hidden_block_count_z
      - .offset:         92
        .size:           2
        .value_kind:     hidden_group_size_x
      - .offset:         94
        .size:           2
        .value_kind:     hidden_group_size_y
      - .offset:         96
        .size:           2
        .value_kind:     hidden_group_size_z
      - .offset:         98
        .size:           2
        .value_kind:     hidden_remainder_x
      - .offset:         100
        .size:           2
        .value_kind:     hidden_remainder_y
      - .offset:         102
        .size:           2
        .value_kind:     hidden_remainder_z
      - .offset:         120
        .size:           8
        .value_kind:     hidden_global_offset_x
      - .offset:         128
        .size:           8
        .value_kind:     hidden_global_offset_y
      - .offset:         136
        .size:           8
        .value_kind:     hidden_global_offset_z
      - .offset:         144
        .size:           2
        .value_kind:     hidden_grid_dims
      - .offset:         160
        .size:           8
        .value_kind:     hidden_hostcall_buffer
    .group_segment_fixed_size: 0
    .kernarg_segment_align: 8
    .kernarg_segment_size: 336
    .language:       OpenCL C
    .language_version:
      - 2
      - 0
    .max_flat_workgroup_size: 1024
    .name:           _Z11wvSplitKrc_I6__halfLi64ELi16ELi4ELi8ELi1ELi128ELi4ELi2ELi0EEviiiiiiPKT_S3_S3_PfPiPS1_i
    .private_segment_fixed_size: 64
    .sgpr_count:     36
    .sgpr_spill_count: 0
    .symbol:         _Z11wvSplitKrc_I6__halfLi64ELi16ELi4ELi8ELi1ELi128ELi4ELi2ELi0EEviiiiiiPKT_S3_S3_PfPiPS1_i.kd
    .uniform_work_group_size: 1
    .uses_dynamic_stack: false
    .vgpr_count:     50
    .vgpr_spill_count: 0
    .wavefront_size: 32
    .workgroup_processor_mode: 1
  - .args:
      - .offset:         0
        .size:           4
        .value_kind:     by_value
      - .offset:         4
        .size:           4
        .value_kind:     by_value
      - .offset:         8
        .size:           4
        .value_kind:     by_value
      - .offset:         12
        .size:           4
        .value_kind:     by_value
      - .offset:         16
        .size:           4
        .value_kind:     by_value
      - .offset:         20
        .size:           4
        .value_kind:     by_value
      - .address_space:  global
        .offset:         24
        .size:           8
        .value_kind:     global_buffer
      - .actual_access:  read_only
        .address_space:  global
        .offset:         32
        .size:           8
        .value_kind:     global_buffer
      - .actual_access:  read_only
        .address_space:  global
        .offset:         40
        .size:           8
        .value_kind:     global_buffer
      - .address_space:  global
        .offset:         48
        .size:           8
        .value_kind:     global_buffer
      - .address_space:  global
        .offset:         56
        .size:           8
        .value_kind:     global_buffer
      - .address_space:  global
        .offset:         64
        .size:           8
        .value_kind:     global_buffer
      - .offset:         72
        .size:           4
        .value_kind:     by_value
      - .offset:         80
        .size:           4
        .value_kind:     hidden_block_count_x
      - .offset:         84
        .size:           4
        .value_kind:     hidden_block_count_y
      - .offset:         88
        .size:           4
        .value_kind:     hidden_block_count_z
      - .offset:         92
        .size:           2
        .value_kind:     hidden_group_size_x
      - .offset:         94
        .size:           2
        .value_kind:     hidden_group_size_y
      - .offset:         96
        .size:           2
        .value_kind:     hidden_group_size_z
      - .offset:         98
        .size:           2
        .value_kind:     hidden_remainder_x
      - .offset:         100
        .size:           2
        .value_kind:     hidden_remainder_y
      - .offset:         102
        .size:           2
        .value_kind:     hidden_remainder_z
      - .offset:         120
        .size:           8
        .value_kind:     hidden_global_offset_x
      - .offset:         128
        .size:           8
        .value_kind:     hidden_global_offset_y
      - .offset:         136
        .size:           8
        .value_kind:     hidden_global_offset_z
      - .offset:         144
        .size:           2
        .value_kind:     hidden_grid_dims
      - .offset:         160
        .size:           8
        .value_kind:     hidden_hostcall_buffer
    .group_segment_fixed_size: 0
    .kernarg_segment_align: 8
    .kernarg_segment_size: 336
    .language:       OpenCL C
    .language_version:
      - 2
      - 0
    .max_flat_workgroup_size: 1024
    .name:           _Z11wvSplitKrc_I6__halfLi64ELi16ELi4ELi8ELi1ELi128ELi4ELi1ELi1EEviiiiiiPKT_S3_S3_PfPiPS1_i
    .private_segment_fixed_size: 64
    .sgpr_count:     36
    .sgpr_spill_count: 0
    .symbol:         _Z11wvSplitKrc_I6__halfLi64ELi16ELi4ELi8ELi1ELi128ELi4ELi1ELi1EEviiiiiiPKT_S3_S3_PfPiPS1_i.kd
    .uniform_work_group_size: 1
    .uses_dynamic_stack: false
    .vgpr_count:     50
    .vgpr_spill_count: 0
    .wavefront_size: 32
    .workgroup_processor_mode: 1
  - .args:
      - .offset:         0
        .size:           4
        .value_kind:     by_value
      - .offset:         4
        .size:           4
        .value_kind:     by_value
      - .offset:         8
        .size:           4
        .value_kind:     by_value
      - .offset:         12
        .size:           4
        .value_kind:     by_value
      - .offset:         16
        .size:           4
        .value_kind:     by_value
      - .offset:         20
        .size:           4
        .value_kind:     by_value
      - .address_space:  global
        .offset:         24
        .size:           8
        .value_kind:     global_buffer
      - .actual_access:  read_only
        .address_space:  global
        .offset:         32
        .size:           8
        .value_kind:     global_buffer
      - .actual_access:  read_only
        .address_space:  global
        .offset:         40
        .size:           8
        .value_kind:     global_buffer
      - .address_space:  global
        .offset:         48
        .size:           8
        .value_kind:     global_buffer
      - .address_space:  global
        .offset:         56
        .size:           8
        .value_kind:     global_buffer
      - .address_space:  global
        .offset:         64
        .size:           8
        .value_kind:     global_buffer
      - .offset:         72
        .size:           4
        .value_kind:     by_value
      - .offset:         80
        .size:           4
        .value_kind:     hidden_block_count_x
      - .offset:         84
        .size:           4
        .value_kind:     hidden_block_count_y
      - .offset:         88
        .size:           4
        .value_kind:     hidden_block_count_z
      - .offset:         92
        .size:           2
        .value_kind:     hidden_group_size_x
      - .offset:         94
        .size:           2
        .value_kind:     hidden_group_size_y
      - .offset:         96
        .size:           2
        .value_kind:     hidden_group_size_z
      - .offset:         98
        .size:           2
        .value_kind:     hidden_remainder_x
      - .offset:         100
        .size:           2
        .value_kind:     hidden_remainder_y
      - .offset:         102
        .size:           2
        .value_kind:     hidden_remainder_z
      - .offset:         120
        .size:           8
        .value_kind:     hidden_global_offset_x
      - .offset:         128
        .size:           8
        .value_kind:     hidden_global_offset_y
      - .offset:         136
        .size:           8
        .value_kind:     hidden_global_offset_z
      - .offset:         144
        .size:           2
        .value_kind:     hidden_grid_dims
      - .offset:         160
        .size:           8
        .value_kind:     hidden_hostcall_buffer
    .group_segment_fixed_size: 0
    .kernarg_segment_align: 8
    .kernarg_segment_size: 336
    .language:       OpenCL C
    .language_version:
      - 2
      - 0
    .max_flat_workgroup_size: 1024
    .name:           _Z11wvSplitKrc_I6__halfLi64ELi16ELi4ELi8ELi1ELi128ELi4ELi1ELi0EEviiiiiiPKT_S3_S3_PfPiPS1_i
    .private_segment_fixed_size: 64
    .sgpr_count:     36
    .sgpr_spill_count: 0
    .symbol:         _Z11wvSplitKrc_I6__halfLi64ELi16ELi4ELi8ELi1ELi128ELi4ELi1ELi0EEviiiiiiPKT_S3_S3_PfPiPS1_i.kd
    .uniform_work_group_size: 1
    .uses_dynamic_stack: false
    .vgpr_count:     50
    .vgpr_spill_count: 0
    .wavefront_size: 32
    .workgroup_processor_mode: 1
  - .args:
      - .offset:         0
        .size:           4
        .value_kind:     by_value
      - .offset:         4
        .size:           4
        .value_kind:     by_value
      - .offset:         8
        .size:           4
        .value_kind:     by_value
      - .offset:         12
        .size:           4
        .value_kind:     by_value
      - .offset:         16
        .size:           4
        .value_kind:     by_value
      - .offset:         20
        .size:           4
        .value_kind:     by_value
      - .address_space:  global
        .offset:         24
        .size:           8
        .value_kind:     global_buffer
      - .actual_access:  read_only
        .address_space:  global
        .offset:         32
        .size:           8
        .value_kind:     global_buffer
      - .actual_access:  read_only
        .address_space:  global
        .offset:         40
        .size:           8
        .value_kind:     global_buffer
      - .address_space:  global
        .offset:         48
        .size:           8
        .value_kind:     global_buffer
      - .address_space:  global
        .offset:         56
        .size:           8
        .value_kind:     global_buffer
      - .address_space:  global
        .offset:         64
        .size:           8
        .value_kind:     global_buffer
      - .offset:         72
        .size:           4
        .value_kind:     by_value
      - .offset:         80
        .size:           4
        .value_kind:     hidden_block_count_x
      - .offset:         84
        .size:           4
        .value_kind:     hidden_block_count_y
      - .offset:         88
        .size:           4
        .value_kind:     hidden_block_count_z
      - .offset:         92
        .size:           2
        .value_kind:     hidden_group_size_x
      - .offset:         94
        .size:           2
        .value_kind:     hidden_group_size_y
      - .offset:         96
        .size:           2
        .value_kind:     hidden_group_size_z
      - .offset:         98
        .size:           2
        .value_kind:     hidden_remainder_x
      - .offset:         100
        .size:           2
        .value_kind:     hidden_remainder_y
      - .offset:         102
        .size:           2
        .value_kind:     hidden_remainder_z
      - .offset:         120
        .size:           8
        .value_kind:     hidden_global_offset_x
      - .offset:         128
        .size:           8
        .value_kind:     hidden_global_offset_y
      - .offset:         136
        .size:           8
        .value_kind:     hidden_global_offset_z
      - .offset:         144
        .size:           2
        .value_kind:     hidden_grid_dims
      - .offset:         160
        .size:           8
        .value_kind:     hidden_hostcall_buffer
    .group_segment_fixed_size: 0
    .kernarg_segment_align: 8
    .kernarg_segment_size: 336
    .language:       OpenCL C
    .language_version:
      - 2
      - 0
    .max_flat_workgroup_size: 1024
    .name:           _Z11wvSplitKrc_I14__hip_bfloat16Li64ELi16ELi4ELi8ELi1ELi16ELi1ELi1ELi1EEviiiiiiPKT_S3_S3_PfPiPS1_i
    .private_segment_fixed_size: 64
    .sgpr_count:     36
    .sgpr_spill_count: 0
    .symbol:         _Z11wvSplitKrc_I14__hip_bfloat16Li64ELi16ELi4ELi8ELi1ELi16ELi1ELi1ELi1EEviiiiiiPKT_S3_S3_PfPiPS1_i.kd
    .uniform_work_group_size: 1
    .uses_dynamic_stack: false
    .vgpr_count:     50
    .vgpr_spill_count: 0
    .wavefront_size: 32
    .workgroup_processor_mode: 1
  - .args:
      - .offset:         0
        .size:           4
        .value_kind:     by_value
      - .offset:         4
        .size:           4
        .value_kind:     by_value
      - .offset:         8
        .size:           4
        .value_kind:     by_value
      - .offset:         12
        .size:           4
        .value_kind:     by_value
      - .offset:         16
        .size:           4
        .value_kind:     by_value
      - .offset:         20
        .size:           4
        .value_kind:     by_value
      - .address_space:  global
        .offset:         24
        .size:           8
        .value_kind:     global_buffer
      - .actual_access:  read_only
        .address_space:  global
        .offset:         32
        .size:           8
        .value_kind:     global_buffer
      - .actual_access:  read_only
        .address_space:  global
        .offset:         40
        .size:           8
        .value_kind:     global_buffer
      - .address_space:  global
        .offset:         48
        .size:           8
        .value_kind:     global_buffer
      - .address_space:  global
        .offset:         56
        .size:           8
        .value_kind:     global_buffer
      - .address_space:  global
        .offset:         64
        .size:           8
        .value_kind:     global_buffer
      - .offset:         72
        .size:           4
        .value_kind:     by_value
      - .offset:         80
        .size:           4
        .value_kind:     hidden_block_count_x
      - .offset:         84
        .size:           4
        .value_kind:     hidden_block_count_y
      - .offset:         88
        .size:           4
        .value_kind:     hidden_block_count_z
      - .offset:         92
        .size:           2
        .value_kind:     hidden_group_size_x
      - .offset:         94
        .size:           2
        .value_kind:     hidden_group_size_y
      - .offset:         96
        .size:           2
        .value_kind:     hidden_group_size_z
      - .offset:         98
        .size:           2
        .value_kind:     hidden_remainder_x
      - .offset:         100
        .size:           2
        .value_kind:     hidden_remainder_y
      - .offset:         102
        .size:           2
        .value_kind:     hidden_remainder_z
      - .offset:         120
        .size:           8
        .value_kind:     hidden_global_offset_x
      - .offset:         128
        .size:           8
        .value_kind:     hidden_global_offset_y
      - .offset:         136
        .size:           8
        .value_kind:     hidden_global_offset_z
      - .offset:         144
        .size:           2
        .value_kind:     hidden_grid_dims
      - .offset:         160
        .size:           8
        .value_kind:     hidden_hostcall_buffer
    .group_segment_fixed_size: 0
    .kernarg_segment_align: 8
    .kernarg_segment_size: 336
    .language:       OpenCL C
    .language_version:
      - 2
      - 0
    .max_flat_workgroup_size: 1024
    .name:           _Z11wvSplitKrc_I14__hip_bfloat16Li64ELi16ELi4ELi8ELi1ELi16ELi1ELi1ELi0EEviiiiiiPKT_S3_S3_PfPiPS1_i
    .private_segment_fixed_size: 64
    .sgpr_count:     36
    .sgpr_spill_count: 0
    .symbol:         _Z11wvSplitKrc_I14__hip_bfloat16Li64ELi16ELi4ELi8ELi1ELi16ELi1ELi1ELi0EEviiiiiiPKT_S3_S3_PfPiPS1_i.kd
    .uniform_work_group_size: 1
    .uses_dynamic_stack: false
    .vgpr_count:     50
    .vgpr_spill_count: 0
    .wavefront_size: 32
    .workgroup_processor_mode: 1
  - .args:
      - .offset:         0
        .size:           4
        .value_kind:     by_value
      - .offset:         4
        .size:           4
        .value_kind:     by_value
      - .offset:         8
        .size:           4
        .value_kind:     by_value
      - .offset:         12
        .size:           4
        .value_kind:     by_value
      - .offset:         16
        .size:           4
        .value_kind:     by_value
      - .offset:         20
        .size:           4
        .value_kind:     by_value
      - .address_space:  global
        .offset:         24
        .size:           8
        .value_kind:     global_buffer
      - .actual_access:  read_only
        .address_space:  global
        .offset:         32
        .size:           8
        .value_kind:     global_buffer
      - .actual_access:  read_only
        .address_space:  global
        .offset:         40
        .size:           8
        .value_kind:     global_buffer
      - .address_space:  global
        .offset:         48
        .size:           8
        .value_kind:     global_buffer
      - .address_space:  global
        .offset:         56
        .size:           8
        .value_kind:     global_buffer
      - .address_space:  global
        .offset:         64
        .size:           8
        .value_kind:     global_buffer
      - .offset:         72
        .size:           4
        .value_kind:     by_value
      - .offset:         80
        .size:           4
        .value_kind:     hidden_block_count_x
      - .offset:         84
        .size:           4
        .value_kind:     hidden_block_count_y
      - .offset:         88
        .size:           4
        .value_kind:     hidden_block_count_z
      - .offset:         92
        .size:           2
        .value_kind:     hidden_group_size_x
      - .offset:         94
        .size:           2
        .value_kind:     hidden_group_size_y
      - .offset:         96
        .size:           2
        .value_kind:     hidden_group_size_z
      - .offset:         98
        .size:           2
        .value_kind:     hidden_remainder_x
      - .offset:         100
        .size:           2
        .value_kind:     hidden_remainder_y
      - .offset:         102
        .size:           2
        .value_kind:     hidden_remainder_z
      - .offset:         120
        .size:           8
        .value_kind:     hidden_global_offset_x
      - .offset:         128
        .size:           8
        .value_kind:     hidden_global_offset_y
      - .offset:         136
        .size:           8
        .value_kind:     hidden_global_offset_z
      - .offset:         144
        .size:           2
        .value_kind:     hidden_grid_dims
      - .offset:         160
        .size:           8
        .value_kind:     hidden_hostcall_buffer
    .group_segment_fixed_size: 0
    .kernarg_segment_align: 8
    .kernarg_segment_size: 336
    .language:       OpenCL C
    .language_version:
      - 2
      - 0
    .max_flat_workgroup_size: 1024
    .name:           _Z11wvSplitKrc_I14__hip_bfloat16Li64ELi16ELi4ELi8ELi1ELi32ELi2ELi2ELi1EEviiiiiiPKT_S3_S3_PfPiPS1_i
    .private_segment_fixed_size: 64
    .sgpr_count:     36
    .sgpr_spill_count: 0
    .symbol:         _Z11wvSplitKrc_I14__hip_bfloat16Li64ELi16ELi4ELi8ELi1ELi32ELi2ELi2ELi1EEviiiiiiPKT_S3_S3_PfPiPS1_i.kd
    .uniform_work_group_size: 1
    .uses_dynamic_stack: false
    .vgpr_count:     50
    .vgpr_spill_count: 0
    .wavefront_size: 32
    .workgroup_processor_mode: 1
  - .args:
      - .offset:         0
        .size:           4
        .value_kind:     by_value
      - .offset:         4
        .size:           4
        .value_kind:     by_value
      - .offset:         8
        .size:           4
        .value_kind:     by_value
      - .offset:         12
        .size:           4
        .value_kind:     by_value
      - .offset:         16
        .size:           4
        .value_kind:     by_value
      - .offset:         20
        .size:           4
        .value_kind:     by_value
      - .address_space:  global
        .offset:         24
        .size:           8
        .value_kind:     global_buffer
      - .actual_access:  read_only
        .address_space:  global
        .offset:         32
        .size:           8
        .value_kind:     global_buffer
      - .actual_access:  read_only
        .address_space:  global
        .offset:         40
        .size:           8
        .value_kind:     global_buffer
      - .address_space:  global
        .offset:         48
        .size:           8
        .value_kind:     global_buffer
      - .address_space:  global
        .offset:         56
        .size:           8
        .value_kind:     global_buffer
      - .address_space:  global
        .offset:         64
        .size:           8
        .value_kind:     global_buffer
      - .offset:         72
        .size:           4
        .value_kind:     by_value
      - .offset:         80
        .size:           4
        .value_kind:     hidden_block_count_x
      - .offset:         84
        .size:           4
        .value_kind:     hidden_block_count_y
      - .offset:         88
        .size:           4
        .value_kind:     hidden_block_count_z
      - .offset:         92
        .size:           2
        .value_kind:     hidden_group_size_x
      - .offset:         94
        .size:           2
        .value_kind:     hidden_group_size_y
      - .offset:         96
        .size:           2
        .value_kind:     hidden_group_size_z
      - .offset:         98
        .size:           2
        .value_kind:     hidden_remainder_x
      - .offset:         100
        .size:           2
        .value_kind:     hidden_remainder_y
      - .offset:         102
        .size:           2
        .value_kind:     hidden_remainder_z
      - .offset:         120
        .size:           8
        .value_kind:     hidden_global_offset_x
      - .offset:         128
        .size:           8
        .value_kind:     hidden_global_offset_y
      - .offset:         136
        .size:           8
        .value_kind:     hidden_global_offset_z
      - .offset:         144
        .size:           2
        .value_kind:     hidden_grid_dims
      - .offset:         160
        .size:           8
        .value_kind:     hidden_hostcall_buffer
    .group_segment_fixed_size: 0
    .kernarg_segment_align: 8
    .kernarg_segment_size: 336
    .language:       OpenCL C
    .language_version:
      - 2
      - 0
    .max_flat_workgroup_size: 1024
    .name:           _Z11wvSplitKrc_I14__hip_bfloat16Li64ELi16ELi4ELi8ELi1ELi32ELi2ELi2ELi0EEviiiiiiPKT_S3_S3_PfPiPS1_i
    .private_segment_fixed_size: 64
    .sgpr_count:     36
    .sgpr_spill_count: 0
    .symbol:         _Z11wvSplitKrc_I14__hip_bfloat16Li64ELi16ELi4ELi8ELi1ELi32ELi2ELi2ELi0EEviiiiiiPKT_S3_S3_PfPiPS1_i.kd
    .uniform_work_group_size: 1
    .uses_dynamic_stack: false
    .vgpr_count:     50
    .vgpr_spill_count: 0
    .wavefront_size: 32
    .workgroup_processor_mode: 1
  - .args:
      - .offset:         0
        .size:           4
        .value_kind:     by_value
      - .offset:         4
        .size:           4
        .value_kind:     by_value
      - .offset:         8
        .size:           4
        .value_kind:     by_value
      - .offset:         12
        .size:           4
        .value_kind:     by_value
      - .offset:         16
        .size:           4
        .value_kind:     by_value
      - .offset:         20
        .size:           4
        .value_kind:     by_value
      - .address_space:  global
        .offset:         24
        .size:           8
        .value_kind:     global_buffer
      - .actual_access:  read_only
        .address_space:  global
        .offset:         32
        .size:           8
        .value_kind:     global_buffer
      - .actual_access:  read_only
        .address_space:  global
        .offset:         40
        .size:           8
        .value_kind:     global_buffer
      - .address_space:  global
        .offset:         48
        .size:           8
        .value_kind:     global_buffer
      - .address_space:  global
        .offset:         56
        .size:           8
        .value_kind:     global_buffer
      - .address_space:  global
        .offset:         64
        .size:           8
        .value_kind:     global_buffer
      - .offset:         72
        .size:           4
        .value_kind:     by_value
      - .offset:         80
        .size:           4
        .value_kind:     hidden_block_count_x
      - .offset:         84
        .size:           4
        .value_kind:     hidden_block_count_y
      - .offset:         88
        .size:           4
        .value_kind:     hidden_block_count_z
      - .offset:         92
        .size:           2
        .value_kind:     hidden_group_size_x
      - .offset:         94
        .size:           2
        .value_kind:     hidden_group_size_y
      - .offset:         96
        .size:           2
        .value_kind:     hidden_group_size_z
      - .offset:         98
        .size:           2
        .value_kind:     hidden_remainder_x
      - .offset:         100
        .size:           2
        .value_kind:     hidden_remainder_y
      - .offset:         102
        .size:           2
        .value_kind:     hidden_remainder_z
      - .offset:         120
        .size:           8
        .value_kind:     hidden_global_offset_x
      - .offset:         128
        .size:           8
        .value_kind:     hidden_global_offset_y
      - .offset:         136
        .size:           8
        .value_kind:     hidden_global_offset_z
      - .offset:         144
        .size:           2
        .value_kind:     hidden_grid_dims
      - .offset:         160
        .size:           8
        .value_kind:     hidden_hostcall_buffer
    .group_segment_fixed_size: 0
    .kernarg_segment_align: 8
    .kernarg_segment_size: 336
    .language:       OpenCL C
    .language_version:
      - 2
      - 0
    .max_flat_workgroup_size: 1024
    .name:           _Z11wvSplitKrc_I14__hip_bfloat16Li64ELi16ELi4ELi8ELi1ELi32ELi2ELi1ELi1EEviiiiiiPKT_S3_S3_PfPiPS1_i
    .private_segment_fixed_size: 64
    .sgpr_count:     36
    .sgpr_spill_count: 0
    .symbol:         _Z11wvSplitKrc_I14__hip_bfloat16Li64ELi16ELi4ELi8ELi1ELi32ELi2ELi1ELi1EEviiiiiiPKT_S3_S3_PfPiPS1_i.kd
    .uniform_work_group_size: 1
    .uses_dynamic_stack: false
    .vgpr_count:     50
    .vgpr_spill_count: 0
    .wavefront_size: 32
    .workgroup_processor_mode: 1
  - .args:
      - .offset:         0
        .size:           4
        .value_kind:     by_value
      - .offset:         4
        .size:           4
        .value_kind:     by_value
      - .offset:         8
        .size:           4
        .value_kind:     by_value
      - .offset:         12
        .size:           4
        .value_kind:     by_value
      - .offset:         16
        .size:           4
        .value_kind:     by_value
      - .offset:         20
        .size:           4
        .value_kind:     by_value
      - .address_space:  global
        .offset:         24
        .size:           8
        .value_kind:     global_buffer
      - .actual_access:  read_only
        .address_space:  global
        .offset:         32
        .size:           8
        .value_kind:     global_buffer
      - .actual_access:  read_only
        .address_space:  global
        .offset:         40
        .size:           8
        .value_kind:     global_buffer
      - .address_space:  global
        .offset:         48
        .size:           8
        .value_kind:     global_buffer
      - .address_space:  global
        .offset:         56
        .size:           8
        .value_kind:     global_buffer
      - .address_space:  global
        .offset:         64
        .size:           8
        .value_kind:     global_buffer
      - .offset:         72
        .size:           4
        .value_kind:     by_value
      - .offset:         80
        .size:           4
        .value_kind:     hidden_block_count_x
      - .offset:         84
        .size:           4
        .value_kind:     hidden_block_count_y
      - .offset:         88
        .size:           4
        .value_kind:     hidden_block_count_z
      - .offset:         92
        .size:           2
        .value_kind:     hidden_group_size_x
      - .offset:         94
        .size:           2
        .value_kind:     hidden_group_size_y
      - .offset:         96
        .size:           2
        .value_kind:     hidden_group_size_z
      - .offset:         98
        .size:           2
        .value_kind:     hidden_remainder_x
      - .offset:         100
        .size:           2
        .value_kind:     hidden_remainder_y
      - .offset:         102
        .size:           2
        .value_kind:     hidden_remainder_z
      - .offset:         120
        .size:           8
        .value_kind:     hidden_global_offset_x
      - .offset:         128
        .size:           8
        .value_kind:     hidden_global_offset_y
      - .offset:         136
        .size:           8
        .value_kind:     hidden_global_offset_z
      - .offset:         144
        .size:           2
        .value_kind:     hidden_grid_dims
      - .offset:         160
        .size:           8
        .value_kind:     hidden_hostcall_buffer
    .group_segment_fixed_size: 0
    .kernarg_segment_align: 8
    .kernarg_segment_size: 336
    .language:       OpenCL C
    .language_version:
      - 2
      - 0
    .max_flat_workgroup_size: 1024
    .name:           _Z11wvSplitKrc_I14__hip_bfloat16Li64ELi16ELi4ELi8ELi1ELi32ELi2ELi1ELi0EEviiiiiiPKT_S3_S3_PfPiPS1_i
    .private_segment_fixed_size: 64
    .sgpr_count:     36
    .sgpr_spill_count: 0
    .symbol:         _Z11wvSplitKrc_I14__hip_bfloat16Li64ELi16ELi4ELi8ELi1ELi32ELi2ELi1ELi0EEviiiiiiPKT_S3_S3_PfPiPS1_i.kd
    .uniform_work_group_size: 1
    .uses_dynamic_stack: false
    .vgpr_count:     50
    .vgpr_spill_count: 0
    .wavefront_size: 32
    .workgroup_processor_mode: 1
  - .args:
      - .offset:         0
        .size:           4
        .value_kind:     by_value
      - .offset:         4
        .size:           4
        .value_kind:     by_value
      - .offset:         8
        .size:           4
        .value_kind:     by_value
      - .offset:         12
        .size:           4
        .value_kind:     by_value
      - .offset:         16
        .size:           4
        .value_kind:     by_value
      - .offset:         20
        .size:           4
        .value_kind:     by_value
      - .address_space:  global
        .offset:         24
        .size:           8
        .value_kind:     global_buffer
      - .actual_access:  read_only
        .address_space:  global
        .offset:         32
        .size:           8
        .value_kind:     global_buffer
      - .actual_access:  read_only
        .address_space:  global
        .offset:         40
        .size:           8
        .value_kind:     global_buffer
      - .address_space:  global
        .offset:         48
        .size:           8
        .value_kind:     global_buffer
      - .address_space:  global
        .offset:         56
        .size:           8
        .value_kind:     global_buffer
      - .address_space:  global
        .offset:         64
        .size:           8
        .value_kind:     global_buffer
      - .offset:         72
        .size:           4
        .value_kind:     by_value
      - .offset:         80
        .size:           4
        .value_kind:     hidden_block_count_x
      - .offset:         84
        .size:           4
        .value_kind:     hidden_block_count_y
      - .offset:         88
        .size:           4
        .value_kind:     hidden_block_count_z
      - .offset:         92
        .size:           2
        .value_kind:     hidden_group_size_x
      - .offset:         94
        .size:           2
        .value_kind:     hidden_group_size_y
      - .offset:         96
        .size:           2
        .value_kind:     hidden_group_size_z
      - .offset:         98
        .size:           2
        .value_kind:     hidden_remainder_x
      - .offset:         100
        .size:           2
        .value_kind:     hidden_remainder_y
      - .offset:         102
        .size:           2
        .value_kind:     hidden_remainder_z
      - .offset:         120
        .size:           8
        .value_kind:     hidden_global_offset_x
      - .offset:         128
        .size:           8
        .value_kind:     hidden_global_offset_y
      - .offset:         136
        .size:           8
        .value_kind:     hidden_global_offset_z
      - .offset:         144
        .size:           2
        .value_kind:     hidden_grid_dims
      - .offset:         160
        .size:           8
        .value_kind:     hidden_hostcall_buffer
    .group_segment_fixed_size: 0
    .kernarg_segment_align: 8
    .kernarg_segment_size: 336
    .language:       OpenCL C
    .language_version:
      - 2
      - 0
    .max_flat_workgroup_size: 1024
    .name:           _Z11wvSplitKrc_I14__hip_bfloat16Li64ELi16ELi4ELi8ELi1ELi64ELi4ELi2ELi1EEviiiiiiPKT_S3_S3_PfPiPS1_i
    .private_segment_fixed_size: 64
    .sgpr_count:     36
    .sgpr_spill_count: 0
    .symbol:         _Z11wvSplitKrc_I14__hip_bfloat16Li64ELi16ELi4ELi8ELi1ELi64ELi4ELi2ELi1EEviiiiiiPKT_S3_S3_PfPiPS1_i.kd
    .uniform_work_group_size: 1
    .uses_dynamic_stack: false
    .vgpr_count:     50
    .vgpr_spill_count: 0
    .wavefront_size: 32
    .workgroup_processor_mode: 1
  - .args:
      - .offset:         0
        .size:           4
        .value_kind:     by_value
      - .offset:         4
        .size:           4
        .value_kind:     by_value
      - .offset:         8
        .size:           4
        .value_kind:     by_value
      - .offset:         12
        .size:           4
        .value_kind:     by_value
      - .offset:         16
        .size:           4
        .value_kind:     by_value
      - .offset:         20
        .size:           4
        .value_kind:     by_value
      - .address_space:  global
        .offset:         24
        .size:           8
        .value_kind:     global_buffer
      - .actual_access:  read_only
        .address_space:  global
        .offset:         32
        .size:           8
        .value_kind:     global_buffer
      - .actual_access:  read_only
        .address_space:  global
        .offset:         40
        .size:           8
        .value_kind:     global_buffer
      - .address_space:  global
        .offset:         48
        .size:           8
        .value_kind:     global_buffer
      - .address_space:  global
        .offset:         56
        .size:           8
        .value_kind:     global_buffer
      - .address_space:  global
        .offset:         64
        .size:           8
        .value_kind:     global_buffer
      - .offset:         72
        .size:           4
        .value_kind:     by_value
      - .offset:         80
        .size:           4
        .value_kind:     hidden_block_count_x
      - .offset:         84
        .size:           4
        .value_kind:     hidden_block_count_y
      - .offset:         88
        .size:           4
        .value_kind:     hidden_block_count_z
      - .offset:         92
        .size:           2
        .value_kind:     hidden_group_size_x
      - .offset:         94
        .size:           2
        .value_kind:     hidden_group_size_y
      - .offset:         96
        .size:           2
        .value_kind:     hidden_group_size_z
      - .offset:         98
        .size:           2
        .value_kind:     hidden_remainder_x
      - .offset:         100
        .size:           2
        .value_kind:     hidden_remainder_y
      - .offset:         102
        .size:           2
        .value_kind:     hidden_remainder_z
      - .offset:         120
        .size:           8
        .value_kind:     hidden_global_offset_x
      - .offset:         128
        .size:           8
        .value_kind:     hidden_global_offset_y
      - .offset:         136
        .size:           8
        .value_kind:     hidden_global_offset_z
      - .offset:         144
        .size:           2
        .value_kind:     hidden_grid_dims
      - .offset:         160
        .size:           8
        .value_kind:     hidden_hostcall_buffer
    .group_segment_fixed_size: 0
    .kernarg_segment_align: 8
    .kernarg_segment_size: 336
    .language:       OpenCL C
    .language_version:
      - 2
      - 0
    .max_flat_workgroup_size: 1024
    .name:           _Z11wvSplitKrc_I14__hip_bfloat16Li64ELi16ELi4ELi8ELi1ELi64ELi4ELi2ELi0EEviiiiiiPKT_S3_S3_PfPiPS1_i
    .private_segment_fixed_size: 64
    .sgpr_count:     36
    .sgpr_spill_count: 0
    .symbol:         _Z11wvSplitKrc_I14__hip_bfloat16Li64ELi16ELi4ELi8ELi1ELi64ELi4ELi2ELi0EEviiiiiiPKT_S3_S3_PfPiPS1_i.kd
    .uniform_work_group_size: 1
    .uses_dynamic_stack: false
    .vgpr_count:     50
    .vgpr_spill_count: 0
    .wavefront_size: 32
    .workgroup_processor_mode: 1
  - .args:
      - .offset:         0
        .size:           4
        .value_kind:     by_value
      - .offset:         4
        .size:           4
        .value_kind:     by_value
      - .offset:         8
        .size:           4
        .value_kind:     by_value
      - .offset:         12
        .size:           4
        .value_kind:     by_value
      - .offset:         16
        .size:           4
        .value_kind:     by_value
      - .offset:         20
        .size:           4
        .value_kind:     by_value
      - .address_space:  global
        .offset:         24
        .size:           8
        .value_kind:     global_buffer
      - .actual_access:  read_only
        .address_space:  global
        .offset:         32
        .size:           8
        .value_kind:     global_buffer
      - .actual_access:  read_only
        .address_space:  global
        .offset:         40
        .size:           8
        .value_kind:     global_buffer
      - .address_space:  global
        .offset:         48
        .size:           8
        .value_kind:     global_buffer
      - .address_space:  global
        .offset:         56
        .size:           8
        .value_kind:     global_buffer
      - .address_space:  global
        .offset:         64
        .size:           8
        .value_kind:     global_buffer
      - .offset:         72
        .size:           4
        .value_kind:     by_value
      - .offset:         80
        .size:           4
        .value_kind:     hidden_block_count_x
      - .offset:         84
        .size:           4
        .value_kind:     hidden_block_count_y
      - .offset:         88
        .size:           4
        .value_kind:     hidden_block_count_z
      - .offset:         92
        .size:           2
        .value_kind:     hidden_group_size_x
      - .offset:         94
        .size:           2
        .value_kind:     hidden_group_size_y
      - .offset:         96
        .size:           2
        .value_kind:     hidden_group_size_z
      - .offset:         98
        .size:           2
        .value_kind:     hidden_remainder_x
      - .offset:         100
        .size:           2
        .value_kind:     hidden_remainder_y
      - .offset:         102
        .size:           2
        .value_kind:     hidden_remainder_z
      - .offset:         120
        .size:           8
        .value_kind:     hidden_global_offset_x
      - .offset:         128
        .size:           8
        .value_kind:     hidden_global_offset_y
      - .offset:         136
        .size:           8
        .value_kind:     hidden_global_offset_z
      - .offset:         144
        .size:           2
        .value_kind:     hidden_grid_dims
      - .offset:         160
        .size:           8
        .value_kind:     hidden_hostcall_buffer
    .group_segment_fixed_size: 0
    .kernarg_segment_align: 8
    .kernarg_segment_size: 336
    .language:       OpenCL C
    .language_version:
      - 2
      - 0
    .max_flat_workgroup_size: 1024
    .name:           _Z11wvSplitKrc_I14__hip_bfloat16Li64ELi16ELi4ELi8ELi1ELi64ELi4ELi1ELi1EEviiiiiiPKT_S3_S3_PfPiPS1_i
    .private_segment_fixed_size: 64
    .sgpr_count:     36
    .sgpr_spill_count: 0
    .symbol:         _Z11wvSplitKrc_I14__hip_bfloat16Li64ELi16ELi4ELi8ELi1ELi64ELi4ELi1ELi1EEviiiiiiPKT_S3_S3_PfPiPS1_i.kd
    .uniform_work_group_size: 1
    .uses_dynamic_stack: false
    .vgpr_count:     50
    .vgpr_spill_count: 0
    .wavefront_size: 32
    .workgroup_processor_mode: 1
  - .args:
      - .offset:         0
        .size:           4
        .value_kind:     by_value
      - .offset:         4
        .size:           4
        .value_kind:     by_value
      - .offset:         8
        .size:           4
        .value_kind:     by_value
      - .offset:         12
        .size:           4
        .value_kind:     by_value
      - .offset:         16
        .size:           4
        .value_kind:     by_value
      - .offset:         20
        .size:           4
        .value_kind:     by_value
      - .address_space:  global
        .offset:         24
        .size:           8
        .value_kind:     global_buffer
      - .actual_access:  read_only
        .address_space:  global
        .offset:         32
        .size:           8
        .value_kind:     global_buffer
      - .actual_access:  read_only
        .address_space:  global
        .offset:         40
        .size:           8
        .value_kind:     global_buffer
      - .address_space:  global
        .offset:         48
        .size:           8
        .value_kind:     global_buffer
      - .address_space:  global
        .offset:         56
        .size:           8
        .value_kind:     global_buffer
      - .address_space:  global
        .offset:         64
        .size:           8
        .value_kind:     global_buffer
      - .offset:         72
        .size:           4
        .value_kind:     by_value
      - .offset:         80
        .size:           4
        .value_kind:     hidden_block_count_x
      - .offset:         84
        .size:           4
        .value_kind:     hidden_block_count_y
      - .offset:         88
        .size:           4
        .value_kind:     hidden_block_count_z
      - .offset:         92
        .size:           2
        .value_kind:     hidden_group_size_x
      - .offset:         94
        .size:           2
        .value_kind:     hidden_group_size_y
      - .offset:         96
        .size:           2
        .value_kind:     hidden_group_size_z
      - .offset:         98
        .size:           2
        .value_kind:     hidden_remainder_x
      - .offset:         100
        .size:           2
        .value_kind:     hidden_remainder_y
      - .offset:         102
        .size:           2
        .value_kind:     hidden_remainder_z
      - .offset:         120
        .size:           8
        .value_kind:     hidden_global_offset_x
      - .offset:         128
        .size:           8
        .value_kind:     hidden_global_offset_y
      - .offset:         136
        .size:           8
        .value_kind:     hidden_global_offset_z
      - .offset:         144
        .size:           2
        .value_kind:     hidden_grid_dims
      - .offset:         160
        .size:           8
        .value_kind:     hidden_hostcall_buffer
    .group_segment_fixed_size: 0
    .kernarg_segment_align: 8
    .kernarg_segment_size: 336
    .language:       OpenCL C
    .language_version:
      - 2
      - 0
    .max_flat_workgroup_size: 1024
    .name:           _Z11wvSplitKrc_I14__hip_bfloat16Li64ELi16ELi4ELi8ELi1ELi64ELi4ELi1ELi0EEviiiiiiPKT_S3_S3_PfPiPS1_i
    .private_segment_fixed_size: 64
    .sgpr_count:     36
    .sgpr_spill_count: 0
    .symbol:         _Z11wvSplitKrc_I14__hip_bfloat16Li64ELi16ELi4ELi8ELi1ELi64ELi4ELi1ELi0EEviiiiiiPKT_S3_S3_PfPiPS1_i.kd
    .uniform_work_group_size: 1
    .uses_dynamic_stack: false
    .vgpr_count:     50
    .vgpr_spill_count: 0
    .wavefront_size: 32
    .workgroup_processor_mode: 1
  - .args:
      - .offset:         0
        .size:           4
        .value_kind:     by_value
      - .offset:         4
        .size:           4
        .value_kind:     by_value
      - .offset:         8
        .size:           4
        .value_kind:     by_value
      - .offset:         12
        .size:           4
        .value_kind:     by_value
      - .offset:         16
        .size:           4
        .value_kind:     by_value
      - .offset:         20
        .size:           4
        .value_kind:     by_value
      - .address_space:  global
        .offset:         24
        .size:           8
        .value_kind:     global_buffer
      - .actual_access:  read_only
        .address_space:  global
        .offset:         32
        .size:           8
        .value_kind:     global_buffer
      - .actual_access:  read_only
        .address_space:  global
        .offset:         40
        .size:           8
        .value_kind:     global_buffer
      - .address_space:  global
        .offset:         48
        .size:           8
        .value_kind:     global_buffer
      - .address_space:  global
        .offset:         56
        .size:           8
        .value_kind:     global_buffer
      - .address_space:  global
        .offset:         64
        .size:           8
        .value_kind:     global_buffer
      - .offset:         72
        .size:           4
        .value_kind:     by_value
      - .offset:         80
        .size:           4
        .value_kind:     hidden_block_count_x
      - .offset:         84
        .size:           4
        .value_kind:     hidden_block_count_y
      - .offset:         88
        .size:           4
        .value_kind:     hidden_block_count_z
      - .offset:         92
        .size:           2
        .value_kind:     hidden_group_size_x
      - .offset:         94
        .size:           2
        .value_kind:     hidden_group_size_y
      - .offset:         96
        .size:           2
        .value_kind:     hidden_group_size_z
      - .offset:         98
        .size:           2
        .value_kind:     hidden_remainder_x
      - .offset:         100
        .size:           2
        .value_kind:     hidden_remainder_y
      - .offset:         102
        .size:           2
        .value_kind:     hidden_remainder_z
      - .offset:         120
        .size:           8
        .value_kind:     hidden_global_offset_x
      - .offset:         128
        .size:           8
        .value_kind:     hidden_global_offset_y
      - .offset:         136
        .size:           8
        .value_kind:     hidden_global_offset_z
      - .offset:         144
        .size:           2
        .value_kind:     hidden_grid_dims
      - .offset:         160
        .size:           8
        .value_kind:     hidden_hostcall_buffer
    .group_segment_fixed_size: 0
    .kernarg_segment_align: 8
    .kernarg_segment_size: 336
    .language:       OpenCL C
    .language_version:
      - 2
      - 0
    .max_flat_workgroup_size: 1024
    .name:           _Z11wvSplitKrc_I14__hip_bfloat16Li64ELi16ELi4ELi8ELi1ELi128ELi4ELi2ELi1EEviiiiiiPKT_S3_S3_PfPiPS1_i
    .private_segment_fixed_size: 64
    .sgpr_count:     36
    .sgpr_spill_count: 0
    .symbol:         _Z11wvSplitKrc_I14__hip_bfloat16Li64ELi16ELi4ELi8ELi1ELi128ELi4ELi2ELi1EEviiiiiiPKT_S3_S3_PfPiPS1_i.kd
    .uniform_work_group_size: 1
    .uses_dynamic_stack: false
    .vgpr_count:     50
    .vgpr_spill_count: 0
    .wavefront_size: 32
    .workgroup_processor_mode: 1
  - .args:
      - .offset:         0
        .size:           4
        .value_kind:     by_value
      - .offset:         4
        .size:           4
        .value_kind:     by_value
      - .offset:         8
        .size:           4
        .value_kind:     by_value
      - .offset:         12
        .size:           4
        .value_kind:     by_value
      - .offset:         16
        .size:           4
        .value_kind:     by_value
      - .offset:         20
        .size:           4
        .value_kind:     by_value
      - .address_space:  global
        .offset:         24
        .size:           8
        .value_kind:     global_buffer
      - .actual_access:  read_only
        .address_space:  global
        .offset:         32
        .size:           8
        .value_kind:     global_buffer
      - .actual_access:  read_only
        .address_space:  global
        .offset:         40
        .size:           8
        .value_kind:     global_buffer
      - .address_space:  global
        .offset:         48
        .size:           8
        .value_kind:     global_buffer
      - .address_space:  global
        .offset:         56
        .size:           8
        .value_kind:     global_buffer
      - .address_space:  global
        .offset:         64
        .size:           8
        .value_kind:     global_buffer
      - .offset:         72
        .size:           4
        .value_kind:     by_value
      - .offset:         80
        .size:           4
        .value_kind:     hidden_block_count_x
      - .offset:         84
        .size:           4
        .value_kind:     hidden_block_count_y
      - .offset:         88
        .size:           4
        .value_kind:     hidden_block_count_z
      - .offset:         92
        .size:           2
        .value_kind:     hidden_group_size_x
      - .offset:         94
        .size:           2
        .value_kind:     hidden_group_size_y
      - .offset:         96
        .size:           2
        .value_kind:     hidden_group_size_z
      - .offset:         98
        .size:           2
        .value_kind:     hidden_remainder_x
      - .offset:         100
        .size:           2
        .value_kind:     hidden_remainder_y
      - .offset:         102
        .size:           2
        .value_kind:     hidden_remainder_z
      - .offset:         120
        .size:           8
        .value_kind:     hidden_global_offset_x
      - .offset:         128
        .size:           8
        .value_kind:     hidden_global_offset_y
      - .offset:         136
        .size:           8
        .value_kind:     hidden_global_offset_z
      - .offset:         144
        .size:           2
        .value_kind:     hidden_grid_dims
      - .offset:         160
        .size:           8
        .value_kind:     hidden_hostcall_buffer
    .group_segment_fixed_size: 0
    .kernarg_segment_align: 8
    .kernarg_segment_size: 336
    .language:       OpenCL C
    .language_version:
      - 2
      - 0
    .max_flat_workgroup_size: 1024
    .name:           _Z11wvSplitKrc_I14__hip_bfloat16Li64ELi16ELi4ELi8ELi1ELi128ELi4ELi2ELi0EEviiiiiiPKT_S3_S3_PfPiPS1_i
    .private_segment_fixed_size: 64
    .sgpr_count:     36
    .sgpr_spill_count: 0
    .symbol:         _Z11wvSplitKrc_I14__hip_bfloat16Li64ELi16ELi4ELi8ELi1ELi128ELi4ELi2ELi0EEviiiiiiPKT_S3_S3_PfPiPS1_i.kd
    .uniform_work_group_size: 1
    .uses_dynamic_stack: false
    .vgpr_count:     50
    .vgpr_spill_count: 0
    .wavefront_size: 32
    .workgroup_processor_mode: 1
  - .args:
      - .offset:         0
        .size:           4
        .value_kind:     by_value
      - .offset:         4
        .size:           4
        .value_kind:     by_value
      - .offset:         8
        .size:           4
        .value_kind:     by_value
      - .offset:         12
        .size:           4
        .value_kind:     by_value
      - .offset:         16
        .size:           4
        .value_kind:     by_value
      - .offset:         20
        .size:           4
        .value_kind:     by_value
      - .address_space:  global
        .offset:         24
        .size:           8
        .value_kind:     global_buffer
      - .actual_access:  read_only
        .address_space:  global
        .offset:         32
        .size:           8
        .value_kind:     global_buffer
      - .actual_access:  read_only
        .address_space:  global
        .offset:         40
        .size:           8
        .value_kind:     global_buffer
      - .address_space:  global
        .offset:         48
        .size:           8
        .value_kind:     global_buffer
      - .address_space:  global
        .offset:         56
        .size:           8
        .value_kind:     global_buffer
      - .address_space:  global
        .offset:         64
        .size:           8
        .value_kind:     global_buffer
      - .offset:         72
        .size:           4
        .value_kind:     by_value
      - .offset:         80
        .size:           4
        .value_kind:     hidden_block_count_x
      - .offset:         84
        .size:           4
        .value_kind:     hidden_block_count_y
      - .offset:         88
        .size:           4
        .value_kind:     hidden_block_count_z
      - .offset:         92
        .size:           2
        .value_kind:     hidden_group_size_x
      - .offset:         94
        .size:           2
        .value_kind:     hidden_group_size_y
      - .offset:         96
        .size:           2
        .value_kind:     hidden_group_size_z
      - .offset:         98
        .size:           2
        .value_kind:     hidden_remainder_x
      - .offset:         100
        .size:           2
        .value_kind:     hidden_remainder_y
      - .offset:         102
        .size:           2
        .value_kind:     hidden_remainder_z
      - .offset:         120
        .size:           8
        .value_kind:     hidden_global_offset_x
      - .offset:         128
        .size:           8
        .value_kind:     hidden_global_offset_y
      - .offset:         136
        .size:           8
        .value_kind:     hidden_global_offset_z
      - .offset:         144
        .size:           2
        .value_kind:     hidden_grid_dims
      - .offset:         160
        .size:           8
        .value_kind:     hidden_hostcall_buffer
    .group_segment_fixed_size: 0
    .kernarg_segment_align: 8
    .kernarg_segment_size: 336
    .language:       OpenCL C
    .language_version:
      - 2
      - 0
    .max_flat_workgroup_size: 1024
    .name:           _Z11wvSplitKrc_I14__hip_bfloat16Li64ELi16ELi4ELi8ELi1ELi128ELi4ELi1ELi1EEviiiiiiPKT_S3_S3_PfPiPS1_i
    .private_segment_fixed_size: 64
    .sgpr_count:     36
    .sgpr_spill_count: 0
    .symbol:         _Z11wvSplitKrc_I14__hip_bfloat16Li64ELi16ELi4ELi8ELi1ELi128ELi4ELi1ELi1EEviiiiiiPKT_S3_S3_PfPiPS1_i.kd
    .uniform_work_group_size: 1
    .uses_dynamic_stack: false
    .vgpr_count:     50
    .vgpr_spill_count: 0
    .wavefront_size: 32
    .workgroup_processor_mode: 1
  - .args:
      - .offset:         0
        .size:           4
        .value_kind:     by_value
      - .offset:         4
        .size:           4
        .value_kind:     by_value
      - .offset:         8
        .size:           4
        .value_kind:     by_value
      - .offset:         12
        .size:           4
        .value_kind:     by_value
      - .offset:         16
        .size:           4
        .value_kind:     by_value
      - .offset:         20
        .size:           4
        .value_kind:     by_value
      - .address_space:  global
        .offset:         24
        .size:           8
        .value_kind:     global_buffer
      - .actual_access:  read_only
        .address_space:  global
        .offset:         32
        .size:           8
        .value_kind:     global_buffer
      - .actual_access:  read_only
        .address_space:  global
        .offset:         40
        .size:           8
        .value_kind:     global_buffer
      - .address_space:  global
        .offset:         48
        .size:           8
        .value_kind:     global_buffer
      - .address_space:  global
        .offset:         56
        .size:           8
        .value_kind:     global_buffer
      - .address_space:  global
        .offset:         64
        .size:           8
        .value_kind:     global_buffer
      - .offset:         72
        .size:           4
        .value_kind:     by_value
      - .offset:         80
        .size:           4
        .value_kind:     hidden_block_count_x
      - .offset:         84
        .size:           4
        .value_kind:     hidden_block_count_y
      - .offset:         88
        .size:           4
        .value_kind:     hidden_block_count_z
      - .offset:         92
        .size:           2
        .value_kind:     hidden_group_size_x
      - .offset:         94
        .size:           2
        .value_kind:     hidden_group_size_y
      - .offset:         96
        .size:           2
        .value_kind:     hidden_group_size_z
      - .offset:         98
        .size:           2
        .value_kind:     hidden_remainder_x
      - .offset:         100
        .size:           2
        .value_kind:     hidden_remainder_y
      - .offset:         102
        .size:           2
        .value_kind:     hidden_remainder_z
      - .offset:         120
        .size:           8
        .value_kind:     hidden_global_offset_x
      - .offset:         128
        .size:           8
        .value_kind:     hidden_global_offset_y
      - .offset:         136
        .size:           8
        .value_kind:     hidden_global_offset_z
      - .offset:         144
        .size:           2
        .value_kind:     hidden_grid_dims
      - .offset:         160
        .size:           8
        .value_kind:     hidden_hostcall_buffer
    .group_segment_fixed_size: 0
    .kernarg_segment_align: 8
    .kernarg_segment_size: 336
    .language:       OpenCL C
    .language_version:
      - 2
      - 0
    .max_flat_workgroup_size: 1024
    .name:           _Z11wvSplitKrc_I14__hip_bfloat16Li64ELi16ELi4ELi8ELi1ELi128ELi4ELi1ELi0EEviiiiiiPKT_S3_S3_PfPiPS1_i
    .private_segment_fixed_size: 64
    .sgpr_count:     36
    .sgpr_spill_count: 0
    .symbol:         _Z11wvSplitKrc_I14__hip_bfloat16Li64ELi16ELi4ELi8ELi1ELi128ELi4ELi1ELi0EEviiiiiiPKT_S3_S3_PfPiPS1_i.kd
    .uniform_work_group_size: 1
    .uses_dynamic_stack: false
    .vgpr_count:     50
    .vgpr_spill_count: 0
    .wavefront_size: 32
    .workgroup_processor_mode: 1
  - .args:
      - .offset:         0
        .size:           4
        .value_kind:     by_value
      - .offset:         4
        .size:           4
        .value_kind:     by_value
      - .offset:         8
        .size:           4
        .value_kind:     by_value
      - .offset:         12
        .size:           4
        .value_kind:     by_value
      - .offset:         16
        .size:           4
        .value_kind:     by_value
      - .offset:         20
        .size:           4
        .value_kind:     by_value
      - .address_space:  global
        .offset:         24
        .size:           8
        .value_kind:     global_buffer
      - .actual_access:  read_only
        .address_space:  global
        .offset:         32
        .size:           8
        .value_kind:     global_buffer
      - .actual_access:  read_only
        .address_space:  global
        .offset:         40
        .size:           8
        .value_kind:     global_buffer
      - .address_space:  global
        .offset:         48
        .size:           8
        .value_kind:     global_buffer
      - .actual_access:  read_only
        .address_space:  global
        .offset:         56
        .size:           8
        .value_kind:     global_buffer
      - .actual_access:  read_only
        .address_space:  global
        .offset:         64
        .size:           8
        .value_kind:     global_buffer
      - .offset:         72
        .size:           4
        .value_kind:     by_value
      - .offset:         76
        .size:           4
        .value_kind:     by_value
      - .offset:         80
        .size:           4
        .value_kind:     hidden_block_count_x
      - .offset:         84
        .size:           4
        .value_kind:     hidden_block_count_y
      - .offset:         88
        .size:           4
        .value_kind:     hidden_block_count_z
      - .offset:         92
        .size:           2
        .value_kind:     hidden_group_size_x
      - .offset:         94
        .size:           2
        .value_kind:     hidden_group_size_y
      - .offset:         96
        .size:           2
        .value_kind:     hidden_group_size_z
      - .offset:         98
        .size:           2
        .value_kind:     hidden_remainder_x
      - .offset:         100
        .size:           2
        .value_kind:     hidden_remainder_y
      - .offset:         102
        .size:           2
        .value_kind:     hidden_remainder_z
      - .offset:         120
        .size:           8
        .value_kind:     hidden_global_offset_x
      - .offset:         128
        .size:           8
        .value_kind:     hidden_global_offset_y
      - .offset:         136
        .size:           8
        .value_kind:     hidden_global_offset_z
      - .offset:         144
        .size:           2
        .value_kind:     hidden_grid_dims
      - .offset:         160
        .size:           8
        .value_kind:     hidden_hostcall_buffer
    .group_segment_fixed_size: 0
    .kernarg_segment_align: 8
    .kernarg_segment_size: 336
    .language:       OpenCL C
    .language_version:
      - 2
      - 0
    .max_flat_workgroup_size: 1024
    .name:           _Z17wvSplitKQ_hf_sml_I6__halfN3c1013Float8_e4m3fnELi32ELi2ELi16ELi16ELi2ELi1EEviiiiiiPKT0_S5_PKT_PS6_PKfSB_ii
    .private_segment_fixed_size: 64
    .sgpr_count:     36
    .sgpr_spill_count: 0
    .symbol:         _Z17wvSplitKQ_hf_sml_I6__halfN3c1013Float8_e4m3fnELi32ELi2ELi16ELi16ELi2ELi1EEviiiiiiPKT0_S5_PKT_PS6_PKfSB_ii.kd
    .uniform_work_group_size: 1
    .uses_dynamic_stack: false
    .vgpr_count:     50
    .vgpr_spill_count: 0
    .wavefront_size: 32
    .workgroup_processor_mode: 1
  - .args:
      - .offset:         0
        .size:           4
        .value_kind:     by_value
      - .offset:         4
        .size:           4
        .value_kind:     by_value
      - .offset:         8
        .size:           4
        .value_kind:     by_value
      - .offset:         12
        .size:           4
        .value_kind:     by_value
      - .offset:         16
        .size:           4
        .value_kind:     by_value
      - .offset:         20
        .size:           4
        .value_kind:     by_value
      - .address_space:  global
        .offset:         24
        .size:           8
        .value_kind:     global_buffer
      - .actual_access:  read_only
        .address_space:  global
        .offset:         32
        .size:           8
        .value_kind:     global_buffer
      - .actual_access:  read_only
        .address_space:  global
        .offset:         40
        .size:           8
        .value_kind:     global_buffer
      - .address_space:  global
        .offset:         48
        .size:           8
        .value_kind:     global_buffer
      - .actual_access:  read_only
        .address_space:  global
        .offset:         56
        .size:           8
        .value_kind:     global_buffer
      - .actual_access:  read_only
        .address_space:  global
        .offset:         64
        .size:           8
        .value_kind:     global_buffer
      - .offset:         72
        .size:           4
        .value_kind:     by_value
      - .offset:         76
        .size:           4
        .value_kind:     by_value
      - .offset:         80
        .size:           4
        .value_kind:     hidden_block_count_x
      - .offset:         84
        .size:           4
        .value_kind:     hidden_block_count_y
      - .offset:         88
        .size:           4
        .value_kind:     hidden_block_count_z
      - .offset:         92
        .size:           2
        .value_kind:     hidden_group_size_x
      - .offset:         94
        .size:           2
        .value_kind:     hidden_group_size_y
      - .offset:         96
        .size:           2
        .value_kind:     hidden_group_size_z
      - .offset:         98
        .size:           2
        .value_kind:     hidden_remainder_x
      - .offset:         100
        .size:           2
        .value_kind:     hidden_remainder_y
      - .offset:         102
        .size:           2
        .value_kind:     hidden_remainder_z
      - .offset:         120
        .size:           8
        .value_kind:     hidden_global_offset_x
      - .offset:         128
        .size:           8
        .value_kind:     hidden_global_offset_y
      - .offset:         136
        .size:           8
        .value_kind:     hidden_global_offset_z
      - .offset:         144
        .size:           2
        .value_kind:     hidden_grid_dims
      - .offset:         160
        .size:           8
        .value_kind:     hidden_hostcall_buffer
    .group_segment_fixed_size: 0
    .kernarg_segment_align: 8
    .kernarg_segment_size: 336
    .language:       OpenCL C
    .language_version:
      - 2
      - 0
    .max_flat_workgroup_size: 1024
    .name:           _Z13wvSplitKQ_hf_I6__halfN3c1013Float8_e4m3fnELi32ELi2ELi16ELi16ELi2ELi1EEviiiiiiPKT0_S5_PKT_PS6_PKfSB_ii
    .private_segment_fixed_size: 64
    .sgpr_count:     36
    .sgpr_spill_count: 0
    .symbol:         _Z13wvSplitKQ_hf_I6__halfN3c1013Float8_e4m3fnELi32ELi2ELi16ELi16ELi2ELi1EEviiiiiiPKT0_S5_PKT_PS6_PKfSB_ii.kd
    .uniform_work_group_size: 1
    .uses_dynamic_stack: false
    .vgpr_count:     50
    .vgpr_spill_count: 0
    .wavefront_size: 32
    .workgroup_processor_mode: 1
  - .args:
      - .offset:         0
        .size:           4
        .value_kind:     by_value
      - .offset:         4
        .size:           4
        .value_kind:     by_value
      - .offset:         8
        .size:           4
        .value_kind:     by_value
      - .offset:         12
        .size:           4
        .value_kind:     by_value
      - .offset:         16
        .size:           4
        .value_kind:     by_value
      - .offset:         20
        .size:           4
        .value_kind:     by_value
      - .address_space:  global
        .offset:         24
        .size:           8
        .value_kind:     global_buffer
      - .actual_access:  read_only
        .address_space:  global
        .offset:         32
        .size:           8
        .value_kind:     global_buffer
      - .actual_access:  read_only
        .address_space:  global
        .offset:         40
        .size:           8
        .value_kind:     global_buffer
      - .address_space:  global
        .offset:         48
        .size:           8
        .value_kind:     global_buffer
      - .actual_access:  read_only
        .address_space:  global
        .offset:         56
        .size:           8
        .value_kind:     global_buffer
      - .actual_access:  read_only
        .address_space:  global
        .offset:         64
        .size:           8
        .value_kind:     global_buffer
      - .offset:         72
        .size:           4
        .value_kind:     by_value
      - .offset:         76
        .size:           4
        .value_kind:     by_value
      - .offset:         80
        .size:           4
        .value_kind:     hidden_block_count_x
      - .offset:         84
        .size:           4
        .value_kind:     hidden_block_count_y
      - .offset:         88
        .size:           4
        .value_kind:     hidden_block_count_z
      - .offset:         92
        .size:           2
        .value_kind:     hidden_group_size_x
      - .offset:         94
        .size:           2
        .value_kind:     hidden_group_size_y
      - .offset:         96
        .size:           2
        .value_kind:     hidden_group_size_z
      - .offset:         98
        .size:           2
        .value_kind:     hidden_remainder_x
      - .offset:         100
        .size:           2
        .value_kind:     hidden_remainder_y
      - .offset:         102
        .size:           2
        .value_kind:     hidden_remainder_z
      - .offset:         120
        .size:           8
        .value_kind:     hidden_global_offset_x
      - .offset:         128
        .size:           8
        .value_kind:     hidden_global_offset_y
      - .offset:         136
        .size:           8
        .value_kind:     hidden_global_offset_z
      - .offset:         144
        .size:           2
        .value_kind:     hidden_grid_dims
      - .offset:         160
        .size:           8
        .value_kind:     hidden_hostcall_buffer
    .group_segment_fixed_size: 0
    .kernarg_segment_align: 8
    .kernarg_segment_size: 336
    .language:       OpenCL C
    .language_version:
      - 2
      - 0
    .max_flat_workgroup_size: 1024
    .name:           _Z17wvSplitKQ_hf_sml_I6__halfN3c1013Float8_e4m3fnELi64ELi2ELi16ELi16ELi2ELi1EEviiiiiiPKT0_S5_PKT_PS6_PKfSB_ii
    .private_segment_fixed_size: 64
    .sgpr_count:     36
    .sgpr_spill_count: 0
    .symbol:         _Z17wvSplitKQ_hf_sml_I6__halfN3c1013Float8_e4m3fnELi64ELi2ELi16ELi16ELi2ELi1EEviiiiiiPKT0_S5_PKT_PS6_PKfSB_ii.kd
    .uniform_work_group_size: 1
    .uses_dynamic_stack: false
    .vgpr_count:     50
    .vgpr_spill_count: 0
    .wavefront_size: 32
    .workgroup_processor_mode: 1
  - .args:
      - .offset:         0
        .size:           4
        .value_kind:     by_value
      - .offset:         4
        .size:           4
        .value_kind:     by_value
      - .offset:         8
        .size:           4
        .value_kind:     by_value
      - .offset:         12
        .size:           4
        .value_kind:     by_value
      - .offset:         16
        .size:           4
        .value_kind:     by_value
      - .offset:         20
        .size:           4
        .value_kind:     by_value
      - .address_space:  global
        .offset:         24
        .size:           8
        .value_kind:     global_buffer
      - .actual_access:  read_only
        .address_space:  global
        .offset:         32
        .size:           8
        .value_kind:     global_buffer
      - .actual_access:  read_only
        .address_space:  global
        .offset:         40
        .size:           8
        .value_kind:     global_buffer
      - .address_space:  global
        .offset:         48
        .size:           8
        .value_kind:     global_buffer
      - .actual_access:  read_only
        .address_space:  global
        .offset:         56
        .size:           8
        .value_kind:     global_buffer
      - .actual_access:  read_only
        .address_space:  global
        .offset:         64
        .size:           8
        .value_kind:     global_buffer
      - .offset:         72
        .size:           4
        .value_kind:     by_value
      - .offset:         76
        .size:           4
        .value_kind:     by_value
      - .offset:         80
        .size:           4
        .value_kind:     hidden_block_count_x
      - .offset:         84
        .size:           4
        .value_kind:     hidden_block_count_y
      - .offset:         88
        .size:           4
        .value_kind:     hidden_block_count_z
      - .offset:         92
        .size:           2
        .value_kind:     hidden_group_size_x
      - .offset:         94
        .size:           2
        .value_kind:     hidden_group_size_y
      - .offset:         96
        .size:           2
        .value_kind:     hidden_group_size_z
      - .offset:         98
        .size:           2
        .value_kind:     hidden_remainder_x
      - .offset:         100
        .size:           2
        .value_kind:     hidden_remainder_y
      - .offset:         102
        .size:           2
        .value_kind:     hidden_remainder_z
      - .offset:         120
        .size:           8
        .value_kind:     hidden_global_offset_x
      - .offset:         128
        .size:           8
        .value_kind:     hidden_global_offset_y
      - .offset:         136
        .size:           8
        .value_kind:     hidden_global_offset_z
      - .offset:         144
        .size:           2
        .value_kind:     hidden_grid_dims
      - .offset:         160
        .size:           8
        .value_kind:     hidden_hostcall_buffer
    .group_segment_fixed_size: 0
    .kernarg_segment_align: 8
    .kernarg_segment_size: 336
    .language:       OpenCL C
    .language_version:
      - 2
      - 0
    .max_flat_workgroup_size: 1024
    .name:           _Z13wvSplitKQ_hf_I6__halfN3c1013Float8_e4m3fnELi64ELi2ELi16ELi16ELi2ELi1EEviiiiiiPKT0_S5_PKT_PS6_PKfSB_ii
    .private_segment_fixed_size: 64
    .sgpr_count:     36
    .sgpr_spill_count: 0
    .symbol:         _Z13wvSplitKQ_hf_I6__halfN3c1013Float8_e4m3fnELi64ELi2ELi16ELi16ELi2ELi1EEviiiiiiPKT0_S5_PKT_PS6_PKfSB_ii.kd
    .uniform_work_group_size: 1
    .uses_dynamic_stack: false
    .vgpr_count:     50
    .vgpr_spill_count: 0
    .wavefront_size: 32
    .workgroup_processor_mode: 1
  - .args:
      - .offset:         0
        .size:           4
        .value_kind:     by_value
      - .offset:         4
        .size:           4
        .value_kind:     by_value
      - .offset:         8
        .size:           4
        .value_kind:     by_value
      - .offset:         12
        .size:           4
        .value_kind:     by_value
      - .offset:         16
        .size:           4
        .value_kind:     by_value
      - .offset:         20
        .size:           4
        .value_kind:     by_value
      - .address_space:  global
        .offset:         24
        .size:           8
        .value_kind:     global_buffer
      - .actual_access:  read_only
        .address_space:  global
        .offset:         32
        .size:           8
        .value_kind:     global_buffer
      - .actual_access:  read_only
        .address_space:  global
        .offset:         40
        .size:           8
        .value_kind:     global_buffer
      - .address_space:  global
        .offset:         48
        .size:           8
        .value_kind:     global_buffer
      - .actual_access:  read_only
        .address_space:  global
        .offset:         56
        .size:           8
        .value_kind:     global_buffer
      - .actual_access:  read_only
        .address_space:  global
        .offset:         64
        .size:           8
        .value_kind:     global_buffer
      - .offset:         72
        .size:           4
        .value_kind:     by_value
      - .offset:         76
        .size:           4
        .value_kind:     by_value
      - .offset:         80
        .size:           4
        .value_kind:     hidden_block_count_x
      - .offset:         84
        .size:           4
        .value_kind:     hidden_block_count_y
      - .offset:         88
        .size:           4
        .value_kind:     hidden_block_count_z
      - .offset:         92
        .size:           2
        .value_kind:     hidden_group_size_x
      - .offset:         94
        .size:           2
        .value_kind:     hidden_group_size_y
      - .offset:         96
        .size:           2
        .value_kind:     hidden_group_size_z
      - .offset:         98
        .size:           2
        .value_kind:     hidden_remainder_x
      - .offset:         100
        .size:           2
        .value_kind:     hidden_remainder_y
      - .offset:         102
        .size:           2
        .value_kind:     hidden_remainder_z
      - .offset:         120
        .size:           8
        .value_kind:     hidden_global_offset_x
      - .offset:         128
        .size:           8
        .value_kind:     hidden_global_offset_y
      - .offset:         136
        .size:           8
        .value_kind:     hidden_global_offset_z
      - .offset:         144
        .size:           2
        .value_kind:     hidden_grid_dims
      - .offset:         160
        .size:           8
        .value_kind:     hidden_hostcall_buffer
    .group_segment_fixed_size: 0
    .kernarg_segment_align: 8
    .kernarg_segment_size: 336
    .language:       OpenCL C
    .language_version:
      - 2
      - 0
    .max_flat_workgroup_size: 1024
    .name:           _Z17wvSplitKQ_hf_sml_I6__halfN3c1013Float8_e4m3fnELi32ELi2ELi16ELi16ELi2ELi2EEviiiiiiPKT0_S5_PKT_PS6_PKfSB_ii
    .private_segment_fixed_size: 64
    .sgpr_count:     36
    .sgpr_spill_count: 0
    .symbol:         _Z17wvSplitKQ_hf_sml_I6__halfN3c1013Float8_e4m3fnELi32ELi2ELi16ELi16ELi2ELi2EEviiiiiiPKT0_S5_PKT_PS6_PKfSB_ii.kd
    .uniform_work_group_size: 1
    .uses_dynamic_stack: false
    .vgpr_count:     50
    .vgpr_spill_count: 0
    .wavefront_size: 32
    .workgroup_processor_mode: 1
  - .args:
      - .offset:         0
        .size:           4
        .value_kind:     by_value
      - .offset:         4
        .size:           4
        .value_kind:     by_value
      - .offset:         8
        .size:           4
        .value_kind:     by_value
      - .offset:         12
        .size:           4
        .value_kind:     by_value
      - .offset:         16
        .size:           4
        .value_kind:     by_value
      - .offset:         20
        .size:           4
        .value_kind:     by_value
      - .address_space:  global
        .offset:         24
        .size:           8
        .value_kind:     global_buffer
      - .actual_access:  read_only
        .address_space:  global
        .offset:         32
        .size:           8
        .value_kind:     global_buffer
      - .actual_access:  read_only
        .address_space:  global
        .offset:         40
        .size:           8
        .value_kind:     global_buffer
      - .address_space:  global
        .offset:         48
        .size:           8
        .value_kind:     global_buffer
      - .actual_access:  read_only
        .address_space:  global
        .offset:         56
        .size:           8
        .value_kind:     global_buffer
      - .actual_access:  read_only
        .address_space:  global
        .offset:         64
        .size:           8
        .value_kind:     global_buffer
      - .offset:         72
        .size:           4
        .value_kind:     by_value
      - .offset:         76
        .size:           4
        .value_kind:     by_value
      - .offset:         80
        .size:           4
        .value_kind:     hidden_block_count_x
      - .offset:         84
        .size:           4
        .value_kind:     hidden_block_count_y
      - .offset:         88
        .size:           4
        .value_kind:     hidden_block_count_z
      - .offset:         92
        .size:           2
        .value_kind:     hidden_group_size_x
      - .offset:         94
        .size:           2
        .value_kind:     hidden_group_size_y
      - .offset:         96
        .size:           2
        .value_kind:     hidden_group_size_z
      - .offset:         98
        .size:           2
        .value_kind:     hidden_remainder_x
      - .offset:         100
        .size:           2
        .value_kind:     hidden_remainder_y
      - .offset:         102
        .size:           2
        .value_kind:     hidden_remainder_z
      - .offset:         120
        .size:           8
        .value_kind:     hidden_global_offset_x
      - .offset:         128
        .size:           8
        .value_kind:     hidden_global_offset_y
      - .offset:         136
        .size:           8
        .value_kind:     hidden_global_offset_z
      - .offset:         144
        .size:           2
        .value_kind:     hidden_grid_dims
      - .offset:         160
        .size:           8
        .value_kind:     hidden_hostcall_buffer
    .group_segment_fixed_size: 0
    .kernarg_segment_align: 8
    .kernarg_segment_size: 336
    .language:       OpenCL C
    .language_version:
      - 2
      - 0
    .max_flat_workgroup_size: 1024
    .name:           _Z13wvSplitKQ_hf_I6__halfN3c1013Float8_e4m3fnELi32ELi2ELi16ELi16ELi2ELi2EEviiiiiiPKT0_S5_PKT_PS6_PKfSB_ii
    .private_segment_fixed_size: 64
    .sgpr_count:     36
    .sgpr_spill_count: 0
    .symbol:         _Z13wvSplitKQ_hf_I6__halfN3c1013Float8_e4m3fnELi32ELi2ELi16ELi16ELi2ELi2EEviiiiiiPKT0_S5_PKT_PS6_PKfSB_ii.kd
    .uniform_work_group_size: 1
    .uses_dynamic_stack: false
    .vgpr_count:     50
    .vgpr_spill_count: 0
    .wavefront_size: 32
    .workgroup_processor_mode: 1
  - .args:
      - .offset:         0
        .size:           4
        .value_kind:     by_value
      - .offset:         4
        .size:           4
        .value_kind:     by_value
      - .offset:         8
        .size:           4
        .value_kind:     by_value
      - .offset:         12
        .size:           4
        .value_kind:     by_value
      - .offset:         16
        .size:           4
        .value_kind:     by_value
      - .offset:         20
        .size:           4
        .value_kind:     by_value
      - .address_space:  global
        .offset:         24
        .size:           8
        .value_kind:     global_buffer
      - .actual_access:  read_only
        .address_space:  global
        .offset:         32
        .size:           8
        .value_kind:     global_buffer
      - .actual_access:  read_only
        .address_space:  global
        .offset:         40
        .size:           8
        .value_kind:     global_buffer
      - .address_space:  global
        .offset:         48
        .size:           8
        .value_kind:     global_buffer
      - .actual_access:  read_only
        .address_space:  global
        .offset:         56
        .size:           8
        .value_kind:     global_buffer
      - .actual_access:  read_only
        .address_space:  global
        .offset:         64
        .size:           8
        .value_kind:     global_buffer
      - .offset:         72
        .size:           4
        .value_kind:     by_value
      - .offset:         76
        .size:           4
        .value_kind:     by_value
      - .offset:         80
        .size:           4
        .value_kind:     hidden_block_count_x
      - .offset:         84
        .size:           4
        .value_kind:     hidden_block_count_y
      - .offset:         88
        .size:           4
        .value_kind:     hidden_block_count_z
      - .offset:         92
        .size:           2
        .value_kind:     hidden_group_size_x
      - .offset:         94
        .size:           2
        .value_kind:     hidden_group_size_y
      - .offset:         96
        .size:           2
        .value_kind:     hidden_group_size_z
      - .offset:         98
        .size:           2
        .value_kind:     hidden_remainder_x
      - .offset:         100
        .size:           2
        .value_kind:     hidden_remainder_y
      - .offset:         102
        .size:           2
        .value_kind:     hidden_remainder_z
      - .offset:         120
        .size:           8
        .value_kind:     hidden_global_offset_x
      - .offset:         128
        .size:           8
        .value_kind:     hidden_global_offset_y
      - .offset:         136
        .size:           8
        .value_kind:     hidden_global_offset_z
      - .offset:         144
        .size:           2
        .value_kind:     hidden_grid_dims
      - .offset:         160
        .size:           8
        .value_kind:     hidden_hostcall_buffer
    .group_segment_fixed_size: 0
    .kernarg_segment_align: 8
    .kernarg_segment_size: 336
    .language:       OpenCL C
    .language_version:
      - 2
      - 0
    .max_flat_workgroup_size: 1024
    .name:           _Z17wvSplitKQ_hf_sml_I6__halfN3c1013Float8_e4m3fnELi64ELi2ELi16ELi16ELi2ELi2EEviiiiiiPKT0_S5_PKT_PS6_PKfSB_ii
    .private_segment_fixed_size: 64
    .sgpr_count:     36
    .sgpr_spill_count: 0
    .symbol:         _Z17wvSplitKQ_hf_sml_I6__halfN3c1013Float8_e4m3fnELi64ELi2ELi16ELi16ELi2ELi2EEviiiiiiPKT0_S5_PKT_PS6_PKfSB_ii.kd
    .uniform_work_group_size: 1
    .uses_dynamic_stack: false
    .vgpr_count:     50
    .vgpr_spill_count: 0
    .wavefront_size: 32
    .workgroup_processor_mode: 1
  - .args:
      - .offset:         0
        .size:           4
        .value_kind:     by_value
      - .offset:         4
        .size:           4
        .value_kind:     by_value
      - .offset:         8
        .size:           4
        .value_kind:     by_value
      - .offset:         12
        .size:           4
        .value_kind:     by_value
      - .offset:         16
        .size:           4
        .value_kind:     by_value
      - .offset:         20
        .size:           4
        .value_kind:     by_value
      - .address_space:  global
        .offset:         24
        .size:           8
        .value_kind:     global_buffer
      - .actual_access:  read_only
        .address_space:  global
        .offset:         32
        .size:           8
        .value_kind:     global_buffer
      - .actual_access:  read_only
        .address_space:  global
        .offset:         40
        .size:           8
        .value_kind:     global_buffer
      - .address_space:  global
        .offset:         48
        .size:           8
        .value_kind:     global_buffer
      - .actual_access:  read_only
        .address_space:  global
        .offset:         56
        .size:           8
        .value_kind:     global_buffer
      - .actual_access:  read_only
        .address_space:  global
        .offset:         64
        .size:           8
        .value_kind:     global_buffer
      - .offset:         72
        .size:           4
        .value_kind:     by_value
      - .offset:         76
        .size:           4
        .value_kind:     by_value
      - .offset:         80
        .size:           4
        .value_kind:     hidden_block_count_x
      - .offset:         84
        .size:           4
        .value_kind:     hidden_block_count_y
      - .offset:         88
        .size:           4
        .value_kind:     hidden_block_count_z
      - .offset:         92
        .size:           2
        .value_kind:     hidden_group_size_x
      - .offset:         94
        .size:           2
        .value_kind:     hidden_group_size_y
      - .offset:         96
        .size:           2
        .value_kind:     hidden_group_size_z
      - .offset:         98
        .size:           2
        .value_kind:     hidden_remainder_x
      - .offset:         100
        .size:           2
        .value_kind:     hidden_remainder_y
      - .offset:         102
        .size:           2
        .value_kind:     hidden_remainder_z
      - .offset:         120
        .size:           8
        .value_kind:     hidden_global_offset_x
      - .offset:         128
        .size:           8
        .value_kind:     hidden_global_offset_y
      - .offset:         136
        .size:           8
        .value_kind:     hidden_global_offset_z
      - .offset:         144
        .size:           2
        .value_kind:     hidden_grid_dims
      - .offset:         160
        .size:           8
        .value_kind:     hidden_hostcall_buffer
    .group_segment_fixed_size: 0
    .kernarg_segment_align: 8
    .kernarg_segment_size: 336
    .language:       OpenCL C
    .language_version:
      - 2
      - 0
    .max_flat_workgroup_size: 1024
    .name:           _Z13wvSplitKQ_hf_I6__halfN3c1013Float8_e4m3fnELi64ELi2ELi16ELi16ELi2ELi2EEviiiiiiPKT0_S5_PKT_PS6_PKfSB_ii
    .private_segment_fixed_size: 64
    .sgpr_count:     36
    .sgpr_spill_count: 0
    .symbol:         _Z13wvSplitKQ_hf_I6__halfN3c1013Float8_e4m3fnELi64ELi2ELi16ELi16ELi2ELi2EEviiiiiiPKT0_S5_PKT_PS6_PKfSB_ii.kd
    .uniform_work_group_size: 1
    .uses_dynamic_stack: false
    .vgpr_count:     50
    .vgpr_spill_count: 0
    .wavefront_size: 32
    .workgroup_processor_mode: 1
  - .args:
      - .offset:         0
        .size:           4
        .value_kind:     by_value
      - .offset:         4
        .size:           4
        .value_kind:     by_value
      - .offset:         8
        .size:           4
        .value_kind:     by_value
      - .offset:         12
        .size:           4
        .value_kind:     by_value
      - .offset:         16
        .size:           4
        .value_kind:     by_value
      - .offset:         20
        .size:           4
        .value_kind:     by_value
      - .address_space:  global
        .offset:         24
        .size:           8
        .value_kind:     global_buffer
      - .actual_access:  read_only
        .address_space:  global
        .offset:         32
        .size:           8
        .value_kind:     global_buffer
      - .actual_access:  read_only
        .address_space:  global
        .offset:         40
        .size:           8
        .value_kind:     global_buffer
      - .address_space:  global
        .offset:         48
        .size:           8
        .value_kind:     global_buffer
      - .actual_access:  read_only
        .address_space:  global
        .offset:         56
        .size:           8
        .value_kind:     global_buffer
      - .actual_access:  read_only
        .address_space:  global
        .offset:         64
        .size:           8
        .value_kind:     global_buffer
      - .offset:         72
        .size:           4
        .value_kind:     by_value
      - .offset:         76
        .size:           4
        .value_kind:     by_value
      - .offset:         80
        .size:           4
        .value_kind:     hidden_block_count_x
      - .offset:         84
        .size:           4
        .value_kind:     hidden_block_count_y
      - .offset:         88
        .size:           4
        .value_kind:     hidden_block_count_z
      - .offset:         92
        .size:           2
        .value_kind:     hidden_group_size_x
      - .offset:         94
        .size:           2
        .value_kind:     hidden_group_size_y
      - .offset:         96
        .size:           2
        .value_kind:     hidden_group_size_z
      - .offset:         98
        .size:           2
        .value_kind:     hidden_remainder_x
      - .offset:         100
        .size:           2
        .value_kind:     hidden_remainder_y
      - .offset:         102
        .size:           2
        .value_kind:     hidden_remainder_z
      - .offset:         120
        .size:           8
        .value_kind:     hidden_global_offset_x
      - .offset:         128
        .size:           8
        .value_kind:     hidden_global_offset_y
      - .offset:         136
        .size:           8
        .value_kind:     hidden_global_offset_z
      - .offset:         144
        .size:           2
        .value_kind:     hidden_grid_dims
      - .offset:         160
        .size:           8
        .value_kind:     hidden_hostcall_buffer
    .group_segment_fixed_size: 0
    .kernarg_segment_align: 8
    .kernarg_segment_size: 336
    .language:       OpenCL C
    .language_version:
      - 2
      - 0
    .max_flat_workgroup_size: 1024
    .name:           _Z17wvSplitKQ_hf_sml_I6__halfN3c1013Float8_e4m3fnELi32ELi2ELi16ELi16ELi1ELi3EEviiiiiiPKT0_S5_PKT_PS6_PKfSB_ii
    .private_segment_fixed_size: 64
    .sgpr_count:     36
    .sgpr_spill_count: 0
    .symbol:         _Z17wvSplitKQ_hf_sml_I6__halfN3c1013Float8_e4m3fnELi32ELi2ELi16ELi16ELi1ELi3EEviiiiiiPKT0_S5_PKT_PS6_PKfSB_ii.kd
    .uniform_work_group_size: 1
    .uses_dynamic_stack: false
    .vgpr_count:     50
    .vgpr_spill_count: 0
    .wavefront_size: 32
    .workgroup_processor_mode: 1
  - .args:
      - .offset:         0
        .size:           4
        .value_kind:     by_value
      - .offset:         4
        .size:           4
        .value_kind:     by_value
      - .offset:         8
        .size:           4
        .value_kind:     by_value
      - .offset:         12
        .size:           4
        .value_kind:     by_value
      - .offset:         16
        .size:           4
        .value_kind:     by_value
      - .offset:         20
        .size:           4
        .value_kind:     by_value
      - .address_space:  global
        .offset:         24
        .size:           8
        .value_kind:     global_buffer
      - .actual_access:  read_only
        .address_space:  global
        .offset:         32
        .size:           8
        .value_kind:     global_buffer
      - .actual_access:  read_only
        .address_space:  global
        .offset:         40
        .size:           8
        .value_kind:     global_buffer
      - .address_space:  global
        .offset:         48
        .size:           8
        .value_kind:     global_buffer
      - .actual_access:  read_only
        .address_space:  global
        .offset:         56
        .size:           8
        .value_kind:     global_buffer
      - .actual_access:  read_only
        .address_space:  global
        .offset:         64
        .size:           8
        .value_kind:     global_buffer
      - .offset:         72
        .size:           4
        .value_kind:     by_value
      - .offset:         76
        .size:           4
        .value_kind:     by_value
      - .offset:         80
        .size:           4
        .value_kind:     hidden_block_count_x
      - .offset:         84
        .size:           4
        .value_kind:     hidden_block_count_y
      - .offset:         88
        .size:           4
        .value_kind:     hidden_block_count_z
      - .offset:         92
        .size:           2
        .value_kind:     hidden_group_size_x
      - .offset:         94
        .size:           2
        .value_kind:     hidden_group_size_y
      - .offset:         96
        .size:           2
        .value_kind:     hidden_group_size_z
      - .offset:         98
        .size:           2
        .value_kind:     hidden_remainder_x
      - .offset:         100
        .size:           2
        .value_kind:     hidden_remainder_y
      - .offset:         102
        .size:           2
        .value_kind:     hidden_remainder_z
      - .offset:         120
        .size:           8
        .value_kind:     hidden_global_offset_x
      - .offset:         128
        .size:           8
        .value_kind:     hidden_global_offset_y
      - .offset:         136
        .size:           8
        .value_kind:     hidden_global_offset_z
      - .offset:         144
        .size:           2
        .value_kind:     hidden_grid_dims
      - .offset:         160
        .size:           8
        .value_kind:     hidden_hostcall_buffer
    .group_segment_fixed_size: 0
    .kernarg_segment_align: 8
    .kernarg_segment_size: 336
    .language:       OpenCL C
    .language_version:
      - 2
      - 0
    .max_flat_workgroup_size: 1024
    .name:           _Z13wvSplitKQ_hf_I6__halfN3c1013Float8_e4m3fnELi32ELi2ELi16ELi16ELi1ELi3EEviiiiiiPKT0_S5_PKT_PS6_PKfSB_ii
    .private_segment_fixed_size: 64
    .sgpr_count:     36
    .sgpr_spill_count: 0
    .symbol:         _Z13wvSplitKQ_hf_I6__halfN3c1013Float8_e4m3fnELi32ELi2ELi16ELi16ELi1ELi3EEviiiiiiPKT0_S5_PKT_PS6_PKfSB_ii.kd
    .uniform_work_group_size: 1
    .uses_dynamic_stack: false
    .vgpr_count:     50
    .vgpr_spill_count: 0
    .wavefront_size: 32
    .workgroup_processor_mode: 1
  - .args:
      - .offset:         0
        .size:           4
        .value_kind:     by_value
      - .offset:         4
        .size:           4
        .value_kind:     by_value
      - .offset:         8
        .size:           4
        .value_kind:     by_value
      - .offset:         12
        .size:           4
        .value_kind:     by_value
      - .offset:         16
        .size:           4
        .value_kind:     by_value
      - .offset:         20
        .size:           4
        .value_kind:     by_value
      - .address_space:  global
        .offset:         24
        .size:           8
        .value_kind:     global_buffer
      - .actual_access:  read_only
        .address_space:  global
        .offset:         32
        .size:           8
        .value_kind:     global_buffer
      - .actual_access:  read_only
        .address_space:  global
        .offset:         40
        .size:           8
        .value_kind:     global_buffer
      - .address_space:  global
        .offset:         48
        .size:           8
        .value_kind:     global_buffer
      - .actual_access:  read_only
        .address_space:  global
        .offset:         56
        .size:           8
        .value_kind:     global_buffer
      - .actual_access:  read_only
        .address_space:  global
        .offset:         64
        .size:           8
        .value_kind:     global_buffer
      - .offset:         72
        .size:           4
        .value_kind:     by_value
      - .offset:         76
        .size:           4
        .value_kind:     by_value
      - .offset:         80
        .size:           4
        .value_kind:     hidden_block_count_x
      - .offset:         84
        .size:           4
        .value_kind:     hidden_block_count_y
      - .offset:         88
        .size:           4
        .value_kind:     hidden_block_count_z
      - .offset:         92
        .size:           2
        .value_kind:     hidden_group_size_x
      - .offset:         94
        .size:           2
        .value_kind:     hidden_group_size_y
      - .offset:         96
        .size:           2
        .value_kind:     hidden_group_size_z
      - .offset:         98
        .size:           2
        .value_kind:     hidden_remainder_x
      - .offset:         100
        .size:           2
        .value_kind:     hidden_remainder_y
      - .offset:         102
        .size:           2
        .value_kind:     hidden_remainder_z
      - .offset:         120
        .size:           8
        .value_kind:     hidden_global_offset_x
      - .offset:         128
        .size:           8
        .value_kind:     hidden_global_offset_y
      - .offset:         136
        .size:           8
        .value_kind:     hidden_global_offset_z
      - .offset:         144
        .size:           2
        .value_kind:     hidden_grid_dims
      - .offset:         160
        .size:           8
        .value_kind:     hidden_hostcall_buffer
    .group_segment_fixed_size: 0
    .kernarg_segment_align: 8
    .kernarg_segment_size: 336
    .language:       OpenCL C
    .language_version:
      - 2
      - 0
    .max_flat_workgroup_size: 1024
    .name:           _Z17wvSplitKQ_hf_sml_I6__halfN3c1013Float8_e4m3fnELi64ELi2ELi16ELi16ELi1ELi3EEviiiiiiPKT0_S5_PKT_PS6_PKfSB_ii
    .private_segment_fixed_size: 64
    .sgpr_count:     36
    .sgpr_spill_count: 0
    .symbol:         _Z17wvSplitKQ_hf_sml_I6__halfN3c1013Float8_e4m3fnELi64ELi2ELi16ELi16ELi1ELi3EEviiiiiiPKT0_S5_PKT_PS6_PKfSB_ii.kd
    .uniform_work_group_size: 1
    .uses_dynamic_stack: false
    .vgpr_count:     50
    .vgpr_spill_count: 0
    .wavefront_size: 32
    .workgroup_processor_mode: 1
  - .args:
      - .offset:         0
        .size:           4
        .value_kind:     by_value
      - .offset:         4
        .size:           4
        .value_kind:     by_value
      - .offset:         8
        .size:           4
        .value_kind:     by_value
      - .offset:         12
        .size:           4
        .value_kind:     by_value
      - .offset:         16
        .size:           4
        .value_kind:     by_value
      - .offset:         20
        .size:           4
        .value_kind:     by_value
      - .address_space:  global
        .offset:         24
        .size:           8
        .value_kind:     global_buffer
      - .actual_access:  read_only
        .address_space:  global
        .offset:         32
        .size:           8
        .value_kind:     global_buffer
      - .actual_access:  read_only
        .address_space:  global
        .offset:         40
        .size:           8
        .value_kind:     global_buffer
      - .address_space:  global
        .offset:         48
        .size:           8
        .value_kind:     global_buffer
      - .actual_access:  read_only
        .address_space:  global
        .offset:         56
        .size:           8
        .value_kind:     global_buffer
      - .actual_access:  read_only
        .address_space:  global
        .offset:         64
        .size:           8
        .value_kind:     global_buffer
      - .offset:         72
        .size:           4
        .value_kind:     by_value
      - .offset:         76
        .size:           4
        .value_kind:     by_value
      - .offset:         80
        .size:           4
        .value_kind:     hidden_block_count_x
      - .offset:         84
        .size:           4
        .value_kind:     hidden_block_count_y
      - .offset:         88
        .size:           4
        .value_kind:     hidden_block_count_z
      - .offset:         92
        .size:           2
        .value_kind:     hidden_group_size_x
      - .offset:         94
        .size:           2
        .value_kind:     hidden_group_size_y
      - .offset:         96
        .size:           2
        .value_kind:     hidden_group_size_z
      - .offset:         98
        .size:           2
        .value_kind:     hidden_remainder_x
      - .offset:         100
        .size:           2
        .value_kind:     hidden_remainder_y
      - .offset:         102
        .size:           2
        .value_kind:     hidden_remainder_z
      - .offset:         120
        .size:           8
        .value_kind:     hidden_global_offset_x
      - .offset:         128
        .size:           8
        .value_kind:     hidden_global_offset_y
      - .offset:         136
        .size:           8
        .value_kind:     hidden_global_offset_z
      - .offset:         144
        .size:           2
        .value_kind:     hidden_grid_dims
      - .offset:         160
        .size:           8
        .value_kind:     hidden_hostcall_buffer
    .group_segment_fixed_size: 0
    .kernarg_segment_align: 8
    .kernarg_segment_size: 336
    .language:       OpenCL C
    .language_version:
      - 2
      - 0
    .max_flat_workgroup_size: 1024
    .name:           _Z13wvSplitKQ_hf_I6__halfN3c1013Float8_e4m3fnELi64ELi2ELi16ELi16ELi1ELi3EEviiiiiiPKT0_S5_PKT_PS6_PKfSB_ii
    .private_segment_fixed_size: 64
    .sgpr_count:     36
    .sgpr_spill_count: 0
    .symbol:         _Z13wvSplitKQ_hf_I6__halfN3c1013Float8_e4m3fnELi64ELi2ELi16ELi16ELi1ELi3EEviiiiiiPKT0_S5_PKT_PS6_PKfSB_ii.kd
    .uniform_work_group_size: 1
    .uses_dynamic_stack: false
    .vgpr_count:     50
    .vgpr_spill_count: 0
    .wavefront_size: 32
    .workgroup_processor_mode: 1
  - .args:
      - .offset:         0
        .size:           4
        .value_kind:     by_value
      - .offset:         4
        .size:           4
        .value_kind:     by_value
      - .offset:         8
        .size:           4
        .value_kind:     by_value
      - .offset:         12
        .size:           4
        .value_kind:     by_value
      - .offset:         16
        .size:           4
        .value_kind:     by_value
      - .offset:         20
        .size:           4
        .value_kind:     by_value
      - .address_space:  global
        .offset:         24
        .size:           8
        .value_kind:     global_buffer
      - .actual_access:  read_only
        .address_space:  global
        .offset:         32
        .size:           8
        .value_kind:     global_buffer
      - .actual_access:  read_only
        .address_space:  global
        .offset:         40
        .size:           8
        .value_kind:     global_buffer
      - .address_space:  global
        .offset:         48
        .size:           8
        .value_kind:     global_buffer
      - .actual_access:  read_only
        .address_space:  global
        .offset:         56
        .size:           8
        .value_kind:     global_buffer
      - .actual_access:  read_only
        .address_space:  global
        .offset:         64
        .size:           8
        .value_kind:     global_buffer
      - .offset:         72
        .size:           4
        .value_kind:     by_value
      - .offset:         76
        .size:           4
        .value_kind:     by_value
      - .offset:         80
        .size:           4
        .value_kind:     hidden_block_count_x
      - .offset:         84
        .size:           4
        .value_kind:     hidden_block_count_y
      - .offset:         88
        .size:           4
        .value_kind:     hidden_block_count_z
      - .offset:         92
        .size:           2
        .value_kind:     hidden_group_size_x
      - .offset:         94
        .size:           2
        .value_kind:     hidden_group_size_y
      - .offset:         96
        .size:           2
        .value_kind:     hidden_group_size_z
      - .offset:         98
        .size:           2
        .value_kind:     hidden_remainder_x
      - .offset:         100
        .size:           2
        .value_kind:     hidden_remainder_y
      - .offset:         102
        .size:           2
        .value_kind:     hidden_remainder_z
      - .offset:         120
        .size:           8
        .value_kind:     hidden_global_offset_x
      - .offset:         128
        .size:           8
        .value_kind:     hidden_global_offset_y
      - .offset:         136
        .size:           8
        .value_kind:     hidden_global_offset_z
      - .offset:         144
        .size:           2
        .value_kind:     hidden_grid_dims
      - .offset:         160
        .size:           8
        .value_kind:     hidden_hostcall_buffer
    .group_segment_fixed_size: 0
    .kernarg_segment_align: 8
    .kernarg_segment_size: 336
    .language:       OpenCL C
    .language_version:
      - 2
      - 0
    .max_flat_workgroup_size: 1024
    .name:           _Z17wvSplitKQ_hf_sml_I6__halfN3c1013Float8_e4m3fnELi32ELi2ELi16ELi16ELi1ELi4EEviiiiiiPKT0_S5_PKT_PS6_PKfSB_ii
    .private_segment_fixed_size: 64
    .sgpr_count:     36
    .sgpr_spill_count: 0
    .symbol:         _Z17wvSplitKQ_hf_sml_I6__halfN3c1013Float8_e4m3fnELi32ELi2ELi16ELi16ELi1ELi4EEviiiiiiPKT0_S5_PKT_PS6_PKfSB_ii.kd
    .uniform_work_group_size: 1
    .uses_dynamic_stack: false
    .vgpr_count:     50
    .vgpr_spill_count: 0
    .wavefront_size: 32
    .workgroup_processor_mode: 1
  - .args:
      - .offset:         0
        .size:           4
        .value_kind:     by_value
      - .offset:         4
        .size:           4
        .value_kind:     by_value
      - .offset:         8
        .size:           4
        .value_kind:     by_value
      - .offset:         12
        .size:           4
        .value_kind:     by_value
      - .offset:         16
        .size:           4
        .value_kind:     by_value
      - .offset:         20
        .size:           4
        .value_kind:     by_value
      - .address_space:  global
        .offset:         24
        .size:           8
        .value_kind:     global_buffer
      - .actual_access:  read_only
        .address_space:  global
        .offset:         32
        .size:           8
        .value_kind:     global_buffer
      - .actual_access:  read_only
        .address_space:  global
        .offset:         40
        .size:           8
        .value_kind:     global_buffer
      - .address_space:  global
        .offset:         48
        .size:           8
        .value_kind:     global_buffer
      - .actual_access:  read_only
        .address_space:  global
        .offset:         56
        .size:           8
        .value_kind:     global_buffer
      - .actual_access:  read_only
        .address_space:  global
        .offset:         64
        .size:           8
        .value_kind:     global_buffer
      - .offset:         72
        .size:           4
        .value_kind:     by_value
      - .offset:         76
        .size:           4
        .value_kind:     by_value
      - .offset:         80
        .size:           4
        .value_kind:     hidden_block_count_x
      - .offset:         84
        .size:           4
        .value_kind:     hidden_block_count_y
      - .offset:         88
        .size:           4
        .value_kind:     hidden_block_count_z
      - .offset:         92
        .size:           2
        .value_kind:     hidden_group_size_x
      - .offset:         94
        .size:           2
        .value_kind:     hidden_group_size_y
      - .offset:         96
        .size:           2
        .value_kind:     hidden_group_size_z
      - .offset:         98
        .size:           2
        .value_kind:     hidden_remainder_x
      - .offset:         100
        .size:           2
        .value_kind:     hidden_remainder_y
      - .offset:         102
        .size:           2
        .value_kind:     hidden_remainder_z
      - .offset:         120
        .size:           8
        .value_kind:     hidden_global_offset_x
      - .offset:         128
        .size:           8
        .value_kind:     hidden_global_offset_y
      - .offset:         136
        .size:           8
        .value_kind:     hidden_global_offset_z
      - .offset:         144
        .size:           2
        .value_kind:     hidden_grid_dims
      - .offset:         160
        .size:           8
        .value_kind:     hidden_hostcall_buffer
    .group_segment_fixed_size: 0
    .kernarg_segment_align: 8
    .kernarg_segment_size: 336
    .language:       OpenCL C
    .language_version:
      - 2
      - 0
    .max_flat_workgroup_size: 1024
    .name:           _Z13wvSplitKQ_hf_I6__halfN3c1013Float8_e4m3fnELi32ELi2ELi16ELi16ELi1ELi4EEviiiiiiPKT0_S5_PKT_PS6_PKfSB_ii
    .private_segment_fixed_size: 64
    .sgpr_count:     36
    .sgpr_spill_count: 0
    .symbol:         _Z13wvSplitKQ_hf_I6__halfN3c1013Float8_e4m3fnELi32ELi2ELi16ELi16ELi1ELi4EEviiiiiiPKT0_S5_PKT_PS6_PKfSB_ii.kd
    .uniform_work_group_size: 1
    .uses_dynamic_stack: false
    .vgpr_count:     50
    .vgpr_spill_count: 0
    .wavefront_size: 32
    .workgroup_processor_mode: 1
  - .args:
      - .offset:         0
        .size:           4
        .value_kind:     by_value
      - .offset:         4
        .size:           4
        .value_kind:     by_value
      - .offset:         8
        .size:           4
        .value_kind:     by_value
      - .offset:         12
        .size:           4
        .value_kind:     by_value
      - .offset:         16
        .size:           4
        .value_kind:     by_value
      - .offset:         20
        .size:           4
        .value_kind:     by_value
      - .address_space:  global
        .offset:         24
        .size:           8
        .value_kind:     global_buffer
      - .actual_access:  read_only
        .address_space:  global
        .offset:         32
        .size:           8
        .value_kind:     global_buffer
      - .actual_access:  read_only
        .address_space:  global
        .offset:         40
        .size:           8
        .value_kind:     global_buffer
      - .address_space:  global
        .offset:         48
        .size:           8
        .value_kind:     global_buffer
      - .actual_access:  read_only
        .address_space:  global
        .offset:         56
        .size:           8
        .value_kind:     global_buffer
      - .actual_access:  read_only
        .address_space:  global
        .offset:         64
        .size:           8
        .value_kind:     global_buffer
      - .offset:         72
        .size:           4
        .value_kind:     by_value
      - .offset:         76
        .size:           4
        .value_kind:     by_value
      - .offset:         80
        .size:           4
        .value_kind:     hidden_block_count_x
      - .offset:         84
        .size:           4
        .value_kind:     hidden_block_count_y
      - .offset:         88
        .size:           4
        .value_kind:     hidden_block_count_z
      - .offset:         92
        .size:           2
        .value_kind:     hidden_group_size_x
      - .offset:         94
        .size:           2
        .value_kind:     hidden_group_size_y
      - .offset:         96
        .size:           2
        .value_kind:     hidden_group_size_z
      - .offset:         98
        .size:           2
        .value_kind:     hidden_remainder_x
      - .offset:         100
        .size:           2
        .value_kind:     hidden_remainder_y
      - .offset:         102
        .size:           2
        .value_kind:     hidden_remainder_z
      - .offset:         120
        .size:           8
        .value_kind:     hidden_global_offset_x
      - .offset:         128
        .size:           8
        .value_kind:     hidden_global_offset_y
      - .offset:         136
        .size:           8
        .value_kind:     hidden_global_offset_z
      - .offset:         144
        .size:           2
        .value_kind:     hidden_grid_dims
      - .offset:         160
        .size:           8
        .value_kind:     hidden_hostcall_buffer
    .group_segment_fixed_size: 0
    .kernarg_segment_align: 8
    .kernarg_segment_size: 336
    .language:       OpenCL C
    .language_version:
      - 2
      - 0
    .max_flat_workgroup_size: 1024
    .name:           _Z17wvSplitKQ_hf_sml_I6__halfN3c1013Float8_e4m3fnELi64ELi2ELi16ELi16ELi1ELi4EEviiiiiiPKT0_S5_PKT_PS6_PKfSB_ii
    .private_segment_fixed_size: 64
    .sgpr_count:     36
    .sgpr_spill_count: 0
    .symbol:         _Z17wvSplitKQ_hf_sml_I6__halfN3c1013Float8_e4m3fnELi64ELi2ELi16ELi16ELi1ELi4EEviiiiiiPKT0_S5_PKT_PS6_PKfSB_ii.kd
    .uniform_work_group_size: 1
    .uses_dynamic_stack: false
    .vgpr_count:     50
    .vgpr_spill_count: 0
    .wavefront_size: 32
    .workgroup_processor_mode: 1
  - .args:
      - .offset:         0
        .size:           4
        .value_kind:     by_value
      - .offset:         4
        .size:           4
        .value_kind:     by_value
      - .offset:         8
        .size:           4
        .value_kind:     by_value
      - .offset:         12
        .size:           4
        .value_kind:     by_value
      - .offset:         16
        .size:           4
        .value_kind:     by_value
      - .offset:         20
        .size:           4
        .value_kind:     by_value
      - .address_space:  global
        .offset:         24
        .size:           8
        .value_kind:     global_buffer
      - .actual_access:  read_only
        .address_space:  global
        .offset:         32
        .size:           8
        .value_kind:     global_buffer
      - .actual_access:  read_only
        .address_space:  global
        .offset:         40
        .size:           8
        .value_kind:     global_buffer
      - .address_space:  global
        .offset:         48
        .size:           8
        .value_kind:     global_buffer
      - .actual_access:  read_only
        .address_space:  global
        .offset:         56
        .size:           8
        .value_kind:     global_buffer
      - .actual_access:  read_only
        .address_space:  global
        .offset:         64
        .size:           8
        .value_kind:     global_buffer
      - .offset:         72
        .size:           4
        .value_kind:     by_value
      - .offset:         76
        .size:           4
        .value_kind:     by_value
      - .offset:         80
        .size:           4
        .value_kind:     hidden_block_count_x
      - .offset:         84
        .size:           4
        .value_kind:     hidden_block_count_y
      - .offset:         88
        .size:           4
        .value_kind:     hidden_block_count_z
      - .offset:         92
        .size:           2
        .value_kind:     hidden_group_size_x
      - .offset:         94
        .size:           2
        .value_kind:     hidden_group_size_y
      - .offset:         96
        .size:           2
        .value_kind:     hidden_group_size_z
      - .offset:         98
        .size:           2
        .value_kind:     hidden_remainder_x
      - .offset:         100
        .size:           2
        .value_kind:     hidden_remainder_y
      - .offset:         102
        .size:           2
        .value_kind:     hidden_remainder_z
      - .offset:         120
        .size:           8
        .value_kind:     hidden_global_offset_x
      - .offset:         128
        .size:           8
        .value_kind:     hidden_global_offset_y
      - .offset:         136
        .size:           8
        .value_kind:     hidden_global_offset_z
      - .offset:         144
        .size:           2
        .value_kind:     hidden_grid_dims
      - .offset:         160
        .size:           8
        .value_kind:     hidden_hostcall_buffer
    .group_segment_fixed_size: 0
    .kernarg_segment_align: 8
    .kernarg_segment_size: 336
    .language:       OpenCL C
    .language_version:
      - 2
      - 0
    .max_flat_workgroup_size: 1024
    .name:           _Z13wvSplitKQ_hf_I6__halfN3c1013Float8_e4m3fnELi64ELi2ELi16ELi16ELi1ELi4EEviiiiiiPKT0_S5_PKT_PS6_PKfSB_ii
    .private_segment_fixed_size: 64
    .sgpr_count:     36
    .sgpr_spill_count: 0
    .symbol:         _Z13wvSplitKQ_hf_I6__halfN3c1013Float8_e4m3fnELi64ELi2ELi16ELi16ELi1ELi4EEviiiiiiPKT0_S5_PKT_PS6_PKfSB_ii.kd
    .uniform_work_group_size: 1
    .uses_dynamic_stack: false
    .vgpr_count:     50
    .vgpr_spill_count: 0
    .wavefront_size: 32
    .workgroup_processor_mode: 1
  - .args:
      - .offset:         0
        .size:           4
        .value_kind:     by_value
      - .offset:         4
        .size:           4
        .value_kind:     by_value
      - .offset:         8
        .size:           4
        .value_kind:     by_value
      - .offset:         12
        .size:           4
        .value_kind:     by_value
      - .offset:         16
        .size:           4
        .value_kind:     by_value
      - .offset:         20
        .size:           4
        .value_kind:     by_value
      - .address_space:  global
        .offset:         24
        .size:           8
        .value_kind:     global_buffer
      - .actual_access:  read_only
        .address_space:  global
        .offset:         32
        .size:           8
        .value_kind:     global_buffer
      - .actual_access:  read_only
        .address_space:  global
        .offset:         40
        .size:           8
        .value_kind:     global_buffer
      - .address_space:  global
        .offset:         48
        .size:           8
        .value_kind:     global_buffer
      - .actual_access:  read_only
        .address_space:  global
        .offset:         56
        .size:           8
        .value_kind:     global_buffer
      - .actual_access:  read_only
        .address_space:  global
        .offset:         64
        .size:           8
        .value_kind:     global_buffer
      - .offset:         72
        .size:           4
        .value_kind:     by_value
      - .offset:         76
        .size:           4
        .value_kind:     by_value
      - .offset:         80
        .size:           4
        .value_kind:     hidden_block_count_x
      - .offset:         84
        .size:           4
        .value_kind:     hidden_block_count_y
      - .offset:         88
        .size:           4
        .value_kind:     hidden_block_count_z
      - .offset:         92
        .size:           2
        .value_kind:     hidden_group_size_x
      - .offset:         94
        .size:           2
        .value_kind:     hidden_group_size_y
      - .offset:         96
        .size:           2
        .value_kind:     hidden_group_size_z
      - .offset:         98
        .size:           2
        .value_kind:     hidden_remainder_x
      - .offset:         100
        .size:           2
        .value_kind:     hidden_remainder_y
      - .offset:         102
        .size:           2
        .value_kind:     hidden_remainder_z
      - .offset:         120
        .size:           8
        .value_kind:     hidden_global_offset_x
      - .offset:         128
        .size:           8
        .value_kind:     hidden_global_offset_y
      - .offset:         136
        .size:           8
        .value_kind:     hidden_global_offset_z
      - .offset:         144
        .size:           2
        .value_kind:     hidden_grid_dims
      - .offset:         160
        .size:           8
        .value_kind:     hidden_hostcall_buffer
    .group_segment_fixed_size: 0
    .kernarg_segment_align: 8
    .kernarg_segment_size: 336
    .language:       OpenCL C
    .language_version:
      - 2
      - 0
    .max_flat_workgroup_size: 1024
    .name:           _Z17wvSplitKQ_hf_sml_I6__halfN3c1015Float8_e4m3fnuzELi32ELi2ELi16ELi16ELi2ELi1EEviiiiiiPKT0_S5_PKT_PS6_PKfSB_ii
    .private_segment_fixed_size: 64
    .sgpr_count:     36
    .sgpr_spill_count: 0
    .symbol:         _Z17wvSplitKQ_hf_sml_I6__halfN3c1015Float8_e4m3fnuzELi32ELi2ELi16ELi16ELi2ELi1EEviiiiiiPKT0_S5_PKT_PS6_PKfSB_ii.kd
    .uniform_work_group_size: 1
    .uses_dynamic_stack: false
    .vgpr_count:     50
    .vgpr_spill_count: 0
    .wavefront_size: 32
    .workgroup_processor_mode: 1
  - .args:
      - .offset:         0
        .size:           4
        .value_kind:     by_value
      - .offset:         4
        .size:           4
        .value_kind:     by_value
      - .offset:         8
        .size:           4
        .value_kind:     by_value
      - .offset:         12
        .size:           4
        .value_kind:     by_value
      - .offset:         16
        .size:           4
        .value_kind:     by_value
      - .offset:         20
        .size:           4
        .value_kind:     by_value
      - .address_space:  global
        .offset:         24
        .size:           8
        .value_kind:     global_buffer
      - .actual_access:  read_only
        .address_space:  global
        .offset:         32
        .size:           8
        .value_kind:     global_buffer
      - .actual_access:  read_only
        .address_space:  global
        .offset:         40
        .size:           8
        .value_kind:     global_buffer
      - .address_space:  global
        .offset:         48
        .size:           8
        .value_kind:     global_buffer
      - .actual_access:  read_only
        .address_space:  global
        .offset:         56
        .size:           8
        .value_kind:     global_buffer
      - .actual_access:  read_only
        .address_space:  global
        .offset:         64
        .size:           8
        .value_kind:     global_buffer
      - .offset:         72
        .size:           4
        .value_kind:     by_value
      - .offset:         76
        .size:           4
        .value_kind:     by_value
      - .offset:         80
        .size:           4
        .value_kind:     hidden_block_count_x
      - .offset:         84
        .size:           4
        .value_kind:     hidden_block_count_y
      - .offset:         88
        .size:           4
        .value_kind:     hidden_block_count_z
      - .offset:         92
        .size:           2
        .value_kind:     hidden_group_size_x
      - .offset:         94
        .size:           2
        .value_kind:     hidden_group_size_y
      - .offset:         96
        .size:           2
        .value_kind:     hidden_group_size_z
      - .offset:         98
        .size:           2
        .value_kind:     hidden_remainder_x
      - .offset:         100
        .size:           2
        .value_kind:     hidden_remainder_y
      - .offset:         102
        .size:           2
        .value_kind:     hidden_remainder_z
      - .offset:         120
        .size:           8
        .value_kind:     hidden_global_offset_x
      - .offset:         128
        .size:           8
        .value_kind:     hidden_global_offset_y
      - .offset:         136
        .size:           8
        .value_kind:     hidden_global_offset_z
      - .offset:         144
        .size:           2
        .value_kind:     hidden_grid_dims
      - .offset:         160
        .size:           8
        .value_kind:     hidden_hostcall_buffer
    .group_segment_fixed_size: 0
    .kernarg_segment_align: 8
    .kernarg_segment_size: 336
    .language:       OpenCL C
    .language_version:
      - 2
      - 0
    .max_flat_workgroup_size: 1024
    .name:           _Z13wvSplitKQ_hf_I6__halfN3c1015Float8_e4m3fnuzELi32ELi2ELi16ELi16ELi2ELi1EEviiiiiiPKT0_S5_PKT_PS6_PKfSB_ii
    .private_segment_fixed_size: 64
    .sgpr_count:     36
    .sgpr_spill_count: 0
    .symbol:         _Z13wvSplitKQ_hf_I6__halfN3c1015Float8_e4m3fnuzELi32ELi2ELi16ELi16ELi2ELi1EEviiiiiiPKT0_S5_PKT_PS6_PKfSB_ii.kd
    .uniform_work_group_size: 1
    .uses_dynamic_stack: false
    .vgpr_count:     50
    .vgpr_spill_count: 0
    .wavefront_size: 32
    .workgroup_processor_mode: 1
  - .args:
      - .offset:         0
        .size:           4
        .value_kind:     by_value
      - .offset:         4
        .size:           4
        .value_kind:     by_value
      - .offset:         8
        .size:           4
        .value_kind:     by_value
      - .offset:         12
        .size:           4
        .value_kind:     by_value
      - .offset:         16
        .size:           4
        .value_kind:     by_value
      - .offset:         20
        .size:           4
        .value_kind:     by_value
      - .address_space:  global
        .offset:         24
        .size:           8
        .value_kind:     global_buffer
      - .actual_access:  read_only
        .address_space:  global
        .offset:         32
        .size:           8
        .value_kind:     global_buffer
      - .actual_access:  read_only
        .address_space:  global
        .offset:         40
        .size:           8
        .value_kind:     global_buffer
      - .address_space:  global
        .offset:         48
        .size:           8
        .value_kind:     global_buffer
      - .actual_access:  read_only
        .address_space:  global
        .offset:         56
        .size:           8
        .value_kind:     global_buffer
      - .actual_access:  read_only
        .address_space:  global
        .offset:         64
        .size:           8
        .value_kind:     global_buffer
      - .offset:         72
        .size:           4
        .value_kind:     by_value
      - .offset:         76
        .size:           4
        .value_kind:     by_value
      - .offset:         80
        .size:           4
        .value_kind:     hidden_block_count_x
      - .offset:         84
        .size:           4
        .value_kind:     hidden_block_count_y
      - .offset:         88
        .size:           4
        .value_kind:     hidden_block_count_z
      - .offset:         92
        .size:           2
        .value_kind:     hidden_group_size_x
      - .offset:         94
        .size:           2
        .value_kind:     hidden_group_size_y
      - .offset:         96
        .size:           2
        .value_kind:     hidden_group_size_z
      - .offset:         98
        .size:           2
        .value_kind:     hidden_remainder_x
      - .offset:         100
        .size:           2
        .value_kind:     hidden_remainder_y
      - .offset:         102
        .size:           2
        .value_kind:     hidden_remainder_z
      - .offset:         120
        .size:           8
        .value_kind:     hidden_global_offset_x
      - .offset:         128
        .size:           8
        .value_kind:     hidden_global_offset_y
      - .offset:         136
        .size:           8
        .value_kind:     hidden_global_offset_z
      - .offset:         144
        .size:           2
        .value_kind:     hidden_grid_dims
      - .offset:         160
        .size:           8
        .value_kind:     hidden_hostcall_buffer
    .group_segment_fixed_size: 0
    .kernarg_segment_align: 8
    .kernarg_segment_size: 336
    .language:       OpenCL C
    .language_version:
      - 2
      - 0
    .max_flat_workgroup_size: 1024
    .name:           _Z17wvSplitKQ_hf_sml_I6__halfN3c1015Float8_e4m3fnuzELi64ELi2ELi16ELi16ELi2ELi1EEviiiiiiPKT0_S5_PKT_PS6_PKfSB_ii
    .private_segment_fixed_size: 64
    .sgpr_count:     36
    .sgpr_spill_count: 0
    .symbol:         _Z17wvSplitKQ_hf_sml_I6__halfN3c1015Float8_e4m3fnuzELi64ELi2ELi16ELi16ELi2ELi1EEviiiiiiPKT0_S5_PKT_PS6_PKfSB_ii.kd
    .uniform_work_group_size: 1
    .uses_dynamic_stack: false
    .vgpr_count:     50
    .vgpr_spill_count: 0
    .wavefront_size: 32
    .workgroup_processor_mode: 1
  - .args:
      - .offset:         0
        .size:           4
        .value_kind:     by_value
      - .offset:         4
        .size:           4
        .value_kind:     by_value
      - .offset:         8
        .size:           4
        .value_kind:     by_value
      - .offset:         12
        .size:           4
        .value_kind:     by_value
      - .offset:         16
        .size:           4
        .value_kind:     by_value
      - .offset:         20
        .size:           4
        .value_kind:     by_value
      - .address_space:  global
        .offset:         24
        .size:           8
        .value_kind:     global_buffer
      - .actual_access:  read_only
        .address_space:  global
        .offset:         32
        .size:           8
        .value_kind:     global_buffer
      - .actual_access:  read_only
        .address_space:  global
        .offset:         40
        .size:           8
        .value_kind:     global_buffer
      - .address_space:  global
        .offset:         48
        .size:           8
        .value_kind:     global_buffer
      - .actual_access:  read_only
        .address_space:  global
        .offset:         56
        .size:           8
        .value_kind:     global_buffer
      - .actual_access:  read_only
        .address_space:  global
        .offset:         64
        .size:           8
        .value_kind:     global_buffer
      - .offset:         72
        .size:           4
        .value_kind:     by_value
      - .offset:         76
        .size:           4
        .value_kind:     by_value
      - .offset:         80
        .size:           4
        .value_kind:     hidden_block_count_x
      - .offset:         84
        .size:           4
        .value_kind:     hidden_block_count_y
      - .offset:         88
        .size:           4
        .value_kind:     hidden_block_count_z
      - .offset:         92
        .size:           2
        .value_kind:     hidden_group_size_x
      - .offset:         94
        .size:           2
        .value_kind:     hidden_group_size_y
      - .offset:         96
        .size:           2
        .value_kind:     hidden_group_size_z
      - .offset:         98
        .size:           2
        .value_kind:     hidden_remainder_x
      - .offset:         100
        .size:           2
        .value_kind:     hidden_remainder_y
      - .offset:         102
        .size:           2
        .value_kind:     hidden_remainder_z
      - .offset:         120
        .size:           8
        .value_kind:     hidden_global_offset_x
      - .offset:         128
        .size:           8
        .value_kind:     hidden_global_offset_y
      - .offset:         136
        .size:           8
        .value_kind:     hidden_global_offset_z
      - .offset:         144
        .size:           2
        .value_kind:     hidden_grid_dims
      - .offset:         160
        .size:           8
        .value_kind:     hidden_hostcall_buffer
    .group_segment_fixed_size: 0
    .kernarg_segment_align: 8
    .kernarg_segment_size: 336
    .language:       OpenCL C
    .language_version:
      - 2
      - 0
    .max_flat_workgroup_size: 1024
    .name:           _Z13wvSplitKQ_hf_I6__halfN3c1015Float8_e4m3fnuzELi64ELi2ELi16ELi16ELi2ELi1EEviiiiiiPKT0_S5_PKT_PS6_PKfSB_ii
    .private_segment_fixed_size: 64
    .sgpr_count:     36
    .sgpr_spill_count: 0
    .symbol:         _Z13wvSplitKQ_hf_I6__halfN3c1015Float8_e4m3fnuzELi64ELi2ELi16ELi16ELi2ELi1EEviiiiiiPKT0_S5_PKT_PS6_PKfSB_ii.kd
    .uniform_work_group_size: 1
    .uses_dynamic_stack: false
    .vgpr_count:     50
    .vgpr_spill_count: 0
    .wavefront_size: 32
    .workgroup_processor_mode: 1
  - .args:
      - .offset:         0
        .size:           4
        .value_kind:     by_value
      - .offset:         4
        .size:           4
        .value_kind:     by_value
      - .offset:         8
        .size:           4
        .value_kind:     by_value
      - .offset:         12
        .size:           4
        .value_kind:     by_value
      - .offset:         16
        .size:           4
        .value_kind:     by_value
      - .offset:         20
        .size:           4
        .value_kind:     by_value
      - .address_space:  global
        .offset:         24
        .size:           8
        .value_kind:     global_buffer
      - .actual_access:  read_only
        .address_space:  global
        .offset:         32
        .size:           8
        .value_kind:     global_buffer
      - .actual_access:  read_only
        .address_space:  global
        .offset:         40
        .size:           8
        .value_kind:     global_buffer
      - .address_space:  global
        .offset:         48
        .size:           8
        .value_kind:     global_buffer
      - .actual_access:  read_only
        .address_space:  global
        .offset:         56
        .size:           8
        .value_kind:     global_buffer
      - .actual_access:  read_only
        .address_space:  global
        .offset:         64
        .size:           8
        .value_kind:     global_buffer
      - .offset:         72
        .size:           4
        .value_kind:     by_value
      - .offset:         76
        .size:           4
        .value_kind:     by_value
      - .offset:         80
        .size:           4
        .value_kind:     hidden_block_count_x
      - .offset:         84
        .size:           4
        .value_kind:     hidden_block_count_y
      - .offset:         88
        .size:           4
        .value_kind:     hidden_block_count_z
      - .offset:         92
        .size:           2
        .value_kind:     hidden_group_size_x
      - .offset:         94
        .size:           2
        .value_kind:     hidden_group_size_y
      - .offset:         96
        .size:           2
        .value_kind:     hidden_group_size_z
      - .offset:         98
        .size:           2
        .value_kind:     hidden_remainder_x
      - .offset:         100
        .size:           2
        .value_kind:     hidden_remainder_y
      - .offset:         102
        .size:           2
        .value_kind:     hidden_remainder_z
      - .offset:         120
        .size:           8
        .value_kind:     hidden_global_offset_x
      - .offset:         128
        .size:           8
        .value_kind:     hidden_global_offset_y
      - .offset:         136
        .size:           8
        .value_kind:     hidden_global_offset_z
      - .offset:         144
        .size:           2
        .value_kind:     hidden_grid_dims
      - .offset:         160
        .size:           8
        .value_kind:     hidden_hostcall_buffer
    .group_segment_fixed_size: 0
    .kernarg_segment_align: 8
    .kernarg_segment_size: 336
    .language:       OpenCL C
    .language_version:
      - 2
      - 0
    .max_flat_workgroup_size: 1024
    .name:           _Z17wvSplitKQ_hf_sml_I6__halfN3c1015Float8_e4m3fnuzELi32ELi2ELi16ELi16ELi2ELi2EEviiiiiiPKT0_S5_PKT_PS6_PKfSB_ii
    .private_segment_fixed_size: 64
    .sgpr_count:     36
    .sgpr_spill_count: 0
    .symbol:         _Z17wvSplitKQ_hf_sml_I6__halfN3c1015Float8_e4m3fnuzELi32ELi2ELi16ELi16ELi2ELi2EEviiiiiiPKT0_S5_PKT_PS6_PKfSB_ii.kd
    .uniform_work_group_size: 1
    .uses_dynamic_stack: false
    .vgpr_count:     50
    .vgpr_spill_count: 0
    .wavefront_size: 32
    .workgroup_processor_mode: 1
  - .args:
      - .offset:         0
        .size:           4
        .value_kind:     by_value
      - .offset:         4
        .size:           4
        .value_kind:     by_value
      - .offset:         8
        .size:           4
        .value_kind:     by_value
      - .offset:         12
        .size:           4
        .value_kind:     by_value
      - .offset:         16
        .size:           4
        .value_kind:     by_value
      - .offset:         20
        .size:           4
        .value_kind:     by_value
      - .address_space:  global
        .offset:         24
        .size:           8
        .value_kind:     global_buffer
      - .actual_access:  read_only
        .address_space:  global
        .offset:         32
        .size:           8
        .value_kind:     global_buffer
      - .actual_access:  read_only
        .address_space:  global
        .offset:         40
        .size:           8
        .value_kind:     global_buffer
      - .address_space:  global
        .offset:         48
        .size:           8
        .value_kind:     global_buffer
      - .actual_access:  read_only
        .address_space:  global
        .offset:         56
        .size:           8
        .value_kind:     global_buffer
      - .actual_access:  read_only
        .address_space:  global
        .offset:         64
        .size:           8
        .value_kind:     global_buffer
      - .offset:         72
        .size:           4
        .value_kind:     by_value
      - .offset:         76
        .size:           4
        .value_kind:     by_value
      - .offset:         80
        .size:           4
        .value_kind:     hidden_block_count_x
      - .offset:         84
        .size:           4
        .value_kind:     hidden_block_count_y
      - .offset:         88
        .size:           4
        .value_kind:     hidden_block_count_z
      - .offset:         92
        .size:           2
        .value_kind:     hidden_group_size_x
      - .offset:         94
        .size:           2
        .value_kind:     hidden_group_size_y
      - .offset:         96
        .size:           2
        .value_kind:     hidden_group_size_z
      - .offset:         98
        .size:           2
        .value_kind:     hidden_remainder_x
      - .offset:         100
        .size:           2
        .value_kind:     hidden_remainder_y
      - .offset:         102
        .size:           2
        .value_kind:     hidden_remainder_z
      - .offset:         120
        .size:           8
        .value_kind:     hidden_global_offset_x
      - .offset:         128
        .size:           8
        .value_kind:     hidden_global_offset_y
      - .offset:         136
        .size:           8
        .value_kind:     hidden_global_offset_z
      - .offset:         144
        .size:           2
        .value_kind:     hidden_grid_dims
      - .offset:         160
        .size:           8
        .value_kind:     hidden_hostcall_buffer
    .group_segment_fixed_size: 0
    .kernarg_segment_align: 8
    .kernarg_segment_size: 336
    .language:       OpenCL C
    .language_version:
      - 2
      - 0
    .max_flat_workgroup_size: 1024
    .name:           _Z13wvSplitKQ_hf_I6__halfN3c1015Float8_e4m3fnuzELi32ELi2ELi16ELi16ELi2ELi2EEviiiiiiPKT0_S5_PKT_PS6_PKfSB_ii
    .private_segment_fixed_size: 64
    .sgpr_count:     36
    .sgpr_spill_count: 0
    .symbol:         _Z13wvSplitKQ_hf_I6__halfN3c1015Float8_e4m3fnuzELi32ELi2ELi16ELi16ELi2ELi2EEviiiiiiPKT0_S5_PKT_PS6_PKfSB_ii.kd
    .uniform_work_group_size: 1
    .uses_dynamic_stack: false
    .vgpr_count:     50
    .vgpr_spill_count: 0
    .wavefront_size: 32
    .workgroup_processor_mode: 1
  - .args:
      - .offset:         0
        .size:           4
        .value_kind:     by_value
      - .offset:         4
        .size:           4
        .value_kind:     by_value
      - .offset:         8
        .size:           4
        .value_kind:     by_value
      - .offset:         12
        .size:           4
        .value_kind:     by_value
      - .offset:         16
        .size:           4
        .value_kind:     by_value
      - .offset:         20
        .size:           4
        .value_kind:     by_value
      - .address_space:  global
        .offset:         24
        .size:           8
        .value_kind:     global_buffer
      - .actual_access:  read_only
        .address_space:  global
        .offset:         32
        .size:           8
        .value_kind:     global_buffer
      - .actual_access:  read_only
        .address_space:  global
        .offset:         40
        .size:           8
        .value_kind:     global_buffer
      - .address_space:  global
        .offset:         48
        .size:           8
        .value_kind:     global_buffer
      - .actual_access:  read_only
        .address_space:  global
        .offset:         56
        .size:           8
        .value_kind:     global_buffer
      - .actual_access:  read_only
        .address_space:  global
        .offset:         64
        .size:           8
        .value_kind:     global_buffer
      - .offset:         72
        .size:           4
        .value_kind:     by_value
      - .offset:         76
        .size:           4
        .value_kind:     by_value
      - .offset:         80
        .size:           4
        .value_kind:     hidden_block_count_x
      - .offset:         84
        .size:           4
        .value_kind:     hidden_block_count_y
      - .offset:         88
        .size:           4
        .value_kind:     hidden_block_count_z
      - .offset:         92
        .size:           2
        .value_kind:     hidden_group_size_x
      - .offset:         94
        .size:           2
        .value_kind:     hidden_group_size_y
      - .offset:         96
        .size:           2
        .value_kind:     hidden_group_size_z
      - .offset:         98
        .size:           2
        .value_kind:     hidden_remainder_x
      - .offset:         100
        .size:           2
        .value_kind:     hidden_remainder_y
      - .offset:         102
        .size:           2
        .value_kind:     hidden_remainder_z
      - .offset:         120
        .size:           8
        .value_kind:     hidden_global_offset_x
      - .offset:         128
        .size:           8
        .value_kind:     hidden_global_offset_y
      - .offset:         136
        .size:           8
        .value_kind:     hidden_global_offset_z
      - .offset:         144
        .size:           2
        .value_kind:     hidden_grid_dims
      - .offset:         160
        .size:           8
        .value_kind:     hidden_hostcall_buffer
    .group_segment_fixed_size: 0
    .kernarg_segment_align: 8
    .kernarg_segment_size: 336
    .language:       OpenCL C
    .language_version:
      - 2
      - 0
    .max_flat_workgroup_size: 1024
    .name:           _Z17wvSplitKQ_hf_sml_I6__halfN3c1015Float8_e4m3fnuzELi64ELi2ELi16ELi16ELi2ELi2EEviiiiiiPKT0_S5_PKT_PS6_PKfSB_ii
    .private_segment_fixed_size: 64
    .sgpr_count:     36
    .sgpr_spill_count: 0
    .symbol:         _Z17wvSplitKQ_hf_sml_I6__halfN3c1015Float8_e4m3fnuzELi64ELi2ELi16ELi16ELi2ELi2EEviiiiiiPKT0_S5_PKT_PS6_PKfSB_ii.kd
    .uniform_work_group_size: 1
    .uses_dynamic_stack: false
    .vgpr_count:     50
    .vgpr_spill_count: 0
    .wavefront_size: 32
    .workgroup_processor_mode: 1
  - .args:
      - .offset:         0
        .size:           4
        .value_kind:     by_value
      - .offset:         4
        .size:           4
        .value_kind:     by_value
      - .offset:         8
        .size:           4
        .value_kind:     by_value
      - .offset:         12
        .size:           4
        .value_kind:     by_value
      - .offset:         16
        .size:           4
        .value_kind:     by_value
      - .offset:         20
        .size:           4
        .value_kind:     by_value
      - .address_space:  global
        .offset:         24
        .size:           8
        .value_kind:     global_buffer
      - .actual_access:  read_only
        .address_space:  global
        .offset:         32
        .size:           8
        .value_kind:     global_buffer
      - .actual_access:  read_only
        .address_space:  global
        .offset:         40
        .size:           8
        .value_kind:     global_buffer
      - .address_space:  global
        .offset:         48
        .size:           8
        .value_kind:     global_buffer
      - .actual_access:  read_only
        .address_space:  global
        .offset:         56
        .size:           8
        .value_kind:     global_buffer
      - .actual_access:  read_only
        .address_space:  global
        .offset:         64
        .size:           8
        .value_kind:     global_buffer
      - .offset:         72
        .size:           4
        .value_kind:     by_value
      - .offset:         76
        .size:           4
        .value_kind:     by_value
      - .offset:         80
        .size:           4
        .value_kind:     hidden_block_count_x
      - .offset:         84
        .size:           4
        .value_kind:     hidden_block_count_y
      - .offset:         88
        .size:           4
        .value_kind:     hidden_block_count_z
      - .offset:         92
        .size:           2
        .value_kind:     hidden_group_size_x
      - .offset:         94
        .size:           2
        .value_kind:     hidden_group_size_y
      - .offset:         96
        .size:           2
        .value_kind:     hidden_group_size_z
      - .offset:         98
        .size:           2
        .value_kind:     hidden_remainder_x
      - .offset:         100
        .size:           2
        .value_kind:     hidden_remainder_y
      - .offset:         102
        .size:           2
        .value_kind:     hidden_remainder_z
      - .offset:         120
        .size:           8
        .value_kind:     hidden_global_offset_x
      - .offset:         128
        .size:           8
        .value_kind:     hidden_global_offset_y
      - .offset:         136
        .size:           8
        .value_kind:     hidden_global_offset_z
      - .offset:         144
        .size:           2
        .value_kind:     hidden_grid_dims
      - .offset:         160
        .size:           8
        .value_kind:     hidden_hostcall_buffer
    .group_segment_fixed_size: 0
    .kernarg_segment_align: 8
    .kernarg_segment_size: 336
    .language:       OpenCL C
    .language_version:
      - 2
      - 0
    .max_flat_workgroup_size: 1024
    .name:           _Z13wvSplitKQ_hf_I6__halfN3c1015Float8_e4m3fnuzELi64ELi2ELi16ELi16ELi2ELi2EEviiiiiiPKT0_S5_PKT_PS6_PKfSB_ii
    .private_segment_fixed_size: 64
    .sgpr_count:     36
    .sgpr_spill_count: 0
    .symbol:         _Z13wvSplitKQ_hf_I6__halfN3c1015Float8_e4m3fnuzELi64ELi2ELi16ELi16ELi2ELi2EEviiiiiiPKT0_S5_PKT_PS6_PKfSB_ii.kd
    .uniform_work_group_size: 1
    .uses_dynamic_stack: false
    .vgpr_count:     50
    .vgpr_spill_count: 0
    .wavefront_size: 32
    .workgroup_processor_mode: 1
  - .args:
      - .offset:         0
        .size:           4
        .value_kind:     by_value
      - .offset:         4
        .size:           4
        .value_kind:     by_value
      - .offset:         8
        .size:           4
        .value_kind:     by_value
      - .offset:         12
        .size:           4
        .value_kind:     by_value
      - .offset:         16
        .size:           4
        .value_kind:     by_value
      - .offset:         20
        .size:           4
        .value_kind:     by_value
      - .address_space:  global
        .offset:         24
        .size:           8
        .value_kind:     global_buffer
      - .actual_access:  read_only
        .address_space:  global
        .offset:         32
        .size:           8
        .value_kind:     global_buffer
      - .actual_access:  read_only
        .address_space:  global
        .offset:         40
        .size:           8
        .value_kind:     global_buffer
      - .address_space:  global
        .offset:         48
        .size:           8
        .value_kind:     global_buffer
      - .actual_access:  read_only
        .address_space:  global
        .offset:         56
        .size:           8
        .value_kind:     global_buffer
      - .actual_access:  read_only
        .address_space:  global
        .offset:         64
        .size:           8
        .value_kind:     global_buffer
      - .offset:         72
        .size:           4
        .value_kind:     by_value
      - .offset:         76
        .size:           4
        .value_kind:     by_value
      - .offset:         80
        .size:           4
        .value_kind:     hidden_block_count_x
      - .offset:         84
        .size:           4
        .value_kind:     hidden_block_count_y
      - .offset:         88
        .size:           4
        .value_kind:     hidden_block_count_z
      - .offset:         92
        .size:           2
        .value_kind:     hidden_group_size_x
      - .offset:         94
        .size:           2
        .value_kind:     hidden_group_size_y
      - .offset:         96
        .size:           2
        .value_kind:     hidden_group_size_z
      - .offset:         98
        .size:           2
        .value_kind:     hidden_remainder_x
      - .offset:         100
        .size:           2
        .value_kind:     hidden_remainder_y
      - .offset:         102
        .size:           2
        .value_kind:     hidden_remainder_z
      - .offset:         120
        .size:           8
        .value_kind:     hidden_global_offset_x
      - .offset:         128
        .size:           8
        .value_kind:     hidden_global_offset_y
      - .offset:         136
        .size:           8
        .value_kind:     hidden_global_offset_z
      - .offset:         144
        .size:           2
        .value_kind:     hidden_grid_dims
      - .offset:         160
        .size:           8
        .value_kind:     hidden_hostcall_buffer
    .group_segment_fixed_size: 0
    .kernarg_segment_align: 8
    .kernarg_segment_size: 336
    .language:       OpenCL C
    .language_version:
      - 2
      - 0
    .max_flat_workgroup_size: 1024
    .name:           _Z17wvSplitKQ_hf_sml_I6__halfN3c1015Float8_e4m3fnuzELi32ELi2ELi16ELi16ELi1ELi3EEviiiiiiPKT0_S5_PKT_PS6_PKfSB_ii
    .private_segment_fixed_size: 64
    .sgpr_count:     36
    .sgpr_spill_count: 0
    .symbol:         _Z17wvSplitKQ_hf_sml_I6__halfN3c1015Float8_e4m3fnuzELi32ELi2ELi16ELi16ELi1ELi3EEviiiiiiPKT0_S5_PKT_PS6_PKfSB_ii.kd
    .uniform_work_group_size: 1
    .uses_dynamic_stack: false
    .vgpr_count:     50
    .vgpr_spill_count: 0
    .wavefront_size: 32
    .workgroup_processor_mode: 1
  - .args:
      - .offset:         0
        .size:           4
        .value_kind:     by_value
      - .offset:         4
        .size:           4
        .value_kind:     by_value
      - .offset:         8
        .size:           4
        .value_kind:     by_value
      - .offset:         12
        .size:           4
        .value_kind:     by_value
      - .offset:         16
        .size:           4
        .value_kind:     by_value
      - .offset:         20
        .size:           4
        .value_kind:     by_value
      - .address_space:  global
        .offset:         24
        .size:           8
        .value_kind:     global_buffer
      - .actual_access:  read_only
        .address_space:  global
        .offset:         32
        .size:           8
        .value_kind:     global_buffer
      - .actual_access:  read_only
        .address_space:  global
        .offset:         40
        .size:           8
        .value_kind:     global_buffer
      - .address_space:  global
        .offset:         48
        .size:           8
        .value_kind:     global_buffer
      - .actual_access:  read_only
        .address_space:  global
        .offset:         56
        .size:           8
        .value_kind:     global_buffer
      - .actual_access:  read_only
        .address_space:  global
        .offset:         64
        .size:           8
        .value_kind:     global_buffer
      - .offset:         72
        .size:           4
        .value_kind:     by_value
      - .offset:         76
        .size:           4
        .value_kind:     by_value
      - .offset:         80
        .size:           4
        .value_kind:     hidden_block_count_x
      - .offset:         84
        .size:           4
        .value_kind:     hidden_block_count_y
      - .offset:         88
        .size:           4
        .value_kind:     hidden_block_count_z
      - .offset:         92
        .size:           2
        .value_kind:     hidden_group_size_x
      - .offset:         94
        .size:           2
        .value_kind:     hidden_group_size_y
      - .offset:         96
        .size:           2
        .value_kind:     hidden_group_size_z
      - .offset:         98
        .size:           2
        .value_kind:     hidden_remainder_x
      - .offset:         100
        .size:           2
        .value_kind:     hidden_remainder_y
      - .offset:         102
        .size:           2
        .value_kind:     hidden_remainder_z
      - .offset:         120
        .size:           8
        .value_kind:     hidden_global_offset_x
      - .offset:         128
        .size:           8
        .value_kind:     hidden_global_offset_y
      - .offset:         136
        .size:           8
        .value_kind:     hidden_global_offset_z
      - .offset:         144
        .size:           2
        .value_kind:     hidden_grid_dims
      - .offset:         160
        .size:           8
        .value_kind:     hidden_hostcall_buffer
    .group_segment_fixed_size: 0
    .kernarg_segment_align: 8
    .kernarg_segment_size: 336
    .language:       OpenCL C
    .language_version:
      - 2
      - 0
    .max_flat_workgroup_size: 1024
    .name:           _Z13wvSplitKQ_hf_I6__halfN3c1015Float8_e4m3fnuzELi32ELi2ELi16ELi16ELi1ELi3EEviiiiiiPKT0_S5_PKT_PS6_PKfSB_ii
    .private_segment_fixed_size: 64
    .sgpr_count:     36
    .sgpr_spill_count: 0
    .symbol:         _Z13wvSplitKQ_hf_I6__halfN3c1015Float8_e4m3fnuzELi32ELi2ELi16ELi16ELi1ELi3EEviiiiiiPKT0_S5_PKT_PS6_PKfSB_ii.kd
    .uniform_work_group_size: 1
    .uses_dynamic_stack: false
    .vgpr_count:     50
    .vgpr_spill_count: 0
    .wavefront_size: 32
    .workgroup_processor_mode: 1
  - .args:
      - .offset:         0
        .size:           4
        .value_kind:     by_value
      - .offset:         4
        .size:           4
        .value_kind:     by_value
      - .offset:         8
        .size:           4
        .value_kind:     by_value
      - .offset:         12
        .size:           4
        .value_kind:     by_value
      - .offset:         16
        .size:           4
        .value_kind:     by_value
      - .offset:         20
        .size:           4
        .value_kind:     by_value
      - .address_space:  global
        .offset:         24
        .size:           8
        .value_kind:     global_buffer
      - .actual_access:  read_only
        .address_space:  global
        .offset:         32
        .size:           8
        .value_kind:     global_buffer
      - .actual_access:  read_only
        .address_space:  global
        .offset:         40
        .size:           8
        .value_kind:     global_buffer
      - .address_space:  global
        .offset:         48
        .size:           8
        .value_kind:     global_buffer
      - .actual_access:  read_only
        .address_space:  global
        .offset:         56
        .size:           8
        .value_kind:     global_buffer
      - .actual_access:  read_only
        .address_space:  global
        .offset:         64
        .size:           8
        .value_kind:     global_buffer
      - .offset:         72
        .size:           4
        .value_kind:     by_value
      - .offset:         76
        .size:           4
        .value_kind:     by_value
      - .offset:         80
        .size:           4
        .value_kind:     hidden_block_count_x
      - .offset:         84
        .size:           4
        .value_kind:     hidden_block_count_y
      - .offset:         88
        .size:           4
        .value_kind:     hidden_block_count_z
      - .offset:         92
        .size:           2
        .value_kind:     hidden_group_size_x
      - .offset:         94
        .size:           2
        .value_kind:     hidden_group_size_y
      - .offset:         96
        .size:           2
        .value_kind:     hidden_group_size_z
      - .offset:         98
        .size:           2
        .value_kind:     hidden_remainder_x
      - .offset:         100
        .size:           2
        .value_kind:     hidden_remainder_y
      - .offset:         102
        .size:           2
        .value_kind:     hidden_remainder_z
      - .offset:         120
        .size:           8
        .value_kind:     hidden_global_offset_x
      - .offset:         128
        .size:           8
        .value_kind:     hidden_global_offset_y
      - .offset:         136
        .size:           8
        .value_kind:     hidden_global_offset_z
      - .offset:         144
        .size:           2
        .value_kind:     hidden_grid_dims
      - .offset:         160
        .size:           8
        .value_kind:     hidden_hostcall_buffer
    .group_segment_fixed_size: 0
    .kernarg_segment_align: 8
    .kernarg_segment_size: 336
    .language:       OpenCL C
    .language_version:
      - 2
      - 0
    .max_flat_workgroup_size: 1024
    .name:           _Z17wvSplitKQ_hf_sml_I6__halfN3c1015Float8_e4m3fnuzELi64ELi2ELi16ELi16ELi1ELi3EEviiiiiiPKT0_S5_PKT_PS6_PKfSB_ii
    .private_segment_fixed_size: 64
    .sgpr_count:     36
    .sgpr_spill_count: 0
    .symbol:         _Z17wvSplitKQ_hf_sml_I6__halfN3c1015Float8_e4m3fnuzELi64ELi2ELi16ELi16ELi1ELi3EEviiiiiiPKT0_S5_PKT_PS6_PKfSB_ii.kd
    .uniform_work_group_size: 1
    .uses_dynamic_stack: false
    .vgpr_count:     50
    .vgpr_spill_count: 0
    .wavefront_size: 32
    .workgroup_processor_mode: 1
  - .args:
      - .offset:         0
        .size:           4
        .value_kind:     by_value
      - .offset:         4
        .size:           4
        .value_kind:     by_value
      - .offset:         8
        .size:           4
        .value_kind:     by_value
      - .offset:         12
        .size:           4
        .value_kind:     by_value
      - .offset:         16
        .size:           4
        .value_kind:     by_value
      - .offset:         20
        .size:           4
        .value_kind:     by_value
      - .address_space:  global
        .offset:         24
        .size:           8
        .value_kind:     global_buffer
      - .actual_access:  read_only
        .address_space:  global
        .offset:         32
        .size:           8
        .value_kind:     global_buffer
      - .actual_access:  read_only
        .address_space:  global
        .offset:         40
        .size:           8
        .value_kind:     global_buffer
      - .address_space:  global
        .offset:         48
        .size:           8
        .value_kind:     global_buffer
      - .actual_access:  read_only
        .address_space:  global
        .offset:         56
        .size:           8
        .value_kind:     global_buffer
      - .actual_access:  read_only
        .address_space:  global
        .offset:         64
        .size:           8
        .value_kind:     global_buffer
      - .offset:         72
        .size:           4
        .value_kind:     by_value
      - .offset:         76
        .size:           4
        .value_kind:     by_value
      - .offset:         80
        .size:           4
        .value_kind:     hidden_block_count_x
      - .offset:         84
        .size:           4
        .value_kind:     hidden_block_count_y
      - .offset:         88
        .size:           4
        .value_kind:     hidden_block_count_z
      - .offset:         92
        .size:           2
        .value_kind:     hidden_group_size_x
      - .offset:         94
        .size:           2
        .value_kind:     hidden_group_size_y
      - .offset:         96
        .size:           2
        .value_kind:     hidden_group_size_z
      - .offset:         98
        .size:           2
        .value_kind:     hidden_remainder_x
      - .offset:         100
        .size:           2
        .value_kind:     hidden_remainder_y
      - .offset:         102
        .size:           2
        .value_kind:     hidden_remainder_z
      - .offset:         120
        .size:           8
        .value_kind:     hidden_global_offset_x
      - .offset:         128
        .size:           8
        .value_kind:     hidden_global_offset_y
      - .offset:         136
        .size:           8
        .value_kind:     hidden_global_offset_z
      - .offset:         144
        .size:           2
        .value_kind:     hidden_grid_dims
      - .offset:         160
        .size:           8
        .value_kind:     hidden_hostcall_buffer
    .group_segment_fixed_size: 0
    .kernarg_segment_align: 8
    .kernarg_segment_size: 336
    .language:       OpenCL C
    .language_version:
      - 2
      - 0
    .max_flat_workgroup_size: 1024
    .name:           _Z13wvSplitKQ_hf_I6__halfN3c1015Float8_e4m3fnuzELi64ELi2ELi16ELi16ELi1ELi3EEviiiiiiPKT0_S5_PKT_PS6_PKfSB_ii
    .private_segment_fixed_size: 64
    .sgpr_count:     36
    .sgpr_spill_count: 0
    .symbol:         _Z13wvSplitKQ_hf_I6__halfN3c1015Float8_e4m3fnuzELi64ELi2ELi16ELi16ELi1ELi3EEviiiiiiPKT0_S5_PKT_PS6_PKfSB_ii.kd
    .uniform_work_group_size: 1
    .uses_dynamic_stack: false
    .vgpr_count:     50
    .vgpr_spill_count: 0
    .wavefront_size: 32
    .workgroup_processor_mode: 1
  - .args:
      - .offset:         0
        .size:           4
        .value_kind:     by_value
      - .offset:         4
        .size:           4
        .value_kind:     by_value
      - .offset:         8
        .size:           4
        .value_kind:     by_value
      - .offset:         12
        .size:           4
        .value_kind:     by_value
      - .offset:         16
        .size:           4
        .value_kind:     by_value
      - .offset:         20
        .size:           4
        .value_kind:     by_value
      - .address_space:  global
        .offset:         24
        .size:           8
        .value_kind:     global_buffer
      - .actual_access:  read_only
        .address_space:  global
        .offset:         32
        .size:           8
        .value_kind:     global_buffer
      - .actual_access:  read_only
        .address_space:  global
        .offset:         40
        .size:           8
        .value_kind:     global_buffer
      - .address_space:  global
        .offset:         48
        .size:           8
        .value_kind:     global_buffer
      - .actual_access:  read_only
        .address_space:  global
        .offset:         56
        .size:           8
        .value_kind:     global_buffer
      - .actual_access:  read_only
        .address_space:  global
        .offset:         64
        .size:           8
        .value_kind:     global_buffer
      - .offset:         72
        .size:           4
        .value_kind:     by_value
      - .offset:         76
        .size:           4
        .value_kind:     by_value
      - .offset:         80
        .size:           4
        .value_kind:     hidden_block_count_x
      - .offset:         84
        .size:           4
        .value_kind:     hidden_block_count_y
      - .offset:         88
        .size:           4
        .value_kind:     hidden_block_count_z
      - .offset:         92
        .size:           2
        .value_kind:     hidden_group_size_x
      - .offset:         94
        .size:           2
        .value_kind:     hidden_group_size_y
      - .offset:         96
        .size:           2
        .value_kind:     hidden_group_size_z
      - .offset:         98
        .size:           2
        .value_kind:     hidden_remainder_x
      - .offset:         100
        .size:           2
        .value_kind:     hidden_remainder_y
      - .offset:         102
        .size:           2
        .value_kind:     hidden_remainder_z
      - .offset:         120
        .size:           8
        .value_kind:     hidden_global_offset_x
      - .offset:         128
        .size:           8
        .value_kind:     hidden_global_offset_y
      - .offset:         136
        .size:           8
        .value_kind:     hidden_global_offset_z
      - .offset:         144
        .size:           2
        .value_kind:     hidden_grid_dims
      - .offset:         160
        .size:           8
        .value_kind:     hidden_hostcall_buffer
    .group_segment_fixed_size: 0
    .kernarg_segment_align: 8
    .kernarg_segment_size: 336
    .language:       OpenCL C
    .language_version:
      - 2
      - 0
    .max_flat_workgroup_size: 1024
    .name:           _Z17wvSplitKQ_hf_sml_I6__halfN3c1015Float8_e4m3fnuzELi32ELi2ELi16ELi16ELi1ELi4EEviiiiiiPKT0_S5_PKT_PS6_PKfSB_ii
    .private_segment_fixed_size: 64
    .sgpr_count:     36
    .sgpr_spill_count: 0
    .symbol:         _Z17wvSplitKQ_hf_sml_I6__halfN3c1015Float8_e4m3fnuzELi32ELi2ELi16ELi16ELi1ELi4EEviiiiiiPKT0_S5_PKT_PS6_PKfSB_ii.kd
    .uniform_work_group_size: 1
    .uses_dynamic_stack: false
    .vgpr_count:     50
    .vgpr_spill_count: 0
    .wavefront_size: 32
    .workgroup_processor_mode: 1
  - .args:
      - .offset:         0
        .size:           4
        .value_kind:     by_value
      - .offset:         4
        .size:           4
        .value_kind:     by_value
      - .offset:         8
        .size:           4
        .value_kind:     by_value
      - .offset:         12
        .size:           4
        .value_kind:     by_value
      - .offset:         16
        .size:           4
        .value_kind:     by_value
      - .offset:         20
        .size:           4
        .value_kind:     by_value
      - .address_space:  global
        .offset:         24
        .size:           8
        .value_kind:     global_buffer
      - .actual_access:  read_only
        .address_space:  global
        .offset:         32
        .size:           8
        .value_kind:     global_buffer
      - .actual_access:  read_only
        .address_space:  global
        .offset:         40
        .size:           8
        .value_kind:     global_buffer
      - .address_space:  global
        .offset:         48
        .size:           8
        .value_kind:     global_buffer
      - .actual_access:  read_only
        .address_space:  global
        .offset:         56
        .size:           8
        .value_kind:     global_buffer
      - .actual_access:  read_only
        .address_space:  global
        .offset:         64
        .size:           8
        .value_kind:     global_buffer
      - .offset:         72
        .size:           4
        .value_kind:     by_value
      - .offset:         76
        .size:           4
        .value_kind:     by_value
      - .offset:         80
        .size:           4
        .value_kind:     hidden_block_count_x
      - .offset:         84
        .size:           4
        .value_kind:     hidden_block_count_y
      - .offset:         88
        .size:           4
        .value_kind:     hidden_block_count_z
      - .offset:         92
        .size:           2
        .value_kind:     hidden_group_size_x
      - .offset:         94
        .size:           2
        .value_kind:     hidden_group_size_y
      - .offset:         96
        .size:           2
        .value_kind:     hidden_group_size_z
      - .offset:         98
        .size:           2
        .value_kind:     hidden_remainder_x
      - .offset:         100
        .size:           2
        .value_kind:     hidden_remainder_y
      - .offset:         102
        .size:           2
        .value_kind:     hidden_remainder_z
      - .offset:         120
        .size:           8
        .value_kind:     hidden_global_offset_x
      - .offset:         128
        .size:           8
        .value_kind:     hidden_global_offset_y
      - .offset:         136
        .size:           8
        .value_kind:     hidden_global_offset_z
      - .offset:         144
        .size:           2
        .value_kind:     hidden_grid_dims
      - .offset:         160
        .size:           8
        .value_kind:     hidden_hostcall_buffer
    .group_segment_fixed_size: 0
    .kernarg_segment_align: 8
    .kernarg_segment_size: 336
    .language:       OpenCL C
    .language_version:
      - 2
      - 0
    .max_flat_workgroup_size: 1024
    .name:           _Z13wvSplitKQ_hf_I6__halfN3c1015Float8_e4m3fnuzELi32ELi2ELi16ELi16ELi1ELi4EEviiiiiiPKT0_S5_PKT_PS6_PKfSB_ii
    .private_segment_fixed_size: 64
    .sgpr_count:     36
    .sgpr_spill_count: 0
    .symbol:         _Z13wvSplitKQ_hf_I6__halfN3c1015Float8_e4m3fnuzELi32ELi2ELi16ELi16ELi1ELi4EEviiiiiiPKT0_S5_PKT_PS6_PKfSB_ii.kd
    .uniform_work_group_size: 1
    .uses_dynamic_stack: false
    .vgpr_count:     50
    .vgpr_spill_count: 0
    .wavefront_size: 32
    .workgroup_processor_mode: 1
  - .args:
      - .offset:         0
        .size:           4
        .value_kind:     by_value
      - .offset:         4
        .size:           4
        .value_kind:     by_value
      - .offset:         8
        .size:           4
        .value_kind:     by_value
      - .offset:         12
        .size:           4
        .value_kind:     by_value
      - .offset:         16
        .size:           4
        .value_kind:     by_value
      - .offset:         20
        .size:           4
        .value_kind:     by_value
      - .address_space:  global
        .offset:         24
        .size:           8
        .value_kind:     global_buffer
      - .actual_access:  read_only
        .address_space:  global
        .offset:         32
        .size:           8
        .value_kind:     global_buffer
      - .actual_access:  read_only
        .address_space:  global
        .offset:         40
        .size:           8
        .value_kind:     global_buffer
      - .address_space:  global
        .offset:         48
        .size:           8
        .value_kind:     global_buffer
      - .actual_access:  read_only
        .address_space:  global
        .offset:         56
        .size:           8
        .value_kind:     global_buffer
      - .actual_access:  read_only
        .address_space:  global
        .offset:         64
        .size:           8
        .value_kind:     global_buffer
      - .offset:         72
        .size:           4
        .value_kind:     by_value
      - .offset:         76
        .size:           4
        .value_kind:     by_value
      - .offset:         80
        .size:           4
        .value_kind:     hidden_block_count_x
      - .offset:         84
        .size:           4
        .value_kind:     hidden_block_count_y
      - .offset:         88
        .size:           4
        .value_kind:     hidden_block_count_z
      - .offset:         92
        .size:           2
        .value_kind:     hidden_group_size_x
      - .offset:         94
        .size:           2
        .value_kind:     hidden_group_size_y
      - .offset:         96
        .size:           2
        .value_kind:     hidden_group_size_z
      - .offset:         98
        .size:           2
        .value_kind:     hidden_remainder_x
      - .offset:         100
        .size:           2
        .value_kind:     hidden_remainder_y
      - .offset:         102
        .size:           2
        .value_kind:     hidden_remainder_z
      - .offset:         120
        .size:           8
        .value_kind:     hidden_global_offset_x
      - .offset:         128
        .size:           8
        .value_kind:     hidden_global_offset_y
      - .offset:         136
        .size:           8
        .value_kind:     hidden_global_offset_z
      - .offset:         144
        .size:           2
        .value_kind:     hidden_grid_dims
      - .offset:         160
        .size:           8
        .value_kind:     hidden_hostcall_buffer
    .group_segment_fixed_size: 0
    .kernarg_segment_align: 8
    .kernarg_segment_size: 336
    .language:       OpenCL C
    .language_version:
      - 2
      - 0
    .max_flat_workgroup_size: 1024
    .name:           _Z17wvSplitKQ_hf_sml_I6__halfN3c1015Float8_e4m3fnuzELi64ELi2ELi16ELi16ELi1ELi4EEviiiiiiPKT0_S5_PKT_PS6_PKfSB_ii
    .private_segment_fixed_size: 64
    .sgpr_count:     36
    .sgpr_spill_count: 0
    .symbol:         _Z17wvSplitKQ_hf_sml_I6__halfN3c1015Float8_e4m3fnuzELi64ELi2ELi16ELi16ELi1ELi4EEviiiiiiPKT0_S5_PKT_PS6_PKfSB_ii.kd
    .uniform_work_group_size: 1
    .uses_dynamic_stack: false
    .vgpr_count:     50
    .vgpr_spill_count: 0
    .wavefront_size: 32
    .workgroup_processor_mode: 1
  - .args:
      - .offset:         0
        .size:           4
        .value_kind:     by_value
      - .offset:         4
        .size:           4
        .value_kind:     by_value
      - .offset:         8
        .size:           4
        .value_kind:     by_value
      - .offset:         12
        .size:           4
        .value_kind:     by_value
      - .offset:         16
        .size:           4
        .value_kind:     by_value
      - .offset:         20
        .size:           4
        .value_kind:     by_value
      - .address_space:  global
        .offset:         24
        .size:           8
        .value_kind:     global_buffer
      - .actual_access:  read_only
        .address_space:  global
        .offset:         32
        .size:           8
        .value_kind:     global_buffer
      - .actual_access:  read_only
        .address_space:  global
        .offset:         40
        .size:           8
        .value_kind:     global_buffer
      - .address_space:  global
        .offset:         48
        .size:           8
        .value_kind:     global_buffer
      - .actual_access:  read_only
        .address_space:  global
        .offset:         56
        .size:           8
        .value_kind:     global_buffer
      - .actual_access:  read_only
        .address_space:  global
        .offset:         64
        .size:           8
        .value_kind:     global_buffer
      - .offset:         72
        .size:           4
        .value_kind:     by_value
      - .offset:         76
        .size:           4
        .value_kind:     by_value
      - .offset:         80
        .size:           4
        .value_kind:     hidden_block_count_x
      - .offset:         84
        .size:           4
        .value_kind:     hidden_block_count_y
      - .offset:         88
        .size:           4
        .value_kind:     hidden_block_count_z
      - .offset:         92
        .size:           2
        .value_kind:     hidden_group_size_x
      - .offset:         94
        .size:           2
        .value_kind:     hidden_group_size_y
      - .offset:         96
        .size:           2
        .value_kind:     hidden_group_size_z
      - .offset:         98
        .size:           2
        .value_kind:     hidden_remainder_x
      - .offset:         100
        .size:           2
        .value_kind:     hidden_remainder_y
      - .offset:         102
        .size:           2
        .value_kind:     hidden_remainder_z
      - .offset:         120
        .size:           8
        .value_kind:     hidden_global_offset_x
      - .offset:         128
        .size:           8
        .value_kind:     hidden_global_offset_y
      - .offset:         136
        .size:           8
        .value_kind:     hidden_global_offset_z
      - .offset:         144
        .size:           2
        .value_kind:     hidden_grid_dims
      - .offset:         160
        .size:           8
        .value_kind:     hidden_hostcall_buffer
    .group_segment_fixed_size: 0
    .kernarg_segment_align: 8
    .kernarg_segment_size: 336
    .language:       OpenCL C
    .language_version:
      - 2
      - 0
    .max_flat_workgroup_size: 1024
    .name:           _Z13wvSplitKQ_hf_I6__halfN3c1015Float8_e4m3fnuzELi64ELi2ELi16ELi16ELi1ELi4EEviiiiiiPKT0_S5_PKT_PS6_PKfSB_ii
    .private_segment_fixed_size: 64
    .sgpr_count:     36
    .sgpr_spill_count: 0
    .symbol:         _Z13wvSplitKQ_hf_I6__halfN3c1015Float8_e4m3fnuzELi64ELi2ELi16ELi16ELi1ELi4EEviiiiiiPKT0_S5_PKT_PS6_PKfSB_ii.kd
    .uniform_work_group_size: 1
    .uses_dynamic_stack: false
    .vgpr_count:     50
    .vgpr_spill_count: 0
    .wavefront_size: 32
    .workgroup_processor_mode: 1
  - .args:
      - .offset:         0
        .size:           4
        .value_kind:     by_value
      - .offset:         4
        .size:           4
        .value_kind:     by_value
      - .offset:         8
        .size:           4
        .value_kind:     by_value
      - .offset:         12
        .size:           4
        .value_kind:     by_value
      - .offset:         16
        .size:           4
        .value_kind:     by_value
      - .offset:         20
        .size:           4
        .value_kind:     by_value
      - .address_space:  global
        .offset:         24
        .size:           8
        .value_kind:     global_buffer
      - .actual_access:  read_only
        .address_space:  global
        .offset:         32
        .size:           8
        .value_kind:     global_buffer
      - .actual_access:  read_only
        .address_space:  global
        .offset:         40
        .size:           8
        .value_kind:     global_buffer
      - .address_space:  global
        .offset:         48
        .size:           8
        .value_kind:     global_buffer
      - .actual_access:  read_only
        .address_space:  global
        .offset:         56
        .size:           8
        .value_kind:     global_buffer
      - .actual_access:  read_only
        .address_space:  global
        .offset:         64
        .size:           8
        .value_kind:     global_buffer
      - .offset:         72
        .size:           4
        .value_kind:     by_value
      - .offset:         76
        .size:           4
        .value_kind:     by_value
      - .offset:         80
        .size:           4
        .value_kind:     hidden_block_count_x
      - .offset:         84
        .size:           4
        .value_kind:     hidden_block_count_y
      - .offset:         88
        .size:           4
        .value_kind:     hidden_block_count_z
      - .offset:         92
        .size:           2
        .value_kind:     hidden_group_size_x
      - .offset:         94
        .size:           2
        .value_kind:     hidden_group_size_y
      - .offset:         96
        .size:           2
        .value_kind:     hidden_group_size_z
      - .offset:         98
        .size:           2
        .value_kind:     hidden_remainder_x
      - .offset:         100
        .size:           2
        .value_kind:     hidden_remainder_y
      - .offset:         102
        .size:           2
        .value_kind:     hidden_remainder_z
      - .offset:         120
        .size:           8
        .value_kind:     hidden_global_offset_x
      - .offset:         128
        .size:           8
        .value_kind:     hidden_global_offset_y
      - .offset:         136
        .size:           8
        .value_kind:     hidden_global_offset_z
      - .offset:         144
        .size:           2
        .value_kind:     hidden_grid_dims
      - .offset:         160
        .size:           8
        .value_kind:     hidden_hostcall_buffer
    .group_segment_fixed_size: 0
    .kernarg_segment_align: 8
    .kernarg_segment_size: 336
    .language:       OpenCL C
    .language_version:
      - 2
      - 0
    .max_flat_workgroup_size: 1024
    .name:           _Z17wvSplitKQ_hf_sml_I14__hip_bfloat16N3c1013Float8_e4m3fnELi32ELi2ELi16ELi16ELi2ELi1EEviiiiiiPKT0_S5_PKT_PS6_PKfSB_ii
    .private_segment_fixed_size: 64
    .sgpr_count:     36
    .sgpr_spill_count: 0
    .symbol:         _Z17wvSplitKQ_hf_sml_I14__hip_bfloat16N3c1013Float8_e4m3fnELi32ELi2ELi16ELi16ELi2ELi1EEviiiiiiPKT0_S5_PKT_PS6_PKfSB_ii.kd
    .uniform_work_group_size: 1
    .uses_dynamic_stack: false
    .vgpr_count:     50
    .vgpr_spill_count: 0
    .wavefront_size: 32
    .workgroup_processor_mode: 1
  - .args:
      - .offset:         0
        .size:           4
        .value_kind:     by_value
      - .offset:         4
        .size:           4
        .value_kind:     by_value
      - .offset:         8
        .size:           4
        .value_kind:     by_value
      - .offset:         12
        .size:           4
        .value_kind:     by_value
      - .offset:         16
        .size:           4
        .value_kind:     by_value
      - .offset:         20
        .size:           4
        .value_kind:     by_value
      - .address_space:  global
        .offset:         24
        .size:           8
        .value_kind:     global_buffer
      - .actual_access:  read_only
        .address_space:  global
        .offset:         32
        .size:           8
        .value_kind:     global_buffer
      - .actual_access:  read_only
        .address_space:  global
        .offset:         40
        .size:           8
        .value_kind:     global_buffer
      - .address_space:  global
        .offset:         48
        .size:           8
        .value_kind:     global_buffer
      - .actual_access:  read_only
        .address_space:  global
        .offset:         56
        .size:           8
        .value_kind:     global_buffer
      - .actual_access:  read_only
        .address_space:  global
        .offset:         64
        .size:           8
        .value_kind:     global_buffer
      - .offset:         72
        .size:           4
        .value_kind:     by_value
      - .offset:         76
        .size:           4
        .value_kind:     by_value
      - .offset:         80
        .size:           4
        .value_kind:     hidden_block_count_x
      - .offset:         84
        .size:           4
        .value_kind:     hidden_block_count_y
      - .offset:         88
        .size:           4
        .value_kind:     hidden_block_count_z
      - .offset:         92
        .size:           2
        .value_kind:     hidden_group_size_x
      - .offset:         94
        .size:           2
        .value_kind:     hidden_group_size_y
      - .offset:         96
        .size:           2
        .value_kind:     hidden_group_size_z
      - .offset:         98
        .size:           2
        .value_kind:     hidden_remainder_x
      - .offset:         100
        .size:           2
        .value_kind:     hidden_remainder_y
      - .offset:         102
        .size:           2
        .value_kind:     hidden_remainder_z
      - .offset:         120
        .size:           8
        .value_kind:     hidden_global_offset_x
      - .offset:         128
        .size:           8
        .value_kind:     hidden_global_offset_y
      - .offset:         136
        .size:           8
        .value_kind:     hidden_global_offset_z
      - .offset:         144
        .size:           2
        .value_kind:     hidden_grid_dims
      - .offset:         160
        .size:           8
        .value_kind:     hidden_hostcall_buffer
    .group_segment_fixed_size: 0
    .kernarg_segment_align: 8
    .kernarg_segment_size: 336
    .language:       OpenCL C
    .language_version:
      - 2
      - 0
    .max_flat_workgroup_size: 1024
    .name:           _Z13wvSplitKQ_hf_I14__hip_bfloat16N3c1013Float8_e4m3fnELi32ELi2ELi16ELi16ELi2ELi1EEviiiiiiPKT0_S5_PKT_PS6_PKfSB_ii
    .private_segment_fixed_size: 64
    .sgpr_count:     36
    .sgpr_spill_count: 0
    .symbol:         _Z13wvSplitKQ_hf_I14__hip_bfloat16N3c1013Float8_e4m3fnELi32ELi2ELi16ELi16ELi2ELi1EEviiiiiiPKT0_S5_PKT_PS6_PKfSB_ii.kd
    .uniform_work_group_size: 1
    .uses_dynamic_stack: false
    .vgpr_count:     50
    .vgpr_spill_count: 0
    .wavefront_size: 32
    .workgroup_processor_mode: 1
  - .args:
      - .offset:         0
        .size:           4
        .value_kind:     by_value
      - .offset:         4
        .size:           4
        .value_kind:     by_value
      - .offset:         8
        .size:           4
        .value_kind:     by_value
      - .offset:         12
        .size:           4
        .value_kind:     by_value
      - .offset:         16
        .size:           4
        .value_kind:     by_value
      - .offset:         20
        .size:           4
        .value_kind:     by_value
      - .address_space:  global
        .offset:         24
        .size:           8
        .value_kind:     global_buffer
      - .actual_access:  read_only
        .address_space:  global
        .offset:         32
        .size:           8
        .value_kind:     global_buffer
      - .actual_access:  read_only
        .address_space:  global
        .offset:         40
        .size:           8
        .value_kind:     global_buffer
      - .address_space:  global
        .offset:         48
        .size:           8
        .value_kind:     global_buffer
      - .actual_access:  read_only
        .address_space:  global
        .offset:         56
        .size:           8
        .value_kind:     global_buffer
      - .actual_access:  read_only
        .address_space:  global
        .offset:         64
        .size:           8
        .value_kind:     global_buffer
      - .offset:         72
        .size:           4
        .value_kind:     by_value
      - .offset:         76
        .size:           4
        .value_kind:     by_value
      - .offset:         80
        .size:           4
        .value_kind:     hidden_block_count_x
      - .offset:         84
        .size:           4
        .value_kind:     hidden_block_count_y
      - .offset:         88
        .size:           4
        .value_kind:     hidden_block_count_z
      - .offset:         92
        .size:           2
        .value_kind:     hidden_group_size_x
      - .offset:         94
        .size:           2
        .value_kind:     hidden_group_size_y
      - .offset:         96
        .size:           2
        .value_kind:     hidden_group_size_z
      - .offset:         98
        .size:           2
        .value_kind:     hidden_remainder_x
      - .offset:         100
        .size:           2
        .value_kind:     hidden_remainder_y
      - .offset:         102
        .size:           2
        .value_kind:     hidden_remainder_z
      - .offset:         120
        .size:           8
        .value_kind:     hidden_global_offset_x
      - .offset:         128
        .size:           8
        .value_kind:     hidden_global_offset_y
      - .offset:         136
        .size:           8
        .value_kind:     hidden_global_offset_z
      - .offset:         144
        .size:           2
        .value_kind:     hidden_grid_dims
      - .offset:         160
        .size:           8
        .value_kind:     hidden_hostcall_buffer
    .group_segment_fixed_size: 0
    .kernarg_segment_align: 8
    .kernarg_segment_size: 336
    .language:       OpenCL C
    .language_version:
      - 2
      - 0
    .max_flat_workgroup_size: 1024
    .name:           _Z17wvSplitKQ_hf_sml_I14__hip_bfloat16N3c1013Float8_e4m3fnELi64ELi2ELi16ELi16ELi2ELi1EEviiiiiiPKT0_S5_PKT_PS6_PKfSB_ii
    .private_segment_fixed_size: 64
    .sgpr_count:     36
    .sgpr_spill_count: 0
    .symbol:         _Z17wvSplitKQ_hf_sml_I14__hip_bfloat16N3c1013Float8_e4m3fnELi64ELi2ELi16ELi16ELi2ELi1EEviiiiiiPKT0_S5_PKT_PS6_PKfSB_ii.kd
    .uniform_work_group_size: 1
    .uses_dynamic_stack: false
    .vgpr_count:     50
    .vgpr_spill_count: 0
    .wavefront_size: 32
    .workgroup_processor_mode: 1
  - .args:
      - .offset:         0
        .size:           4
        .value_kind:     by_value
      - .offset:         4
        .size:           4
        .value_kind:     by_value
      - .offset:         8
        .size:           4
        .value_kind:     by_value
      - .offset:         12
        .size:           4
        .value_kind:     by_value
      - .offset:         16
        .size:           4
        .value_kind:     by_value
      - .offset:         20
        .size:           4
        .value_kind:     by_value
      - .address_space:  global
        .offset:         24
        .size:           8
        .value_kind:     global_buffer
      - .actual_access:  read_only
        .address_space:  global
        .offset:         32
        .size:           8
        .value_kind:     global_buffer
      - .actual_access:  read_only
        .address_space:  global
        .offset:         40
        .size:           8
        .value_kind:     global_buffer
      - .address_space:  global
        .offset:         48
        .size:           8
        .value_kind:     global_buffer
      - .actual_access:  read_only
        .address_space:  global
        .offset:         56
        .size:           8
        .value_kind:     global_buffer
      - .actual_access:  read_only
        .address_space:  global
        .offset:         64
        .size:           8
        .value_kind:     global_buffer
      - .offset:         72
        .size:           4
        .value_kind:     by_value
      - .offset:         76
        .size:           4
        .value_kind:     by_value
      - .offset:         80
        .size:           4
        .value_kind:     hidden_block_count_x
      - .offset:         84
        .size:           4
        .value_kind:     hidden_block_count_y
      - .offset:         88
        .size:           4
        .value_kind:     hidden_block_count_z
      - .offset:         92
        .size:           2
        .value_kind:     hidden_group_size_x
      - .offset:         94
        .size:           2
        .value_kind:     hidden_group_size_y
      - .offset:         96
        .size:           2
        .value_kind:     hidden_group_size_z
      - .offset:         98
        .size:           2
        .value_kind:     hidden_remainder_x
      - .offset:         100
        .size:           2
        .value_kind:     hidden_remainder_y
      - .offset:         102
        .size:           2
        .value_kind:     hidden_remainder_z
      - .offset:         120
        .size:           8
        .value_kind:     hidden_global_offset_x
      - .offset:         128
        .size:           8
        .value_kind:     hidden_global_offset_y
      - .offset:         136
        .size:           8
        .value_kind:     hidden_global_offset_z
      - .offset:         144
        .size:           2
        .value_kind:     hidden_grid_dims
      - .offset:         160
        .size:           8
        .value_kind:     hidden_hostcall_buffer
    .group_segment_fixed_size: 0
    .kernarg_segment_align: 8
    .kernarg_segment_size: 336
    .language:       OpenCL C
    .language_version:
      - 2
      - 0
    .max_flat_workgroup_size: 1024
    .name:           _Z13wvSplitKQ_hf_I14__hip_bfloat16N3c1013Float8_e4m3fnELi64ELi2ELi16ELi16ELi2ELi1EEviiiiiiPKT0_S5_PKT_PS6_PKfSB_ii
    .private_segment_fixed_size: 64
    .sgpr_count:     36
    .sgpr_spill_count: 0
    .symbol:         _Z13wvSplitKQ_hf_I14__hip_bfloat16N3c1013Float8_e4m3fnELi64ELi2ELi16ELi16ELi2ELi1EEviiiiiiPKT0_S5_PKT_PS6_PKfSB_ii.kd
    .uniform_work_group_size: 1
    .uses_dynamic_stack: false
    .vgpr_count:     50
    .vgpr_spill_count: 0
    .wavefront_size: 32
    .workgroup_processor_mode: 1
  - .args:
      - .offset:         0
        .size:           4
        .value_kind:     by_value
      - .offset:         4
        .size:           4
        .value_kind:     by_value
      - .offset:         8
        .size:           4
        .value_kind:     by_value
      - .offset:         12
        .size:           4
        .value_kind:     by_value
      - .offset:         16
        .size:           4
        .value_kind:     by_value
      - .offset:         20
        .size:           4
        .value_kind:     by_value
      - .address_space:  global
        .offset:         24
        .size:           8
        .value_kind:     global_buffer
      - .actual_access:  read_only
        .address_space:  global
        .offset:         32
        .size:           8
        .value_kind:     global_buffer
      - .actual_access:  read_only
        .address_space:  global
        .offset:         40
        .size:           8
        .value_kind:     global_buffer
      - .address_space:  global
        .offset:         48
        .size:           8
        .value_kind:     global_buffer
      - .actual_access:  read_only
        .address_space:  global
        .offset:         56
        .size:           8
        .value_kind:     global_buffer
      - .actual_access:  read_only
        .address_space:  global
        .offset:         64
        .size:           8
        .value_kind:     global_buffer
      - .offset:         72
        .size:           4
        .value_kind:     by_value
      - .offset:         76
        .size:           4
        .value_kind:     by_value
      - .offset:         80
        .size:           4
        .value_kind:     hidden_block_count_x
      - .offset:         84
        .size:           4
        .value_kind:     hidden_block_count_y
      - .offset:         88
        .size:           4
        .value_kind:     hidden_block_count_z
      - .offset:         92
        .size:           2
        .value_kind:     hidden_group_size_x
      - .offset:         94
        .size:           2
        .value_kind:     hidden_group_size_y
      - .offset:         96
        .size:           2
        .value_kind:     hidden_group_size_z
      - .offset:         98
        .size:           2
        .value_kind:     hidden_remainder_x
      - .offset:         100
        .size:           2
        .value_kind:     hidden_remainder_y
      - .offset:         102
        .size:           2
        .value_kind:     hidden_remainder_z
      - .offset:         120
        .size:           8
        .value_kind:     hidden_global_offset_x
      - .offset:         128
        .size:           8
        .value_kind:     hidden_global_offset_y
      - .offset:         136
        .size:           8
        .value_kind:     hidden_global_offset_z
      - .offset:         144
        .size:           2
        .value_kind:     hidden_grid_dims
      - .offset:         160
        .size:           8
        .value_kind:     hidden_hostcall_buffer
    .group_segment_fixed_size: 0
    .kernarg_segment_align: 8
    .kernarg_segment_size: 336
    .language:       OpenCL C
    .language_version:
      - 2
      - 0
    .max_flat_workgroup_size: 1024
    .name:           _Z17wvSplitKQ_hf_sml_I14__hip_bfloat16N3c1013Float8_e4m3fnELi32ELi2ELi16ELi16ELi2ELi2EEviiiiiiPKT0_S5_PKT_PS6_PKfSB_ii
    .private_segment_fixed_size: 64
    .sgpr_count:     36
    .sgpr_spill_count: 0
    .symbol:         _Z17wvSplitKQ_hf_sml_I14__hip_bfloat16N3c1013Float8_e4m3fnELi32ELi2ELi16ELi16ELi2ELi2EEviiiiiiPKT0_S5_PKT_PS6_PKfSB_ii.kd
    .uniform_work_group_size: 1
    .uses_dynamic_stack: false
    .vgpr_count:     50
    .vgpr_spill_count: 0
    .wavefront_size: 32
    .workgroup_processor_mode: 1
  - .args:
      - .offset:         0
        .size:           4
        .value_kind:     by_value
      - .offset:         4
        .size:           4
        .value_kind:     by_value
      - .offset:         8
        .size:           4
        .value_kind:     by_value
      - .offset:         12
        .size:           4
        .value_kind:     by_value
      - .offset:         16
        .size:           4
        .value_kind:     by_value
      - .offset:         20
        .size:           4
        .value_kind:     by_value
      - .address_space:  global
        .offset:         24
        .size:           8
        .value_kind:     global_buffer
      - .actual_access:  read_only
        .address_space:  global
        .offset:         32
        .size:           8
        .value_kind:     global_buffer
      - .actual_access:  read_only
        .address_space:  global
        .offset:         40
        .size:           8
        .value_kind:     global_buffer
      - .address_space:  global
        .offset:         48
        .size:           8
        .value_kind:     global_buffer
      - .actual_access:  read_only
        .address_space:  global
        .offset:         56
        .size:           8
        .value_kind:     global_buffer
      - .actual_access:  read_only
        .address_space:  global
        .offset:         64
        .size:           8
        .value_kind:     global_buffer
      - .offset:         72
        .size:           4
        .value_kind:     by_value
      - .offset:         76
        .size:           4
        .value_kind:     by_value
      - .offset:         80
        .size:           4
        .value_kind:     hidden_block_count_x
      - .offset:         84
        .size:           4
        .value_kind:     hidden_block_count_y
      - .offset:         88
        .size:           4
        .value_kind:     hidden_block_count_z
      - .offset:         92
        .size:           2
        .value_kind:     hidden_group_size_x
      - .offset:         94
        .size:           2
        .value_kind:     hidden_group_size_y
      - .offset:         96
        .size:           2
        .value_kind:     hidden_group_size_z
      - .offset:         98
        .size:           2
        .value_kind:     hidden_remainder_x
      - .offset:         100
        .size:           2
        .value_kind:     hidden_remainder_y
      - .offset:         102
        .size:           2
        .value_kind:     hidden_remainder_z
      - .offset:         120
        .size:           8
        .value_kind:     hidden_global_offset_x
      - .offset:         128
        .size:           8
        .value_kind:     hidden_global_offset_y
      - .offset:         136
        .size:           8
        .value_kind:     hidden_global_offset_z
      - .offset:         144
        .size:           2
        .value_kind:     hidden_grid_dims
      - .offset:         160
        .size:           8
        .value_kind:     hidden_hostcall_buffer
    .group_segment_fixed_size: 0
    .kernarg_segment_align: 8
    .kernarg_segment_size: 336
    .language:       OpenCL C
    .language_version:
      - 2
      - 0
    .max_flat_workgroup_size: 1024
    .name:           _Z13wvSplitKQ_hf_I14__hip_bfloat16N3c1013Float8_e4m3fnELi32ELi2ELi16ELi16ELi2ELi2EEviiiiiiPKT0_S5_PKT_PS6_PKfSB_ii
    .private_segment_fixed_size: 64
    .sgpr_count:     36
    .sgpr_spill_count: 0
    .symbol:         _Z13wvSplitKQ_hf_I14__hip_bfloat16N3c1013Float8_e4m3fnELi32ELi2ELi16ELi16ELi2ELi2EEviiiiiiPKT0_S5_PKT_PS6_PKfSB_ii.kd
    .uniform_work_group_size: 1
    .uses_dynamic_stack: false
    .vgpr_count:     50
    .vgpr_spill_count: 0
    .wavefront_size: 32
    .workgroup_processor_mode: 1
  - .args:
      - .offset:         0
        .size:           4
        .value_kind:     by_value
      - .offset:         4
        .size:           4
        .value_kind:     by_value
      - .offset:         8
        .size:           4
        .value_kind:     by_value
      - .offset:         12
        .size:           4
        .value_kind:     by_value
      - .offset:         16
        .size:           4
        .value_kind:     by_value
      - .offset:         20
        .size:           4
        .value_kind:     by_value
      - .address_space:  global
        .offset:         24
        .size:           8
        .value_kind:     global_buffer
      - .actual_access:  read_only
        .address_space:  global
        .offset:         32
        .size:           8
        .value_kind:     global_buffer
      - .actual_access:  read_only
        .address_space:  global
        .offset:         40
        .size:           8
        .value_kind:     global_buffer
      - .address_space:  global
        .offset:         48
        .size:           8
        .value_kind:     global_buffer
      - .actual_access:  read_only
        .address_space:  global
        .offset:         56
        .size:           8
        .value_kind:     global_buffer
      - .actual_access:  read_only
        .address_space:  global
        .offset:         64
        .size:           8
        .value_kind:     global_buffer
      - .offset:         72
        .size:           4
        .value_kind:     by_value
      - .offset:         76
        .size:           4
        .value_kind:     by_value
      - .offset:         80
        .size:           4
        .value_kind:     hidden_block_count_x
      - .offset:         84
        .size:           4
        .value_kind:     hidden_block_count_y
      - .offset:         88
        .size:           4
        .value_kind:     hidden_block_count_z
      - .offset:         92
        .size:           2
        .value_kind:     hidden_group_size_x
      - .offset:         94
        .size:           2
        .value_kind:     hidden_group_size_y
      - .offset:         96
        .size:           2
        .value_kind:     hidden_group_size_z
      - .offset:         98
        .size:           2
        .value_kind:     hidden_remainder_x
      - .offset:         100
        .size:           2
        .value_kind:     hidden_remainder_y
      - .offset:         102
        .size:           2
        .value_kind:     hidden_remainder_z
      - .offset:         120
        .size:           8
        .value_kind:     hidden_global_offset_x
      - .offset:         128
        .size:           8
        .value_kind:     hidden_global_offset_y
      - .offset:         136
        .size:           8
        .value_kind:     hidden_global_offset_z
      - .offset:         144
        .size:           2
        .value_kind:     hidden_grid_dims
      - .offset:         160
        .size:           8
        .value_kind:     hidden_hostcall_buffer
    .group_segment_fixed_size: 0
    .kernarg_segment_align: 8
    .kernarg_segment_size: 336
    .language:       OpenCL C
    .language_version:
      - 2
      - 0
    .max_flat_workgroup_size: 1024
    .name:           _Z17wvSplitKQ_hf_sml_I14__hip_bfloat16N3c1013Float8_e4m3fnELi64ELi2ELi16ELi16ELi2ELi2EEviiiiiiPKT0_S5_PKT_PS6_PKfSB_ii
    .private_segment_fixed_size: 64
    .sgpr_count:     36
    .sgpr_spill_count: 0
    .symbol:         _Z17wvSplitKQ_hf_sml_I14__hip_bfloat16N3c1013Float8_e4m3fnELi64ELi2ELi16ELi16ELi2ELi2EEviiiiiiPKT0_S5_PKT_PS6_PKfSB_ii.kd
    .uniform_work_group_size: 1
    .uses_dynamic_stack: false
    .vgpr_count:     50
    .vgpr_spill_count: 0
    .wavefront_size: 32
    .workgroup_processor_mode: 1
  - .args:
      - .offset:         0
        .size:           4
        .value_kind:     by_value
      - .offset:         4
        .size:           4
        .value_kind:     by_value
      - .offset:         8
        .size:           4
        .value_kind:     by_value
      - .offset:         12
        .size:           4
        .value_kind:     by_value
      - .offset:         16
        .size:           4
        .value_kind:     by_value
      - .offset:         20
        .size:           4
        .value_kind:     by_value
      - .address_space:  global
        .offset:         24
        .size:           8
        .value_kind:     global_buffer
      - .actual_access:  read_only
        .address_space:  global
        .offset:         32
        .size:           8
        .value_kind:     global_buffer
      - .actual_access:  read_only
        .address_space:  global
        .offset:         40
        .size:           8
        .value_kind:     global_buffer
      - .address_space:  global
        .offset:         48
        .size:           8
        .value_kind:     global_buffer
      - .actual_access:  read_only
        .address_space:  global
        .offset:         56
        .size:           8
        .value_kind:     global_buffer
      - .actual_access:  read_only
        .address_space:  global
        .offset:         64
        .size:           8
        .value_kind:     global_buffer
      - .offset:         72
        .size:           4
        .value_kind:     by_value
      - .offset:         76
        .size:           4
        .value_kind:     by_value
      - .offset:         80
        .size:           4
        .value_kind:     hidden_block_count_x
      - .offset:         84
        .size:           4
        .value_kind:     hidden_block_count_y
      - .offset:         88
        .size:           4
        .value_kind:     hidden_block_count_z
      - .offset:         92
        .size:           2
        .value_kind:     hidden_group_size_x
      - .offset:         94
        .size:           2
        .value_kind:     hidden_group_size_y
      - .offset:         96
        .size:           2
        .value_kind:     hidden_group_size_z
      - .offset:         98
        .size:           2
        .value_kind:     hidden_remainder_x
      - .offset:         100
        .size:           2
        .value_kind:     hidden_remainder_y
      - .offset:         102
        .size:           2
        .value_kind:     hidden_remainder_z
      - .offset:         120
        .size:           8
        .value_kind:     hidden_global_offset_x
      - .offset:         128
        .size:           8
        .value_kind:     hidden_global_offset_y
      - .offset:         136
        .size:           8
        .value_kind:     hidden_global_offset_z
      - .offset:         144
        .size:           2
        .value_kind:     hidden_grid_dims
      - .offset:         160
        .size:           8
        .value_kind:     hidden_hostcall_buffer
    .group_segment_fixed_size: 0
    .kernarg_segment_align: 8
    .kernarg_segment_size: 336
    .language:       OpenCL C
    .language_version:
      - 2
      - 0
    .max_flat_workgroup_size: 1024
    .name:           _Z13wvSplitKQ_hf_I14__hip_bfloat16N3c1013Float8_e4m3fnELi64ELi2ELi16ELi16ELi2ELi2EEviiiiiiPKT0_S5_PKT_PS6_PKfSB_ii
    .private_segment_fixed_size: 64
    .sgpr_count:     36
    .sgpr_spill_count: 0
    .symbol:         _Z13wvSplitKQ_hf_I14__hip_bfloat16N3c1013Float8_e4m3fnELi64ELi2ELi16ELi16ELi2ELi2EEviiiiiiPKT0_S5_PKT_PS6_PKfSB_ii.kd
    .uniform_work_group_size: 1
    .uses_dynamic_stack: false
    .vgpr_count:     50
    .vgpr_spill_count: 0
    .wavefront_size: 32
    .workgroup_processor_mode: 1
  - .args:
      - .offset:         0
        .size:           4
        .value_kind:     by_value
      - .offset:         4
        .size:           4
        .value_kind:     by_value
      - .offset:         8
        .size:           4
        .value_kind:     by_value
      - .offset:         12
        .size:           4
        .value_kind:     by_value
      - .offset:         16
        .size:           4
        .value_kind:     by_value
      - .offset:         20
        .size:           4
        .value_kind:     by_value
      - .address_space:  global
        .offset:         24
        .size:           8
        .value_kind:     global_buffer
      - .actual_access:  read_only
        .address_space:  global
        .offset:         32
        .size:           8
        .value_kind:     global_buffer
      - .actual_access:  read_only
        .address_space:  global
        .offset:         40
        .size:           8
        .value_kind:     global_buffer
      - .address_space:  global
        .offset:         48
        .size:           8
        .value_kind:     global_buffer
      - .actual_access:  read_only
        .address_space:  global
        .offset:         56
        .size:           8
        .value_kind:     global_buffer
      - .actual_access:  read_only
        .address_space:  global
        .offset:         64
        .size:           8
        .value_kind:     global_buffer
      - .offset:         72
        .size:           4
        .value_kind:     by_value
      - .offset:         76
        .size:           4
        .value_kind:     by_value
      - .offset:         80
        .size:           4
        .value_kind:     hidden_block_count_x
      - .offset:         84
        .size:           4
        .value_kind:     hidden_block_count_y
      - .offset:         88
        .size:           4
        .value_kind:     hidden_block_count_z
      - .offset:         92
        .size:           2
        .value_kind:     hidden_group_size_x
      - .offset:         94
        .size:           2
        .value_kind:     hidden_group_size_y
      - .offset:         96
        .size:           2
        .value_kind:     hidden_group_size_z
      - .offset:         98
        .size:           2
        .value_kind:     hidden_remainder_x
      - .offset:         100
        .size:           2
        .value_kind:     hidden_remainder_y
      - .offset:         102
        .size:           2
        .value_kind:     hidden_remainder_z
      - .offset:         120
        .size:           8
        .value_kind:     hidden_global_offset_x
      - .offset:         128
        .size:           8
        .value_kind:     hidden_global_offset_y
      - .offset:         136
        .size:           8
        .value_kind:     hidden_global_offset_z
      - .offset:         144
        .size:           2
        .value_kind:     hidden_grid_dims
      - .offset:         160
        .size:           8
        .value_kind:     hidden_hostcall_buffer
    .group_segment_fixed_size: 0
    .kernarg_segment_align: 8
    .kernarg_segment_size: 336
    .language:       OpenCL C
    .language_version:
      - 2
      - 0
    .max_flat_workgroup_size: 1024
    .name:           _Z17wvSplitKQ_hf_sml_I14__hip_bfloat16N3c1013Float8_e4m3fnELi32ELi2ELi16ELi16ELi1ELi3EEviiiiiiPKT0_S5_PKT_PS6_PKfSB_ii
    .private_segment_fixed_size: 64
    .sgpr_count:     36
    .sgpr_spill_count: 0
    .symbol:         _Z17wvSplitKQ_hf_sml_I14__hip_bfloat16N3c1013Float8_e4m3fnELi32ELi2ELi16ELi16ELi1ELi3EEviiiiiiPKT0_S5_PKT_PS6_PKfSB_ii.kd
    .uniform_work_group_size: 1
    .uses_dynamic_stack: false
    .vgpr_count:     50
    .vgpr_spill_count: 0
    .wavefront_size: 32
    .workgroup_processor_mode: 1
  - .args:
      - .offset:         0
        .size:           4
        .value_kind:     by_value
      - .offset:         4
        .size:           4
        .value_kind:     by_value
      - .offset:         8
        .size:           4
        .value_kind:     by_value
      - .offset:         12
        .size:           4
        .value_kind:     by_value
      - .offset:         16
        .size:           4
        .value_kind:     by_value
      - .offset:         20
        .size:           4
        .value_kind:     by_value
      - .address_space:  global
        .offset:         24
        .size:           8
        .value_kind:     global_buffer
      - .actual_access:  read_only
        .address_space:  global
        .offset:         32
        .size:           8
        .value_kind:     global_buffer
      - .actual_access:  read_only
        .address_space:  global
        .offset:         40
        .size:           8
        .value_kind:     global_buffer
      - .address_space:  global
        .offset:         48
        .size:           8
        .value_kind:     global_buffer
      - .actual_access:  read_only
        .address_space:  global
        .offset:         56
        .size:           8
        .value_kind:     global_buffer
      - .actual_access:  read_only
        .address_space:  global
        .offset:         64
        .size:           8
        .value_kind:     global_buffer
      - .offset:         72
        .size:           4
        .value_kind:     by_value
      - .offset:         76
        .size:           4
        .value_kind:     by_value
      - .offset:         80
        .size:           4
        .value_kind:     hidden_block_count_x
      - .offset:         84
        .size:           4
        .value_kind:     hidden_block_count_y
      - .offset:         88
        .size:           4
        .value_kind:     hidden_block_count_z
      - .offset:         92
        .size:           2
        .value_kind:     hidden_group_size_x
      - .offset:         94
        .size:           2
        .value_kind:     hidden_group_size_y
      - .offset:         96
        .size:           2
        .value_kind:     hidden_group_size_z
      - .offset:         98
        .size:           2
        .value_kind:     hidden_remainder_x
      - .offset:         100
        .size:           2
        .value_kind:     hidden_remainder_y
      - .offset:         102
        .size:           2
        .value_kind:     hidden_remainder_z
      - .offset:         120
        .size:           8
        .value_kind:     hidden_global_offset_x
      - .offset:         128
        .size:           8
        .value_kind:     hidden_global_offset_y
      - .offset:         136
        .size:           8
        .value_kind:     hidden_global_offset_z
      - .offset:         144
        .size:           2
        .value_kind:     hidden_grid_dims
      - .offset:         160
        .size:           8
        .value_kind:     hidden_hostcall_buffer
    .group_segment_fixed_size: 0
    .kernarg_segment_align: 8
    .kernarg_segment_size: 336
    .language:       OpenCL C
    .language_version:
      - 2
      - 0
    .max_flat_workgroup_size: 1024
    .name:           _Z13wvSplitKQ_hf_I14__hip_bfloat16N3c1013Float8_e4m3fnELi32ELi2ELi16ELi16ELi1ELi3EEviiiiiiPKT0_S5_PKT_PS6_PKfSB_ii
    .private_segment_fixed_size: 64
    .sgpr_count:     36
    .sgpr_spill_count: 0
    .symbol:         _Z13wvSplitKQ_hf_I14__hip_bfloat16N3c1013Float8_e4m3fnELi32ELi2ELi16ELi16ELi1ELi3EEviiiiiiPKT0_S5_PKT_PS6_PKfSB_ii.kd
    .uniform_work_group_size: 1
    .uses_dynamic_stack: false
    .vgpr_count:     50
    .vgpr_spill_count: 0
    .wavefront_size: 32
    .workgroup_processor_mode: 1
  - .args:
      - .offset:         0
        .size:           4
        .value_kind:     by_value
      - .offset:         4
        .size:           4
        .value_kind:     by_value
      - .offset:         8
        .size:           4
        .value_kind:     by_value
      - .offset:         12
        .size:           4
        .value_kind:     by_value
      - .offset:         16
        .size:           4
        .value_kind:     by_value
      - .offset:         20
        .size:           4
        .value_kind:     by_value
      - .address_space:  global
        .offset:         24
        .size:           8
        .value_kind:     global_buffer
      - .actual_access:  read_only
        .address_space:  global
        .offset:         32
        .size:           8
        .value_kind:     global_buffer
      - .actual_access:  read_only
        .address_space:  global
        .offset:         40
        .size:           8
        .value_kind:     global_buffer
      - .address_space:  global
        .offset:         48
        .size:           8
        .value_kind:     global_buffer
      - .actual_access:  read_only
        .address_space:  global
        .offset:         56
        .size:           8
        .value_kind:     global_buffer
      - .actual_access:  read_only
        .address_space:  global
        .offset:         64
        .size:           8
        .value_kind:     global_buffer
      - .offset:         72
        .size:           4
        .value_kind:     by_value
      - .offset:         76
        .size:           4
        .value_kind:     by_value
      - .offset:         80
        .size:           4
        .value_kind:     hidden_block_count_x
      - .offset:         84
        .size:           4
        .value_kind:     hidden_block_count_y
      - .offset:         88
        .size:           4
        .value_kind:     hidden_block_count_z
      - .offset:         92
        .size:           2
        .value_kind:     hidden_group_size_x
      - .offset:         94
        .size:           2
        .value_kind:     hidden_group_size_y
      - .offset:         96
        .size:           2
        .value_kind:     hidden_group_size_z
      - .offset:         98
        .size:           2
        .value_kind:     hidden_remainder_x
      - .offset:         100
        .size:           2
        .value_kind:     hidden_remainder_y
      - .offset:         102
        .size:           2
        .value_kind:     hidden_remainder_z
      - .offset:         120
        .size:           8
        .value_kind:     hidden_global_offset_x
      - .offset:         128
        .size:           8
        .value_kind:     hidden_global_offset_y
      - .offset:         136
        .size:           8
        .value_kind:     hidden_global_offset_z
      - .offset:         144
        .size:           2
        .value_kind:     hidden_grid_dims
      - .offset:         160
        .size:           8
        .value_kind:     hidden_hostcall_buffer
    .group_segment_fixed_size: 0
    .kernarg_segment_align: 8
    .kernarg_segment_size: 336
    .language:       OpenCL C
    .language_version:
      - 2
      - 0
    .max_flat_workgroup_size: 1024
    .name:           _Z17wvSplitKQ_hf_sml_I14__hip_bfloat16N3c1013Float8_e4m3fnELi64ELi2ELi16ELi16ELi1ELi3EEviiiiiiPKT0_S5_PKT_PS6_PKfSB_ii
    .private_segment_fixed_size: 64
    .sgpr_count:     36
    .sgpr_spill_count: 0
    .symbol:         _Z17wvSplitKQ_hf_sml_I14__hip_bfloat16N3c1013Float8_e4m3fnELi64ELi2ELi16ELi16ELi1ELi3EEviiiiiiPKT0_S5_PKT_PS6_PKfSB_ii.kd
    .uniform_work_group_size: 1
    .uses_dynamic_stack: false
    .vgpr_count:     50
    .vgpr_spill_count: 0
    .wavefront_size: 32
    .workgroup_processor_mode: 1
  - .args:
      - .offset:         0
        .size:           4
        .value_kind:     by_value
      - .offset:         4
        .size:           4
        .value_kind:     by_value
      - .offset:         8
        .size:           4
        .value_kind:     by_value
      - .offset:         12
        .size:           4
        .value_kind:     by_value
      - .offset:         16
        .size:           4
        .value_kind:     by_value
      - .offset:         20
        .size:           4
        .value_kind:     by_value
      - .address_space:  global
        .offset:         24
        .size:           8
        .value_kind:     global_buffer
      - .actual_access:  read_only
        .address_space:  global
        .offset:         32
        .size:           8
        .value_kind:     global_buffer
      - .actual_access:  read_only
        .address_space:  global
        .offset:         40
        .size:           8
        .value_kind:     global_buffer
      - .address_space:  global
        .offset:         48
        .size:           8
        .value_kind:     global_buffer
      - .actual_access:  read_only
        .address_space:  global
        .offset:         56
        .size:           8
        .value_kind:     global_buffer
      - .actual_access:  read_only
        .address_space:  global
        .offset:         64
        .size:           8
        .value_kind:     global_buffer
      - .offset:         72
        .size:           4
        .value_kind:     by_value
      - .offset:         76
        .size:           4
        .value_kind:     by_value
      - .offset:         80
        .size:           4
        .value_kind:     hidden_block_count_x
      - .offset:         84
        .size:           4
        .value_kind:     hidden_block_count_y
      - .offset:         88
        .size:           4
        .value_kind:     hidden_block_count_z
      - .offset:         92
        .size:           2
        .value_kind:     hidden_group_size_x
      - .offset:         94
        .size:           2
        .value_kind:     hidden_group_size_y
      - .offset:         96
        .size:           2
        .value_kind:     hidden_group_size_z
      - .offset:         98
        .size:           2
        .value_kind:     hidden_remainder_x
      - .offset:         100
        .size:           2
        .value_kind:     hidden_remainder_y
      - .offset:         102
        .size:           2
        .value_kind:     hidden_remainder_z
      - .offset:         120
        .size:           8
        .value_kind:     hidden_global_offset_x
      - .offset:         128
        .size:           8
        .value_kind:     hidden_global_offset_y
      - .offset:         136
        .size:           8
        .value_kind:     hidden_global_offset_z
      - .offset:         144
        .size:           2
        .value_kind:     hidden_grid_dims
      - .offset:         160
        .size:           8
        .value_kind:     hidden_hostcall_buffer
    .group_segment_fixed_size: 0
    .kernarg_segment_align: 8
    .kernarg_segment_size: 336
    .language:       OpenCL C
    .language_version:
      - 2
      - 0
    .max_flat_workgroup_size: 1024
    .name:           _Z13wvSplitKQ_hf_I14__hip_bfloat16N3c1013Float8_e4m3fnELi64ELi2ELi16ELi16ELi1ELi3EEviiiiiiPKT0_S5_PKT_PS6_PKfSB_ii
    .private_segment_fixed_size: 64
    .sgpr_count:     36
    .sgpr_spill_count: 0
    .symbol:         _Z13wvSplitKQ_hf_I14__hip_bfloat16N3c1013Float8_e4m3fnELi64ELi2ELi16ELi16ELi1ELi3EEviiiiiiPKT0_S5_PKT_PS6_PKfSB_ii.kd
    .uniform_work_group_size: 1
    .uses_dynamic_stack: false
    .vgpr_count:     50
    .vgpr_spill_count: 0
    .wavefront_size: 32
    .workgroup_processor_mode: 1
  - .args:
      - .offset:         0
        .size:           4
        .value_kind:     by_value
      - .offset:         4
        .size:           4
        .value_kind:     by_value
      - .offset:         8
        .size:           4
        .value_kind:     by_value
      - .offset:         12
        .size:           4
        .value_kind:     by_value
      - .offset:         16
        .size:           4
        .value_kind:     by_value
      - .offset:         20
        .size:           4
        .value_kind:     by_value
      - .address_space:  global
        .offset:         24
        .size:           8
        .value_kind:     global_buffer
      - .actual_access:  read_only
        .address_space:  global
        .offset:         32
        .size:           8
        .value_kind:     global_buffer
      - .actual_access:  read_only
        .address_space:  global
        .offset:         40
        .size:           8
        .value_kind:     global_buffer
      - .address_space:  global
        .offset:         48
        .size:           8
        .value_kind:     global_buffer
      - .actual_access:  read_only
        .address_space:  global
        .offset:         56
        .size:           8
        .value_kind:     global_buffer
      - .actual_access:  read_only
        .address_space:  global
        .offset:         64
        .size:           8
        .value_kind:     global_buffer
      - .offset:         72
        .size:           4
        .value_kind:     by_value
      - .offset:         76
        .size:           4
        .value_kind:     by_value
      - .offset:         80
        .size:           4
        .value_kind:     hidden_block_count_x
      - .offset:         84
        .size:           4
        .value_kind:     hidden_block_count_y
      - .offset:         88
        .size:           4
        .value_kind:     hidden_block_count_z
      - .offset:         92
        .size:           2
        .value_kind:     hidden_group_size_x
      - .offset:         94
        .size:           2
        .value_kind:     hidden_group_size_y
      - .offset:         96
        .size:           2
        .value_kind:     hidden_group_size_z
      - .offset:         98
        .size:           2
        .value_kind:     hidden_remainder_x
      - .offset:         100
        .size:           2
        .value_kind:     hidden_remainder_y
      - .offset:         102
        .size:           2
        .value_kind:     hidden_remainder_z
      - .offset:         120
        .size:           8
        .value_kind:     hidden_global_offset_x
      - .offset:         128
        .size:           8
        .value_kind:     hidden_global_offset_y
      - .offset:         136
        .size:           8
        .value_kind:     hidden_global_offset_z
      - .offset:         144
        .size:           2
        .value_kind:     hidden_grid_dims
      - .offset:         160
        .size:           8
        .value_kind:     hidden_hostcall_buffer
    .group_segment_fixed_size: 0
    .kernarg_segment_align: 8
    .kernarg_segment_size: 336
    .language:       OpenCL C
    .language_version:
      - 2
      - 0
    .max_flat_workgroup_size: 1024
    .name:           _Z17wvSplitKQ_hf_sml_I14__hip_bfloat16N3c1013Float8_e4m3fnELi32ELi2ELi16ELi16ELi1ELi4EEviiiiiiPKT0_S5_PKT_PS6_PKfSB_ii
    .private_segment_fixed_size: 64
    .sgpr_count:     36
    .sgpr_spill_count: 0
    .symbol:         _Z17wvSplitKQ_hf_sml_I14__hip_bfloat16N3c1013Float8_e4m3fnELi32ELi2ELi16ELi16ELi1ELi4EEviiiiiiPKT0_S5_PKT_PS6_PKfSB_ii.kd
    .uniform_work_group_size: 1
    .uses_dynamic_stack: false
    .vgpr_count:     50
    .vgpr_spill_count: 0
    .wavefront_size: 32
    .workgroup_processor_mode: 1
  - .args:
      - .offset:         0
        .size:           4
        .value_kind:     by_value
      - .offset:         4
        .size:           4
        .value_kind:     by_value
      - .offset:         8
        .size:           4
        .value_kind:     by_value
      - .offset:         12
        .size:           4
        .value_kind:     by_value
      - .offset:         16
        .size:           4
        .value_kind:     by_value
      - .offset:         20
        .size:           4
        .value_kind:     by_value
      - .address_space:  global
        .offset:         24
        .size:           8
        .value_kind:     global_buffer
      - .actual_access:  read_only
        .address_space:  global
        .offset:         32
        .size:           8
        .value_kind:     global_buffer
      - .actual_access:  read_only
        .address_space:  global
        .offset:         40
        .size:           8
        .value_kind:     global_buffer
      - .address_space:  global
        .offset:         48
        .size:           8
        .value_kind:     global_buffer
      - .actual_access:  read_only
        .address_space:  global
        .offset:         56
        .size:           8
        .value_kind:     global_buffer
      - .actual_access:  read_only
        .address_space:  global
        .offset:         64
        .size:           8
        .value_kind:     global_buffer
      - .offset:         72
        .size:           4
        .value_kind:     by_value
      - .offset:         76
        .size:           4
        .value_kind:     by_value
      - .offset:         80
        .size:           4
        .value_kind:     hidden_block_count_x
      - .offset:         84
        .size:           4
        .value_kind:     hidden_block_count_y
      - .offset:         88
        .size:           4
        .value_kind:     hidden_block_count_z
      - .offset:         92
        .size:           2
        .value_kind:     hidden_group_size_x
      - .offset:         94
        .size:           2
        .value_kind:     hidden_group_size_y
      - .offset:         96
        .size:           2
        .value_kind:     hidden_group_size_z
      - .offset:         98
        .size:           2
        .value_kind:     hidden_remainder_x
      - .offset:         100
        .size:           2
        .value_kind:     hidden_remainder_y
      - .offset:         102
        .size:           2
        .value_kind:     hidden_remainder_z
      - .offset:         120
        .size:           8
        .value_kind:     hidden_global_offset_x
      - .offset:         128
        .size:           8
        .value_kind:     hidden_global_offset_y
      - .offset:         136
        .size:           8
        .value_kind:     hidden_global_offset_z
      - .offset:         144
        .size:           2
        .value_kind:     hidden_grid_dims
      - .offset:         160
        .size:           8
        .value_kind:     hidden_hostcall_buffer
    .group_segment_fixed_size: 0
    .kernarg_segment_align: 8
    .kernarg_segment_size: 336
    .language:       OpenCL C
    .language_version:
      - 2
      - 0
    .max_flat_workgroup_size: 1024
    .name:           _Z13wvSplitKQ_hf_I14__hip_bfloat16N3c1013Float8_e4m3fnELi32ELi2ELi16ELi16ELi1ELi4EEviiiiiiPKT0_S5_PKT_PS6_PKfSB_ii
    .private_segment_fixed_size: 64
    .sgpr_count:     36
    .sgpr_spill_count: 0
    .symbol:         _Z13wvSplitKQ_hf_I14__hip_bfloat16N3c1013Float8_e4m3fnELi32ELi2ELi16ELi16ELi1ELi4EEviiiiiiPKT0_S5_PKT_PS6_PKfSB_ii.kd
    .uniform_work_group_size: 1
    .uses_dynamic_stack: false
    .vgpr_count:     50
    .vgpr_spill_count: 0
    .wavefront_size: 32
    .workgroup_processor_mode: 1
  - .args:
      - .offset:         0
        .size:           4
        .value_kind:     by_value
      - .offset:         4
        .size:           4
        .value_kind:     by_value
      - .offset:         8
        .size:           4
        .value_kind:     by_value
      - .offset:         12
        .size:           4
        .value_kind:     by_value
      - .offset:         16
        .size:           4
        .value_kind:     by_value
      - .offset:         20
        .size:           4
        .value_kind:     by_value
      - .address_space:  global
        .offset:         24
        .size:           8
        .value_kind:     global_buffer
      - .actual_access:  read_only
        .address_space:  global
        .offset:         32
        .size:           8
        .value_kind:     global_buffer
      - .actual_access:  read_only
        .address_space:  global
        .offset:         40
        .size:           8
        .value_kind:     global_buffer
      - .address_space:  global
        .offset:         48
        .size:           8
        .value_kind:     global_buffer
      - .actual_access:  read_only
        .address_space:  global
        .offset:         56
        .size:           8
        .value_kind:     global_buffer
      - .actual_access:  read_only
        .address_space:  global
        .offset:         64
        .size:           8
        .value_kind:     global_buffer
      - .offset:         72
        .size:           4
        .value_kind:     by_value
      - .offset:         76
        .size:           4
        .value_kind:     by_value
      - .offset:         80
        .size:           4
        .value_kind:     hidden_block_count_x
      - .offset:         84
        .size:           4
        .value_kind:     hidden_block_count_y
      - .offset:         88
        .size:           4
        .value_kind:     hidden_block_count_z
      - .offset:         92
        .size:           2
        .value_kind:     hidden_group_size_x
      - .offset:         94
        .size:           2
        .value_kind:     hidden_group_size_y
      - .offset:         96
        .size:           2
        .value_kind:     hidden_group_size_z
      - .offset:         98
        .size:           2
        .value_kind:     hidden_remainder_x
      - .offset:         100
        .size:           2
        .value_kind:     hidden_remainder_y
      - .offset:         102
        .size:           2
        .value_kind:     hidden_remainder_z
      - .offset:         120
        .size:           8
        .value_kind:     hidden_global_offset_x
      - .offset:         128
        .size:           8
        .value_kind:     hidden_global_offset_y
      - .offset:         136
        .size:           8
        .value_kind:     hidden_global_offset_z
      - .offset:         144
        .size:           2
        .value_kind:     hidden_grid_dims
      - .offset:         160
        .size:           8
        .value_kind:     hidden_hostcall_buffer
    .group_segment_fixed_size: 0
    .kernarg_segment_align: 8
    .kernarg_segment_size: 336
    .language:       OpenCL C
    .language_version:
      - 2
      - 0
    .max_flat_workgroup_size: 1024
    .name:           _Z17wvSplitKQ_hf_sml_I14__hip_bfloat16N3c1013Float8_e4m3fnELi64ELi2ELi16ELi16ELi1ELi4EEviiiiiiPKT0_S5_PKT_PS6_PKfSB_ii
    .private_segment_fixed_size: 64
    .sgpr_count:     36
    .sgpr_spill_count: 0
    .symbol:         _Z17wvSplitKQ_hf_sml_I14__hip_bfloat16N3c1013Float8_e4m3fnELi64ELi2ELi16ELi16ELi1ELi4EEviiiiiiPKT0_S5_PKT_PS6_PKfSB_ii.kd
    .uniform_work_group_size: 1
    .uses_dynamic_stack: false
    .vgpr_count:     50
    .vgpr_spill_count: 0
    .wavefront_size: 32
    .workgroup_processor_mode: 1
  - .args:
      - .offset:         0
        .size:           4
        .value_kind:     by_value
      - .offset:         4
        .size:           4
        .value_kind:     by_value
      - .offset:         8
        .size:           4
        .value_kind:     by_value
      - .offset:         12
        .size:           4
        .value_kind:     by_value
      - .offset:         16
        .size:           4
        .value_kind:     by_value
      - .offset:         20
        .size:           4
        .value_kind:     by_value
      - .address_space:  global
        .offset:         24
        .size:           8
        .value_kind:     global_buffer
      - .actual_access:  read_only
        .address_space:  global
        .offset:         32
        .size:           8
        .value_kind:     global_buffer
      - .actual_access:  read_only
        .address_space:  global
        .offset:         40
        .size:           8
        .value_kind:     global_buffer
      - .address_space:  global
        .offset:         48
        .size:           8
        .value_kind:     global_buffer
      - .actual_access:  read_only
        .address_space:  global
        .offset:         56
        .size:           8
        .value_kind:     global_buffer
      - .actual_access:  read_only
        .address_space:  global
        .offset:         64
        .size:           8
        .value_kind:     global_buffer
      - .offset:         72
        .size:           4
        .value_kind:     by_value
      - .offset:         76
        .size:           4
        .value_kind:     by_value
      - .offset:         80
        .size:           4
        .value_kind:     hidden_block_count_x
      - .offset:         84
        .size:           4
        .value_kind:     hidden_block_count_y
      - .offset:         88
        .size:           4
        .value_kind:     hidden_block_count_z
      - .offset:         92
        .size:           2
        .value_kind:     hidden_group_size_x
      - .offset:         94
        .size:           2
        .value_kind:     hidden_group_size_y
      - .offset:         96
        .size:           2
        .value_kind:     hidden_group_size_z
      - .offset:         98
        .size:           2
        .value_kind:     hidden_remainder_x
      - .offset:         100
        .size:           2
        .value_kind:     hidden_remainder_y
      - .offset:         102
        .size:           2
        .value_kind:     hidden_remainder_z
      - .offset:         120
        .size:           8
        .value_kind:     hidden_global_offset_x
      - .offset:         128
        .size:           8
        .value_kind:     hidden_global_offset_y
      - .offset:         136
        .size:           8
        .value_kind:     hidden_global_offset_z
      - .offset:         144
        .size:           2
        .value_kind:     hidden_grid_dims
      - .offset:         160
        .size:           8
        .value_kind:     hidden_hostcall_buffer
    .group_segment_fixed_size: 0
    .kernarg_segment_align: 8
    .kernarg_segment_size: 336
    .language:       OpenCL C
    .language_version:
      - 2
      - 0
    .max_flat_workgroup_size: 1024
    .name:           _Z13wvSplitKQ_hf_I14__hip_bfloat16N3c1013Float8_e4m3fnELi64ELi2ELi16ELi16ELi1ELi4EEviiiiiiPKT0_S5_PKT_PS6_PKfSB_ii
    .private_segment_fixed_size: 64
    .sgpr_count:     36
    .sgpr_spill_count: 0
    .symbol:         _Z13wvSplitKQ_hf_I14__hip_bfloat16N3c1013Float8_e4m3fnELi64ELi2ELi16ELi16ELi1ELi4EEviiiiiiPKT0_S5_PKT_PS6_PKfSB_ii.kd
    .uniform_work_group_size: 1
    .uses_dynamic_stack: false
    .vgpr_count:     50
    .vgpr_spill_count: 0
    .wavefront_size: 32
    .workgroup_processor_mode: 1
  - .args:
      - .offset:         0
        .size:           4
        .value_kind:     by_value
      - .offset:         4
        .size:           4
        .value_kind:     by_value
      - .offset:         8
        .size:           4
        .value_kind:     by_value
      - .offset:         12
        .size:           4
        .value_kind:     by_value
      - .offset:         16
        .size:           4
        .value_kind:     by_value
      - .offset:         20
        .size:           4
        .value_kind:     by_value
      - .address_space:  global
        .offset:         24
        .size:           8
        .value_kind:     global_buffer
      - .actual_access:  read_only
        .address_space:  global
        .offset:         32
        .size:           8
        .value_kind:     global_buffer
      - .actual_access:  read_only
        .address_space:  global
        .offset:         40
        .size:           8
        .value_kind:     global_buffer
      - .address_space:  global
        .offset:         48
        .size:           8
        .value_kind:     global_buffer
      - .actual_access:  read_only
        .address_space:  global
        .offset:         56
        .size:           8
        .value_kind:     global_buffer
      - .actual_access:  read_only
        .address_space:  global
        .offset:         64
        .size:           8
        .value_kind:     global_buffer
      - .offset:         72
        .size:           4
        .value_kind:     by_value
      - .offset:         76
        .size:           4
        .value_kind:     by_value
      - .offset:         80
        .size:           4
        .value_kind:     hidden_block_count_x
      - .offset:         84
        .size:           4
        .value_kind:     hidden_block_count_y
      - .offset:         88
        .size:           4
        .value_kind:     hidden_block_count_z
      - .offset:         92
        .size:           2
        .value_kind:     hidden_group_size_x
      - .offset:         94
        .size:           2
        .value_kind:     hidden_group_size_y
      - .offset:         96
        .size:           2
        .value_kind:     hidden_group_size_z
      - .offset:         98
        .size:           2
        .value_kind:     hidden_remainder_x
      - .offset:         100
        .size:           2
        .value_kind:     hidden_remainder_y
      - .offset:         102
        .size:           2
        .value_kind:     hidden_remainder_z
      - .offset:         120
        .size:           8
        .value_kind:     hidden_global_offset_x
      - .offset:         128
        .size:           8
        .value_kind:     hidden_global_offset_y
      - .offset:         136
        .size:           8
        .value_kind:     hidden_global_offset_z
      - .offset:         144
        .size:           2
        .value_kind:     hidden_grid_dims
      - .offset:         160
        .size:           8
        .value_kind:     hidden_hostcall_buffer
    .group_segment_fixed_size: 0
    .kernarg_segment_align: 8
    .kernarg_segment_size: 336
    .language:       OpenCL C
    .language_version:
      - 2
      - 0
    .max_flat_workgroup_size: 1024
    .name:           _Z17wvSplitKQ_hf_sml_I14__hip_bfloat16N3c1015Float8_e4m3fnuzELi32ELi2ELi16ELi16ELi2ELi1EEviiiiiiPKT0_S5_PKT_PS6_PKfSB_ii
    .private_segment_fixed_size: 64
    .sgpr_count:     36
    .sgpr_spill_count: 0
    .symbol:         _Z17wvSplitKQ_hf_sml_I14__hip_bfloat16N3c1015Float8_e4m3fnuzELi32ELi2ELi16ELi16ELi2ELi1EEviiiiiiPKT0_S5_PKT_PS6_PKfSB_ii.kd
    .uniform_work_group_size: 1
    .uses_dynamic_stack: false
    .vgpr_count:     50
    .vgpr_spill_count: 0
    .wavefront_size: 32
    .workgroup_processor_mode: 1
  - .args:
      - .offset:         0
        .size:           4
        .value_kind:     by_value
      - .offset:         4
        .size:           4
        .value_kind:     by_value
      - .offset:         8
        .size:           4
        .value_kind:     by_value
      - .offset:         12
        .size:           4
        .value_kind:     by_value
      - .offset:         16
        .size:           4
        .value_kind:     by_value
      - .offset:         20
        .size:           4
        .value_kind:     by_value
      - .address_space:  global
        .offset:         24
        .size:           8
        .value_kind:     global_buffer
      - .actual_access:  read_only
        .address_space:  global
        .offset:         32
        .size:           8
        .value_kind:     global_buffer
      - .actual_access:  read_only
        .address_space:  global
        .offset:         40
        .size:           8
        .value_kind:     global_buffer
      - .address_space:  global
        .offset:         48
        .size:           8
        .value_kind:     global_buffer
      - .actual_access:  read_only
        .address_space:  global
        .offset:         56
        .size:           8
        .value_kind:     global_buffer
      - .actual_access:  read_only
        .address_space:  global
        .offset:         64
        .size:           8
        .value_kind:     global_buffer
      - .offset:         72
        .size:           4
        .value_kind:     by_value
      - .offset:         76
        .size:           4
        .value_kind:     by_value
      - .offset:         80
        .size:           4
        .value_kind:     hidden_block_count_x
      - .offset:         84
        .size:           4
        .value_kind:     hidden_block_count_y
      - .offset:         88
        .size:           4
        .value_kind:     hidden_block_count_z
      - .offset:         92
        .size:           2
        .value_kind:     hidden_group_size_x
      - .offset:         94
        .size:           2
        .value_kind:     hidden_group_size_y
      - .offset:         96
        .size:           2
        .value_kind:     hidden_group_size_z
      - .offset:         98
        .size:           2
        .value_kind:     hidden_remainder_x
      - .offset:         100
        .size:           2
        .value_kind:     hidden_remainder_y
      - .offset:         102
        .size:           2
        .value_kind:     hidden_remainder_z
      - .offset:         120
        .size:           8
        .value_kind:     hidden_global_offset_x
      - .offset:         128
        .size:           8
        .value_kind:     hidden_global_offset_y
      - .offset:         136
        .size:           8
        .value_kind:     hidden_global_offset_z
      - .offset:         144
        .size:           2
        .value_kind:     hidden_grid_dims
      - .offset:         160
        .size:           8
        .value_kind:     hidden_hostcall_buffer
    .group_segment_fixed_size: 0
    .kernarg_segment_align: 8
    .kernarg_segment_size: 336
    .language:       OpenCL C
    .language_version:
      - 2
      - 0
    .max_flat_workgroup_size: 1024
    .name:           _Z13wvSplitKQ_hf_I14__hip_bfloat16N3c1015Float8_e4m3fnuzELi32ELi2ELi16ELi16ELi2ELi1EEviiiiiiPKT0_S5_PKT_PS6_PKfSB_ii
    .private_segment_fixed_size: 64
    .sgpr_count:     36
    .sgpr_spill_count: 0
    .symbol:         _Z13wvSplitKQ_hf_I14__hip_bfloat16N3c1015Float8_e4m3fnuzELi32ELi2ELi16ELi16ELi2ELi1EEviiiiiiPKT0_S5_PKT_PS6_PKfSB_ii.kd
    .uniform_work_group_size: 1
    .uses_dynamic_stack: false
    .vgpr_count:     50
    .vgpr_spill_count: 0
    .wavefront_size: 32
    .workgroup_processor_mode: 1
  - .args:
      - .offset:         0
        .size:           4
        .value_kind:     by_value
      - .offset:         4
        .size:           4
        .value_kind:     by_value
      - .offset:         8
        .size:           4
        .value_kind:     by_value
      - .offset:         12
        .size:           4
        .value_kind:     by_value
      - .offset:         16
        .size:           4
        .value_kind:     by_value
      - .offset:         20
        .size:           4
        .value_kind:     by_value
      - .address_space:  global
        .offset:         24
        .size:           8
        .value_kind:     global_buffer
      - .actual_access:  read_only
        .address_space:  global
        .offset:         32
        .size:           8
        .value_kind:     global_buffer
      - .actual_access:  read_only
        .address_space:  global
        .offset:         40
        .size:           8
        .value_kind:     global_buffer
      - .address_space:  global
        .offset:         48
        .size:           8
        .value_kind:     global_buffer
      - .actual_access:  read_only
        .address_space:  global
        .offset:         56
        .size:           8
        .value_kind:     global_buffer
      - .actual_access:  read_only
        .address_space:  global
        .offset:         64
        .size:           8
        .value_kind:     global_buffer
      - .offset:         72
        .size:           4
        .value_kind:     by_value
      - .offset:         76
        .size:           4
        .value_kind:     by_value
      - .offset:         80
        .size:           4
        .value_kind:     hidden_block_count_x
      - .offset:         84
        .size:           4
        .value_kind:     hidden_block_count_y
      - .offset:         88
        .size:           4
        .value_kind:     hidden_block_count_z
      - .offset:         92
        .size:           2
        .value_kind:     hidden_group_size_x
      - .offset:         94
        .size:           2
        .value_kind:     hidden_group_size_y
      - .offset:         96
        .size:           2
        .value_kind:     hidden_group_size_z
      - .offset:         98
        .size:           2
        .value_kind:     hidden_remainder_x
      - .offset:         100
        .size:           2
        .value_kind:     hidden_remainder_y
      - .offset:         102
        .size:           2
        .value_kind:     hidden_remainder_z
      - .offset:         120
        .size:           8
        .value_kind:     hidden_global_offset_x
      - .offset:         128
        .size:           8
        .value_kind:     hidden_global_offset_y
      - .offset:         136
        .size:           8
        .value_kind:     hidden_global_offset_z
      - .offset:         144
        .size:           2
        .value_kind:     hidden_grid_dims
      - .offset:         160
        .size:           8
        .value_kind:     hidden_hostcall_buffer
    .group_segment_fixed_size: 0
    .kernarg_segment_align: 8
    .kernarg_segment_size: 336
    .language:       OpenCL C
    .language_version:
      - 2
      - 0
    .max_flat_workgroup_size: 1024
    .name:           _Z17wvSplitKQ_hf_sml_I14__hip_bfloat16N3c1015Float8_e4m3fnuzELi64ELi2ELi16ELi16ELi2ELi1EEviiiiiiPKT0_S5_PKT_PS6_PKfSB_ii
    .private_segment_fixed_size: 64
    .sgpr_count:     36
    .sgpr_spill_count: 0
    .symbol:         _Z17wvSplitKQ_hf_sml_I14__hip_bfloat16N3c1015Float8_e4m3fnuzELi64ELi2ELi16ELi16ELi2ELi1EEviiiiiiPKT0_S5_PKT_PS6_PKfSB_ii.kd
    .uniform_work_group_size: 1
    .uses_dynamic_stack: false
    .vgpr_count:     50
    .vgpr_spill_count: 0
    .wavefront_size: 32
    .workgroup_processor_mode: 1
  - .args:
      - .offset:         0
        .size:           4
        .value_kind:     by_value
      - .offset:         4
        .size:           4
        .value_kind:     by_value
      - .offset:         8
        .size:           4
        .value_kind:     by_value
      - .offset:         12
        .size:           4
        .value_kind:     by_value
      - .offset:         16
        .size:           4
        .value_kind:     by_value
      - .offset:         20
        .size:           4
        .value_kind:     by_value
      - .address_space:  global
        .offset:         24
        .size:           8
        .value_kind:     global_buffer
      - .actual_access:  read_only
        .address_space:  global
        .offset:         32
        .size:           8
        .value_kind:     global_buffer
      - .actual_access:  read_only
        .address_space:  global
        .offset:         40
        .size:           8
        .value_kind:     global_buffer
      - .address_space:  global
        .offset:         48
        .size:           8
        .value_kind:     global_buffer
      - .actual_access:  read_only
        .address_space:  global
        .offset:         56
        .size:           8
        .value_kind:     global_buffer
      - .actual_access:  read_only
        .address_space:  global
        .offset:         64
        .size:           8
        .value_kind:     global_buffer
      - .offset:         72
        .size:           4
        .value_kind:     by_value
      - .offset:         76
        .size:           4
        .value_kind:     by_value
      - .offset:         80
        .size:           4
        .value_kind:     hidden_block_count_x
      - .offset:         84
        .size:           4
        .value_kind:     hidden_block_count_y
      - .offset:         88
        .size:           4
        .value_kind:     hidden_block_count_z
      - .offset:         92
        .size:           2
        .value_kind:     hidden_group_size_x
      - .offset:         94
        .size:           2
        .value_kind:     hidden_group_size_y
      - .offset:         96
        .size:           2
        .value_kind:     hidden_group_size_z
      - .offset:         98
        .size:           2
        .value_kind:     hidden_remainder_x
      - .offset:         100
        .size:           2
        .value_kind:     hidden_remainder_y
      - .offset:         102
        .size:           2
        .value_kind:     hidden_remainder_z
      - .offset:         120
        .size:           8
        .value_kind:     hidden_global_offset_x
      - .offset:         128
        .size:           8
        .value_kind:     hidden_global_offset_y
      - .offset:         136
        .size:           8
        .value_kind:     hidden_global_offset_z
      - .offset:         144
        .size:           2
        .value_kind:     hidden_grid_dims
      - .offset:         160
        .size:           8
        .value_kind:     hidden_hostcall_buffer
    .group_segment_fixed_size: 0
    .kernarg_segment_align: 8
    .kernarg_segment_size: 336
    .language:       OpenCL C
    .language_version:
      - 2
      - 0
    .max_flat_workgroup_size: 1024
    .name:           _Z13wvSplitKQ_hf_I14__hip_bfloat16N3c1015Float8_e4m3fnuzELi64ELi2ELi16ELi16ELi2ELi1EEviiiiiiPKT0_S5_PKT_PS6_PKfSB_ii
    .private_segment_fixed_size: 64
    .sgpr_count:     36
    .sgpr_spill_count: 0
    .symbol:         _Z13wvSplitKQ_hf_I14__hip_bfloat16N3c1015Float8_e4m3fnuzELi64ELi2ELi16ELi16ELi2ELi1EEviiiiiiPKT0_S5_PKT_PS6_PKfSB_ii.kd
    .uniform_work_group_size: 1
    .uses_dynamic_stack: false
    .vgpr_count:     50
    .vgpr_spill_count: 0
    .wavefront_size: 32
    .workgroup_processor_mode: 1
  - .args:
      - .offset:         0
        .size:           4
        .value_kind:     by_value
      - .offset:         4
        .size:           4
        .value_kind:     by_value
      - .offset:         8
        .size:           4
        .value_kind:     by_value
      - .offset:         12
        .size:           4
        .value_kind:     by_value
      - .offset:         16
        .size:           4
        .value_kind:     by_value
      - .offset:         20
        .size:           4
        .value_kind:     by_value
      - .address_space:  global
        .offset:         24
        .size:           8
        .value_kind:     global_buffer
      - .actual_access:  read_only
        .address_space:  global
        .offset:         32
        .size:           8
        .value_kind:     global_buffer
      - .actual_access:  read_only
        .address_space:  global
        .offset:         40
        .size:           8
        .value_kind:     global_buffer
      - .address_space:  global
        .offset:         48
        .size:           8
        .value_kind:     global_buffer
      - .actual_access:  read_only
        .address_space:  global
        .offset:         56
        .size:           8
        .value_kind:     global_buffer
      - .actual_access:  read_only
        .address_space:  global
        .offset:         64
        .size:           8
        .value_kind:     global_buffer
      - .offset:         72
        .size:           4
        .value_kind:     by_value
      - .offset:         76
        .size:           4
        .value_kind:     by_value
      - .offset:         80
        .size:           4
        .value_kind:     hidden_block_count_x
      - .offset:         84
        .size:           4
        .value_kind:     hidden_block_count_y
      - .offset:         88
        .size:           4
        .value_kind:     hidden_block_count_z
      - .offset:         92
        .size:           2
        .value_kind:     hidden_group_size_x
      - .offset:         94
        .size:           2
        .value_kind:     hidden_group_size_y
      - .offset:         96
        .size:           2
        .value_kind:     hidden_group_size_z
      - .offset:         98
        .size:           2
        .value_kind:     hidden_remainder_x
      - .offset:         100
        .size:           2
        .value_kind:     hidden_remainder_y
      - .offset:         102
        .size:           2
        .value_kind:     hidden_remainder_z
      - .offset:         120
        .size:           8
        .value_kind:     hidden_global_offset_x
      - .offset:         128
        .size:           8
        .value_kind:     hidden_global_offset_y
      - .offset:         136
        .size:           8
        .value_kind:     hidden_global_offset_z
      - .offset:         144
        .size:           2
        .value_kind:     hidden_grid_dims
      - .offset:         160
        .size:           8
        .value_kind:     hidden_hostcall_buffer
    .group_segment_fixed_size: 0
    .kernarg_segment_align: 8
    .kernarg_segment_size: 336
    .language:       OpenCL C
    .language_version:
      - 2
      - 0
    .max_flat_workgroup_size: 1024
    .name:           _Z17wvSplitKQ_hf_sml_I14__hip_bfloat16N3c1015Float8_e4m3fnuzELi32ELi2ELi16ELi16ELi2ELi2EEviiiiiiPKT0_S5_PKT_PS6_PKfSB_ii
    .private_segment_fixed_size: 64
    .sgpr_count:     36
    .sgpr_spill_count: 0
    .symbol:         _Z17wvSplitKQ_hf_sml_I14__hip_bfloat16N3c1015Float8_e4m3fnuzELi32ELi2ELi16ELi16ELi2ELi2EEviiiiiiPKT0_S5_PKT_PS6_PKfSB_ii.kd
    .uniform_work_group_size: 1
    .uses_dynamic_stack: false
    .vgpr_count:     50
    .vgpr_spill_count: 0
    .wavefront_size: 32
    .workgroup_processor_mode: 1
  - .args:
      - .offset:         0
        .size:           4
        .value_kind:     by_value
      - .offset:         4
        .size:           4
        .value_kind:     by_value
      - .offset:         8
        .size:           4
        .value_kind:     by_value
      - .offset:         12
        .size:           4
        .value_kind:     by_value
      - .offset:         16
        .size:           4
        .value_kind:     by_value
      - .offset:         20
        .size:           4
        .value_kind:     by_value
      - .address_space:  global
        .offset:         24
        .size:           8
        .value_kind:     global_buffer
      - .actual_access:  read_only
        .address_space:  global
        .offset:         32
        .size:           8
        .value_kind:     global_buffer
      - .actual_access:  read_only
        .address_space:  global
        .offset:         40
        .size:           8
        .value_kind:     global_buffer
      - .address_space:  global
        .offset:         48
        .size:           8
        .value_kind:     global_buffer
      - .actual_access:  read_only
        .address_space:  global
        .offset:         56
        .size:           8
        .value_kind:     global_buffer
      - .actual_access:  read_only
        .address_space:  global
        .offset:         64
        .size:           8
        .value_kind:     global_buffer
      - .offset:         72
        .size:           4
        .value_kind:     by_value
      - .offset:         76
        .size:           4
        .value_kind:     by_value
      - .offset:         80
        .size:           4
        .value_kind:     hidden_block_count_x
      - .offset:         84
        .size:           4
        .value_kind:     hidden_block_count_y
      - .offset:         88
        .size:           4
        .value_kind:     hidden_block_count_z
      - .offset:         92
        .size:           2
        .value_kind:     hidden_group_size_x
      - .offset:         94
        .size:           2
        .value_kind:     hidden_group_size_y
      - .offset:         96
        .size:           2
        .value_kind:     hidden_group_size_z
      - .offset:         98
        .size:           2
        .value_kind:     hidden_remainder_x
      - .offset:         100
        .size:           2
        .value_kind:     hidden_remainder_y
      - .offset:         102
        .size:           2
        .value_kind:     hidden_remainder_z
      - .offset:         120
        .size:           8
        .value_kind:     hidden_global_offset_x
      - .offset:         128
        .size:           8
        .value_kind:     hidden_global_offset_y
      - .offset:         136
        .size:           8
        .value_kind:     hidden_global_offset_z
      - .offset:         144
        .size:           2
        .value_kind:     hidden_grid_dims
      - .offset:         160
        .size:           8
        .value_kind:     hidden_hostcall_buffer
    .group_segment_fixed_size: 0
    .kernarg_segment_align: 8
    .kernarg_segment_size: 336
    .language:       OpenCL C
    .language_version:
      - 2
      - 0
    .max_flat_workgroup_size: 1024
    .name:           _Z13wvSplitKQ_hf_I14__hip_bfloat16N3c1015Float8_e4m3fnuzELi32ELi2ELi16ELi16ELi2ELi2EEviiiiiiPKT0_S5_PKT_PS6_PKfSB_ii
    .private_segment_fixed_size: 64
    .sgpr_count:     36
    .sgpr_spill_count: 0
    .symbol:         _Z13wvSplitKQ_hf_I14__hip_bfloat16N3c1015Float8_e4m3fnuzELi32ELi2ELi16ELi16ELi2ELi2EEviiiiiiPKT0_S5_PKT_PS6_PKfSB_ii.kd
    .uniform_work_group_size: 1
    .uses_dynamic_stack: false
    .vgpr_count:     50
    .vgpr_spill_count: 0
    .wavefront_size: 32
    .workgroup_processor_mode: 1
  - .args:
      - .offset:         0
        .size:           4
        .value_kind:     by_value
      - .offset:         4
        .size:           4
        .value_kind:     by_value
      - .offset:         8
        .size:           4
        .value_kind:     by_value
      - .offset:         12
        .size:           4
        .value_kind:     by_value
      - .offset:         16
        .size:           4
        .value_kind:     by_value
      - .offset:         20
        .size:           4
        .value_kind:     by_value
      - .address_space:  global
        .offset:         24
        .size:           8
        .value_kind:     global_buffer
      - .actual_access:  read_only
        .address_space:  global
        .offset:         32
        .size:           8
        .value_kind:     global_buffer
      - .actual_access:  read_only
        .address_space:  global
        .offset:         40
        .size:           8
        .value_kind:     global_buffer
      - .address_space:  global
        .offset:         48
        .size:           8
        .value_kind:     global_buffer
      - .actual_access:  read_only
        .address_space:  global
        .offset:         56
        .size:           8
        .value_kind:     global_buffer
      - .actual_access:  read_only
        .address_space:  global
        .offset:         64
        .size:           8
        .value_kind:     global_buffer
      - .offset:         72
        .size:           4
        .value_kind:     by_value
      - .offset:         76
        .size:           4
        .value_kind:     by_value
      - .offset:         80
        .size:           4
        .value_kind:     hidden_block_count_x
      - .offset:         84
        .size:           4
        .value_kind:     hidden_block_count_y
      - .offset:         88
        .size:           4
        .value_kind:     hidden_block_count_z
      - .offset:         92
        .size:           2
        .value_kind:     hidden_group_size_x
      - .offset:         94
        .size:           2
        .value_kind:     hidden_group_size_y
      - .offset:         96
        .size:           2
        .value_kind:     hidden_group_size_z
      - .offset:         98
        .size:           2
        .value_kind:     hidden_remainder_x
      - .offset:         100
        .size:           2
        .value_kind:     hidden_remainder_y
      - .offset:         102
        .size:           2
        .value_kind:     hidden_remainder_z
      - .offset:         120
        .size:           8
        .value_kind:     hidden_global_offset_x
      - .offset:         128
        .size:           8
        .value_kind:     hidden_global_offset_y
      - .offset:         136
        .size:           8
        .value_kind:     hidden_global_offset_z
      - .offset:         144
        .size:           2
        .value_kind:     hidden_grid_dims
      - .offset:         160
        .size:           8
        .value_kind:     hidden_hostcall_buffer
    .group_segment_fixed_size: 0
    .kernarg_segment_align: 8
    .kernarg_segment_size: 336
    .language:       OpenCL C
    .language_version:
      - 2
      - 0
    .max_flat_workgroup_size: 1024
    .name:           _Z17wvSplitKQ_hf_sml_I14__hip_bfloat16N3c1015Float8_e4m3fnuzELi64ELi2ELi16ELi16ELi2ELi2EEviiiiiiPKT0_S5_PKT_PS6_PKfSB_ii
    .private_segment_fixed_size: 64
    .sgpr_count:     36
    .sgpr_spill_count: 0
    .symbol:         _Z17wvSplitKQ_hf_sml_I14__hip_bfloat16N3c1015Float8_e4m3fnuzELi64ELi2ELi16ELi16ELi2ELi2EEviiiiiiPKT0_S5_PKT_PS6_PKfSB_ii.kd
    .uniform_work_group_size: 1
    .uses_dynamic_stack: false
    .vgpr_count:     50
    .vgpr_spill_count: 0
    .wavefront_size: 32
    .workgroup_processor_mode: 1
  - .args:
      - .offset:         0
        .size:           4
        .value_kind:     by_value
      - .offset:         4
        .size:           4
        .value_kind:     by_value
      - .offset:         8
        .size:           4
        .value_kind:     by_value
      - .offset:         12
        .size:           4
        .value_kind:     by_value
      - .offset:         16
        .size:           4
        .value_kind:     by_value
      - .offset:         20
        .size:           4
        .value_kind:     by_value
      - .address_space:  global
        .offset:         24
        .size:           8
        .value_kind:     global_buffer
      - .actual_access:  read_only
        .address_space:  global
        .offset:         32
        .size:           8
        .value_kind:     global_buffer
      - .actual_access:  read_only
        .address_space:  global
        .offset:         40
        .size:           8
        .value_kind:     global_buffer
      - .address_space:  global
        .offset:         48
        .size:           8
        .value_kind:     global_buffer
      - .actual_access:  read_only
        .address_space:  global
        .offset:         56
        .size:           8
        .value_kind:     global_buffer
      - .actual_access:  read_only
        .address_space:  global
        .offset:         64
        .size:           8
        .value_kind:     global_buffer
      - .offset:         72
        .size:           4
        .value_kind:     by_value
      - .offset:         76
        .size:           4
        .value_kind:     by_value
      - .offset:         80
        .size:           4
        .value_kind:     hidden_block_count_x
      - .offset:         84
        .size:           4
        .value_kind:     hidden_block_count_y
      - .offset:         88
        .size:           4
        .value_kind:     hidden_block_count_z
      - .offset:         92
        .size:           2
        .value_kind:     hidden_group_size_x
      - .offset:         94
        .size:           2
        .value_kind:     hidden_group_size_y
      - .offset:         96
        .size:           2
        .value_kind:     hidden_group_size_z
      - .offset:         98
        .size:           2
        .value_kind:     hidden_remainder_x
      - .offset:         100
        .size:           2
        .value_kind:     hidden_remainder_y
      - .offset:         102
        .size:           2
        .value_kind:     hidden_remainder_z
      - .offset:         120
        .size:           8
        .value_kind:     hidden_global_offset_x
      - .offset:         128
        .size:           8
        .value_kind:     hidden_global_offset_y
      - .offset:         136
        .size:           8
        .value_kind:     hidden_global_offset_z
      - .offset:         144
        .size:           2
        .value_kind:     hidden_grid_dims
      - .offset:         160
        .size:           8
        .value_kind:     hidden_hostcall_buffer
    .group_segment_fixed_size: 0
    .kernarg_segment_align: 8
    .kernarg_segment_size: 336
    .language:       OpenCL C
    .language_version:
      - 2
      - 0
    .max_flat_workgroup_size: 1024
    .name:           _Z13wvSplitKQ_hf_I14__hip_bfloat16N3c1015Float8_e4m3fnuzELi64ELi2ELi16ELi16ELi2ELi2EEviiiiiiPKT0_S5_PKT_PS6_PKfSB_ii
    .private_segment_fixed_size: 64
    .sgpr_count:     36
    .sgpr_spill_count: 0
    .symbol:         _Z13wvSplitKQ_hf_I14__hip_bfloat16N3c1015Float8_e4m3fnuzELi64ELi2ELi16ELi16ELi2ELi2EEviiiiiiPKT0_S5_PKT_PS6_PKfSB_ii.kd
    .uniform_work_group_size: 1
    .uses_dynamic_stack: false
    .vgpr_count:     50
    .vgpr_spill_count: 0
    .wavefront_size: 32
    .workgroup_processor_mode: 1
  - .args:
      - .offset:         0
        .size:           4
        .value_kind:     by_value
      - .offset:         4
        .size:           4
        .value_kind:     by_value
      - .offset:         8
        .size:           4
        .value_kind:     by_value
      - .offset:         12
        .size:           4
        .value_kind:     by_value
      - .offset:         16
        .size:           4
        .value_kind:     by_value
      - .offset:         20
        .size:           4
        .value_kind:     by_value
      - .address_space:  global
        .offset:         24
        .size:           8
        .value_kind:     global_buffer
      - .actual_access:  read_only
        .address_space:  global
        .offset:         32
        .size:           8
        .value_kind:     global_buffer
      - .actual_access:  read_only
        .address_space:  global
        .offset:         40
        .size:           8
        .value_kind:     global_buffer
      - .address_space:  global
        .offset:         48
        .size:           8
        .value_kind:     global_buffer
      - .actual_access:  read_only
        .address_space:  global
        .offset:         56
        .size:           8
        .value_kind:     global_buffer
      - .actual_access:  read_only
        .address_space:  global
        .offset:         64
        .size:           8
        .value_kind:     global_buffer
      - .offset:         72
        .size:           4
        .value_kind:     by_value
      - .offset:         76
        .size:           4
        .value_kind:     by_value
      - .offset:         80
        .size:           4
        .value_kind:     hidden_block_count_x
      - .offset:         84
        .size:           4
        .value_kind:     hidden_block_count_y
      - .offset:         88
        .size:           4
        .value_kind:     hidden_block_count_z
      - .offset:         92
        .size:           2
        .value_kind:     hidden_group_size_x
      - .offset:         94
        .size:           2
        .value_kind:     hidden_group_size_y
      - .offset:         96
        .size:           2
        .value_kind:     hidden_group_size_z
      - .offset:         98
        .size:           2
        .value_kind:     hidden_remainder_x
      - .offset:         100
        .size:           2
        .value_kind:     hidden_remainder_y
      - .offset:         102
        .size:           2
        .value_kind:     hidden_remainder_z
      - .offset:         120
        .size:           8
        .value_kind:     hidden_global_offset_x
      - .offset:         128
        .size:           8
        .value_kind:     hidden_global_offset_y
      - .offset:         136
        .size:           8
        .value_kind:     hidden_global_offset_z
      - .offset:         144
        .size:           2
        .value_kind:     hidden_grid_dims
      - .offset:         160
        .size:           8
        .value_kind:     hidden_hostcall_buffer
    .group_segment_fixed_size: 0
    .kernarg_segment_align: 8
    .kernarg_segment_size: 336
    .language:       OpenCL C
    .language_version:
      - 2
      - 0
    .max_flat_workgroup_size: 1024
    .name:           _Z17wvSplitKQ_hf_sml_I14__hip_bfloat16N3c1015Float8_e4m3fnuzELi32ELi2ELi16ELi16ELi1ELi3EEviiiiiiPKT0_S5_PKT_PS6_PKfSB_ii
    .private_segment_fixed_size: 64
    .sgpr_count:     36
    .sgpr_spill_count: 0
    .symbol:         _Z17wvSplitKQ_hf_sml_I14__hip_bfloat16N3c1015Float8_e4m3fnuzELi32ELi2ELi16ELi16ELi1ELi3EEviiiiiiPKT0_S5_PKT_PS6_PKfSB_ii.kd
    .uniform_work_group_size: 1
    .uses_dynamic_stack: false
    .vgpr_count:     50
    .vgpr_spill_count: 0
    .wavefront_size: 32
    .workgroup_processor_mode: 1
  - .args:
      - .offset:         0
        .size:           4
        .value_kind:     by_value
      - .offset:         4
        .size:           4
        .value_kind:     by_value
      - .offset:         8
        .size:           4
        .value_kind:     by_value
      - .offset:         12
        .size:           4
        .value_kind:     by_value
      - .offset:         16
        .size:           4
        .value_kind:     by_value
      - .offset:         20
        .size:           4
        .value_kind:     by_value
      - .address_space:  global
        .offset:         24
        .size:           8
        .value_kind:     global_buffer
      - .actual_access:  read_only
        .address_space:  global
        .offset:         32
        .size:           8
        .value_kind:     global_buffer
      - .actual_access:  read_only
        .address_space:  global
        .offset:         40
        .size:           8
        .value_kind:     global_buffer
      - .address_space:  global
        .offset:         48
        .size:           8
        .value_kind:     global_buffer
      - .actual_access:  read_only
        .address_space:  global
        .offset:         56
        .size:           8
        .value_kind:     global_buffer
      - .actual_access:  read_only
        .address_space:  global
        .offset:         64
        .size:           8
        .value_kind:     global_buffer
      - .offset:         72
        .size:           4
        .value_kind:     by_value
      - .offset:         76
        .size:           4
        .value_kind:     by_value
      - .offset:         80
        .size:           4
        .value_kind:     hidden_block_count_x
      - .offset:         84
        .size:           4
        .value_kind:     hidden_block_count_y
      - .offset:         88
        .size:           4
        .value_kind:     hidden_block_count_z
      - .offset:         92
        .size:           2
        .value_kind:     hidden_group_size_x
      - .offset:         94
        .size:           2
        .value_kind:     hidden_group_size_y
      - .offset:         96
        .size:           2
        .value_kind:     hidden_group_size_z
      - .offset:         98
        .size:           2
        .value_kind:     hidden_remainder_x
      - .offset:         100
        .size:           2
        .value_kind:     hidden_remainder_y
      - .offset:         102
        .size:           2
        .value_kind:     hidden_remainder_z
      - .offset:         120
        .size:           8
        .value_kind:     hidden_global_offset_x
      - .offset:         128
        .size:           8
        .value_kind:     hidden_global_offset_y
      - .offset:         136
        .size:           8
        .value_kind:     hidden_global_offset_z
      - .offset:         144
        .size:           2
        .value_kind:     hidden_grid_dims
      - .offset:         160
        .size:           8
        .value_kind:     hidden_hostcall_buffer
    .group_segment_fixed_size: 0
    .kernarg_segment_align: 8
    .kernarg_segment_size: 336
    .language:       OpenCL C
    .language_version:
      - 2
      - 0
    .max_flat_workgroup_size: 1024
    .name:           _Z13wvSplitKQ_hf_I14__hip_bfloat16N3c1015Float8_e4m3fnuzELi32ELi2ELi16ELi16ELi1ELi3EEviiiiiiPKT0_S5_PKT_PS6_PKfSB_ii
    .private_segment_fixed_size: 64
    .sgpr_count:     36
    .sgpr_spill_count: 0
    .symbol:         _Z13wvSplitKQ_hf_I14__hip_bfloat16N3c1015Float8_e4m3fnuzELi32ELi2ELi16ELi16ELi1ELi3EEviiiiiiPKT0_S5_PKT_PS6_PKfSB_ii.kd
    .uniform_work_group_size: 1
    .uses_dynamic_stack: false
    .vgpr_count:     50
    .vgpr_spill_count: 0
    .wavefront_size: 32
    .workgroup_processor_mode: 1
  - .args:
      - .offset:         0
        .size:           4
        .value_kind:     by_value
      - .offset:         4
        .size:           4
        .value_kind:     by_value
      - .offset:         8
        .size:           4
        .value_kind:     by_value
      - .offset:         12
        .size:           4
        .value_kind:     by_value
      - .offset:         16
        .size:           4
        .value_kind:     by_value
      - .offset:         20
        .size:           4
        .value_kind:     by_value
      - .address_space:  global
        .offset:         24
        .size:           8
        .value_kind:     global_buffer
      - .actual_access:  read_only
        .address_space:  global
        .offset:         32
        .size:           8
        .value_kind:     global_buffer
      - .actual_access:  read_only
        .address_space:  global
        .offset:         40
        .size:           8
        .value_kind:     global_buffer
      - .address_space:  global
        .offset:         48
        .size:           8
        .value_kind:     global_buffer
      - .actual_access:  read_only
        .address_space:  global
        .offset:         56
        .size:           8
        .value_kind:     global_buffer
      - .actual_access:  read_only
        .address_space:  global
        .offset:         64
        .size:           8
        .value_kind:     global_buffer
      - .offset:         72
        .size:           4
        .value_kind:     by_value
      - .offset:         76
        .size:           4
        .value_kind:     by_value
      - .offset:         80
        .size:           4
        .value_kind:     hidden_block_count_x
      - .offset:         84
        .size:           4
        .value_kind:     hidden_block_count_y
      - .offset:         88
        .size:           4
        .value_kind:     hidden_block_count_z
      - .offset:         92
        .size:           2
        .value_kind:     hidden_group_size_x
      - .offset:         94
        .size:           2
        .value_kind:     hidden_group_size_y
      - .offset:         96
        .size:           2
        .value_kind:     hidden_group_size_z
      - .offset:         98
        .size:           2
        .value_kind:     hidden_remainder_x
      - .offset:         100
        .size:           2
        .value_kind:     hidden_remainder_y
      - .offset:         102
        .size:           2
        .value_kind:     hidden_remainder_z
      - .offset:         120
        .size:           8
        .value_kind:     hidden_global_offset_x
      - .offset:         128
        .size:           8
        .value_kind:     hidden_global_offset_y
      - .offset:         136
        .size:           8
        .value_kind:     hidden_global_offset_z
      - .offset:         144
        .size:           2
        .value_kind:     hidden_grid_dims
      - .offset:         160
        .size:           8
        .value_kind:     hidden_hostcall_buffer
    .group_segment_fixed_size: 0
    .kernarg_segment_align: 8
    .kernarg_segment_size: 336
    .language:       OpenCL C
    .language_version:
      - 2
      - 0
    .max_flat_workgroup_size: 1024
    .name:           _Z17wvSplitKQ_hf_sml_I14__hip_bfloat16N3c1015Float8_e4m3fnuzELi64ELi2ELi16ELi16ELi1ELi3EEviiiiiiPKT0_S5_PKT_PS6_PKfSB_ii
    .private_segment_fixed_size: 64
    .sgpr_count:     36
    .sgpr_spill_count: 0
    .symbol:         _Z17wvSplitKQ_hf_sml_I14__hip_bfloat16N3c1015Float8_e4m3fnuzELi64ELi2ELi16ELi16ELi1ELi3EEviiiiiiPKT0_S5_PKT_PS6_PKfSB_ii.kd
    .uniform_work_group_size: 1
    .uses_dynamic_stack: false
    .vgpr_count:     50
    .vgpr_spill_count: 0
    .wavefront_size: 32
    .workgroup_processor_mode: 1
  - .args:
      - .offset:         0
        .size:           4
        .value_kind:     by_value
      - .offset:         4
        .size:           4
        .value_kind:     by_value
      - .offset:         8
        .size:           4
        .value_kind:     by_value
      - .offset:         12
        .size:           4
        .value_kind:     by_value
      - .offset:         16
        .size:           4
        .value_kind:     by_value
      - .offset:         20
        .size:           4
        .value_kind:     by_value
      - .address_space:  global
        .offset:         24
        .size:           8
        .value_kind:     global_buffer
      - .actual_access:  read_only
        .address_space:  global
        .offset:         32
        .size:           8
        .value_kind:     global_buffer
      - .actual_access:  read_only
        .address_space:  global
        .offset:         40
        .size:           8
        .value_kind:     global_buffer
      - .address_space:  global
        .offset:         48
        .size:           8
        .value_kind:     global_buffer
      - .actual_access:  read_only
        .address_space:  global
        .offset:         56
        .size:           8
        .value_kind:     global_buffer
      - .actual_access:  read_only
        .address_space:  global
        .offset:         64
        .size:           8
        .value_kind:     global_buffer
      - .offset:         72
        .size:           4
        .value_kind:     by_value
      - .offset:         76
        .size:           4
        .value_kind:     by_value
      - .offset:         80
        .size:           4
        .value_kind:     hidden_block_count_x
      - .offset:         84
        .size:           4
        .value_kind:     hidden_block_count_y
      - .offset:         88
        .size:           4
        .value_kind:     hidden_block_count_z
      - .offset:         92
        .size:           2
        .value_kind:     hidden_group_size_x
      - .offset:         94
        .size:           2
        .value_kind:     hidden_group_size_y
      - .offset:         96
        .size:           2
        .value_kind:     hidden_group_size_z
      - .offset:         98
        .size:           2
        .value_kind:     hidden_remainder_x
      - .offset:         100
        .size:           2
        .value_kind:     hidden_remainder_y
      - .offset:         102
        .size:           2
        .value_kind:     hidden_remainder_z
      - .offset:         120
        .size:           8
        .value_kind:     hidden_global_offset_x
      - .offset:         128
        .size:           8
        .value_kind:     hidden_global_offset_y
      - .offset:         136
        .size:           8
        .value_kind:     hidden_global_offset_z
      - .offset:         144
        .size:           2
        .value_kind:     hidden_grid_dims
      - .offset:         160
        .size:           8
        .value_kind:     hidden_hostcall_buffer
    .group_segment_fixed_size: 0
    .kernarg_segment_align: 8
    .kernarg_segment_size: 336
    .language:       OpenCL C
    .language_version:
      - 2
      - 0
    .max_flat_workgroup_size: 1024
    .name:           _Z13wvSplitKQ_hf_I14__hip_bfloat16N3c1015Float8_e4m3fnuzELi64ELi2ELi16ELi16ELi1ELi3EEviiiiiiPKT0_S5_PKT_PS6_PKfSB_ii
    .private_segment_fixed_size: 64
    .sgpr_count:     36
    .sgpr_spill_count: 0
    .symbol:         _Z13wvSplitKQ_hf_I14__hip_bfloat16N3c1015Float8_e4m3fnuzELi64ELi2ELi16ELi16ELi1ELi3EEviiiiiiPKT0_S5_PKT_PS6_PKfSB_ii.kd
    .uniform_work_group_size: 1
    .uses_dynamic_stack: false
    .vgpr_count:     50
    .vgpr_spill_count: 0
    .wavefront_size: 32
    .workgroup_processor_mode: 1
  - .args:
      - .offset:         0
        .size:           4
        .value_kind:     by_value
      - .offset:         4
        .size:           4
        .value_kind:     by_value
      - .offset:         8
        .size:           4
        .value_kind:     by_value
      - .offset:         12
        .size:           4
        .value_kind:     by_value
      - .offset:         16
        .size:           4
        .value_kind:     by_value
      - .offset:         20
        .size:           4
        .value_kind:     by_value
      - .address_space:  global
        .offset:         24
        .size:           8
        .value_kind:     global_buffer
      - .actual_access:  read_only
        .address_space:  global
        .offset:         32
        .size:           8
        .value_kind:     global_buffer
      - .actual_access:  read_only
        .address_space:  global
        .offset:         40
        .size:           8
        .value_kind:     global_buffer
      - .address_space:  global
        .offset:         48
        .size:           8
        .value_kind:     global_buffer
      - .actual_access:  read_only
        .address_space:  global
        .offset:         56
        .size:           8
        .value_kind:     global_buffer
      - .actual_access:  read_only
        .address_space:  global
        .offset:         64
        .size:           8
        .value_kind:     global_buffer
      - .offset:         72
        .size:           4
        .value_kind:     by_value
      - .offset:         76
        .size:           4
        .value_kind:     by_value
      - .offset:         80
        .size:           4
        .value_kind:     hidden_block_count_x
      - .offset:         84
        .size:           4
        .value_kind:     hidden_block_count_y
      - .offset:         88
        .size:           4
        .value_kind:     hidden_block_count_z
      - .offset:         92
        .size:           2
        .value_kind:     hidden_group_size_x
      - .offset:         94
        .size:           2
        .value_kind:     hidden_group_size_y
      - .offset:         96
        .size:           2
        .value_kind:     hidden_group_size_z
      - .offset:         98
        .size:           2
        .value_kind:     hidden_remainder_x
      - .offset:         100
        .size:           2
        .value_kind:     hidden_remainder_y
      - .offset:         102
        .size:           2
        .value_kind:     hidden_remainder_z
      - .offset:         120
        .size:           8
        .value_kind:     hidden_global_offset_x
      - .offset:         128
        .size:           8
        .value_kind:     hidden_global_offset_y
      - .offset:         136
        .size:           8
        .value_kind:     hidden_global_offset_z
      - .offset:         144
        .size:           2
        .value_kind:     hidden_grid_dims
      - .offset:         160
        .size:           8
        .value_kind:     hidden_hostcall_buffer
    .group_segment_fixed_size: 0
    .kernarg_segment_align: 8
    .kernarg_segment_size: 336
    .language:       OpenCL C
    .language_version:
      - 2
      - 0
    .max_flat_workgroup_size: 1024
    .name:           _Z17wvSplitKQ_hf_sml_I14__hip_bfloat16N3c1015Float8_e4m3fnuzELi32ELi2ELi16ELi16ELi1ELi4EEviiiiiiPKT0_S5_PKT_PS6_PKfSB_ii
    .private_segment_fixed_size: 64
    .sgpr_count:     36
    .sgpr_spill_count: 0
    .symbol:         _Z17wvSplitKQ_hf_sml_I14__hip_bfloat16N3c1015Float8_e4m3fnuzELi32ELi2ELi16ELi16ELi1ELi4EEviiiiiiPKT0_S5_PKT_PS6_PKfSB_ii.kd
    .uniform_work_group_size: 1
    .uses_dynamic_stack: false
    .vgpr_count:     50
    .vgpr_spill_count: 0
    .wavefront_size: 32
    .workgroup_processor_mode: 1
  - .args:
      - .offset:         0
        .size:           4
        .value_kind:     by_value
      - .offset:         4
        .size:           4
        .value_kind:     by_value
      - .offset:         8
        .size:           4
        .value_kind:     by_value
      - .offset:         12
        .size:           4
        .value_kind:     by_value
      - .offset:         16
        .size:           4
        .value_kind:     by_value
      - .offset:         20
        .size:           4
        .value_kind:     by_value
      - .address_space:  global
        .offset:         24
        .size:           8
        .value_kind:     global_buffer
      - .actual_access:  read_only
        .address_space:  global
        .offset:         32
        .size:           8
        .value_kind:     global_buffer
      - .actual_access:  read_only
        .address_space:  global
        .offset:         40
        .size:           8
        .value_kind:     global_buffer
      - .address_space:  global
        .offset:         48
        .size:           8
        .value_kind:     global_buffer
      - .actual_access:  read_only
        .address_space:  global
        .offset:         56
        .size:           8
        .value_kind:     global_buffer
      - .actual_access:  read_only
        .address_space:  global
        .offset:         64
        .size:           8
        .value_kind:     global_buffer
      - .offset:         72
        .size:           4
        .value_kind:     by_value
      - .offset:         76
        .size:           4
        .value_kind:     by_value
      - .offset:         80
        .size:           4
        .value_kind:     hidden_block_count_x
      - .offset:         84
        .size:           4
        .value_kind:     hidden_block_count_y
      - .offset:         88
        .size:           4
        .value_kind:     hidden_block_count_z
      - .offset:         92
        .size:           2
        .value_kind:     hidden_group_size_x
      - .offset:         94
        .size:           2
        .value_kind:     hidden_group_size_y
      - .offset:         96
        .size:           2
        .value_kind:     hidden_group_size_z
      - .offset:         98
        .size:           2
        .value_kind:     hidden_remainder_x
      - .offset:         100
        .size:           2
        .value_kind:     hidden_remainder_y
      - .offset:         102
        .size:           2
        .value_kind:     hidden_remainder_z
      - .offset:         120
        .size:           8
        .value_kind:     hidden_global_offset_x
      - .offset:         128
        .size:           8
        .value_kind:     hidden_global_offset_y
      - .offset:         136
        .size:           8
        .value_kind:     hidden_global_offset_z
      - .offset:         144
        .size:           2
        .value_kind:     hidden_grid_dims
      - .offset:         160
        .size:           8
        .value_kind:     hidden_hostcall_buffer
    .group_segment_fixed_size: 0
    .kernarg_segment_align: 8
    .kernarg_segment_size: 336
    .language:       OpenCL C
    .language_version:
      - 2
      - 0
    .max_flat_workgroup_size: 1024
    .name:           _Z13wvSplitKQ_hf_I14__hip_bfloat16N3c1015Float8_e4m3fnuzELi32ELi2ELi16ELi16ELi1ELi4EEviiiiiiPKT0_S5_PKT_PS6_PKfSB_ii
    .private_segment_fixed_size: 64
    .sgpr_count:     36
    .sgpr_spill_count: 0
    .symbol:         _Z13wvSplitKQ_hf_I14__hip_bfloat16N3c1015Float8_e4m3fnuzELi32ELi2ELi16ELi16ELi1ELi4EEviiiiiiPKT0_S5_PKT_PS6_PKfSB_ii.kd
    .uniform_work_group_size: 1
    .uses_dynamic_stack: false
    .vgpr_count:     50
    .vgpr_spill_count: 0
    .wavefront_size: 32
    .workgroup_processor_mode: 1
  - .args:
      - .offset:         0
        .size:           4
        .value_kind:     by_value
      - .offset:         4
        .size:           4
        .value_kind:     by_value
      - .offset:         8
        .size:           4
        .value_kind:     by_value
      - .offset:         12
        .size:           4
        .value_kind:     by_value
      - .offset:         16
        .size:           4
        .value_kind:     by_value
      - .offset:         20
        .size:           4
        .value_kind:     by_value
      - .address_space:  global
        .offset:         24
        .size:           8
        .value_kind:     global_buffer
      - .actual_access:  read_only
        .address_space:  global
        .offset:         32
        .size:           8
        .value_kind:     global_buffer
      - .actual_access:  read_only
        .address_space:  global
        .offset:         40
        .size:           8
        .value_kind:     global_buffer
      - .address_space:  global
        .offset:         48
        .size:           8
        .value_kind:     global_buffer
      - .actual_access:  read_only
        .address_space:  global
        .offset:         56
        .size:           8
        .value_kind:     global_buffer
      - .actual_access:  read_only
        .address_space:  global
        .offset:         64
        .size:           8
        .value_kind:     global_buffer
      - .offset:         72
        .size:           4
        .value_kind:     by_value
      - .offset:         76
        .size:           4
        .value_kind:     by_value
      - .offset:         80
        .size:           4
        .value_kind:     hidden_block_count_x
      - .offset:         84
        .size:           4
        .value_kind:     hidden_block_count_y
      - .offset:         88
        .size:           4
        .value_kind:     hidden_block_count_z
      - .offset:         92
        .size:           2
        .value_kind:     hidden_group_size_x
      - .offset:         94
        .size:           2
        .value_kind:     hidden_group_size_y
      - .offset:         96
        .size:           2
        .value_kind:     hidden_group_size_z
      - .offset:         98
        .size:           2
        .value_kind:     hidden_remainder_x
      - .offset:         100
        .size:           2
        .value_kind:     hidden_remainder_y
      - .offset:         102
        .size:           2
        .value_kind:     hidden_remainder_z
      - .offset:         120
        .size:           8
        .value_kind:     hidden_global_offset_x
      - .offset:         128
        .size:           8
        .value_kind:     hidden_global_offset_y
      - .offset:         136
        .size:           8
        .value_kind:     hidden_global_offset_z
      - .offset:         144
        .size:           2
        .value_kind:     hidden_grid_dims
      - .offset:         160
        .size:           8
        .value_kind:     hidden_hostcall_buffer
    .group_segment_fixed_size: 0
    .kernarg_segment_align: 8
    .kernarg_segment_size: 336
    .language:       OpenCL C
    .language_version:
      - 2
      - 0
    .max_flat_workgroup_size: 1024
    .name:           _Z17wvSplitKQ_hf_sml_I14__hip_bfloat16N3c1015Float8_e4m3fnuzELi64ELi2ELi16ELi16ELi1ELi4EEviiiiiiPKT0_S5_PKT_PS6_PKfSB_ii
    .private_segment_fixed_size: 64
    .sgpr_count:     36
    .sgpr_spill_count: 0
    .symbol:         _Z17wvSplitKQ_hf_sml_I14__hip_bfloat16N3c1015Float8_e4m3fnuzELi64ELi2ELi16ELi16ELi1ELi4EEviiiiiiPKT0_S5_PKT_PS6_PKfSB_ii.kd
    .uniform_work_group_size: 1
    .uses_dynamic_stack: false
    .vgpr_count:     50
    .vgpr_spill_count: 0
    .wavefront_size: 32
    .workgroup_processor_mode: 1
  - .args:
      - .offset:         0
        .size:           4
        .value_kind:     by_value
      - .offset:         4
        .size:           4
        .value_kind:     by_value
      - .offset:         8
        .size:           4
        .value_kind:     by_value
      - .offset:         12
        .size:           4
        .value_kind:     by_value
      - .offset:         16
        .size:           4
        .value_kind:     by_value
      - .offset:         20
        .size:           4
        .value_kind:     by_value
      - .address_space:  global
        .offset:         24
        .size:           8
        .value_kind:     global_buffer
      - .actual_access:  read_only
        .address_space:  global
        .offset:         32
        .size:           8
        .value_kind:     global_buffer
      - .actual_access:  read_only
        .address_space:  global
        .offset:         40
        .size:           8
        .value_kind:     global_buffer
      - .address_space:  global
        .offset:         48
        .size:           8
        .value_kind:     global_buffer
      - .actual_access:  read_only
        .address_space:  global
        .offset:         56
        .size:           8
        .value_kind:     global_buffer
      - .actual_access:  read_only
        .address_space:  global
        .offset:         64
        .size:           8
        .value_kind:     global_buffer
      - .offset:         72
        .size:           4
        .value_kind:     by_value
      - .offset:         76
        .size:           4
        .value_kind:     by_value
      - .offset:         80
        .size:           4
        .value_kind:     hidden_block_count_x
      - .offset:         84
        .size:           4
        .value_kind:     hidden_block_count_y
      - .offset:         88
        .size:           4
        .value_kind:     hidden_block_count_z
      - .offset:         92
        .size:           2
        .value_kind:     hidden_group_size_x
      - .offset:         94
        .size:           2
        .value_kind:     hidden_group_size_y
      - .offset:         96
        .size:           2
        .value_kind:     hidden_group_size_z
      - .offset:         98
        .size:           2
        .value_kind:     hidden_remainder_x
      - .offset:         100
        .size:           2
        .value_kind:     hidden_remainder_y
      - .offset:         102
        .size:           2
        .value_kind:     hidden_remainder_z
      - .offset:         120
        .size:           8
        .value_kind:     hidden_global_offset_x
      - .offset:         128
        .size:           8
        .value_kind:     hidden_global_offset_y
      - .offset:         136
        .size:           8
        .value_kind:     hidden_global_offset_z
      - .offset:         144
        .size:           2
        .value_kind:     hidden_grid_dims
      - .offset:         160
        .size:           8
        .value_kind:     hidden_hostcall_buffer
    .group_segment_fixed_size: 0
    .kernarg_segment_align: 8
    .kernarg_segment_size: 336
    .language:       OpenCL C
    .language_version:
      - 2
      - 0
    .max_flat_workgroup_size: 1024
    .name:           _Z13wvSplitKQ_hf_I14__hip_bfloat16N3c1015Float8_e4m3fnuzELi64ELi2ELi16ELi16ELi1ELi4EEviiiiiiPKT0_S5_PKT_PS6_PKfSB_ii
    .private_segment_fixed_size: 64
    .sgpr_count:     36
    .sgpr_spill_count: 0
    .symbol:         _Z13wvSplitKQ_hf_I14__hip_bfloat16N3c1015Float8_e4m3fnuzELi64ELi2ELi16ELi16ELi1ELi4EEviiiiiiPKT0_S5_PKT_PS6_PKfSB_ii.kd
    .uniform_work_group_size: 1
    .uses_dynamic_stack: false
    .vgpr_count:     50
    .vgpr_spill_count: 0
    .wavefront_size: 32
    .workgroup_processor_mode: 1
amdhsa.target:   amdgcn-amd-amdhsa--gfx1100
amdhsa.version:
  - 1
  - 2
...

	.end_amdgpu_metadata
